;; amdgpu-corpus repo=ROCm/rccl kind=compiled arch=gfx950 opt=O3
	.amdgcn_target "amdgcn-amd-amdhsa--gfx950"
	.amdhsa_code_object_version 6
	.text
	.p2align	2                               ; -- Begin function __ockl_fprintf_append_string_n
	.type	__ockl_fprintf_append_string_n,@function
__ockl_fprintf_append_string_n:         ; @__ockl_fprintf_append_string_n
; %bb.0:
	s_waitcnt vmcnt(0) expcnt(0) lgkmcnt(0)
	v_or_b32_e32 v2, 2, v0
	v_cmp_eq_u32_e32 vcc, 0, v6
	s_getpc_b64 s[0:1]
	s_add_u32 s0, s0, .str.3@rel32@lo+4
	s_addc_u32 s1, s1, .str.3@rel32@hi+12
	s_mov_b32 s16, 0
	v_cndmask_b32_e32 v3, v2, v0, vcc
	s_mov_b64 s[2:3], 0
	s_cmp_lg_u64 s[0:1], 0
	v_mbcnt_lo_u32_b32 v33, -1, 0
	s_cbranch_scc0 .LBB0_112
; %bb.1:
	s_load_dwordx2 s[4:5], s[8:9], 0x50
	v_and_b32_e32 v0, -3, v3
	s_getpc_b64 s[0:1]
	s_add_u32 s0, s0, .str.3@rel32@lo+4
	s_addc_u32 s1, s1, .str.3@rel32@hi+12
	v_and_b32_e32 v2, 2, v3
	v_mov_b32_e32 v31, 0
	v_mbcnt_hi_u32_b32 v32, -1, v33
	v_mov_b64_e32 v[34:35], s[0:1]
	s_movk_i32 s17, 0x1e0
	v_mov_b32_e32 v8, 2
	v_mov_b32_e32 v9, 1
	v_mov_b64_e32 v[10:11], v[0:1]
	s_branch .LBB0_3
.LBB0_2:                                ;   in Loop: Header=BB0_3 Depth=1
	s_or_b64 exec, exec, s[10:11]
	v_sub_co_u32_e32 v4, vcc, v4, v36
	v_lshl_add_u64 v[34:35], v[34:35], 0, v[36:37]
	s_nop 0
	v_subb_co_u32_e32 v5, vcc, v5, v37, vcc
	v_cmp_eq_u64_e32 vcc, 0, v[4:5]
	s_or_b64 s[2:3], vcc, s[2:3]
	s_andn2_b64 exec, exec, s[2:3]
	s_cbranch_execz .LBB0_85
.LBB0_3:                                ; =>This Loop Header: Depth=1
                                        ;     Child Loop BB0_6 Depth 2
                                        ;     Child Loop BB0_14 Depth 2
	;; [unrolled: 1-line block ×11, first 2 shown]
	v_cmp_gt_u64_e32 vcc, 56, v[4:5]
	v_lshl_add_u64 v[16:17], v[34:35], 0, 8
	s_nop 0
	v_cndmask_b32_e32 v37, 0, v5, vcc
	v_cndmask_b32_e32 v36, 56, v4, vcc
	v_cmp_gt_u64_e32 vcc, 8, v[4:5]
	s_and_saveexec_b64 s[0:1], vcc
	s_xor_b64 s[0:1], exec, s[0:1]
	s_cbranch_execz .LBB0_9
; %bb.4:                                ;   in Loop: Header=BB0_3 Depth=1
	s_waitcnt vmcnt(0)
	v_mov_b64_e32 v[12:13], 0
	v_cmp_ne_u64_e32 vcc, 0, v[4:5]
	s_and_saveexec_b64 s[6:7], vcc
	s_cbranch_execz .LBB0_8
; %bb.5:                                ;   in Loop: Header=BB0_3 Depth=1
	v_lshlrev_b64 v[6:7], 3, v[36:37]
	s_mov_b64 s[10:11], 0
	v_mov_b64_e32 v[12:13], 0
	v_mov_b64_e32 v[14:15], v[34:35]
	s_mov_b64 s[12:13], 0
.LBB0_6:                                ;   Parent Loop BB0_3 Depth=1
                                        ; =>  This Inner Loop Header: Depth=2
	global_load_ubyte v0, v[14:15], off
	v_mov_b32_e32 v17, s16
	v_lshl_add_u64 v[14:15], v[14:15], 0, 1
	s_waitcnt vmcnt(0)
	v_and_b32_e32 v16, 0xffff, v0
	v_lshlrev_b64 v[16:17], s12, v[16:17]
	s_add_u32 s12, s12, 8
	s_addc_u32 s13, s13, 0
	v_cmp_eq_u32_e32 vcc, s12, v6
	v_or_b32_e32 v13, v17, v13
	s_or_b64 s[10:11], vcc, s[10:11]
	v_or_b32_e32 v12, v16, v12
	s_andn2_b64 exec, exec, s[10:11]
	s_cbranch_execnz .LBB0_6
; %bb.7:                                ;   in Loop: Header=BB0_3 Depth=1
	s_or_b64 exec, exec, s[10:11]
.LBB0_8:                                ;   in Loop: Header=BB0_3 Depth=1
	s_or_b64 exec, exec, s[6:7]
	v_mov_b64_e32 v[16:17], v[34:35]
.LBB0_9:                                ;   in Loop: Header=BB0_3 Depth=1
	s_or_saveexec_b64 s[0:1], s[0:1]
	v_mov_b32_e32 v0, 0
	s_xor_b64 exec, exec, s[0:1]
	s_cbranch_execz .LBB0_11
; %bb.10:                               ;   in Loop: Header=BB0_3 Depth=1
	global_load_dwordx2 v[12:13], v[34:35], off
	v_add_u32_e32 v0, -8, v36
.LBB0_11:                               ;   in Loop: Header=BB0_3 Depth=1
	s_or_b64 exec, exec, s[0:1]
	v_cmp_gt_u32_e32 vcc, 8, v0
	v_lshl_add_u64 v[6:7], v[16:17], 0, 8
                                        ; implicit-def: $vgpr14_vgpr15
	s_and_saveexec_b64 s[0:1], vcc
	s_xor_b64 s[0:1], exec, s[0:1]
	s_cbranch_execz .LBB0_17
; %bb.12:                               ;   in Loop: Header=BB0_3 Depth=1
	v_cmp_ne_u32_e32 vcc, 0, v0
	v_mov_b64_e32 v[14:15], 0
	s_and_saveexec_b64 s[6:7], vcc
	s_cbranch_execz .LBB0_16
; %bb.13:                               ;   in Loop: Header=BB0_3 Depth=1
	s_mov_b64 s[10:11], 0
	v_mov_b64_e32 v[14:15], 0
	s_mov_b64 s[12:13], 0
	s_mov_b64 s[14:15], 0
.LBB0_14:                               ;   Parent Loop BB0_3 Depth=1
                                        ; =>  This Inner Loop Header: Depth=2
	v_lshl_add_u64 v[6:7], v[16:17], 0, s[14:15]
	global_load_ubyte v6, v[6:7], off
	s_add_u32 s14, s14, 1
	v_mov_b32_e32 v7, s16
	s_addc_u32 s15, s15, 0
	v_cmp_eq_u32_e32 vcc, s14, v0
	s_waitcnt vmcnt(0)
	v_and_b32_e32 v6, 0xffff, v6
	v_lshlrev_b64 v[6:7], s12, v[6:7]
	s_add_u32 s12, s12, 8
	s_addc_u32 s13, s13, 0
	v_or_b32_e32 v15, v7, v15
	s_or_b64 s[10:11], vcc, s[10:11]
	v_or_b32_e32 v14, v6, v14
	s_andn2_b64 exec, exec, s[10:11]
	s_cbranch_execnz .LBB0_14
; %bb.15:                               ;   in Loop: Header=BB0_3 Depth=1
	s_or_b64 exec, exec, s[10:11]
.LBB0_16:                               ;   in Loop: Header=BB0_3 Depth=1
	s_or_b64 exec, exec, s[6:7]
	v_mov_b64_e32 v[6:7], v[16:17]
                                        ; implicit-def: $vgpr0
.LBB0_17:                               ;   in Loop: Header=BB0_3 Depth=1
	s_or_saveexec_b64 s[0:1], s[0:1]
	v_mov_b32_e32 v18, 0
	s_xor_b64 exec, exec, s[0:1]
	s_cbranch_execz .LBB0_19
; %bb.18:                               ;   in Loop: Header=BB0_3 Depth=1
	global_load_dwordx2 v[14:15], v[16:17], off
	v_add_u32_e32 v18, -8, v0
.LBB0_19:                               ;   in Loop: Header=BB0_3 Depth=1
	s_or_b64 exec, exec, s[0:1]
	v_cmp_gt_u32_e32 vcc, 8, v18
	v_lshl_add_u64 v[20:21], v[6:7], 0, 8
	s_and_saveexec_b64 s[0:1], vcc
	s_xor_b64 s[0:1], exec, s[0:1]
	s_cbranch_execz .LBB0_25
; %bb.20:                               ;   in Loop: Header=BB0_3 Depth=1
	v_cmp_ne_u32_e32 vcc, 0, v18
	v_mov_b64_e32 v[16:17], 0
	s_and_saveexec_b64 s[6:7], vcc
	s_cbranch_execz .LBB0_24
; %bb.21:                               ;   in Loop: Header=BB0_3 Depth=1
	s_mov_b64 s[10:11], 0
	v_mov_b64_e32 v[16:17], 0
	s_mov_b64 s[12:13], 0
	s_mov_b64 s[14:15], 0
.LBB0_22:                               ;   Parent Loop BB0_3 Depth=1
                                        ; =>  This Inner Loop Header: Depth=2
	v_lshl_add_u64 v[20:21], v[6:7], 0, s[14:15]
	global_load_ubyte v0, v[20:21], off
	s_add_u32 s14, s14, 1
	v_mov_b32_e32 v21, s16
	s_addc_u32 s15, s15, 0
	v_cmp_eq_u32_e32 vcc, s14, v18
	s_waitcnt vmcnt(0)
	v_and_b32_e32 v20, 0xffff, v0
	v_lshlrev_b64 v[20:21], s12, v[20:21]
	s_add_u32 s12, s12, 8
	s_addc_u32 s13, s13, 0
	v_or_b32_e32 v17, v21, v17
	s_or_b64 s[10:11], vcc, s[10:11]
	v_or_b32_e32 v16, v20, v16
	s_andn2_b64 exec, exec, s[10:11]
	s_cbranch_execnz .LBB0_22
; %bb.23:                               ;   in Loop: Header=BB0_3 Depth=1
	s_or_b64 exec, exec, s[10:11]
.LBB0_24:                               ;   in Loop: Header=BB0_3 Depth=1
	s_or_b64 exec, exec, s[6:7]
	v_mov_b64_e32 v[20:21], v[6:7]
                                        ; implicit-def: $vgpr18
.LBB0_25:                               ;   in Loop: Header=BB0_3 Depth=1
	s_or_saveexec_b64 s[0:1], s[0:1]
	v_mov_b32_e32 v0, 0
	s_xor_b64 exec, exec, s[0:1]
	s_cbranch_execz .LBB0_27
; %bb.26:                               ;   in Loop: Header=BB0_3 Depth=1
	global_load_dwordx2 v[16:17], v[6:7], off
	v_add_u32_e32 v0, -8, v18
.LBB0_27:                               ;   in Loop: Header=BB0_3 Depth=1
	s_or_b64 exec, exec, s[0:1]
	v_cmp_gt_u32_e32 vcc, 8, v0
	v_lshl_add_u64 v[6:7], v[20:21], 0, 8
                                        ; implicit-def: $vgpr18_vgpr19
	s_and_saveexec_b64 s[0:1], vcc
	s_xor_b64 s[0:1], exec, s[0:1]
	s_cbranch_execz .LBB0_33
; %bb.28:                               ;   in Loop: Header=BB0_3 Depth=1
	v_cmp_ne_u32_e32 vcc, 0, v0
	v_mov_b64_e32 v[18:19], 0
	s_and_saveexec_b64 s[6:7], vcc
	s_cbranch_execz .LBB0_32
; %bb.29:                               ;   in Loop: Header=BB0_3 Depth=1
	s_mov_b64 s[10:11], 0
	v_mov_b64_e32 v[18:19], 0
	s_mov_b64 s[12:13], 0
	s_mov_b64 s[14:15], 0
.LBB0_30:                               ;   Parent Loop BB0_3 Depth=1
                                        ; =>  This Inner Loop Header: Depth=2
	v_lshl_add_u64 v[6:7], v[20:21], 0, s[14:15]
	global_load_ubyte v6, v[6:7], off
	s_add_u32 s14, s14, 1
	v_mov_b32_e32 v7, s16
	s_addc_u32 s15, s15, 0
	v_cmp_eq_u32_e32 vcc, s14, v0
	s_waitcnt vmcnt(0)
	v_and_b32_e32 v6, 0xffff, v6
	v_lshlrev_b64 v[6:7], s12, v[6:7]
	s_add_u32 s12, s12, 8
	s_addc_u32 s13, s13, 0
	v_or_b32_e32 v19, v7, v19
	s_or_b64 s[10:11], vcc, s[10:11]
	v_or_b32_e32 v18, v6, v18
	s_andn2_b64 exec, exec, s[10:11]
	s_cbranch_execnz .LBB0_30
; %bb.31:                               ;   in Loop: Header=BB0_3 Depth=1
	s_or_b64 exec, exec, s[10:11]
.LBB0_32:                               ;   in Loop: Header=BB0_3 Depth=1
	s_or_b64 exec, exec, s[6:7]
	v_mov_b64_e32 v[6:7], v[20:21]
                                        ; implicit-def: $vgpr0
.LBB0_33:                               ;   in Loop: Header=BB0_3 Depth=1
	s_or_saveexec_b64 s[0:1], s[0:1]
	v_mov_b32_e32 v22, 0
	s_xor_b64 exec, exec, s[0:1]
	s_cbranch_execz .LBB0_35
; %bb.34:                               ;   in Loop: Header=BB0_3 Depth=1
	global_load_dwordx2 v[18:19], v[20:21], off
	v_add_u32_e32 v22, -8, v0
.LBB0_35:                               ;   in Loop: Header=BB0_3 Depth=1
	s_or_b64 exec, exec, s[0:1]
	v_cmp_gt_u32_e32 vcc, 8, v22
	v_lshl_add_u64 v[24:25], v[6:7], 0, 8
	s_and_saveexec_b64 s[0:1], vcc
	s_xor_b64 s[0:1], exec, s[0:1]
	s_cbranch_execz .LBB0_41
; %bb.36:                               ;   in Loop: Header=BB0_3 Depth=1
	v_cmp_ne_u32_e32 vcc, 0, v22
	v_mov_b64_e32 v[20:21], 0
	s_and_saveexec_b64 s[6:7], vcc
	s_cbranch_execz .LBB0_40
; %bb.37:                               ;   in Loop: Header=BB0_3 Depth=1
	s_mov_b64 s[10:11], 0
	v_mov_b64_e32 v[20:21], 0
	s_mov_b64 s[12:13], 0
	s_mov_b64 s[14:15], 0
.LBB0_38:                               ;   Parent Loop BB0_3 Depth=1
                                        ; =>  This Inner Loop Header: Depth=2
	v_lshl_add_u64 v[24:25], v[6:7], 0, s[14:15]
	global_load_ubyte v0, v[24:25], off
	s_add_u32 s14, s14, 1
	v_mov_b32_e32 v25, s16
	s_addc_u32 s15, s15, 0
	v_cmp_eq_u32_e32 vcc, s14, v22
	s_waitcnt vmcnt(0)
	v_and_b32_e32 v24, 0xffff, v0
	v_lshlrev_b64 v[24:25], s12, v[24:25]
	s_add_u32 s12, s12, 8
	s_addc_u32 s13, s13, 0
	v_or_b32_e32 v21, v25, v21
	s_or_b64 s[10:11], vcc, s[10:11]
	v_or_b32_e32 v20, v24, v20
	s_andn2_b64 exec, exec, s[10:11]
	s_cbranch_execnz .LBB0_38
; %bb.39:                               ;   in Loop: Header=BB0_3 Depth=1
	s_or_b64 exec, exec, s[10:11]
.LBB0_40:                               ;   in Loop: Header=BB0_3 Depth=1
	s_or_b64 exec, exec, s[6:7]
	v_mov_b64_e32 v[24:25], v[6:7]
                                        ; implicit-def: $vgpr22
.LBB0_41:                               ;   in Loop: Header=BB0_3 Depth=1
	s_or_saveexec_b64 s[0:1], s[0:1]
	v_mov_b32_e32 v0, 0
	s_xor_b64 exec, exec, s[0:1]
	s_cbranch_execz .LBB0_43
; %bb.42:                               ;   in Loop: Header=BB0_3 Depth=1
	global_load_dwordx2 v[20:21], v[6:7], off
	v_add_u32_e32 v0, -8, v22
.LBB0_43:                               ;   in Loop: Header=BB0_3 Depth=1
	s_or_b64 exec, exec, s[0:1]
	v_cmp_gt_u32_e32 vcc, 8, v0
	v_lshl_add_u64 v[6:7], v[24:25], 0, 8
                                        ; implicit-def: $vgpr22_vgpr23
	s_and_saveexec_b64 s[0:1], vcc
	s_xor_b64 s[0:1], exec, s[0:1]
	s_cbranch_execz .LBB0_49
; %bb.44:                               ;   in Loop: Header=BB0_3 Depth=1
	v_cmp_ne_u32_e32 vcc, 0, v0
	v_mov_b64_e32 v[22:23], 0
	s_and_saveexec_b64 s[6:7], vcc
	s_cbranch_execz .LBB0_48
; %bb.45:                               ;   in Loop: Header=BB0_3 Depth=1
	s_mov_b64 s[10:11], 0
	v_mov_b64_e32 v[22:23], 0
	s_mov_b64 s[12:13], 0
	s_mov_b64 s[14:15], 0
.LBB0_46:                               ;   Parent Loop BB0_3 Depth=1
                                        ; =>  This Inner Loop Header: Depth=2
	v_lshl_add_u64 v[6:7], v[24:25], 0, s[14:15]
	global_load_ubyte v6, v[6:7], off
	s_add_u32 s14, s14, 1
	v_mov_b32_e32 v7, s16
	s_addc_u32 s15, s15, 0
	v_cmp_eq_u32_e32 vcc, s14, v0
	s_waitcnt vmcnt(0)
	v_and_b32_e32 v6, 0xffff, v6
	v_lshlrev_b64 v[6:7], s12, v[6:7]
	s_add_u32 s12, s12, 8
	s_addc_u32 s13, s13, 0
	v_or_b32_e32 v23, v7, v23
	s_or_b64 s[10:11], vcc, s[10:11]
	v_or_b32_e32 v22, v6, v22
	s_andn2_b64 exec, exec, s[10:11]
	s_cbranch_execnz .LBB0_46
; %bb.47:                               ;   in Loop: Header=BB0_3 Depth=1
	s_or_b64 exec, exec, s[10:11]
.LBB0_48:                               ;   in Loop: Header=BB0_3 Depth=1
	s_or_b64 exec, exec, s[6:7]
	v_mov_b64_e32 v[6:7], v[24:25]
                                        ; implicit-def: $vgpr0
.LBB0_49:                               ;   in Loop: Header=BB0_3 Depth=1
	s_or_saveexec_b64 s[0:1], s[0:1]
	v_mov_b32_e32 v26, 0
	s_xor_b64 exec, exec, s[0:1]
	s_cbranch_execz .LBB0_51
; %bb.50:                               ;   in Loop: Header=BB0_3 Depth=1
	global_load_dwordx2 v[22:23], v[24:25], off
	v_add_u32_e32 v26, -8, v0
.LBB0_51:                               ;   in Loop: Header=BB0_3 Depth=1
	s_or_b64 exec, exec, s[0:1]
	v_cmp_gt_u32_e32 vcc, 8, v26
	s_and_saveexec_b64 s[0:1], vcc
	s_xor_b64 s[0:1], exec, s[0:1]
	s_cbranch_execz .LBB0_57
; %bb.52:                               ;   in Loop: Header=BB0_3 Depth=1
	v_cmp_ne_u32_e32 vcc, 0, v26
	v_mov_b64_e32 v[24:25], 0
	s_and_saveexec_b64 s[6:7], vcc
	s_cbranch_execz .LBB0_56
; %bb.53:                               ;   in Loop: Header=BB0_3 Depth=1
	s_mov_b64 s[10:11], 0
	v_mov_b64_e32 v[24:25], 0
	s_mov_b64 s[12:13], 0
.LBB0_54:                               ;   Parent Loop BB0_3 Depth=1
                                        ; =>  This Inner Loop Header: Depth=2
	global_load_ubyte v0, v[6:7], off
	v_mov_b32_e32 v29, s16
	v_add_u32_e32 v26, -1, v26
	v_cmp_eq_u32_e32 vcc, 0, v26
	v_lshl_add_u64 v[6:7], v[6:7], 0, 1
	s_waitcnt vmcnt(0)
	v_and_b32_e32 v28, 0xffff, v0
	v_lshlrev_b64 v[28:29], s12, v[28:29]
	s_add_u32 s12, s12, 8
	s_addc_u32 s13, s13, 0
	v_or_b32_e32 v25, v29, v25
	s_or_b64 s[10:11], vcc, s[10:11]
	v_or_b32_e32 v24, v28, v24
	s_andn2_b64 exec, exec, s[10:11]
	s_cbranch_execnz .LBB0_54
; %bb.55:                               ;   in Loop: Header=BB0_3 Depth=1
	s_or_b64 exec, exec, s[10:11]
.LBB0_56:                               ;   in Loop: Header=BB0_3 Depth=1
	s_or_b64 exec, exec, s[6:7]
                                        ; implicit-def: $vgpr6_vgpr7
.LBB0_57:                               ;   in Loop: Header=BB0_3 Depth=1
	s_andn2_saveexec_b64 s[0:1], s[0:1]
	s_cbranch_execz .LBB0_59
; %bb.58:                               ;   in Loop: Header=BB0_3 Depth=1
	global_load_dwordx2 v[24:25], v[6:7], off
.LBB0_59:                               ;   in Loop: Header=BB0_3 Depth=1
	s_or_b64 exec, exec, s[0:1]
	v_readfirstlane_b32 s0, v32
	v_mov_b64_e32 v[6:7], 0
	s_nop 0
	v_cmp_eq_u32_e64 s[0:1], s0, v32
	s_and_saveexec_b64 s[6:7], s[0:1]
	s_cbranch_execz .LBB0_65
; %bb.60:                               ;   in Loop: Header=BB0_3 Depth=1
	s_waitcnt lgkmcnt(0)
	global_load_dwordx2 v[28:29], v31, s[4:5] offset:24 sc0 sc1
	s_waitcnt vmcnt(0)
	buffer_inv sc0 sc1
	global_load_dwordx2 v[6:7], v31, s[4:5] offset:40
	global_load_dwordx2 v[26:27], v31, s[4:5]
	s_waitcnt vmcnt(1)
	v_and_b32_e32 v0, v6, v28
	v_and_b32_e32 v6, v7, v29
	v_mul_lo_u32 v6, v6, 24
	v_mul_hi_u32 v7, v0, 24
	v_add_u32_e32 v7, v7, v6
	v_mul_lo_u32 v6, v0, 24
	s_waitcnt vmcnt(0)
	v_lshl_add_u64 v[6:7], v[26:27], 0, v[6:7]
	global_load_dwordx2 v[26:27], v[6:7], off sc0 sc1
	s_waitcnt vmcnt(0)
	global_atomic_cmpswap_x2 v[6:7], v31, v[26:29], s[4:5] offset:24 sc0 sc1
	s_waitcnt vmcnt(0)
	buffer_inv sc0 sc1
	v_cmp_ne_u64_e32 vcc, v[6:7], v[28:29]
	s_and_saveexec_b64 s[10:11], vcc
	s_cbranch_execz .LBB0_64
; %bb.61:                               ;   in Loop: Header=BB0_3 Depth=1
	s_mov_b64 s[12:13], 0
.LBB0_62:                               ;   Parent Loop BB0_3 Depth=1
                                        ; =>  This Inner Loop Header: Depth=2
	s_sleep 1
	global_load_dwordx2 v[26:27], v31, s[4:5] offset:40
	global_load_dwordx2 v[38:39], v31, s[4:5]
	v_mov_b64_e32 v[28:29], v[6:7]
	s_waitcnt vmcnt(1)
	v_and_b32_e32 v0, v26, v28
	s_waitcnt vmcnt(0)
	v_mad_u64_u32 v[6:7], s[14:15], v0, 24, v[38:39]
	v_and_b32_e32 v27, v27, v29
	v_mov_b32_e32 v0, v7
	v_mad_u64_u32 v[26:27], s[14:15], v27, 24, v[0:1]
	v_mov_b32_e32 v7, v26
	global_load_dwordx2 v[26:27], v[6:7], off sc0 sc1
	s_waitcnt vmcnt(0)
	global_atomic_cmpswap_x2 v[6:7], v31, v[26:29], s[4:5] offset:24 sc0 sc1
	s_waitcnt vmcnt(0)
	buffer_inv sc0 sc1
	v_cmp_eq_u64_e32 vcc, v[6:7], v[28:29]
	s_or_b64 s[12:13], vcc, s[12:13]
	s_andn2_b64 exec, exec, s[12:13]
	s_cbranch_execnz .LBB0_62
; %bb.63:                               ;   in Loop: Header=BB0_3 Depth=1
	s_or_b64 exec, exec, s[12:13]
.LBB0_64:                               ;   in Loop: Header=BB0_3 Depth=1
	s_or_b64 exec, exec, s[10:11]
.LBB0_65:                               ;   in Loop: Header=BB0_3 Depth=1
	s_or_b64 exec, exec, s[6:7]
	s_waitcnt lgkmcnt(0)
	global_load_dwordx2 v[38:39], v31, s[4:5] offset:40
	global_load_dwordx4 v[26:29], v31, s[4:5]
	v_readfirstlane_b32 s7, v7
	v_readfirstlane_b32 s6, v6
	s_mov_b64 s[10:11], exec
	s_waitcnt vmcnt(1)
	v_readfirstlane_b32 s12, v38
	v_readfirstlane_b32 s13, v39
	s_and_b64 s[12:13], s[12:13], s[6:7]
	s_mul_i32 s14, s13, 24
	s_mul_hi_u32 s15, s12, 24
	s_add_i32 s15, s15, s14
	s_mul_i32 s14, s12, 24
	s_waitcnt vmcnt(0)
	v_lshl_add_u64 v[38:39], v[26:27], 0, s[14:15]
	s_and_saveexec_b64 s[14:15], s[0:1]
	s_cbranch_execz .LBB0_67
; %bb.66:                               ;   in Loop: Header=BB0_3 Depth=1
	v_mov_b64_e32 v[6:7], s[10:11]
	global_store_dwordx4 v[38:39], v[6:9], off offset:8
.LBB0_67:                               ;   in Loop: Header=BB0_3 Depth=1
	s_or_b64 exec, exec, s[14:15]
	v_cmp_gt_u64_e32 vcc, 57, v[4:5]
	s_lshl_b64 s[10:11], s[12:13], 12
	v_and_b32_e32 v10, 0xffffff1f, v10
	v_cndmask_b32_e32 v0, 0, v2, vcc
	v_lshl_add_u64 v[6:7], v[28:29], 0, s[10:11]
	v_lshl_add_u32 v28, v36, 2, 28
	v_or_b32_e32 v0, v10, v0
	v_and_or_b32 v10, v28, s17, v0
	v_lshlrev_b32_e32 v30, 6, v32
	v_readfirstlane_b32 s10, v6
	v_readfirstlane_b32 s11, v7
	s_nop 4
	global_store_dwordx4 v30, v[10:13], s[10:11]
	global_store_dwordx4 v30, v[14:17], s[10:11] offset:16
	global_store_dwordx4 v30, v[18:21], s[10:11] offset:32
	global_store_dwordx4 v30, v[22:25], s[10:11] offset:48
	s_and_saveexec_b64 s[10:11], s[0:1]
	s_cbranch_execz .LBB0_75
; %bb.68:                               ;   in Loop: Header=BB0_3 Depth=1
	global_load_dwordx2 v[18:19], v31, s[4:5] offset:32 sc0 sc1
	global_load_dwordx2 v[10:11], v31, s[4:5] offset:40
	v_mov_b32_e32 v16, s6
	v_mov_b32_e32 v17, s7
	s_waitcnt vmcnt(0)
	v_readfirstlane_b32 s12, v10
	v_readfirstlane_b32 s13, v11
	s_and_b64 s[12:13], s[12:13], s[6:7]
	s_mul_i32 s13, s13, 24
	s_mul_hi_u32 s14, s12, 24
	s_mul_i32 s12, s12, 24
	s_add_i32 s13, s14, s13
	v_lshl_add_u64 v[14:15], v[26:27], 0, s[12:13]
	global_store_dwordx2 v[14:15], v[18:19], off
	buffer_wbl2 sc0 sc1
	s_waitcnt vmcnt(0)
	global_atomic_cmpswap_x2 v[12:13], v31, v[16:19], s[4:5] offset:32 sc0 sc1
	s_waitcnt vmcnt(0)
	v_cmp_ne_u64_e32 vcc, v[12:13], v[18:19]
	s_and_saveexec_b64 s[12:13], vcc
	s_cbranch_execz .LBB0_71
; %bb.69:                               ;   in Loop: Header=BB0_3 Depth=1
	s_mov_b64 s[14:15], 0
.LBB0_70:                               ;   Parent Loop BB0_3 Depth=1
                                        ; =>  This Inner Loop Header: Depth=2
	s_sleep 1
	global_store_dwordx2 v[14:15], v[12:13], off
	v_mov_b32_e32 v10, s6
	v_mov_b32_e32 v11, s7
	buffer_wbl2 sc0 sc1
	s_waitcnt vmcnt(0)
	global_atomic_cmpswap_x2 v[10:11], v31, v[10:13], s[4:5] offset:32 sc0 sc1
	s_waitcnt vmcnt(0)
	v_cmp_eq_u64_e32 vcc, v[10:11], v[12:13]
	s_or_b64 s[14:15], vcc, s[14:15]
	v_mov_b64_e32 v[12:13], v[10:11]
	s_andn2_b64 exec, exec, s[14:15]
	s_cbranch_execnz .LBB0_70
.LBB0_71:                               ;   in Loop: Header=BB0_3 Depth=1
	s_or_b64 exec, exec, s[12:13]
	global_load_dwordx2 v[10:11], v31, s[4:5] offset:16
	s_mov_b64 s[14:15], exec
	v_mbcnt_lo_u32_b32 v0, s14, 0
	v_mbcnt_hi_u32_b32 v0, s15, v0
	v_cmp_eq_u32_e32 vcc, 0, v0
	s_and_saveexec_b64 s[12:13], vcc
	s_cbranch_execz .LBB0_73
; %bb.72:                               ;   in Loop: Header=BB0_3 Depth=1
	s_bcnt1_i32_b64 s14, s[14:15]
	v_mov_b32_e32 v12, s14
	v_mov_b32_e32 v13, v31
	buffer_wbl2 sc0 sc1
	s_waitcnt vmcnt(0)
	global_atomic_add_x2 v[10:11], v[12:13], off offset:8 sc1
.LBB0_73:                               ;   in Loop: Header=BB0_3 Depth=1
	s_or_b64 exec, exec, s[12:13]
	s_waitcnt vmcnt(0)
	global_load_dwordx2 v[12:13], v[10:11], off offset:16
	s_waitcnt vmcnt(0)
	v_cmp_eq_u64_e32 vcc, 0, v[12:13]
	s_cbranch_vccnz .LBB0_75
; %bb.74:                               ;   in Loop: Header=BB0_3 Depth=1
	global_load_dword v10, v[10:11], off offset:24
	v_mov_b32_e32 v11, v31
	s_waitcnt vmcnt(0)
	v_readfirstlane_b32 s12, v10
	s_and_b32 m0, s12, 0xffffff
	buffer_wbl2 sc0 sc1
	global_store_dwordx2 v[12:13], v[10:11], off sc0 sc1
	s_sendmsg sendmsg(MSG_INTERRUPT)
.LBB0_75:                               ;   in Loop: Header=BB0_3 Depth=1
	s_or_b64 exec, exec, s[10:11]
	v_lshl_add_u64 v[6:7], v[6:7], 0, v[30:31]
	s_branch .LBB0_79
.LBB0_76:                               ;   in Loop: Header=BB0_79 Depth=2
	s_or_b64 exec, exec, s[10:11]
	v_readfirstlane_b32 s10, v0
	s_cmp_eq_u32 s10, 0
	s_cbranch_scc1 .LBB0_78
; %bb.77:                               ;   in Loop: Header=BB0_79 Depth=2
	s_sleep 1
	s_cbranch_execnz .LBB0_79
	s_branch .LBB0_81
.LBB0_78:                               ;   in Loop: Header=BB0_3 Depth=1
	s_branch .LBB0_81
.LBB0_79:                               ;   Parent Loop BB0_3 Depth=1
                                        ; =>  This Inner Loop Header: Depth=2
	v_mov_b32_e32 v0, 1
	s_and_saveexec_b64 s[10:11], s[0:1]
	s_cbranch_execz .LBB0_76
; %bb.80:                               ;   in Loop: Header=BB0_79 Depth=2
	global_load_dword v0, v[38:39], off offset:20 sc0 sc1
	s_waitcnt vmcnt(0)
	buffer_inv sc0 sc1
	v_and_b32_e32 v0, 1, v0
	s_branch .LBB0_76
.LBB0_81:                               ;   in Loop: Header=BB0_3 Depth=1
	global_load_dwordx4 v[10:13], v[6:7], off
	s_and_saveexec_b64 s[10:11], s[0:1]
	s_cbranch_execz .LBB0_2
; %bb.82:                               ;   in Loop: Header=BB0_3 Depth=1
	global_load_dwordx2 v[6:7], v31, s[4:5] offset:40
	global_load_dwordx2 v[16:17], v31, s[4:5] offset:24 sc0 sc1
	global_load_dwordx2 v[12:13], v31, s[4:5]
	s_waitcnt vmcnt(2)
	v_readfirstlane_b32 s12, v6
	v_readfirstlane_b32 s13, v7
	s_add_u32 s14, s12, 1
	s_addc_u32 s15, s13, 0
	s_add_u32 s0, s14, s6
	s_addc_u32 s1, s15, s7
	s_cmp_eq_u64 s[0:1], 0
	s_cselect_b32 s1, s15, s1
	s_cselect_b32 s0, s14, s0
	s_and_b64 s[6:7], s[0:1], s[12:13]
	s_mul_i32 s7, s7, 24
	s_mul_hi_u32 s12, s6, 24
	s_mul_i32 s6, s6, 24
	s_add_i32 s7, s12, s7
	s_waitcnt vmcnt(0)
	v_lshl_add_u64 v[6:7], v[12:13], 0, s[6:7]
	v_mov_b32_e32 v14, s0
	global_store_dwordx2 v[6:7], v[16:17], off
	v_mov_b32_e32 v15, s1
	buffer_wbl2 sc0 sc1
	s_waitcnt vmcnt(0)
	global_atomic_cmpswap_x2 v[14:15], v31, v[14:17], s[4:5] offset:24 sc0 sc1
	s_waitcnt vmcnt(0)
	v_cmp_ne_u64_e32 vcc, v[14:15], v[16:17]
	s_and_b64 exec, exec, vcc
	s_cbranch_execz .LBB0_2
; %bb.83:                               ;   in Loop: Header=BB0_3 Depth=1
	s_mov_b64 s[6:7], 0
.LBB0_84:                               ;   Parent Loop BB0_3 Depth=1
                                        ; =>  This Inner Loop Header: Depth=2
	s_sleep 1
	global_store_dwordx2 v[6:7], v[14:15], off
	v_mov_b32_e32 v12, s0
	v_mov_b32_e32 v13, s1
	buffer_wbl2 sc0 sc1
	s_waitcnt vmcnt(0)
	global_atomic_cmpswap_x2 v[12:13], v31, v[12:15], s[4:5] offset:24 sc0 sc1
	s_waitcnt vmcnt(0)
	v_cmp_eq_u64_e32 vcc, v[12:13], v[14:15]
	s_or_b64 s[6:7], vcc, s[6:7]
	v_mov_b64_e32 v[14:15], v[12:13]
	s_andn2_b64 exec, exec, s[6:7]
	s_cbranch_execnz .LBB0_84
	s_branch .LBB0_2
.LBB0_85:
	s_or_b64 exec, exec, s[2:3]
	s_branch .LBB0_113
.LBB0_86:
	s_load_dwordx2 s[2:3], s[8:9], 0x50
	s_waitcnt vmcnt(0)
	v_mbcnt_hi_u32_b32 v10, -1, v33
	v_mov_b64_e32 v[8:9], 0
	v_readfirstlane_b32 s0, v10
	s_nop 1
	v_cmp_eq_u32_e64 s[0:1], s0, v10
	s_and_saveexec_b64 s[4:5], s[0:1]
	s_cbranch_execz .LBB0_92
; %bb.87:
	v_mov_b32_e32 v0, 0
	s_waitcnt lgkmcnt(0)
	global_load_dwordx2 v[6:7], v0, s[2:3] offset:24 sc0 sc1
	s_waitcnt vmcnt(0)
	buffer_inv sc0 sc1
	global_load_dwordx2 v[4:5], v0, s[2:3] offset:40
	global_load_dwordx2 v[8:9], v0, s[2:3]
	s_waitcnt vmcnt(1)
	v_and_b32_e32 v2, v4, v6
	v_and_b32_e32 v4, v5, v7
	v_mul_lo_u32 v4, v4, 24
	v_mul_hi_u32 v5, v2, 24
	v_add_u32_e32 v5, v5, v4
	v_mul_lo_u32 v4, v2, 24
	s_waitcnt vmcnt(0)
	v_lshl_add_u64 v[4:5], v[8:9], 0, v[4:5]
	global_load_dwordx2 v[4:5], v[4:5], off sc0 sc1
	s_waitcnt vmcnt(0)
	global_atomic_cmpswap_x2 v[8:9], v0, v[4:7], s[2:3] offset:24 sc0 sc1
	s_waitcnt vmcnt(0)
	buffer_inv sc0 sc1
	v_cmp_ne_u64_e32 vcc, v[8:9], v[6:7]
	s_and_saveexec_b64 s[6:7], vcc
	s_cbranch_execz .LBB0_91
; %bb.88:
	s_mov_b64 s[8:9], 0
.LBB0_89:                               ; =>This Inner Loop Header: Depth=1
	s_sleep 1
	global_load_dwordx2 v[4:5], v0, s[2:3] offset:40
	global_load_dwordx2 v[12:13], v0, s[2:3]
	v_mov_b64_e32 v[6:7], v[8:9]
	s_waitcnt vmcnt(1)
	v_and_b32_e32 v2, v4, v6
	v_and_b32_e32 v8, v5, v7
	s_waitcnt vmcnt(0)
	v_mad_u64_u32 v[4:5], s[10:11], v2, 24, v[12:13]
	v_mov_b32_e32 v2, v5
	v_mad_u64_u32 v[8:9], s[10:11], v8, 24, v[2:3]
	v_mov_b32_e32 v5, v8
	global_load_dwordx2 v[4:5], v[4:5], off sc0 sc1
	s_waitcnt vmcnt(0)
	global_atomic_cmpswap_x2 v[8:9], v0, v[4:7], s[2:3] offset:24 sc0 sc1
	s_waitcnt vmcnt(0)
	buffer_inv sc0 sc1
	v_cmp_eq_u64_e32 vcc, v[8:9], v[6:7]
	s_or_b64 s[8:9], vcc, s[8:9]
	s_andn2_b64 exec, exec, s[8:9]
	s_cbranch_execnz .LBB0_89
; %bb.90:
	s_or_b64 exec, exec, s[8:9]
.LBB0_91:
	s_or_b64 exec, exec, s[6:7]
.LBB0_92:
	s_or_b64 exec, exec, s[4:5]
	v_mov_b32_e32 v2, 0
	s_waitcnt lgkmcnt(0)
	global_load_dwordx2 v[12:13], v2, s[2:3] offset:40
	global_load_dwordx4 v[4:7], v2, s[2:3]
	v_readfirstlane_b32 s5, v9
	v_readfirstlane_b32 s4, v8
	s_mov_b64 s[6:7], exec
	s_waitcnt vmcnt(1)
	v_readfirstlane_b32 s8, v12
	v_readfirstlane_b32 s9, v13
	s_and_b64 s[8:9], s[8:9], s[4:5]
	s_mul_i32 s10, s9, 24
	s_mul_hi_u32 s11, s8, 24
	s_add_i32 s11, s11, s10
	s_mul_i32 s10, s8, 24
	s_waitcnt vmcnt(0)
	v_lshl_add_u64 v[8:9], v[4:5], 0, s[10:11]
	s_and_saveexec_b64 s[10:11], s[0:1]
	s_cbranch_execz .LBB0_94
; %bb.93:
	v_mov_b64_e32 v[12:13], s[6:7]
	v_mov_b32_e32 v14, 2
	v_mov_b32_e32 v15, 1
	global_store_dwordx4 v[8:9], v[12:15], off offset:8
.LBB0_94:
	s_or_b64 exec, exec, s[10:11]
	s_lshl_b64 s[6:7], s[8:9], 12
	v_lshl_add_u64 v[6:7], v[6:7], 0, s[6:7]
	s_movk_i32 s6, 0xff1f
	s_mov_b32 s8, 0
	v_and_or_b32 v0, v3, s6, 32
	v_lshlrev_b32_e32 v10, 6, v10
	v_mov_b32_e32 v3, v2
	v_readfirstlane_b32 s6, v6
	v_readfirstlane_b32 s7, v7
	s_mov_b32 s9, s8
	s_mov_b32 s10, s8
	;; [unrolled: 1-line block ×3, first 2 shown]
	s_nop 1
	global_store_dwordx4 v10, v[0:3], s[6:7]
	s_nop 1
	v_mov_b64_e32 v[0:1], s[8:9]
	v_mov_b64_e32 v[2:3], s[10:11]
	global_store_dwordx4 v10, v[0:3], s[6:7] offset:16
	global_store_dwordx4 v10, v[0:3], s[6:7] offset:32
	global_store_dwordx4 v10, v[0:3], s[6:7] offset:48
	s_and_saveexec_b64 s[6:7], s[0:1]
	s_cbranch_execz .LBB0_102
; %bb.95:
	v_mov_b32_e32 v6, 0
	global_load_dwordx2 v[12:13], v6, s[2:3] offset:32 sc0 sc1
	global_load_dwordx2 v[0:1], v6, s[2:3] offset:40
	v_mov_b32_e32 v10, s4
	v_mov_b32_e32 v11, s5
	s_waitcnt vmcnt(0)
	v_and_b32_e32 v0, s4, v0
	v_and_b32_e32 v1, s5, v1
	v_mul_lo_u32 v1, v1, 24
	v_mul_hi_u32 v2, v0, 24
	v_mul_lo_u32 v0, v0, 24
	v_add_u32_e32 v1, v2, v1
	v_lshl_add_u64 v[4:5], v[4:5], 0, v[0:1]
	global_store_dwordx2 v[4:5], v[12:13], off
	buffer_wbl2 sc0 sc1
	s_waitcnt vmcnt(0)
	global_atomic_cmpswap_x2 v[2:3], v6, v[10:13], s[2:3] offset:32 sc0 sc1
	s_waitcnt vmcnt(0)
	v_cmp_ne_u64_e32 vcc, v[2:3], v[12:13]
	s_and_saveexec_b64 s[8:9], vcc
	s_cbranch_execz .LBB0_98
; %bb.96:
	s_mov_b64 s[10:11], 0
.LBB0_97:                               ; =>This Inner Loop Header: Depth=1
	s_sleep 1
	global_store_dwordx2 v[4:5], v[2:3], off
	v_mov_b32_e32 v0, s4
	v_mov_b32_e32 v1, s5
	buffer_wbl2 sc0 sc1
	s_waitcnt vmcnt(0)
	global_atomic_cmpswap_x2 v[0:1], v6, v[0:3], s[2:3] offset:32 sc0 sc1
	s_waitcnt vmcnt(0)
	v_cmp_eq_u64_e32 vcc, v[0:1], v[2:3]
	s_or_b64 s[10:11], vcc, s[10:11]
	v_mov_b64_e32 v[2:3], v[0:1]
	s_andn2_b64 exec, exec, s[10:11]
	s_cbranch_execnz .LBB0_97
.LBB0_98:
	s_or_b64 exec, exec, s[8:9]
	v_mov_b32_e32 v3, 0
	global_load_dwordx2 v[0:1], v3, s[2:3] offset:16
	s_mov_b64 s[8:9], exec
	v_mbcnt_lo_u32_b32 v2, s8, 0
	v_mbcnt_hi_u32_b32 v2, s9, v2
	v_cmp_eq_u32_e32 vcc, 0, v2
	s_and_saveexec_b64 s[10:11], vcc
	s_cbranch_execz .LBB0_100
; %bb.99:
	s_bcnt1_i32_b64 s8, s[8:9]
	v_mov_b32_e32 v2, s8
	buffer_wbl2 sc0 sc1
	s_waitcnt vmcnt(0)
	global_atomic_add_x2 v[0:1], v[2:3], off offset:8 sc1
.LBB0_100:
	s_or_b64 exec, exec, s[10:11]
	s_waitcnt vmcnt(0)
	global_load_dwordx2 v[2:3], v[0:1], off offset:16
	s_waitcnt vmcnt(0)
	v_cmp_eq_u64_e32 vcc, 0, v[2:3]
	s_cbranch_vccnz .LBB0_102
; %bb.101:
	global_load_dword v0, v[0:1], off offset:24
	v_mov_b32_e32 v1, 0
	s_waitcnt vmcnt(0)
	v_readfirstlane_b32 s8, v0
	s_and_b32 m0, s8, 0xffffff
	buffer_wbl2 sc0 sc1
	global_store_dwordx2 v[2:3], v[0:1], off sc0 sc1
	s_sendmsg sendmsg(MSG_INTERRUPT)
.LBB0_102:
	s_or_b64 exec, exec, s[6:7]
	s_branch .LBB0_106
.LBB0_103:                              ;   in Loop: Header=BB0_106 Depth=1
	s_or_b64 exec, exec, s[6:7]
	v_readfirstlane_b32 s6, v0
	s_cmp_eq_u32 s6, 0
	s_cbranch_scc1 .LBB0_105
; %bb.104:                              ;   in Loop: Header=BB0_106 Depth=1
	s_sleep 1
	s_cbranch_execnz .LBB0_106
	s_branch .LBB0_108
.LBB0_105:
	s_branch .LBB0_108
.LBB0_106:                              ; =>This Inner Loop Header: Depth=1
	v_mov_b32_e32 v0, 1
	s_and_saveexec_b64 s[6:7], s[0:1]
	s_cbranch_execz .LBB0_103
; %bb.107:                              ;   in Loop: Header=BB0_106 Depth=1
	global_load_dword v0, v[8:9], off offset:20 sc0 sc1
	s_waitcnt vmcnt(0)
	buffer_inv sc0 sc1
	v_and_b32_e32 v0, 1, v0
	s_branch .LBB0_103
.LBB0_108:
	s_and_saveexec_b64 s[6:7], s[0:1]
	s_cbranch_execz .LBB0_111
; %bb.109:
	v_mov_b32_e32 v6, 0
	global_load_dwordx2 v[0:1], v6, s[2:3] offset:40
	global_load_dwordx2 v[10:11], v6, s[2:3] offset:24 sc0 sc1
	global_load_dwordx2 v[2:3], v6, s[2:3]
	s_waitcnt vmcnt(2)
	v_readfirstlane_b32 s8, v0
	v_readfirstlane_b32 s9, v1
	s_add_u32 s10, s8, 1
	s_addc_u32 s11, s9, 0
	s_add_u32 s0, s10, s4
	s_addc_u32 s1, s11, s5
	s_cmp_eq_u64 s[0:1], 0
	s_cselect_b32 s1, s11, s1
	s_cselect_b32 s0, s10, s0
	s_and_b64 s[4:5], s[0:1], s[8:9]
	s_mul_i32 s5, s5, 24
	s_mul_hi_u32 s8, s4, 24
	s_mul_i32 s4, s4, 24
	s_add_i32 s5, s8, s5
	s_waitcnt vmcnt(0)
	v_lshl_add_u64 v[4:5], v[2:3], 0, s[4:5]
	v_mov_b32_e32 v8, s0
	global_store_dwordx2 v[4:5], v[10:11], off
	v_mov_b32_e32 v9, s1
	buffer_wbl2 sc0 sc1
	s_waitcnt vmcnt(0)
	global_atomic_cmpswap_x2 v[2:3], v6, v[8:11], s[2:3] offset:24 sc0 sc1
	s_mov_b64 s[4:5], 0
	s_waitcnt vmcnt(0)
	v_cmp_ne_u64_e32 vcc, v[2:3], v[10:11]
	s_and_b64 exec, exec, vcc
	s_cbranch_execz .LBB0_111
.LBB0_110:                              ; =>This Inner Loop Header: Depth=1
	s_sleep 1
	global_store_dwordx2 v[4:5], v[2:3], off
	v_mov_b32_e32 v0, s0
	v_mov_b32_e32 v1, s1
	buffer_wbl2 sc0 sc1
	s_waitcnt vmcnt(0)
	global_atomic_cmpswap_x2 v[0:1], v6, v[0:3], s[2:3] offset:24 sc0 sc1
	s_waitcnt vmcnt(0)
	v_cmp_eq_u64_e32 vcc, v[0:1], v[2:3]
	s_or_b64 s[4:5], vcc, s[4:5]
	v_mov_b64_e32 v[2:3], v[0:1]
	s_andn2_b64 exec, exec, s[4:5]
	s_cbranch_execnz .LBB0_110
.LBB0_111:
	s_or_b64 exec, exec, s[6:7]
	s_waitcnt vmcnt(0) lgkmcnt(0)
	s_setpc_b64 s[30:31]
.LBB0_112:
	s_cbranch_execnz .LBB0_86
.LBB0_113:
	s_waitcnt vmcnt(0) lgkmcnt(0)
	s_setpc_b64 s[30:31]
.Lfunc_end0:
	.size	__ockl_fprintf_append_string_n, .Lfunc_end0-__ockl_fprintf_append_string_n
                                        ; -- End function
	.set .L__ockl_fprintf_append_string_n.num_vgpr, 40
	.set .L__ockl_fprintf_append_string_n.num_agpr, 0
	.set .L__ockl_fprintf_append_string_n.numbered_sgpr, 32
	.set .L__ockl_fprintf_append_string_n.num_named_barrier, 0
	.set .L__ockl_fprintf_append_string_n.private_seg_size, 0
	.set .L__ockl_fprintf_append_string_n.uses_vcc, 1
	.set .L__ockl_fprintf_append_string_n.uses_flat_scratch, 0
	.set .L__ockl_fprintf_append_string_n.has_dyn_sized_stack, 0
	.set .L__ockl_fprintf_append_string_n.has_recursion, 0
	.set .L__ockl_fprintf_append_string_n.has_indirect_call, 0
	.section	.AMDGPU.csdata,"",@progbits
; Function info:
; codeLenInByte = 3788
; TotalNumSgprs: 38
; NumVgprs: 40
; NumAgprs: 0
; TotalNumVgprs: 40
; ScratchSize: 0
; MemoryBound: 0
	.text
	.p2align	2                               ; -- Begin function __assert_fail
	.type	__assert_fail,@function
__assert_fail:                          ; @__assert_fail
; %bb.0:
	s_waitcnt vmcnt(0) expcnt(0) lgkmcnt(0)
	s_mov_b32 s20, s33
	s_mov_b32 s33, s32
	s_or_saveexec_b64 s[0:1], -1
	scratch_store_dword off, v40, s33 offset:48 ; 4-byte Folded Spill
	s_mov_b64 exec, s[0:1]
	v_writelane_b32 v40, s30, 0
	s_add_i32 s32, s32, 64
	s_nop 0
	v_writelane_b32 v40, s31, 1
	v_mov_b32_e32 v8, 0
	s_getpc_b64 s[0:1]
	s_add_u32 s0, s0, __const.__assert_fail.fmt@rel32@lo+35
	s_addc_u32 s1, s1, __const.__assert_fail.fmt@rel32@hi+43
	v_mov_b32_e32 v5, v1
	v_mov_b32_e32 v4, v0
	global_load_dwordx4 v[0:3], v8, s[0:1]
	s_getpc_b64 s[0:1]
	s_add_u32 s0, s0, __const.__assert_fail.fmt@rel32@lo+4
	s_addc_u32 s1, s1, __const.__assert_fail.fmt@rel32@hi+12
	s_getpc_b64 s[10:11]
	s_add_u32 s10, s10, __const.__assert_fail.fmt@rel32@lo+20
	s_addc_u32 s11, s11, __const.__assert_fail.fmt@rel32@hi+28
	s_load_dwordx4 s[4:7], s[0:1], 0x0
	s_load_dwordx4 s[12:15], s[10:11], 0x0
	s_load_dwordx2 s[2:3], s[8:9], 0x50
	v_mbcnt_lo_u32_b32 v6, -1, 0
	v_mbcnt_hi_u32_b32 v38, -1, v6
	s_waitcnt lgkmcnt(0)
	v_mov_b64_e32 v[12:13], s[6:7]
	v_readfirstlane_b32 s0, v38
	v_mov_b64_e32 v[10:11], s[4:5]
	v_mov_b64_e32 v[16:17], s[14:15]
	v_cmp_eq_u32_e64 s[0:1], s0, v38
	v_mov_b64_e32 v[6:7], 0
	v_mov_b64_e32 v[14:15], s[12:13]
	scratch_store_dwordx4 off, v[10:13], s33
	scratch_store_dwordx4 off, v[14:17], s33 offset:16
	s_waitcnt vmcnt(2)
	scratch_store_dwordx4 off, v[0:3], s33 offset:31
	s_and_saveexec_b64 s[4:5], s[0:1]
	s_cbranch_execz .LBB1_6
; %bb.1:
	global_load_dwordx2 v[2:3], v8, s[2:3] offset:24 sc0 sc1
	s_waitcnt vmcnt(0)
	buffer_inv sc0 sc1
	global_load_dwordx2 v[0:1], v8, s[2:3] offset:40
	global_load_dwordx2 v[6:7], v8, s[2:3]
	s_waitcnt vmcnt(1)
	v_and_b32_e32 v0, v0, v2
	v_and_b32_e32 v1, v1, v3
	v_mul_lo_u32 v1, v1, 24
	v_mul_hi_u32 v9, v0, 24
	v_add_u32_e32 v1, v9, v1
	v_mul_lo_u32 v0, v0, 24
	s_waitcnt vmcnt(0)
	v_lshl_add_u64 v[0:1], v[6:7], 0, v[0:1]
	global_load_dwordx2 v[0:1], v[0:1], off sc0 sc1
	s_waitcnt vmcnt(0)
	global_atomic_cmpswap_x2 v[6:7], v8, v[0:3], s[2:3] offset:24 sc0 sc1
	s_waitcnt vmcnt(0)
	buffer_inv sc0 sc1
	v_cmp_ne_u64_e32 vcc, v[6:7], v[2:3]
	s_and_saveexec_b64 s[6:7], vcc
	s_cbranch_execz .LBB1_5
; %bb.2:
	s_mov_b64 s[10:11], 0
	v_mov_b32_e32 v0, 0
.LBB1_3:                                ; =>This Inner Loop Header: Depth=1
	s_sleep 1
	global_load_dwordx2 v[2:3], v0, s[2:3] offset:40
	global_load_dwordx2 v[10:11], v0, s[2:3]
	v_mov_b64_e32 v[12:13], v[6:7]
	s_waitcnt vmcnt(1)
	v_and_b32_e32 v2, v2, v12
	v_and_b32_e32 v1, v3, v13
	s_waitcnt vmcnt(0)
	v_mad_u64_u32 v[2:3], s[12:13], v2, 24, v[10:11]
	v_mov_b32_e32 v6, v3
	v_mad_u64_u32 v[6:7], s[12:13], v1, 24, v[6:7]
	v_mov_b32_e32 v3, v6
	global_load_dwordx2 v[10:11], v[2:3], off sc0 sc1
	s_waitcnt vmcnt(0)
	global_atomic_cmpswap_x2 v[6:7], v0, v[10:13], s[2:3] offset:24 sc0 sc1
	s_waitcnt vmcnt(0)
	buffer_inv sc0 sc1
	v_cmp_eq_u64_e32 vcc, v[6:7], v[12:13]
	s_or_b64 s[10:11], vcc, s[10:11]
	s_andn2_b64 exec, exec, s[10:11]
	s_cbranch_execnz .LBB1_3
; %bb.4:
	s_or_b64 exec, exec, s[10:11]
.LBB1_5:
	s_or_b64 exec, exec, s[6:7]
.LBB1_6:
	s_or_b64 exec, exec, s[4:5]
	global_load_dwordx2 v[10:11], v8, s[2:3] offset:40
	global_load_dwordx4 v[0:3], v8, s[2:3]
	v_readfirstlane_b32 s5, v7
	v_readfirstlane_b32 s4, v6
	s_mov_b64 s[6:7], exec
	s_waitcnt vmcnt(1)
	v_readfirstlane_b32 s10, v10
	v_readfirstlane_b32 s11, v11
	s_and_b64 s[10:11], s[10:11], s[4:5]
	s_mul_i32 s12, s11, 24
	s_mul_hi_u32 s13, s10, 24
	s_add_i32 s13, s13, s12
	s_mul_i32 s12, s10, 24
	s_waitcnt vmcnt(0)
	v_lshl_add_u64 v[6:7], v[0:1], 0, s[12:13]
	s_and_saveexec_b64 s[12:13], s[0:1]
	s_cbranch_execz .LBB1_8
; %bb.7:
	v_mov_b64_e32 v[8:9], s[6:7]
	v_mov_b32_e32 v10, 2
	v_mov_b32_e32 v11, 1
	global_store_dwordx4 v[6:7], v[8:11], off offset:8
.LBB1_8:
	s_or_b64 exec, exec, s[12:13]
	s_lshl_b64 s[6:7], s[10:11], 12
	v_lshl_add_u64 v[8:9], v[2:3], 0, s[6:7]
	v_mov_b32_e32 v31, 0
	s_mov_b32 s12, 0
	v_lshlrev_b32_e32 v30, 6, v38
	v_mov_b32_e32 v10, 33
	v_mov_b32_e32 v12, 1
	;; [unrolled: 1-line block ×4, first 2 shown]
	v_readfirstlane_b32 s6, v8
	v_readfirstlane_b32 s7, v9
	s_mov_b32 s13, s12
	s_mov_b32 s14, s12
	;; [unrolled: 1-line block ×3, first 2 shown]
	s_nop 1
	global_store_dwordx4 v30, v[10:13], s[6:7]
	s_nop 1
	v_mov_b64_e32 v[10:11], s[12:13]
	v_mov_b64_e32 v[12:13], s[14:15]
	global_store_dwordx4 v30, v[10:13], s[6:7] offset:16
	global_store_dwordx4 v30, v[10:13], s[6:7] offset:32
	global_store_dwordx4 v30, v[10:13], s[6:7] offset:48
	s_and_saveexec_b64 s[6:7], s[0:1]
	s_cbranch_execz .LBB1_16
; %bb.9:
	global_load_dwordx2 v[14:15], v31, s[2:3] offset:32 sc0 sc1
	global_load_dwordx2 v[2:3], v31, s[2:3] offset:40
	v_mov_b32_e32 v12, s4
	v_mov_b32_e32 v13, s5
	s_waitcnt vmcnt(0)
	v_and_b32_e32 v2, s4, v2
	v_and_b32_e32 v3, s5, v3
	v_mul_lo_u32 v3, v3, 24
	v_mul_hi_u32 v10, v2, 24
	v_mul_lo_u32 v2, v2, 24
	v_add_u32_e32 v3, v10, v3
	v_lshl_add_u64 v[10:11], v[0:1], 0, v[2:3]
	global_store_dwordx2 v[10:11], v[14:15], off
	buffer_wbl2 sc0 sc1
	s_waitcnt vmcnt(0)
	global_atomic_cmpswap_x2 v[2:3], v31, v[12:15], s[2:3] offset:32 sc0 sc1
	s_waitcnt vmcnt(0)
	v_cmp_ne_u64_e32 vcc, v[2:3], v[14:15]
	s_and_saveexec_b64 s[10:11], vcc
	s_cbranch_execz .LBB1_12
; %bb.10:
	s_mov_b64 s[12:13], 0
	v_mov_b32_e32 v12, 0
.LBB1_11:                               ; =>This Inner Loop Header: Depth=1
	s_sleep 1
	global_store_dwordx2 v[10:11], v[2:3], off
	v_mov_b32_e32 v0, s4
	v_mov_b32_e32 v1, s5
	buffer_wbl2 sc0 sc1
	s_waitcnt vmcnt(0)
	global_atomic_cmpswap_x2 v[0:1], v12, v[0:3], s[2:3] offset:32 sc0 sc1
	s_waitcnt vmcnt(0)
	v_cmp_eq_u64_e32 vcc, v[0:1], v[2:3]
	s_or_b64 s[12:13], vcc, s[12:13]
	v_mov_b64_e32 v[2:3], v[0:1]
	s_andn2_b64 exec, exec, s[12:13]
	s_cbranch_execnz .LBB1_11
.LBB1_12:
	s_or_b64 exec, exec, s[10:11]
	v_mov_b32_e32 v3, 0
	global_load_dwordx2 v[0:1], v3, s[2:3] offset:16
	s_mov_b64 s[10:11], exec
	v_mbcnt_lo_u32_b32 v2, s10, 0
	v_mbcnt_hi_u32_b32 v2, s11, v2
	v_cmp_eq_u32_e32 vcc, 0, v2
	s_and_saveexec_b64 s[12:13], vcc
	s_cbranch_execz .LBB1_14
; %bb.13:
	s_bcnt1_i32_b64 s10, s[10:11]
	v_mov_b32_e32 v2, s10
	buffer_wbl2 sc0 sc1
	s_waitcnt vmcnt(0)
	global_atomic_add_x2 v[0:1], v[2:3], off offset:8 sc1
.LBB1_14:
	s_or_b64 exec, exec, s[12:13]
	s_waitcnt vmcnt(0)
	global_load_dwordx2 v[2:3], v[0:1], off offset:16
	s_waitcnt vmcnt(0)
	v_cmp_eq_u64_e32 vcc, 0, v[2:3]
	s_cbranch_vccnz .LBB1_16
; %bb.15:
	global_load_dword v0, v[0:1], off offset:24
	v_mov_b32_e32 v1, 0
	s_waitcnt vmcnt(0)
	v_readfirstlane_b32 s10, v0
	s_and_b32 m0, s10, 0xffffff
	buffer_wbl2 sc0 sc1
	global_store_dwordx2 v[2:3], v[0:1], off sc0 sc1
	s_sendmsg sendmsg(MSG_INTERRUPT)
.LBB1_16:
	s_or_b64 exec, exec, s[6:7]
	v_lshl_add_u64 v[0:1], v[8:9], 0, v[30:31]
	s_branch .LBB1_20
.LBB1_17:                               ;   in Loop: Header=BB1_20 Depth=1
	s_or_b64 exec, exec, s[6:7]
	v_readfirstlane_b32 s6, v2
	s_cmp_eq_u32 s6, 0
	s_cbranch_scc1 .LBB1_19
; %bb.18:                               ;   in Loop: Header=BB1_20 Depth=1
	s_sleep 1
	s_cbranch_execnz .LBB1_20
	s_branch .LBB1_22
.LBB1_19:
	s_branch .LBB1_22
.LBB1_20:                               ; =>This Inner Loop Header: Depth=1
	v_mov_b32_e32 v2, 1
	s_and_saveexec_b64 s[6:7], s[0:1]
	s_cbranch_execz .LBB1_17
; %bb.21:                               ;   in Loop: Header=BB1_20 Depth=1
	global_load_dword v2, v[6:7], off offset:20 sc0 sc1
	s_waitcnt vmcnt(0)
	buffer_inv sc0 sc1
	v_and_b32_e32 v2, 1, v2
	s_branch .LBB1_17
.LBB1_22:
	global_load_dwordx2 v[6:7], v[0:1], off
	s_and_saveexec_b64 s[6:7], s[0:1]
	s_cbranch_execz .LBB1_25
; %bb.23:
	v_mov_b32_e32 v10, 0
	global_load_dwordx2 v[0:1], v10, s[2:3] offset:40
	global_load_dwordx2 v[14:15], v10, s[2:3] offset:24 sc0 sc1
	global_load_dwordx2 v[2:3], v10, s[2:3]
	s_waitcnt vmcnt(2)
	v_readfirstlane_b32 s10, v0
	v_readfirstlane_b32 s11, v1
	s_add_u32 s12, s10, 1
	s_addc_u32 s13, s11, 0
	s_add_u32 s0, s12, s4
	s_addc_u32 s1, s13, s5
	s_cmp_eq_u64 s[0:1], 0
	s_cselect_b32 s1, s13, s1
	s_cselect_b32 s0, s12, s0
	s_and_b64 s[4:5], s[0:1], s[10:11]
	s_mul_i32 s5, s5, 24
	s_mul_hi_u32 s10, s4, 24
	s_mul_i32 s4, s4, 24
	s_add_i32 s5, s10, s5
	s_waitcnt vmcnt(0)
	v_lshl_add_u64 v[8:9], v[2:3], 0, s[4:5]
	v_mov_b32_e32 v12, s0
	global_store_dwordx2 v[8:9], v[14:15], off
	v_mov_b32_e32 v13, s1
	buffer_wbl2 sc0 sc1
	s_waitcnt vmcnt(0)
	global_atomic_cmpswap_x2 v[2:3], v10, v[12:15], s[2:3] offset:24 sc0 sc1
	s_mov_b64 s[4:5], 0
	s_waitcnt vmcnt(0)
	v_cmp_ne_u64_e32 vcc, v[2:3], v[14:15]
	s_and_b64 exec, exec, vcc
	s_cbranch_execz .LBB1_25
.LBB1_24:                               ; =>This Inner Loop Header: Depth=1
	s_sleep 1
	global_store_dwordx2 v[8:9], v[2:3], off
	v_mov_b32_e32 v0, s0
	v_mov_b32_e32 v1, s1
	buffer_wbl2 sc0 sc1
	s_waitcnt vmcnt(0)
	global_atomic_cmpswap_x2 v[0:1], v10, v[0:3], s[2:3] offset:24 sc0 sc1
	s_waitcnt vmcnt(0)
	v_cmp_eq_u64_e32 vcc, v[0:1], v[2:3]
	s_or_b64 s[4:5], vcc, s[4:5]
	v_mov_b64_e32 v[2:3], v[0:1]
	s_andn2_b64 exec, exec, s[4:5]
	s_cbranch_execnz .LBB1_24
.LBB1_25:
	s_or_b64 exec, exec, s[6:7]
	s_mov_b32 s4, s33
	s_mov_b64 s[0:1], 0
.LBB1_26:                               ; =>This Inner Loop Header: Depth=1
	scratch_load_ubyte v1, off, s4
	s_add_i32 s4, s4, 1
	v_mov_b32_e32 v0, s4
	s_waitcnt vmcnt(0)
	v_cmp_eq_u16_e32 vcc, 0, v1
	s_or_b64 s[0:1], vcc, s[0:1]
	s_andn2_b64 exec, exec, s[0:1]
	s_cbranch_execnz .LBB1_26
; %bb.27:
	s_or_b64 exec, exec, s[0:1]
	s_cmp_lg_u32 s33, -1
	s_cbranch_scc0 .LBB1_112
; %bb.28:
	v_subrev_u32_e32 v28, s33, v0
	v_ashrrev_i32_e32 v29, 31, v28
	v_and_b32_e32 v32, 2, v6
	v_mov_b32_e32 v31, 0
	v_and_b32_e32 v0, -3, v6
	v_mov_b32_e32 v1, v7
	s_mov_b64 s[4:5], 0
	v_mov_b32_e32 v33, s33
	s_mov_b32 s16, 0
	s_movk_i32 s17, 0x1e0
	v_mov_b32_e32 v10, 2
	v_mov_b32_e32 v11, 1
	s_branch .LBB1_30
.LBB1_29:                               ;   in Loop: Header=BB1_30 Depth=1
	s_or_b64 exec, exec, s[10:11]
	v_sub_co_u32_e32 v28, vcc, v28, v34
	v_add_u32_e32 v33, v33, v34
	s_nop 0
	v_subb_co_u32_e32 v29, vcc, v29, v35, vcc
	v_cmp_eq_u64_e32 vcc, 0, v[28:29]
	s_or_b64 s[4:5], vcc, s[4:5]
	s_andn2_b64 exec, exec, s[4:5]
	s_cbranch_execz .LBB1_113
.LBB1_30:                               ; =>This Loop Header: Depth=1
                                        ;     Child Loop BB1_33 Depth 2
                                        ;     Child Loop BB1_41 Depth 2
	;; [unrolled: 1-line block ×11, first 2 shown]
	v_cmp_gt_u64_e32 vcc, 56, v[28:29]
	v_add_u32_e32 v9, 8, v33
	s_nop 0
	v_cndmask_b32_e32 v35, 0, v29, vcc
	v_cndmask_b32_e32 v34, 56, v28, vcc
	v_cmp_gt_u64_e32 vcc, 8, v[28:29]
	s_and_saveexec_b64 s[0:1], vcc
	s_xor_b64 s[0:1], exec, s[0:1]
	s_cbranch_execz .LBB1_36
; %bb.31:                               ;   in Loop: Header=BB1_30 Depth=1
	v_mov_b64_e32 v[2:3], 0
	v_cmp_ne_u64_e32 vcc, 0, v[28:29]
	s_and_saveexec_b64 s[6:7], vcc
	s_cbranch_execz .LBB1_35
; %bb.32:                               ;   in Loop: Header=BB1_30 Depth=1
	v_lshlrev_b64 v[8:9], 3, v[34:35]
	s_mov_b64 s[10:11], 0
	v_mov_b64_e32 v[2:3], 0
	s_mov_b64 s[12:13], 0
	v_mov_b32_e32 v9, v33
.LBB1_33:                               ;   Parent Loop BB1_30 Depth=1
                                        ; =>  This Inner Loop Header: Depth=2
	scratch_load_ubyte v12, v9, off
	v_mov_b32_e32 v13, s16
	v_add_u32_e32 v9, 1, v9
	s_waitcnt vmcnt(0)
	v_and_b32_e32 v12, 0xffff, v12
	v_lshlrev_b64 v[12:13], s12, v[12:13]
	s_add_u32 s12, s12, 8
	s_addc_u32 s13, s13, 0
	v_cmp_eq_u32_e32 vcc, s12, v8
	v_or_b32_e32 v3, v13, v3
	s_or_b64 s[10:11], vcc, s[10:11]
	v_or_b32_e32 v2, v12, v2
	s_andn2_b64 exec, exec, s[10:11]
	s_cbranch_execnz .LBB1_33
; %bb.34:                               ;   in Loop: Header=BB1_30 Depth=1
	s_or_b64 exec, exec, s[10:11]
.LBB1_35:                               ;   in Loop: Header=BB1_30 Depth=1
	s_or_b64 exec, exec, s[6:7]
	v_mov_b32_e32 v9, v33
.LBB1_36:                               ;   in Loop: Header=BB1_30 Depth=1
	s_or_saveexec_b64 s[0:1], s[0:1]
	v_mov_b32_e32 v14, 0
	s_xor_b64 exec, exec, s[0:1]
	s_cbranch_execz .LBB1_38
; %bb.37:                               ;   in Loop: Header=BB1_30 Depth=1
	scratch_load_dwordx2 v[2:3], v33, off
	v_add_u32_e32 v14, -8, v34
.LBB1_38:                               ;   in Loop: Header=BB1_30 Depth=1
	s_or_b64 exec, exec, s[0:1]
	v_cmp_gt_u32_e32 vcc, 8, v14
	v_add_u32_e32 v8, 8, v9
                                        ; implicit-def: $vgpr12_vgpr13
	s_and_saveexec_b64 s[0:1], vcc
	s_xor_b64 s[0:1], exec, s[0:1]
	s_cbranch_execz .LBB1_44
; %bb.39:                               ;   in Loop: Header=BB1_30 Depth=1
	v_cmp_ne_u32_e32 vcc, 0, v14
	v_mov_b64_e32 v[12:13], 0
	s_and_saveexec_b64 s[6:7], vcc
	s_cbranch_execz .LBB1_43
; %bb.40:                               ;   in Loop: Header=BB1_30 Depth=1
	s_mov_b32 s14, 0
	s_mov_b64 s[10:11], 0
	v_mov_b64_e32 v[12:13], 0
	s_mov_b64 s[12:13], 0
.LBB1_41:                               ;   Parent Loop BB1_30 Depth=1
                                        ; =>  This Inner Loop Header: Depth=2
	v_add_u32_e32 v8, s14, v9
	scratch_load_ubyte v8, v8, off
	v_mov_b32_e32 v17, s16
	s_add_i32 s14, s14, 1
	v_cmp_eq_u32_e32 vcc, s14, v14
	s_waitcnt vmcnt(0)
	v_and_b32_e32 v16, 0xffff, v8
	v_lshlrev_b64 v[16:17], s12, v[16:17]
	s_add_u32 s12, s12, 8
	s_addc_u32 s13, s13, 0
	v_or_b32_e32 v13, v17, v13
	s_or_b64 s[10:11], vcc, s[10:11]
	v_or_b32_e32 v12, v16, v12
	s_andn2_b64 exec, exec, s[10:11]
	s_cbranch_execnz .LBB1_41
; %bb.42:                               ;   in Loop: Header=BB1_30 Depth=1
	s_or_b64 exec, exec, s[10:11]
.LBB1_43:                               ;   in Loop: Header=BB1_30 Depth=1
	s_or_b64 exec, exec, s[6:7]
	v_mov_b32_e32 v8, v9
                                        ; implicit-def: $vgpr14
.LBB1_44:                               ;   in Loop: Header=BB1_30 Depth=1
	s_or_saveexec_b64 s[0:1], s[0:1]
	v_mov_b32_e32 v16, 0
	s_xor_b64 exec, exec, s[0:1]
	s_cbranch_execz .LBB1_46
; %bb.45:                               ;   in Loop: Header=BB1_30 Depth=1
	scratch_load_dwordx2 v[12:13], v9, off
	v_add_u32_e32 v16, -8, v14
.LBB1_46:                               ;   in Loop: Header=BB1_30 Depth=1
	s_or_b64 exec, exec, s[0:1]
	v_cmp_gt_u32_e32 vcc, 8, v16
	v_add_u32_e32 v9, 8, v8
	s_and_saveexec_b64 s[0:1], vcc
	s_xor_b64 s[0:1], exec, s[0:1]
	s_cbranch_execz .LBB1_52
; %bb.47:                               ;   in Loop: Header=BB1_30 Depth=1
	v_cmp_ne_u32_e32 vcc, 0, v16
	v_mov_b64_e32 v[14:15], 0
	s_and_saveexec_b64 s[6:7], vcc
	s_cbranch_execz .LBB1_51
; %bb.48:                               ;   in Loop: Header=BB1_30 Depth=1
	s_mov_b32 s14, 0
	s_mov_b64 s[10:11], 0
	v_mov_b64_e32 v[14:15], 0
	s_mov_b64 s[12:13], 0
.LBB1_49:                               ;   Parent Loop BB1_30 Depth=1
                                        ; =>  This Inner Loop Header: Depth=2
	v_add_u32_e32 v9, s14, v8
	scratch_load_ubyte v9, v9, off
	v_mov_b32_e32 v19, s16
	s_add_i32 s14, s14, 1
	v_cmp_eq_u32_e32 vcc, s14, v16
	s_waitcnt vmcnt(0)
	v_and_b32_e32 v18, 0xffff, v9
	v_lshlrev_b64 v[18:19], s12, v[18:19]
	s_add_u32 s12, s12, 8
	s_addc_u32 s13, s13, 0
	v_or_b32_e32 v15, v19, v15
	s_or_b64 s[10:11], vcc, s[10:11]
	v_or_b32_e32 v14, v18, v14
	s_andn2_b64 exec, exec, s[10:11]
	s_cbranch_execnz .LBB1_49
; %bb.50:                               ;   in Loop: Header=BB1_30 Depth=1
	s_or_b64 exec, exec, s[10:11]
.LBB1_51:                               ;   in Loop: Header=BB1_30 Depth=1
	s_or_b64 exec, exec, s[6:7]
	v_mov_b32_e32 v9, v8
                                        ; implicit-def: $vgpr16
.LBB1_52:                               ;   in Loop: Header=BB1_30 Depth=1
	s_or_saveexec_b64 s[0:1], s[0:1]
	v_mov_b32_e32 v18, 0
	s_xor_b64 exec, exec, s[0:1]
	s_cbranch_execz .LBB1_54
; %bb.53:                               ;   in Loop: Header=BB1_30 Depth=1
	scratch_load_dwordx2 v[14:15], v8, off
	v_add_u32_e32 v18, -8, v16
.LBB1_54:                               ;   in Loop: Header=BB1_30 Depth=1
	s_or_b64 exec, exec, s[0:1]
	v_cmp_gt_u32_e32 vcc, 8, v18
	v_add_u32_e32 v8, 8, v9
                                        ; implicit-def: $vgpr16_vgpr17
	s_and_saveexec_b64 s[0:1], vcc
	s_xor_b64 s[0:1], exec, s[0:1]
	s_cbranch_execz .LBB1_60
; %bb.55:                               ;   in Loop: Header=BB1_30 Depth=1
	v_cmp_ne_u32_e32 vcc, 0, v18
	v_mov_b64_e32 v[16:17], 0
	s_and_saveexec_b64 s[6:7], vcc
	s_cbranch_execz .LBB1_59
; %bb.56:                               ;   in Loop: Header=BB1_30 Depth=1
	s_mov_b32 s14, 0
	s_mov_b64 s[10:11], 0
	v_mov_b64_e32 v[16:17], 0
	s_mov_b64 s[12:13], 0
.LBB1_57:                               ;   Parent Loop BB1_30 Depth=1
                                        ; =>  This Inner Loop Header: Depth=2
	v_add_u32_e32 v8, s14, v9
	scratch_load_ubyte v8, v8, off
	v_mov_b32_e32 v21, s16
	s_add_i32 s14, s14, 1
	v_cmp_eq_u32_e32 vcc, s14, v18
	s_waitcnt vmcnt(0)
	v_and_b32_e32 v20, 0xffff, v8
	v_lshlrev_b64 v[20:21], s12, v[20:21]
	s_add_u32 s12, s12, 8
	s_addc_u32 s13, s13, 0
	v_or_b32_e32 v17, v21, v17
	s_or_b64 s[10:11], vcc, s[10:11]
	v_or_b32_e32 v16, v20, v16
	s_andn2_b64 exec, exec, s[10:11]
	s_cbranch_execnz .LBB1_57
; %bb.58:                               ;   in Loop: Header=BB1_30 Depth=1
	s_or_b64 exec, exec, s[10:11]
.LBB1_59:                               ;   in Loop: Header=BB1_30 Depth=1
	s_or_b64 exec, exec, s[6:7]
	v_mov_b32_e32 v8, v9
                                        ; implicit-def: $vgpr18
.LBB1_60:                               ;   in Loop: Header=BB1_30 Depth=1
	s_or_saveexec_b64 s[0:1], s[0:1]
	v_mov_b32_e32 v20, 0
	s_xor_b64 exec, exec, s[0:1]
	s_cbranch_execz .LBB1_62
; %bb.61:                               ;   in Loop: Header=BB1_30 Depth=1
	scratch_load_dwordx2 v[16:17], v9, off
	v_add_u32_e32 v20, -8, v18
.LBB1_62:                               ;   in Loop: Header=BB1_30 Depth=1
	s_or_b64 exec, exec, s[0:1]
	v_cmp_gt_u32_e32 vcc, 8, v20
	v_add_u32_e32 v9, 8, v8
	s_and_saveexec_b64 s[0:1], vcc
	s_xor_b64 s[0:1], exec, s[0:1]
	s_cbranch_execz .LBB1_68
; %bb.63:                               ;   in Loop: Header=BB1_30 Depth=1
	v_cmp_ne_u32_e32 vcc, 0, v20
	v_mov_b64_e32 v[18:19], 0
	s_and_saveexec_b64 s[6:7], vcc
	s_cbranch_execz .LBB1_67
; %bb.64:                               ;   in Loop: Header=BB1_30 Depth=1
	s_mov_b32 s14, 0
	s_mov_b64 s[10:11], 0
	v_mov_b64_e32 v[18:19], 0
	s_mov_b64 s[12:13], 0
.LBB1_65:                               ;   Parent Loop BB1_30 Depth=1
                                        ; =>  This Inner Loop Header: Depth=2
	v_add_u32_e32 v9, s14, v8
	scratch_load_ubyte v9, v9, off
	v_mov_b32_e32 v23, s16
	s_add_i32 s14, s14, 1
	v_cmp_eq_u32_e32 vcc, s14, v20
	s_waitcnt vmcnt(0)
	v_and_b32_e32 v22, 0xffff, v9
	v_lshlrev_b64 v[22:23], s12, v[22:23]
	s_add_u32 s12, s12, 8
	s_addc_u32 s13, s13, 0
	v_or_b32_e32 v19, v23, v19
	s_or_b64 s[10:11], vcc, s[10:11]
	v_or_b32_e32 v18, v22, v18
	s_andn2_b64 exec, exec, s[10:11]
	s_cbranch_execnz .LBB1_65
; %bb.66:                               ;   in Loop: Header=BB1_30 Depth=1
	s_or_b64 exec, exec, s[10:11]
.LBB1_67:                               ;   in Loop: Header=BB1_30 Depth=1
	s_or_b64 exec, exec, s[6:7]
	v_mov_b32_e32 v9, v8
                                        ; implicit-def: $vgpr20
.LBB1_68:                               ;   in Loop: Header=BB1_30 Depth=1
	s_or_saveexec_b64 s[0:1], s[0:1]
	v_mov_b32_e32 v22, 0
	s_xor_b64 exec, exec, s[0:1]
	s_cbranch_execz .LBB1_70
; %bb.69:                               ;   in Loop: Header=BB1_30 Depth=1
	scratch_load_dwordx2 v[18:19], v8, off
	v_add_u32_e32 v22, -8, v20
.LBB1_70:                               ;   in Loop: Header=BB1_30 Depth=1
	s_or_b64 exec, exec, s[0:1]
	v_cmp_gt_u32_e32 vcc, 8, v22
	v_add_u32_e32 v8, 8, v9
                                        ; implicit-def: $vgpr20_vgpr21
	s_and_saveexec_b64 s[0:1], vcc
	s_xor_b64 s[0:1], exec, s[0:1]
	s_cbranch_execz .LBB1_76
; %bb.71:                               ;   in Loop: Header=BB1_30 Depth=1
	v_cmp_ne_u32_e32 vcc, 0, v22
	v_mov_b64_e32 v[20:21], 0
	s_and_saveexec_b64 s[6:7], vcc
	s_cbranch_execz .LBB1_75
; %bb.72:                               ;   in Loop: Header=BB1_30 Depth=1
	s_mov_b32 s14, 0
	s_mov_b64 s[10:11], 0
	v_mov_b64_e32 v[20:21], 0
	s_mov_b64 s[12:13], 0
.LBB1_73:                               ;   Parent Loop BB1_30 Depth=1
                                        ; =>  This Inner Loop Header: Depth=2
	v_add_u32_e32 v8, s14, v9
	scratch_load_ubyte v8, v8, off
	v_mov_b32_e32 v25, s16
	s_add_i32 s14, s14, 1
	v_cmp_eq_u32_e32 vcc, s14, v22
	s_waitcnt vmcnt(0)
	v_and_b32_e32 v24, 0xffff, v8
	v_lshlrev_b64 v[24:25], s12, v[24:25]
	s_add_u32 s12, s12, 8
	s_addc_u32 s13, s13, 0
	v_or_b32_e32 v21, v25, v21
	s_or_b64 s[10:11], vcc, s[10:11]
	v_or_b32_e32 v20, v24, v20
	s_andn2_b64 exec, exec, s[10:11]
	s_cbranch_execnz .LBB1_73
; %bb.74:                               ;   in Loop: Header=BB1_30 Depth=1
	s_or_b64 exec, exec, s[10:11]
.LBB1_75:                               ;   in Loop: Header=BB1_30 Depth=1
	s_or_b64 exec, exec, s[6:7]
	v_mov_b32_e32 v8, v9
                                        ; implicit-def: $vgpr22
.LBB1_76:                               ;   in Loop: Header=BB1_30 Depth=1
	s_or_saveexec_b64 s[0:1], s[0:1]
	v_mov_b32_e32 v24, 0
	s_xor_b64 exec, exec, s[0:1]
	s_cbranch_execz .LBB1_78
; %bb.77:                               ;   in Loop: Header=BB1_30 Depth=1
	scratch_load_dwordx2 v[20:21], v9, off
	v_add_u32_e32 v24, -8, v22
.LBB1_78:                               ;   in Loop: Header=BB1_30 Depth=1
	s_or_b64 exec, exec, s[0:1]
	v_cmp_gt_u32_e32 vcc, 8, v24
	s_and_saveexec_b64 s[0:1], vcc
	s_xor_b64 s[0:1], exec, s[0:1]
	s_cbranch_execz .LBB1_84
; %bb.79:                               ;   in Loop: Header=BB1_30 Depth=1
	v_cmp_ne_u32_e32 vcc, 0, v24
	v_mov_b64_e32 v[22:23], 0
	s_and_saveexec_b64 s[6:7], vcc
	s_cbranch_execz .LBB1_83
; %bb.80:                               ;   in Loop: Header=BB1_30 Depth=1
	s_mov_b64 s[10:11], 0
	v_mov_b64_e32 v[22:23], 0
	s_mov_b64 s[12:13], 0
.LBB1_81:                               ;   Parent Loop BB1_30 Depth=1
                                        ; =>  This Inner Loop Header: Depth=2
	scratch_load_ubyte v9, v8, off
	v_mov_b32_e32 v27, s16
	v_add_u32_e32 v24, -1, v24
	v_cmp_eq_u32_e32 vcc, 0, v24
	v_add_u32_e32 v8, 1, v8
	s_waitcnt vmcnt(0)
	v_and_b32_e32 v26, 0xffff, v9
	v_lshlrev_b64 v[26:27], s12, v[26:27]
	s_add_u32 s12, s12, 8
	s_addc_u32 s13, s13, 0
	v_or_b32_e32 v23, v27, v23
	s_or_b64 s[10:11], vcc, s[10:11]
	v_or_b32_e32 v22, v26, v22
	s_andn2_b64 exec, exec, s[10:11]
	s_cbranch_execnz .LBB1_81
; %bb.82:                               ;   in Loop: Header=BB1_30 Depth=1
	s_or_b64 exec, exec, s[10:11]
.LBB1_83:                               ;   in Loop: Header=BB1_30 Depth=1
	s_or_b64 exec, exec, s[6:7]
                                        ; implicit-def: $vgpr8
.LBB1_84:                               ;   in Loop: Header=BB1_30 Depth=1
	s_andn2_saveexec_b64 s[0:1], s[0:1]
	s_cbranch_execz .LBB1_86
; %bb.85:                               ;   in Loop: Header=BB1_30 Depth=1
	scratch_load_dwordx2 v[22:23], v8, off
.LBB1_86:                               ;   in Loop: Header=BB1_30 Depth=1
	s_or_b64 exec, exec, s[0:1]
	v_readfirstlane_b32 s0, v38
	v_mov_b64_e32 v[8:9], 0
	s_nop 0
	v_cmp_eq_u32_e64 s[0:1], s0, v38
	s_and_saveexec_b64 s[6:7], s[0:1]
	s_cbranch_execz .LBB1_92
; %bb.87:                               ;   in Loop: Header=BB1_30 Depth=1
	global_load_dwordx2 v[26:27], v31, s[2:3] offset:24 sc0 sc1
	s_waitcnt vmcnt(0)
	buffer_inv sc0 sc1
	global_load_dwordx2 v[8:9], v31, s[2:3] offset:40
	global_load_dwordx2 v[24:25], v31, s[2:3]
	s_waitcnt vmcnt(1)
	v_and_b32_e32 v8, v8, v26
	v_and_b32_e32 v9, v9, v27
	v_mul_lo_u32 v9, v9, 24
	v_mul_hi_u32 v36, v8, 24
	v_add_u32_e32 v9, v36, v9
	v_mul_lo_u32 v8, v8, 24
	s_waitcnt vmcnt(0)
	v_lshl_add_u64 v[8:9], v[24:25], 0, v[8:9]
	global_load_dwordx2 v[24:25], v[8:9], off sc0 sc1
	s_waitcnt vmcnt(0)
	global_atomic_cmpswap_x2 v[8:9], v31, v[24:27], s[2:3] offset:24 sc0 sc1
	s_waitcnt vmcnt(0)
	buffer_inv sc0 sc1
	v_cmp_ne_u64_e32 vcc, v[8:9], v[26:27]
	s_and_saveexec_b64 s[10:11], vcc
	s_cbranch_execz .LBB1_91
; %bb.88:                               ;   in Loop: Header=BB1_30 Depth=1
	s_mov_b64 s[12:13], 0
.LBB1_89:                               ;   Parent Loop BB1_30 Depth=1
                                        ; =>  This Inner Loop Header: Depth=2
	s_sleep 1
	global_load_dwordx2 v[24:25], v31, s[2:3] offset:40
	global_load_dwordx2 v[36:37], v31, s[2:3]
	v_mov_b64_e32 v[26:27], v[8:9]
	s_waitcnt vmcnt(1)
	v_and_b32_e32 v8, v24, v26
	s_waitcnt vmcnt(0)
	v_mad_u64_u32 v[8:9], s[14:15], v8, 24, v[36:37]
	v_and_b32_e32 v25, v25, v27
	v_mov_b32_e32 v24, v9
	v_mad_u64_u32 v[24:25], s[14:15], v25, 24, v[24:25]
	v_mov_b32_e32 v9, v24
	global_load_dwordx2 v[24:25], v[8:9], off sc0 sc1
	s_waitcnt vmcnt(0)
	global_atomic_cmpswap_x2 v[8:9], v31, v[24:27], s[2:3] offset:24 sc0 sc1
	s_waitcnt vmcnt(0)
	buffer_inv sc0 sc1
	v_cmp_eq_u64_e32 vcc, v[8:9], v[26:27]
	s_or_b64 s[12:13], vcc, s[12:13]
	s_andn2_b64 exec, exec, s[12:13]
	s_cbranch_execnz .LBB1_89
; %bb.90:                               ;   in Loop: Header=BB1_30 Depth=1
	s_or_b64 exec, exec, s[12:13]
.LBB1_91:                               ;   in Loop: Header=BB1_30 Depth=1
	s_or_b64 exec, exec, s[10:11]
.LBB1_92:                               ;   in Loop: Header=BB1_30 Depth=1
	s_or_b64 exec, exec, s[6:7]
	global_load_dwordx2 v[36:37], v31, s[2:3] offset:40
	global_load_dwordx4 v[24:27], v31, s[2:3]
	v_readfirstlane_b32 s7, v9
	v_readfirstlane_b32 s6, v8
	s_mov_b64 s[10:11], exec
	s_waitcnt vmcnt(1)
	v_readfirstlane_b32 s12, v36
	v_readfirstlane_b32 s13, v37
	s_and_b64 s[12:13], s[12:13], s[6:7]
	s_mul_i32 s14, s13, 24
	s_mul_hi_u32 s15, s12, 24
	s_add_i32 s15, s15, s14
	s_mul_i32 s14, s12, 24
	s_waitcnt vmcnt(0)
	v_lshl_add_u64 v[36:37], v[24:25], 0, s[14:15]
	s_and_saveexec_b64 s[14:15], s[0:1]
	s_cbranch_execz .LBB1_94
; %bb.93:                               ;   in Loop: Header=BB1_30 Depth=1
	v_mov_b64_e32 v[8:9], s[10:11]
	global_store_dwordx4 v[36:37], v[8:11], off offset:8
.LBB1_94:                               ;   in Loop: Header=BB1_30 Depth=1
	s_or_b64 exec, exec, s[14:15]
	s_lshl_b64 s[10:11], s[12:13], 12
	v_cmp_gt_u64_e32 vcc, 57, v[28:29]
	v_lshl_add_u64 v[8:9], v[26:27], 0, s[10:11]
	v_and_b32_e32 v0, 0xffffff1f, v0
	v_cndmask_b32_e32 v26, 0, v32, vcc
	v_lshl_add_u32 v27, v34, 2, 28
	v_or_b32_e32 v0, v0, v26
	v_and_or_b32 v0, v27, s17, v0
	v_readfirstlane_b32 s10, v8
	v_readfirstlane_b32 s11, v9
	s_nop 4
	global_store_dwordx4 v30, v[0:3], s[10:11]
	global_store_dwordx4 v30, v[12:15], s[10:11] offset:16
	global_store_dwordx4 v30, v[16:19], s[10:11] offset:32
	global_store_dwordx4 v30, v[20:23], s[10:11] offset:48
	s_and_saveexec_b64 s[10:11], s[0:1]
	s_cbranch_execz .LBB1_102
; %bb.95:                               ;   in Loop: Header=BB1_30 Depth=1
	global_load_dwordx2 v[16:17], v31, s[2:3] offset:32 sc0 sc1
	global_load_dwordx2 v[0:1], v31, s[2:3] offset:40
	v_mov_b32_e32 v14, s6
	v_mov_b32_e32 v15, s7
	s_waitcnt vmcnt(0)
	v_readfirstlane_b32 s12, v0
	v_readfirstlane_b32 s13, v1
	s_and_b64 s[12:13], s[12:13], s[6:7]
	s_mul_i32 s13, s13, 24
	s_mul_hi_u32 s14, s12, 24
	s_mul_i32 s12, s12, 24
	s_add_i32 s13, s14, s13
	v_lshl_add_u64 v[12:13], v[24:25], 0, s[12:13]
	global_store_dwordx2 v[12:13], v[16:17], off
	buffer_wbl2 sc0 sc1
	s_waitcnt vmcnt(0)
	global_atomic_cmpswap_x2 v[2:3], v31, v[14:17], s[2:3] offset:32 sc0 sc1
	s_waitcnt vmcnt(0)
	v_cmp_ne_u64_e32 vcc, v[2:3], v[16:17]
	s_and_saveexec_b64 s[12:13], vcc
	s_cbranch_execz .LBB1_98
; %bb.96:                               ;   in Loop: Header=BB1_30 Depth=1
	s_mov_b64 s[14:15], 0
.LBB1_97:                               ;   Parent Loop BB1_30 Depth=1
                                        ; =>  This Inner Loop Header: Depth=2
	s_sleep 1
	global_store_dwordx2 v[12:13], v[2:3], off
	v_mov_b32_e32 v0, s6
	v_mov_b32_e32 v1, s7
	buffer_wbl2 sc0 sc1
	s_waitcnt vmcnt(0)
	global_atomic_cmpswap_x2 v[0:1], v31, v[0:3], s[2:3] offset:32 sc0 sc1
	s_waitcnt vmcnt(0)
	v_cmp_eq_u64_e32 vcc, v[0:1], v[2:3]
	s_or_b64 s[14:15], vcc, s[14:15]
	v_mov_b64_e32 v[2:3], v[0:1]
	s_andn2_b64 exec, exec, s[14:15]
	s_cbranch_execnz .LBB1_97
.LBB1_98:                               ;   in Loop: Header=BB1_30 Depth=1
	s_or_b64 exec, exec, s[12:13]
	global_load_dwordx2 v[0:1], v31, s[2:3] offset:16
	s_mov_b64 s[14:15], exec
	v_mbcnt_lo_u32_b32 v2, s14, 0
	v_mbcnt_hi_u32_b32 v2, s15, v2
	v_cmp_eq_u32_e32 vcc, 0, v2
	s_and_saveexec_b64 s[12:13], vcc
	s_cbranch_execz .LBB1_100
; %bb.99:                               ;   in Loop: Header=BB1_30 Depth=1
	s_bcnt1_i32_b64 s14, s[14:15]
	v_mov_b32_e32 v2, s14
	v_mov_b32_e32 v3, v31
	buffer_wbl2 sc0 sc1
	s_waitcnt vmcnt(0)
	global_atomic_add_x2 v[0:1], v[2:3], off offset:8 sc1
.LBB1_100:                              ;   in Loop: Header=BB1_30 Depth=1
	s_or_b64 exec, exec, s[12:13]
	s_waitcnt vmcnt(0)
	global_load_dwordx2 v[2:3], v[0:1], off offset:16
	s_waitcnt vmcnt(0)
	v_cmp_eq_u64_e32 vcc, 0, v[2:3]
	s_cbranch_vccnz .LBB1_102
; %bb.101:                              ;   in Loop: Header=BB1_30 Depth=1
	global_load_dword v0, v[0:1], off offset:24
	v_mov_b32_e32 v1, v31
	s_waitcnt vmcnt(0)
	v_readfirstlane_b32 s12, v0
	s_and_b32 m0, s12, 0xffffff
	buffer_wbl2 sc0 sc1
	global_store_dwordx2 v[2:3], v[0:1], off sc0 sc1
	s_sendmsg sendmsg(MSG_INTERRUPT)
.LBB1_102:                              ;   in Loop: Header=BB1_30 Depth=1
	s_or_b64 exec, exec, s[10:11]
	v_lshl_add_u64 v[0:1], v[8:9], 0, v[30:31]
	s_branch .LBB1_106
.LBB1_103:                              ;   in Loop: Header=BB1_106 Depth=2
	s_or_b64 exec, exec, s[10:11]
	v_readfirstlane_b32 s10, v2
	s_cmp_eq_u32 s10, 0
	s_cbranch_scc1 .LBB1_105
; %bb.104:                              ;   in Loop: Header=BB1_106 Depth=2
	s_sleep 1
	s_cbranch_execnz .LBB1_106
	s_branch .LBB1_108
.LBB1_105:                              ;   in Loop: Header=BB1_30 Depth=1
	s_branch .LBB1_108
.LBB1_106:                              ;   Parent Loop BB1_30 Depth=1
                                        ; =>  This Inner Loop Header: Depth=2
	v_mov_b32_e32 v2, 1
	s_and_saveexec_b64 s[10:11], s[0:1]
	s_cbranch_execz .LBB1_103
; %bb.107:                              ;   in Loop: Header=BB1_106 Depth=2
	global_load_dword v2, v[36:37], off offset:20 sc0 sc1
	s_waitcnt vmcnt(0)
	buffer_inv sc0 sc1
	v_and_b32_e32 v2, 1, v2
	s_branch .LBB1_103
.LBB1_108:                              ;   in Loop: Header=BB1_30 Depth=1
	global_load_dwordx2 v[0:1], v[0:1], off
	s_and_saveexec_b64 s[10:11], s[0:1]
	s_cbranch_execz .LBB1_29
; %bb.109:                              ;   in Loop: Header=BB1_30 Depth=1
	global_load_dwordx2 v[2:3], v31, s[2:3] offset:40
	global_load_dwordx2 v[16:17], v31, s[2:3] offset:24 sc0 sc1
	global_load_dwordx2 v[8:9], v31, s[2:3]
	s_waitcnt vmcnt(2)
	v_readfirstlane_b32 s12, v2
	v_readfirstlane_b32 s13, v3
	s_add_u32 s14, s12, 1
	s_addc_u32 s15, s13, 0
	s_add_u32 s0, s14, s6
	s_addc_u32 s1, s15, s7
	s_cmp_eq_u64 s[0:1], 0
	s_cselect_b32 s1, s15, s1
	s_cselect_b32 s0, s14, s0
	s_and_b64 s[6:7], s[0:1], s[12:13]
	s_mul_i32 s7, s7, 24
	s_mul_hi_u32 s12, s6, 24
	s_mul_i32 s6, s6, 24
	s_add_i32 s7, s12, s7
	s_waitcnt vmcnt(0)
	v_lshl_add_u64 v[2:3], v[8:9], 0, s[6:7]
	v_mov_b32_e32 v14, s0
	global_store_dwordx2 v[2:3], v[16:17], off
	v_mov_b32_e32 v15, s1
	buffer_wbl2 sc0 sc1
	s_waitcnt vmcnt(0)
	global_atomic_cmpswap_x2 v[14:15], v31, v[14:17], s[2:3] offset:24 sc0 sc1
	s_waitcnt vmcnt(0)
	v_cmp_ne_u64_e32 vcc, v[14:15], v[16:17]
	s_and_b64 exec, exec, vcc
	s_cbranch_execz .LBB1_29
; %bb.110:                              ;   in Loop: Header=BB1_30 Depth=1
	s_mov_b64 s[6:7], 0
.LBB1_111:                              ;   Parent Loop BB1_30 Depth=1
                                        ; =>  This Inner Loop Header: Depth=2
	s_sleep 1
	global_store_dwordx2 v[2:3], v[14:15], off
	v_mov_b32_e32 v12, s0
	v_mov_b32_e32 v13, s1
	buffer_wbl2 sc0 sc1
	s_waitcnt vmcnt(0)
	global_atomic_cmpswap_x2 v[8:9], v31, v[12:15], s[2:3] offset:24 sc0 sc1
	s_waitcnt vmcnt(0)
	v_cmp_eq_u64_e32 vcc, v[8:9], v[14:15]
	s_or_b64 s[6:7], vcc, s[6:7]
	v_mov_b64_e32 v[14:15], v[8:9]
	s_andn2_b64 exec, exec, s[6:7]
	s_cbranch_execnz .LBB1_111
	s_branch .LBB1_29
.LBB1_112:
                                        ; implicit-def: $vgpr0_vgpr1
	s_cbranch_execnz .LBB1_114
	s_branch .LBB1_140
.LBB1_113:
	s_or_b64 exec, exec, s[4:5]
	s_branch .LBB1_140
.LBB1_114:
	v_readfirstlane_b32 s0, v38
	v_mov_b64_e32 v[8:9], 0
	s_nop 0
	v_cmp_eq_u32_e64 s[0:1], s0, v38
	s_and_saveexec_b64 s[4:5], s[0:1]
	s_cbranch_execz .LBB1_120
; %bb.115:
	s_waitcnt vmcnt(0)
	v_mov_b32_e32 v0, 0
	global_load_dwordx2 v[10:11], v0, s[2:3] offset:24 sc0 sc1
	s_waitcnt vmcnt(0)
	buffer_inv sc0 sc1
	global_load_dwordx2 v[2:3], v0, s[2:3] offset:40
	global_load_dwordx2 v[8:9], v0, s[2:3]
	s_waitcnt vmcnt(1)
	v_and_b32_e32 v1, v2, v10
	v_and_b32_e32 v2, v3, v11
	v_mul_lo_u32 v2, v2, 24
	v_mul_hi_u32 v3, v1, 24
	v_add_u32_e32 v3, v3, v2
	v_mul_lo_u32 v2, v1, 24
	s_waitcnt vmcnt(0)
	v_lshl_add_u64 v[2:3], v[8:9], 0, v[2:3]
	global_load_dwordx2 v[8:9], v[2:3], off sc0 sc1
	s_waitcnt vmcnt(0)
	global_atomic_cmpswap_x2 v[8:9], v0, v[8:11], s[2:3] offset:24 sc0 sc1
	s_waitcnt vmcnt(0)
	buffer_inv sc0 sc1
	v_cmp_ne_u64_e32 vcc, v[8:9], v[10:11]
	s_and_saveexec_b64 s[6:7], vcc
	s_cbranch_execz .LBB1_119
; %bb.116:
	s_mov_b64 s[10:11], 0
.LBB1_117:                              ; =>This Inner Loop Header: Depth=1
	s_sleep 1
	global_load_dwordx2 v[2:3], v0, s[2:3] offset:40
	global_load_dwordx2 v[12:13], v0, s[2:3]
	v_mov_b64_e32 v[10:11], v[8:9]
	s_waitcnt vmcnt(1)
	v_and_b32_e32 v2, v2, v10
	v_and_b32_e32 v1, v3, v11
	s_waitcnt vmcnt(0)
	v_mad_u64_u32 v[2:3], s[12:13], v2, 24, v[12:13]
	v_mov_b32_e32 v8, v3
	v_mad_u64_u32 v[8:9], s[12:13], v1, 24, v[8:9]
	v_mov_b32_e32 v3, v8
	global_load_dwordx2 v[8:9], v[2:3], off sc0 sc1
	s_waitcnt vmcnt(0)
	global_atomic_cmpswap_x2 v[8:9], v0, v[8:11], s[2:3] offset:24 sc0 sc1
	s_waitcnt vmcnt(0)
	buffer_inv sc0 sc1
	v_cmp_eq_u64_e32 vcc, v[8:9], v[10:11]
	s_or_b64 s[10:11], vcc, s[10:11]
	s_andn2_b64 exec, exec, s[10:11]
	s_cbranch_execnz .LBB1_117
; %bb.118:
	s_or_b64 exec, exec, s[10:11]
.LBB1_119:
	s_or_b64 exec, exec, s[6:7]
.LBB1_120:
	s_or_b64 exec, exec, s[4:5]
	v_mov_b32_e32 v31, 0
	global_load_dwordx2 v[10:11], v31, s[2:3] offset:40
	global_load_dwordx4 v[0:3], v31, s[2:3]
	v_readfirstlane_b32 s5, v9
	v_readfirstlane_b32 s4, v8
	s_mov_b64 s[6:7], exec
	s_waitcnt vmcnt(1)
	v_readfirstlane_b32 s10, v10
	v_readfirstlane_b32 s11, v11
	s_and_b64 s[10:11], s[10:11], s[4:5]
	s_mul_i32 s12, s11, 24
	s_mul_hi_u32 s13, s10, 24
	s_add_i32 s13, s13, s12
	s_mul_i32 s12, s10, 24
	s_waitcnt vmcnt(0)
	v_lshl_add_u64 v[10:11], v[0:1], 0, s[12:13]
	s_and_saveexec_b64 s[12:13], s[0:1]
	s_cbranch_execz .LBB1_122
; %bb.121:
	v_mov_b64_e32 v[12:13], s[6:7]
	v_mov_b32_e32 v14, 2
	v_mov_b32_e32 v15, 1
	global_store_dwordx4 v[10:11], v[12:15], off offset:8
.LBB1_122:
	s_or_b64 exec, exec, s[12:13]
	s_lshl_b64 s[6:7], s[10:11], 12
	v_lshl_add_u64 v[12:13], v[2:3], 0, s[6:7]
	s_movk_i32 s6, 0xff1f
	s_mov_b32 s12, 0
	v_and_or_b32 v6, v6, s6, 32
	v_mov_b32_e32 v8, v31
	v_mov_b32_e32 v9, v31
	v_readfirstlane_b32 s6, v12
	v_readfirstlane_b32 s7, v13
	s_mov_b32 s13, s12
	s_mov_b32 s14, s12
	;; [unrolled: 1-line block ×3, first 2 shown]
	s_nop 1
	global_store_dwordx4 v30, v[6:9], s[6:7]
	s_nop 1
	v_mov_b64_e32 v[6:7], s[12:13]
	v_mov_b64_e32 v[8:9], s[14:15]
	global_store_dwordx4 v30, v[6:9], s[6:7] offset:16
	global_store_dwordx4 v30, v[6:9], s[6:7] offset:32
	;; [unrolled: 1-line block ×3, first 2 shown]
	s_and_saveexec_b64 s[6:7], s[0:1]
	s_cbranch_execz .LBB1_130
; %bb.123:
	v_mov_b32_e32 v8, 0
	global_load_dwordx2 v[16:17], v8, s[2:3] offset:32 sc0 sc1
	global_load_dwordx2 v[2:3], v8, s[2:3] offset:40
	v_mov_b32_e32 v14, s4
	v_mov_b32_e32 v15, s5
	s_waitcnt vmcnt(0)
	v_readfirstlane_b32 s10, v2
	v_readfirstlane_b32 s11, v3
	s_and_b64 s[10:11], s[10:11], s[4:5]
	s_mul_i32 s11, s11, 24
	s_mul_hi_u32 s12, s10, 24
	s_mul_i32 s10, s10, 24
	s_add_i32 s11, s12, s11
	v_lshl_add_u64 v[6:7], v[0:1], 0, s[10:11]
	global_store_dwordx2 v[6:7], v[16:17], off
	buffer_wbl2 sc0 sc1
	s_waitcnt vmcnt(0)
	global_atomic_cmpswap_x2 v[2:3], v8, v[14:17], s[2:3] offset:32 sc0 sc1
	s_waitcnt vmcnt(0)
	v_cmp_ne_u64_e32 vcc, v[2:3], v[16:17]
	s_and_saveexec_b64 s[10:11], vcc
	s_cbranch_execz .LBB1_126
; %bb.124:
	s_mov_b64 s[12:13], 0
.LBB1_125:                              ; =>This Inner Loop Header: Depth=1
	s_sleep 1
	global_store_dwordx2 v[6:7], v[2:3], off
	v_mov_b32_e32 v0, s4
	v_mov_b32_e32 v1, s5
	buffer_wbl2 sc0 sc1
	s_waitcnt vmcnt(0)
	global_atomic_cmpswap_x2 v[0:1], v8, v[0:3], s[2:3] offset:32 sc0 sc1
	s_waitcnt vmcnt(0)
	v_cmp_eq_u64_e32 vcc, v[0:1], v[2:3]
	s_or_b64 s[12:13], vcc, s[12:13]
	v_mov_b64_e32 v[2:3], v[0:1]
	s_andn2_b64 exec, exec, s[12:13]
	s_cbranch_execnz .LBB1_125
.LBB1_126:
	s_or_b64 exec, exec, s[10:11]
	v_mov_b32_e32 v3, 0
	global_load_dwordx2 v[0:1], v3, s[2:3] offset:16
	s_mov_b64 s[10:11], exec
	v_mbcnt_lo_u32_b32 v2, s10, 0
	v_mbcnt_hi_u32_b32 v2, s11, v2
	v_cmp_eq_u32_e32 vcc, 0, v2
	s_and_saveexec_b64 s[12:13], vcc
	s_cbranch_execz .LBB1_128
; %bb.127:
	s_bcnt1_i32_b64 s10, s[10:11]
	v_mov_b32_e32 v2, s10
	buffer_wbl2 sc0 sc1
	s_waitcnt vmcnt(0)
	global_atomic_add_x2 v[0:1], v[2:3], off offset:8 sc1
.LBB1_128:
	s_or_b64 exec, exec, s[12:13]
	s_waitcnt vmcnt(0)
	global_load_dwordx2 v[2:3], v[0:1], off offset:16
	s_waitcnt vmcnt(0)
	v_cmp_eq_u64_e32 vcc, 0, v[2:3]
	s_cbranch_vccnz .LBB1_130
; %bb.129:
	global_load_dword v0, v[0:1], off offset:24
	v_mov_b32_e32 v1, 0
	s_waitcnt vmcnt(0)
	v_readfirstlane_b32 s10, v0
	s_and_b32 m0, s10, 0xffffff
	buffer_wbl2 sc0 sc1
	global_store_dwordx2 v[2:3], v[0:1], off sc0 sc1
	s_sendmsg sendmsg(MSG_INTERRUPT)
.LBB1_130:
	s_or_b64 exec, exec, s[6:7]
	v_lshl_add_u64 v[0:1], v[12:13], 0, v[30:31]
	s_branch .LBB1_134
.LBB1_131:                              ;   in Loop: Header=BB1_134 Depth=1
	s_or_b64 exec, exec, s[6:7]
	v_readfirstlane_b32 s6, v2
	s_cmp_eq_u32 s6, 0
	s_cbranch_scc1 .LBB1_133
; %bb.132:                              ;   in Loop: Header=BB1_134 Depth=1
	s_sleep 1
	s_cbranch_execnz .LBB1_134
	s_branch .LBB1_136
.LBB1_133:
	s_branch .LBB1_136
.LBB1_134:                              ; =>This Inner Loop Header: Depth=1
	v_mov_b32_e32 v2, 1
	s_and_saveexec_b64 s[6:7], s[0:1]
	s_cbranch_execz .LBB1_131
; %bb.135:                              ;   in Loop: Header=BB1_134 Depth=1
	global_load_dword v2, v[10:11], off offset:20 sc0 sc1
	s_waitcnt vmcnt(0)
	buffer_inv sc0 sc1
	v_and_b32_e32 v2, 1, v2
	s_branch .LBB1_131
.LBB1_136:
	global_load_dwordx2 v[0:1], v[0:1], off
	s_and_saveexec_b64 s[6:7], s[0:1]
	s_cbranch_execz .LBB1_139
; %bb.137:
	v_mov_b32_e32 v10, 0
	global_load_dwordx2 v[2:3], v10, s[2:3] offset:40
	global_load_dwordx2 v[14:15], v10, s[2:3] offset:24 sc0 sc1
	global_load_dwordx2 v[6:7], v10, s[2:3]
	s_waitcnt vmcnt(2)
	v_readfirstlane_b32 s10, v2
	v_readfirstlane_b32 s11, v3
	s_add_u32 s12, s10, 1
	s_addc_u32 s13, s11, 0
	s_add_u32 s0, s12, s4
	s_addc_u32 s1, s13, s5
	s_cmp_eq_u64 s[0:1], 0
	s_cselect_b32 s1, s13, s1
	s_cselect_b32 s0, s12, s0
	s_and_b64 s[4:5], s[0:1], s[10:11]
	s_mul_i32 s5, s5, 24
	s_mul_hi_u32 s10, s4, 24
	s_mul_i32 s4, s4, 24
	s_add_i32 s5, s10, s5
	s_waitcnt vmcnt(0)
	v_lshl_add_u64 v[2:3], v[6:7], 0, s[4:5]
	v_mov_b32_e32 v12, s0
	global_store_dwordx2 v[2:3], v[14:15], off
	v_mov_b32_e32 v13, s1
	buffer_wbl2 sc0 sc1
	s_waitcnt vmcnt(0)
	global_atomic_cmpswap_x2 v[8:9], v10, v[12:15], s[2:3] offset:24 sc0 sc1
	s_mov_b64 s[4:5], 0
	s_waitcnt vmcnt(0)
	v_cmp_ne_u64_e32 vcc, v[8:9], v[14:15]
	s_and_b64 exec, exec, vcc
	s_cbranch_execz .LBB1_139
.LBB1_138:                              ; =>This Inner Loop Header: Depth=1
	s_sleep 1
	global_store_dwordx2 v[2:3], v[8:9], off
	v_mov_b32_e32 v6, s0
	v_mov_b32_e32 v7, s1
	buffer_wbl2 sc0 sc1
	s_waitcnt vmcnt(0)
	global_atomic_cmpswap_x2 v[6:7], v10, v[6:9], s[2:3] offset:24 sc0 sc1
	s_waitcnt vmcnt(0)
	v_cmp_eq_u64_e32 vcc, v[6:7], v[8:9]
	s_or_b64 s[4:5], vcc, s[4:5]
	v_mov_b64_e32 v[8:9], v[6:7]
	s_andn2_b64 exec, exec, s[4:5]
	s_cbranch_execnz .LBB1_138
.LBB1_139:
	s_or_b64 exec, exec, s[6:7]
.LBB1_140:
	s_getpc_b64 s[4:5]
	s_add_u32 s4, s4, .str.4@rel32@lo+4
	s_addc_u32 s5, s5, .str.4@rel32@hi+12
	s_cmp_lg_u64 s[4:5], 0
	s_cbranch_scc0 .LBB1_225
; %bb.141:
	s_getpc_b64 s[0:1]
	s_add_u32 s0, s0, .str.4@rel32@lo+80
	s_addc_u32 s1, s1, .str.4@rel32@hi+88
	s_sub_i32 s6, s0, s4
	s_ashr_i32 s7, s6, 31
	s_waitcnt vmcnt(0)
	v_and_b32_e32 v2, 2, v0
	v_mov_b32_e32 v33, 0
	v_and_b32_e32 v6, -3, v0
	v_mov_b32_e32 v7, v1
	v_mov_b32_e32 v12, 2
	;; [unrolled: 1-line block ×3, first 2 shown]
	s_branch .LBB1_143
.LBB1_142:                              ;   in Loop: Header=BB1_143 Depth=1
	s_or_b64 exec, exec, s[14:15]
	s_sub_u32 s6, s6, s10
	s_subb_u32 s7, s7, s11
	s_add_u32 s4, s4, s10
	s_addc_u32 s5, s5, s11
	s_cmp_lg_u64 s[6:7], 0
	s_cbranch_scc0 .LBB1_226
.LBB1_143:                              ; =>This Loop Header: Depth=1
                                        ;     Child Loop BB1_146 Depth 2
                                        ;     Child Loop BB1_154 Depth 2
	;; [unrolled: 1-line block ×11, first 2 shown]
	v_cmp_lt_u64_e64 s[0:1], s[6:7], 56
	s_and_b64 s[0:1], s[0:1], exec
	s_cselect_b32 s11, s7, 0
	s_cselect_b32 s10, s6, 56
	v_cmp_gt_u64_e64 s[12:13], s[6:7], 7
	s_add_u32 s0, s4, 8
	s_addc_u32 s1, s5, 0
	s_and_b64 vcc, exec, s[12:13]
	s_cbranch_vccnz .LBB1_147
; %bb.144:                              ;   in Loop: Header=BB1_143 Depth=1
	s_cmp_eq_u64 s[6:7], 0
	s_cbranch_scc1 .LBB1_148
; %bb.145:                              ;   in Loop: Header=BB1_143 Depth=1
	s_lshl_b64 s[0:1], s[10:11], 3
	s_mov_b64 s[12:13], 0
	v_mov_b64_e32 v[8:9], 0
	s_mov_b64 s[14:15], s[4:5]
.LBB1_146:                              ;   Parent Loop BB1_143 Depth=1
                                        ; =>  This Inner Loop Header: Depth=2
	global_load_ubyte v3, v33, s[14:15]
	s_waitcnt vmcnt(0)
	v_and_b32_e32 v32, 0xffff, v3
	v_lshlrev_b64 v[10:11], s12, v[32:33]
	s_add_u32 s12, s12, 8
	s_addc_u32 s13, s13, 0
	s_add_u32 s14, s14, 1
	s_addc_u32 s15, s15, 0
	v_or_b32_e32 v8, v10, v8
	s_cmp_lg_u32 s0, s12
	v_or_b32_e32 v9, v11, v9
	s_cbranch_scc1 .LBB1_146
	s_branch .LBB1_149
.LBB1_147:                              ;   in Loop: Header=BB1_143 Depth=1
	s_mov_b32 s16, 0
	s_branch .LBB1_150
.LBB1_148:                              ;   in Loop: Header=BB1_143 Depth=1
	v_mov_b64_e32 v[8:9], 0
.LBB1_149:                              ;   in Loop: Header=BB1_143 Depth=1
	s_mov_b64 s[0:1], s[4:5]
	s_mov_b32 s16, 0
	s_cbranch_execnz .LBB1_151
.LBB1_150:                              ;   in Loop: Header=BB1_143 Depth=1
	global_load_dwordx2 v[8:9], v33, s[4:5]
	s_add_i32 s16, s10, -8
.LBB1_151:                              ;   in Loop: Header=BB1_143 Depth=1
	s_add_u32 s12, s0, 8
	s_addc_u32 s13, s1, 0
	s_cmp_gt_u32 s16, 7
	s_cbranch_scc1 .LBB1_155
; %bb.152:                              ;   in Loop: Header=BB1_143 Depth=1
	s_cmp_eq_u32 s16, 0
	s_cbranch_scc1 .LBB1_156
; %bb.153:                              ;   in Loop: Header=BB1_143 Depth=1
	s_mov_b64 s[12:13], 0
	v_mov_b64_e32 v[14:15], 0
	s_mov_b64 s[14:15], 0
.LBB1_154:                              ;   Parent Loop BB1_143 Depth=1
                                        ; =>  This Inner Loop Header: Depth=2
	s_add_u32 s18, s0, s14
	s_addc_u32 s19, s1, s15
	global_load_ubyte v3, v33, s[18:19]
	s_add_u32 s14, s14, 1
	s_addc_u32 s15, s15, 0
	s_waitcnt vmcnt(0)
	v_and_b32_e32 v32, 0xffff, v3
	v_lshlrev_b64 v[10:11], s12, v[32:33]
	s_add_u32 s12, s12, 8
	s_addc_u32 s13, s13, 0
	v_or_b32_e32 v14, v10, v14
	s_cmp_lg_u32 s16, s14
	v_or_b32_e32 v15, v11, v15
	s_cbranch_scc1 .LBB1_154
	s_branch .LBB1_157
.LBB1_155:                              ;   in Loop: Header=BB1_143 Depth=1
                                        ; implicit-def: $vgpr14_vgpr15
	s_mov_b32 s17, 0
	s_branch .LBB1_158
.LBB1_156:                              ;   in Loop: Header=BB1_143 Depth=1
	v_mov_b64_e32 v[14:15], 0
.LBB1_157:                              ;   in Loop: Header=BB1_143 Depth=1
	s_mov_b64 s[12:13], s[0:1]
	s_mov_b32 s17, 0
	s_cbranch_execnz .LBB1_159
.LBB1_158:                              ;   in Loop: Header=BB1_143 Depth=1
	global_load_dwordx2 v[14:15], v33, s[0:1]
	s_add_i32 s17, s16, -8
.LBB1_159:                              ;   in Loop: Header=BB1_143 Depth=1
	s_add_u32 s0, s12, 8
	s_addc_u32 s1, s13, 0
	s_cmp_gt_u32 s17, 7
	s_cbranch_scc1 .LBB1_163
; %bb.160:                              ;   in Loop: Header=BB1_143 Depth=1
	s_cmp_eq_u32 s17, 0
	s_cbranch_scc1 .LBB1_164
; %bb.161:                              ;   in Loop: Header=BB1_143 Depth=1
	s_mov_b64 s[0:1], 0
	v_mov_b64_e32 v[16:17], 0
	s_mov_b64 s[14:15], 0
.LBB1_162:                              ;   Parent Loop BB1_143 Depth=1
                                        ; =>  This Inner Loop Header: Depth=2
	s_add_u32 s18, s12, s14
	s_addc_u32 s19, s13, s15
	global_load_ubyte v3, v33, s[18:19]
	s_add_u32 s14, s14, 1
	s_addc_u32 s15, s15, 0
	s_waitcnt vmcnt(0)
	v_and_b32_e32 v32, 0xffff, v3
	v_lshlrev_b64 v[10:11], s0, v[32:33]
	s_add_u32 s0, s0, 8
	s_addc_u32 s1, s1, 0
	v_or_b32_e32 v16, v10, v16
	s_cmp_lg_u32 s17, s14
	v_or_b32_e32 v17, v11, v17
	s_cbranch_scc1 .LBB1_162
	s_branch .LBB1_165
.LBB1_163:                              ;   in Loop: Header=BB1_143 Depth=1
	s_mov_b32 s16, 0
	s_branch .LBB1_166
.LBB1_164:                              ;   in Loop: Header=BB1_143 Depth=1
	v_mov_b64_e32 v[16:17], 0
.LBB1_165:                              ;   in Loop: Header=BB1_143 Depth=1
	s_mov_b64 s[0:1], s[12:13]
	s_mov_b32 s16, 0
	s_cbranch_execnz .LBB1_167
.LBB1_166:                              ;   in Loop: Header=BB1_143 Depth=1
	global_load_dwordx2 v[16:17], v33, s[12:13]
	s_add_i32 s16, s17, -8
.LBB1_167:                              ;   in Loop: Header=BB1_143 Depth=1
	s_add_u32 s12, s0, 8
	s_addc_u32 s13, s1, 0
	s_cmp_gt_u32 s16, 7
	s_cbranch_scc1 .LBB1_171
; %bb.168:                              ;   in Loop: Header=BB1_143 Depth=1
	s_cmp_eq_u32 s16, 0
	s_cbranch_scc1 .LBB1_172
; %bb.169:                              ;   in Loop: Header=BB1_143 Depth=1
	s_mov_b64 s[12:13], 0
	v_mov_b64_e32 v[18:19], 0
	s_mov_b64 s[14:15], 0
.LBB1_170:                              ;   Parent Loop BB1_143 Depth=1
                                        ; =>  This Inner Loop Header: Depth=2
	s_add_u32 s18, s0, s14
	s_addc_u32 s19, s1, s15
	global_load_ubyte v3, v33, s[18:19]
	s_add_u32 s14, s14, 1
	s_addc_u32 s15, s15, 0
	s_waitcnt vmcnt(0)
	v_and_b32_e32 v32, 0xffff, v3
	v_lshlrev_b64 v[10:11], s12, v[32:33]
	s_add_u32 s12, s12, 8
	s_addc_u32 s13, s13, 0
	v_or_b32_e32 v18, v10, v18
	s_cmp_lg_u32 s16, s14
	v_or_b32_e32 v19, v11, v19
	s_cbranch_scc1 .LBB1_170
	s_branch .LBB1_173
.LBB1_171:                              ;   in Loop: Header=BB1_143 Depth=1
                                        ; implicit-def: $vgpr18_vgpr19
	s_mov_b32 s17, 0
	s_branch .LBB1_174
.LBB1_172:                              ;   in Loop: Header=BB1_143 Depth=1
	v_mov_b64_e32 v[18:19], 0
.LBB1_173:                              ;   in Loop: Header=BB1_143 Depth=1
	s_mov_b64 s[12:13], s[0:1]
	s_mov_b32 s17, 0
	s_cbranch_execnz .LBB1_175
.LBB1_174:                              ;   in Loop: Header=BB1_143 Depth=1
	global_load_dwordx2 v[18:19], v33, s[0:1]
	s_add_i32 s17, s16, -8
.LBB1_175:                              ;   in Loop: Header=BB1_143 Depth=1
	s_add_u32 s0, s12, 8
	s_addc_u32 s1, s13, 0
	s_cmp_gt_u32 s17, 7
	s_cbranch_scc1 .LBB1_179
; %bb.176:                              ;   in Loop: Header=BB1_143 Depth=1
	s_cmp_eq_u32 s17, 0
	s_cbranch_scc1 .LBB1_180
; %bb.177:                              ;   in Loop: Header=BB1_143 Depth=1
	s_mov_b64 s[0:1], 0
	v_mov_b64_e32 v[20:21], 0
	s_mov_b64 s[14:15], 0
.LBB1_178:                              ;   Parent Loop BB1_143 Depth=1
                                        ; =>  This Inner Loop Header: Depth=2
	s_add_u32 s18, s12, s14
	s_addc_u32 s19, s13, s15
	global_load_ubyte v3, v33, s[18:19]
	s_add_u32 s14, s14, 1
	s_addc_u32 s15, s15, 0
	s_waitcnt vmcnt(0)
	v_and_b32_e32 v32, 0xffff, v3
	v_lshlrev_b64 v[10:11], s0, v[32:33]
	s_add_u32 s0, s0, 8
	s_addc_u32 s1, s1, 0
	v_or_b32_e32 v20, v10, v20
	s_cmp_lg_u32 s17, s14
	v_or_b32_e32 v21, v11, v21
	s_cbranch_scc1 .LBB1_178
	s_branch .LBB1_181
.LBB1_179:                              ;   in Loop: Header=BB1_143 Depth=1
	s_mov_b32 s16, 0
	s_branch .LBB1_182
.LBB1_180:                              ;   in Loop: Header=BB1_143 Depth=1
	v_mov_b64_e32 v[20:21], 0
.LBB1_181:                              ;   in Loop: Header=BB1_143 Depth=1
	s_mov_b64 s[0:1], s[12:13]
	s_mov_b32 s16, 0
	s_cbranch_execnz .LBB1_183
.LBB1_182:                              ;   in Loop: Header=BB1_143 Depth=1
	global_load_dwordx2 v[20:21], v33, s[12:13]
	s_add_i32 s16, s17, -8
.LBB1_183:                              ;   in Loop: Header=BB1_143 Depth=1
	s_add_u32 s12, s0, 8
	s_addc_u32 s13, s1, 0
	s_cmp_gt_u32 s16, 7
	s_cbranch_scc1 .LBB1_187
; %bb.184:                              ;   in Loop: Header=BB1_143 Depth=1
	s_cmp_eq_u32 s16, 0
	s_cbranch_scc1 .LBB1_188
; %bb.185:                              ;   in Loop: Header=BB1_143 Depth=1
	s_mov_b64 s[12:13], 0
	v_mov_b64_e32 v[22:23], 0
	s_mov_b64 s[14:15], 0
.LBB1_186:                              ;   Parent Loop BB1_143 Depth=1
                                        ; =>  This Inner Loop Header: Depth=2
	s_add_u32 s18, s0, s14
	s_addc_u32 s19, s1, s15
	global_load_ubyte v3, v33, s[18:19]
	s_add_u32 s14, s14, 1
	s_addc_u32 s15, s15, 0
	s_waitcnt vmcnt(0)
	v_and_b32_e32 v32, 0xffff, v3
	v_lshlrev_b64 v[10:11], s12, v[32:33]
	s_add_u32 s12, s12, 8
	s_addc_u32 s13, s13, 0
	v_or_b32_e32 v22, v10, v22
	s_cmp_lg_u32 s16, s14
	v_or_b32_e32 v23, v11, v23
	s_cbranch_scc1 .LBB1_186
	s_branch .LBB1_189
.LBB1_187:                              ;   in Loop: Header=BB1_143 Depth=1
                                        ; implicit-def: $vgpr22_vgpr23
	s_mov_b32 s17, 0
	s_branch .LBB1_190
.LBB1_188:                              ;   in Loop: Header=BB1_143 Depth=1
	v_mov_b64_e32 v[22:23], 0
.LBB1_189:                              ;   in Loop: Header=BB1_143 Depth=1
	s_mov_b64 s[12:13], s[0:1]
	s_mov_b32 s17, 0
	s_cbranch_execnz .LBB1_191
.LBB1_190:                              ;   in Loop: Header=BB1_143 Depth=1
	global_load_dwordx2 v[22:23], v33, s[0:1]
	s_add_i32 s17, s16, -8
.LBB1_191:                              ;   in Loop: Header=BB1_143 Depth=1
	s_cmp_gt_u32 s17, 7
	s_cbranch_scc1 .LBB1_195
; %bb.192:                              ;   in Loop: Header=BB1_143 Depth=1
	s_cmp_eq_u32 s17, 0
	s_cbranch_scc1 .LBB1_196
; %bb.193:                              ;   in Loop: Header=BB1_143 Depth=1
	s_mov_b64 s[0:1], 0
	v_mov_b64_e32 v[24:25], 0
	s_mov_b64 s[14:15], s[12:13]
.LBB1_194:                              ;   Parent Loop BB1_143 Depth=1
                                        ; =>  This Inner Loop Header: Depth=2
	global_load_ubyte v3, v33, s[14:15]
	s_add_i32 s17, s17, -1
	s_waitcnt vmcnt(0)
	v_and_b32_e32 v32, 0xffff, v3
	v_lshlrev_b64 v[10:11], s0, v[32:33]
	s_add_u32 s0, s0, 8
	s_addc_u32 s1, s1, 0
	s_add_u32 s14, s14, 1
	s_addc_u32 s15, s15, 0
	v_or_b32_e32 v24, v10, v24
	s_cmp_lg_u32 s17, 0
	v_or_b32_e32 v25, v11, v25
	s_cbranch_scc1 .LBB1_194
	s_branch .LBB1_197
.LBB1_195:                              ;   in Loop: Header=BB1_143 Depth=1
	s_branch .LBB1_198
.LBB1_196:                              ;   in Loop: Header=BB1_143 Depth=1
	v_mov_b64_e32 v[24:25], 0
.LBB1_197:                              ;   in Loop: Header=BB1_143 Depth=1
	s_cbranch_execnz .LBB1_199
.LBB1_198:                              ;   in Loop: Header=BB1_143 Depth=1
	global_load_dwordx2 v[24:25], v33, s[12:13]
.LBB1_199:                              ;   in Loop: Header=BB1_143 Depth=1
	v_readfirstlane_b32 s0, v38
	v_mov_b64_e32 v[10:11], 0
	s_nop 0
	v_cmp_eq_u32_e64 s[0:1], s0, v38
	s_and_saveexec_b64 s[12:13], s[0:1]
	s_cbranch_execz .LBB1_205
; %bb.200:                              ;   in Loop: Header=BB1_143 Depth=1
	global_load_dwordx2 v[28:29], v33, s[2:3] offset:24 sc0 sc1
	s_waitcnt vmcnt(0)
	buffer_inv sc0 sc1
	global_load_dwordx2 v[10:11], v33, s[2:3] offset:40
	global_load_dwordx2 v[26:27], v33, s[2:3]
	s_waitcnt vmcnt(1)
	v_and_b32_e32 v3, v10, v28
	v_and_b32_e32 v10, v11, v29
	v_mul_lo_u32 v10, v10, 24
	v_mul_hi_u32 v11, v3, 24
	v_add_u32_e32 v11, v11, v10
	v_mul_lo_u32 v10, v3, 24
	s_waitcnt vmcnt(0)
	v_lshl_add_u64 v[10:11], v[26:27], 0, v[10:11]
	global_load_dwordx2 v[26:27], v[10:11], off sc0 sc1
	s_waitcnt vmcnt(0)
	global_atomic_cmpswap_x2 v[10:11], v33, v[26:29], s[2:3] offset:24 sc0 sc1
	s_waitcnt vmcnt(0)
	buffer_inv sc0 sc1
	v_cmp_ne_u64_e32 vcc, v[10:11], v[28:29]
	s_and_saveexec_b64 s[14:15], vcc
	s_cbranch_execz .LBB1_204
; %bb.201:                              ;   in Loop: Header=BB1_143 Depth=1
	s_mov_b64 s[16:17], 0
.LBB1_202:                              ;   Parent Loop BB1_143 Depth=1
                                        ; =>  This Inner Loop Header: Depth=2
	s_sleep 1
	global_load_dwordx2 v[26:27], v33, s[2:3] offset:40
	global_load_dwordx2 v[34:35], v33, s[2:3]
	v_mov_b64_e32 v[28:29], v[10:11]
	s_waitcnt vmcnt(1)
	v_and_b32_e32 v10, v26, v28
	s_waitcnt vmcnt(0)
	v_mad_u64_u32 v[10:11], s[18:19], v10, 24, v[34:35]
	v_and_b32_e32 v3, v27, v29
	v_mov_b32_e32 v26, v11
	v_mad_u64_u32 v[26:27], s[18:19], v3, 24, v[26:27]
	v_mov_b32_e32 v11, v26
	global_load_dwordx2 v[26:27], v[10:11], off sc0 sc1
	s_waitcnt vmcnt(0)
	global_atomic_cmpswap_x2 v[10:11], v33, v[26:29], s[2:3] offset:24 sc0 sc1
	s_waitcnt vmcnt(0)
	buffer_inv sc0 sc1
	v_cmp_eq_u64_e32 vcc, v[10:11], v[28:29]
	s_or_b64 s[16:17], vcc, s[16:17]
	s_andn2_b64 exec, exec, s[16:17]
	s_cbranch_execnz .LBB1_202
; %bb.203:                              ;   in Loop: Header=BB1_143 Depth=1
	s_or_b64 exec, exec, s[16:17]
.LBB1_204:                              ;   in Loop: Header=BB1_143 Depth=1
	s_or_b64 exec, exec, s[14:15]
.LBB1_205:                              ;   in Loop: Header=BB1_143 Depth=1
	s_or_b64 exec, exec, s[12:13]
	global_load_dwordx2 v[34:35], v33, s[2:3] offset:40
	global_load_dwordx4 v[26:29], v33, s[2:3]
	v_readfirstlane_b32 s13, v11
	v_readfirstlane_b32 s12, v10
	s_mov_b64 s[14:15], exec
	s_waitcnt vmcnt(1)
	v_readfirstlane_b32 s16, v34
	v_readfirstlane_b32 s17, v35
	s_and_b64 s[16:17], s[16:17], s[12:13]
	s_mul_i32 s18, s17, 24
	s_mul_hi_u32 s19, s16, 24
	s_add_i32 s19, s19, s18
	s_mul_i32 s18, s16, 24
	s_waitcnt vmcnt(0)
	v_lshl_add_u64 v[34:35], v[26:27], 0, s[18:19]
	s_and_saveexec_b64 s[18:19], s[0:1]
	s_cbranch_execz .LBB1_207
; %bb.206:                              ;   in Loop: Header=BB1_143 Depth=1
	v_mov_b64_e32 v[10:11], s[14:15]
	global_store_dwordx4 v[34:35], v[10:13], off offset:8
.LBB1_207:                              ;   in Loop: Header=BB1_143 Depth=1
	s_or_b64 exec, exec, s[18:19]
	s_lshl_b64 s[14:15], s[16:17], 12
	v_lshl_add_u64 v[10:11], v[28:29], 0, s[14:15]
	v_cmp_lt_u64_e64 vcc, s[6:7], 57
	s_lshl_b32 s14, s10, 2
	s_add_i32 s14, s14, 28
	v_cndmask_b32_e32 v3, 0, v2, vcc
	v_and_b32_e32 v6, 0xffffff1f, v6
	s_and_b32 s14, s14, 0x1e0
	v_or_b32_e32 v3, v6, v3
	v_or_b32_e32 v6, s14, v3
	v_readfirstlane_b32 s14, v10
	v_readfirstlane_b32 s15, v11
	s_nop 4
	global_store_dwordx4 v30, v[6:9], s[14:15]
	global_store_dwordx4 v30, v[14:17], s[14:15] offset:16
	global_store_dwordx4 v30, v[18:21], s[14:15] offset:32
	;; [unrolled: 1-line block ×3, first 2 shown]
	s_and_saveexec_b64 s[14:15], s[0:1]
	s_cbranch_execz .LBB1_215
; %bb.208:                              ;   in Loop: Header=BB1_143 Depth=1
	global_load_dwordx2 v[18:19], v33, s[2:3] offset:32 sc0 sc1
	global_load_dwordx2 v[6:7], v33, s[2:3] offset:40
	v_mov_b32_e32 v16, s12
	v_mov_b32_e32 v17, s13
	s_waitcnt vmcnt(0)
	v_readfirstlane_b32 s16, v6
	v_readfirstlane_b32 s17, v7
	s_and_b64 s[16:17], s[16:17], s[12:13]
	s_mul_i32 s17, s17, 24
	s_mul_hi_u32 s18, s16, 24
	s_mul_i32 s16, s16, 24
	s_add_i32 s17, s18, s17
	v_lshl_add_u64 v[14:15], v[26:27], 0, s[16:17]
	global_store_dwordx2 v[14:15], v[18:19], off
	buffer_wbl2 sc0 sc1
	s_waitcnt vmcnt(0)
	global_atomic_cmpswap_x2 v[8:9], v33, v[16:19], s[2:3] offset:32 sc0 sc1
	s_waitcnt vmcnt(0)
	v_cmp_ne_u64_e32 vcc, v[8:9], v[18:19]
	s_and_saveexec_b64 s[16:17], vcc
	s_cbranch_execz .LBB1_211
; %bb.209:                              ;   in Loop: Header=BB1_143 Depth=1
	s_mov_b64 s[18:19], 0
.LBB1_210:                              ;   Parent Loop BB1_143 Depth=1
                                        ; =>  This Inner Loop Header: Depth=2
	s_sleep 1
	global_store_dwordx2 v[14:15], v[8:9], off
	v_mov_b32_e32 v6, s12
	v_mov_b32_e32 v7, s13
	buffer_wbl2 sc0 sc1
	s_waitcnt vmcnt(0)
	global_atomic_cmpswap_x2 v[6:7], v33, v[6:9], s[2:3] offset:32 sc0 sc1
	s_waitcnt vmcnt(0)
	v_cmp_eq_u64_e32 vcc, v[6:7], v[8:9]
	s_or_b64 s[18:19], vcc, s[18:19]
	v_mov_b64_e32 v[8:9], v[6:7]
	s_andn2_b64 exec, exec, s[18:19]
	s_cbranch_execnz .LBB1_210
.LBB1_211:                              ;   in Loop: Header=BB1_143 Depth=1
	s_or_b64 exec, exec, s[16:17]
	global_load_dwordx2 v[6:7], v33, s[2:3] offset:16
	s_mov_b64 s[18:19], exec
	v_mbcnt_lo_u32_b32 v3, s18, 0
	v_mbcnt_hi_u32_b32 v3, s19, v3
	v_cmp_eq_u32_e32 vcc, 0, v3
	s_and_saveexec_b64 s[16:17], vcc
	s_cbranch_execz .LBB1_213
; %bb.212:                              ;   in Loop: Header=BB1_143 Depth=1
	s_bcnt1_i32_b64 s18, s[18:19]
	v_mov_b32_e32 v32, s18
	buffer_wbl2 sc0 sc1
	s_waitcnt vmcnt(0)
	global_atomic_add_x2 v[6:7], v[32:33], off offset:8 sc1
.LBB1_213:                              ;   in Loop: Header=BB1_143 Depth=1
	s_or_b64 exec, exec, s[16:17]
	s_waitcnt vmcnt(0)
	global_load_dwordx2 v[8:9], v[6:7], off offset:16
	s_waitcnt vmcnt(0)
	v_cmp_eq_u64_e32 vcc, 0, v[8:9]
	s_cbranch_vccnz .LBB1_215
; %bb.214:                              ;   in Loop: Header=BB1_143 Depth=1
	global_load_dword v32, v[6:7], off offset:24
	s_waitcnt vmcnt(0)
	v_readfirstlane_b32 s16, v32
	s_and_b32 m0, s16, 0xffffff
	buffer_wbl2 sc0 sc1
	global_store_dwordx2 v[8:9], v[32:33], off sc0 sc1
	s_sendmsg sendmsg(MSG_INTERRUPT)
.LBB1_215:                              ;   in Loop: Header=BB1_143 Depth=1
	s_or_b64 exec, exec, s[14:15]
	v_mov_b32_e32 v31, v33
	v_lshl_add_u64 v[6:7], v[10:11], 0, v[30:31]
	s_branch .LBB1_219
.LBB1_216:                              ;   in Loop: Header=BB1_219 Depth=2
	s_or_b64 exec, exec, s[14:15]
	v_readfirstlane_b32 s14, v3
	s_cmp_eq_u32 s14, 0
	s_cbranch_scc1 .LBB1_218
; %bb.217:                              ;   in Loop: Header=BB1_219 Depth=2
	s_sleep 1
	s_cbranch_execnz .LBB1_219
	s_branch .LBB1_221
.LBB1_218:                              ;   in Loop: Header=BB1_143 Depth=1
	s_branch .LBB1_221
.LBB1_219:                              ;   Parent Loop BB1_143 Depth=1
                                        ; =>  This Inner Loop Header: Depth=2
	v_mov_b32_e32 v3, 1
	s_and_saveexec_b64 s[14:15], s[0:1]
	s_cbranch_execz .LBB1_216
; %bb.220:                              ;   in Loop: Header=BB1_219 Depth=2
	global_load_dword v3, v[34:35], off offset:20 sc0 sc1
	s_waitcnt vmcnt(0)
	buffer_inv sc0 sc1
	v_and_b32_e32 v3, 1, v3
	s_branch .LBB1_216
.LBB1_221:                              ;   in Loop: Header=BB1_143 Depth=1
	global_load_dwordx2 v[6:7], v[6:7], off
	s_and_saveexec_b64 s[14:15], s[0:1]
	s_cbranch_execz .LBB1_142
; %bb.222:                              ;   in Loop: Header=BB1_143 Depth=1
	global_load_dwordx2 v[8:9], v33, s[2:3] offset:40
	global_load_dwordx2 v[18:19], v33, s[2:3] offset:24 sc0 sc1
	global_load_dwordx2 v[10:11], v33, s[2:3]
	s_waitcnt vmcnt(2)
	v_readfirstlane_b32 s16, v8
	v_readfirstlane_b32 s17, v9
	s_add_u32 s18, s16, 1
	s_addc_u32 s19, s17, 0
	s_add_u32 s0, s18, s12
	s_addc_u32 s1, s19, s13
	s_cmp_eq_u64 s[0:1], 0
	s_cselect_b32 s1, s19, s1
	s_cselect_b32 s0, s18, s0
	s_and_b64 s[12:13], s[0:1], s[16:17]
	s_mul_i32 s13, s13, 24
	s_mul_hi_u32 s16, s12, 24
	s_mul_i32 s12, s12, 24
	s_add_i32 s13, s16, s13
	s_waitcnt vmcnt(0)
	v_lshl_add_u64 v[14:15], v[10:11], 0, s[12:13]
	v_mov_b32_e32 v16, s0
	global_store_dwordx2 v[14:15], v[18:19], off
	v_mov_b32_e32 v17, s1
	buffer_wbl2 sc0 sc1
	s_waitcnt vmcnt(0)
	global_atomic_cmpswap_x2 v[10:11], v33, v[16:19], s[2:3] offset:24 sc0 sc1
	s_waitcnt vmcnt(0)
	v_cmp_ne_u64_e32 vcc, v[10:11], v[18:19]
	s_and_b64 exec, exec, vcc
	s_cbranch_execz .LBB1_142
; %bb.223:                              ;   in Loop: Header=BB1_143 Depth=1
	s_mov_b64 s[12:13], 0
.LBB1_224:                              ;   Parent Loop BB1_143 Depth=1
                                        ; =>  This Inner Loop Header: Depth=2
	s_sleep 1
	global_store_dwordx2 v[14:15], v[10:11], off
	v_mov_b32_e32 v8, s0
	v_mov_b32_e32 v9, s1
	buffer_wbl2 sc0 sc1
	s_waitcnt vmcnt(0)
	global_atomic_cmpswap_x2 v[8:9], v33, v[8:11], s[2:3] offset:24 sc0 sc1
	s_waitcnt vmcnt(0)
	v_cmp_eq_u64_e32 vcc, v[8:9], v[10:11]
	s_or_b64 s[12:13], vcc, s[12:13]
	v_mov_b64_e32 v[10:11], v[8:9]
	s_andn2_b64 exec, exec, s[12:13]
	s_cbranch_execnz .LBB1_224
	s_branch .LBB1_142
.LBB1_225:
                                        ; implicit-def: $vgpr6_vgpr7
	s_cbranch_execnz .LBB1_227
	s_branch .LBB1_253
.LBB1_226:
	s_branch .LBB1_253
.LBB1_227:
	v_readfirstlane_b32 s0, v38
	v_mov_b64_e32 v[2:3], 0
	s_nop 0
	v_cmp_eq_u32_e64 s[0:1], s0, v38
	s_and_saveexec_b64 s[4:5], s[0:1]
	s_cbranch_execz .LBB1_233
; %bb.228:
	s_waitcnt vmcnt(0)
	v_mov_b32_e32 v6, 0
	global_load_dwordx2 v[10:11], v6, s[2:3] offset:24 sc0 sc1
	s_waitcnt vmcnt(0)
	buffer_inv sc0 sc1
	global_load_dwordx2 v[2:3], v6, s[2:3] offset:40
	global_load_dwordx2 v[8:9], v6, s[2:3]
	s_waitcnt vmcnt(1)
	v_and_b32_e32 v2, v2, v10
	v_and_b32_e32 v3, v3, v11
	v_mul_lo_u32 v3, v3, 24
	v_mul_hi_u32 v7, v2, 24
	v_add_u32_e32 v3, v7, v3
	v_mul_lo_u32 v2, v2, 24
	s_waitcnt vmcnt(0)
	v_lshl_add_u64 v[2:3], v[8:9], 0, v[2:3]
	global_load_dwordx2 v[8:9], v[2:3], off sc0 sc1
	s_waitcnt vmcnt(0)
	global_atomic_cmpswap_x2 v[2:3], v6, v[8:11], s[2:3] offset:24 sc0 sc1
	s_waitcnt vmcnt(0)
	buffer_inv sc0 sc1
	v_cmp_ne_u64_e32 vcc, v[2:3], v[10:11]
	s_and_saveexec_b64 s[6:7], vcc
	s_cbranch_execz .LBB1_232
; %bb.229:
	s_mov_b64 s[10:11], 0
.LBB1_230:                              ; =>This Inner Loop Header: Depth=1
	s_sleep 1
	global_load_dwordx2 v[8:9], v6, s[2:3] offset:40
	global_load_dwordx2 v[12:13], v6, s[2:3]
	v_mov_b64_e32 v[10:11], v[2:3]
	s_waitcnt vmcnt(1)
	v_and_b32_e32 v2, v8, v10
	s_waitcnt vmcnt(0)
	v_mad_u64_u32 v[2:3], s[12:13], v2, 24, v[12:13]
	v_and_b32_e32 v7, v9, v11
	v_mov_b32_e32 v8, v3
	v_mad_u64_u32 v[8:9], s[12:13], v7, 24, v[8:9]
	v_mov_b32_e32 v3, v8
	global_load_dwordx2 v[8:9], v[2:3], off sc0 sc1
	s_waitcnt vmcnt(0)
	global_atomic_cmpswap_x2 v[2:3], v6, v[8:11], s[2:3] offset:24 sc0 sc1
	s_waitcnt vmcnt(0)
	buffer_inv sc0 sc1
	v_cmp_eq_u64_e32 vcc, v[2:3], v[10:11]
	s_or_b64 s[10:11], vcc, s[10:11]
	s_andn2_b64 exec, exec, s[10:11]
	s_cbranch_execnz .LBB1_230
; %bb.231:
	s_or_b64 exec, exec, s[10:11]
.LBB1_232:
	s_or_b64 exec, exec, s[6:7]
.LBB1_233:
	s_or_b64 exec, exec, s[4:5]
	v_mov_b32_e32 v31, 0
	global_load_dwordx2 v[10:11], v31, s[2:3] offset:40
	global_load_dwordx4 v[6:9], v31, s[2:3]
	v_readfirstlane_b32 s5, v3
	v_readfirstlane_b32 s4, v2
	s_mov_b64 s[6:7], exec
	s_waitcnt vmcnt(1)
	v_readfirstlane_b32 s10, v10
	v_readfirstlane_b32 s11, v11
	s_and_b64 s[10:11], s[10:11], s[4:5]
	s_mul_i32 s12, s11, 24
	s_mul_hi_u32 s13, s10, 24
	s_add_i32 s13, s13, s12
	s_mul_i32 s12, s10, 24
	s_waitcnt vmcnt(0)
	v_lshl_add_u64 v[10:11], v[6:7], 0, s[12:13]
	s_and_saveexec_b64 s[12:13], s[0:1]
	s_cbranch_execz .LBB1_235
; %bb.234:
	v_mov_b64_e32 v[12:13], s[6:7]
	v_mov_b32_e32 v14, 2
	v_mov_b32_e32 v15, 1
	global_store_dwordx4 v[10:11], v[12:15], off offset:8
.LBB1_235:
	s_or_b64 exec, exec, s[12:13]
	s_lshl_b64 s[6:7], s[10:11], 12
	v_lshl_add_u64 v[8:9], v[8:9], 0, s[6:7]
	s_movk_i32 s6, 0xff1f
	s_mov_b32 s12, 0
	v_and_or_b32 v0, v0, s6, 32
	v_mov_b32_e32 v2, v31
	v_mov_b32_e32 v3, v31
	v_readfirstlane_b32 s6, v8
	v_readfirstlane_b32 s7, v9
	s_mov_b32 s13, s12
	s_mov_b32 s14, s12
	;; [unrolled: 1-line block ×3, first 2 shown]
	s_nop 1
	global_store_dwordx4 v30, v[0:3], s[6:7]
	s_nop 1
	v_mov_b64_e32 v[0:1], s[12:13]
	v_mov_b64_e32 v[2:3], s[14:15]
	global_store_dwordx4 v30, v[0:3], s[6:7] offset:16
	global_store_dwordx4 v30, v[0:3], s[6:7] offset:32
	;; [unrolled: 1-line block ×3, first 2 shown]
	s_and_saveexec_b64 s[6:7], s[0:1]
	s_cbranch_execz .LBB1_243
; %bb.236:
	v_mov_b32_e32 v12, 0
	global_load_dwordx2 v[16:17], v12, s[2:3] offset:32 sc0 sc1
	global_load_dwordx2 v[0:1], v12, s[2:3] offset:40
	v_mov_b32_e32 v14, s4
	v_mov_b32_e32 v15, s5
	s_waitcnt vmcnt(0)
	v_readfirstlane_b32 s10, v0
	v_readfirstlane_b32 s11, v1
	s_and_b64 s[10:11], s[10:11], s[4:5]
	s_mul_i32 s11, s11, 24
	s_mul_hi_u32 s12, s10, 24
	s_mul_i32 s10, s10, 24
	s_add_i32 s11, s12, s11
	v_lshl_add_u64 v[6:7], v[6:7], 0, s[10:11]
	global_store_dwordx2 v[6:7], v[16:17], off
	buffer_wbl2 sc0 sc1
	s_waitcnt vmcnt(0)
	global_atomic_cmpswap_x2 v[2:3], v12, v[14:17], s[2:3] offset:32 sc0 sc1
	s_waitcnt vmcnt(0)
	v_cmp_ne_u64_e32 vcc, v[2:3], v[16:17]
	s_and_saveexec_b64 s[10:11], vcc
	s_cbranch_execz .LBB1_239
; %bb.237:
	s_mov_b64 s[12:13], 0
.LBB1_238:                              ; =>This Inner Loop Header: Depth=1
	s_sleep 1
	global_store_dwordx2 v[6:7], v[2:3], off
	v_mov_b32_e32 v0, s4
	v_mov_b32_e32 v1, s5
	buffer_wbl2 sc0 sc1
	s_waitcnt vmcnt(0)
	global_atomic_cmpswap_x2 v[0:1], v12, v[0:3], s[2:3] offset:32 sc0 sc1
	s_waitcnt vmcnt(0)
	v_cmp_eq_u64_e32 vcc, v[0:1], v[2:3]
	s_or_b64 s[12:13], vcc, s[12:13]
	v_mov_b64_e32 v[2:3], v[0:1]
	s_andn2_b64 exec, exec, s[12:13]
	s_cbranch_execnz .LBB1_238
.LBB1_239:
	s_or_b64 exec, exec, s[10:11]
	v_mov_b32_e32 v3, 0
	global_load_dwordx2 v[0:1], v3, s[2:3] offset:16
	s_mov_b64 s[10:11], exec
	v_mbcnt_lo_u32_b32 v2, s10, 0
	v_mbcnt_hi_u32_b32 v2, s11, v2
	v_cmp_eq_u32_e32 vcc, 0, v2
	s_and_saveexec_b64 s[12:13], vcc
	s_cbranch_execz .LBB1_241
; %bb.240:
	s_bcnt1_i32_b64 s10, s[10:11]
	v_mov_b32_e32 v2, s10
	buffer_wbl2 sc0 sc1
	s_waitcnt vmcnt(0)
	global_atomic_add_x2 v[0:1], v[2:3], off offset:8 sc1
.LBB1_241:
	s_or_b64 exec, exec, s[12:13]
	s_waitcnt vmcnt(0)
	global_load_dwordx2 v[2:3], v[0:1], off offset:16
	s_waitcnt vmcnt(0)
	v_cmp_eq_u64_e32 vcc, 0, v[2:3]
	s_cbranch_vccnz .LBB1_243
; %bb.242:
	global_load_dword v0, v[0:1], off offset:24
	v_mov_b32_e32 v1, 0
	s_waitcnt vmcnt(0)
	v_readfirstlane_b32 s10, v0
	s_and_b32 m0, s10, 0xffffff
	buffer_wbl2 sc0 sc1
	global_store_dwordx2 v[2:3], v[0:1], off sc0 sc1
	s_sendmsg sendmsg(MSG_INTERRUPT)
.LBB1_243:
	s_or_b64 exec, exec, s[6:7]
	v_lshl_add_u64 v[0:1], v[8:9], 0, v[30:31]
	s_branch .LBB1_247
.LBB1_244:                              ;   in Loop: Header=BB1_247 Depth=1
	s_or_b64 exec, exec, s[6:7]
	v_readfirstlane_b32 s6, v2
	s_cmp_eq_u32 s6, 0
	s_cbranch_scc1 .LBB1_246
; %bb.245:                              ;   in Loop: Header=BB1_247 Depth=1
	s_sleep 1
	s_cbranch_execnz .LBB1_247
	s_branch .LBB1_249
.LBB1_246:
	s_branch .LBB1_249
.LBB1_247:                              ; =>This Inner Loop Header: Depth=1
	v_mov_b32_e32 v2, 1
	s_and_saveexec_b64 s[6:7], s[0:1]
	s_cbranch_execz .LBB1_244
; %bb.248:                              ;   in Loop: Header=BB1_247 Depth=1
	global_load_dword v2, v[10:11], off offset:20 sc0 sc1
	s_waitcnt vmcnt(0)
	buffer_inv sc0 sc1
	v_and_b32_e32 v2, 1, v2
	s_branch .LBB1_244
.LBB1_249:
	global_load_dwordx2 v[6:7], v[0:1], off
	s_and_saveexec_b64 s[6:7], s[0:1]
	s_cbranch_execz .LBB1_252
; %bb.250:
	v_mov_b32_e32 v10, 0
	global_load_dwordx2 v[0:1], v10, s[2:3] offset:40
	global_load_dwordx2 v[14:15], v10, s[2:3] offset:24 sc0 sc1
	global_load_dwordx2 v[2:3], v10, s[2:3]
	s_waitcnt vmcnt(2)
	v_readfirstlane_b32 s10, v0
	v_readfirstlane_b32 s11, v1
	s_add_u32 s12, s10, 1
	s_addc_u32 s13, s11, 0
	s_add_u32 s0, s12, s4
	s_addc_u32 s1, s13, s5
	s_cmp_eq_u64 s[0:1], 0
	s_cselect_b32 s1, s13, s1
	s_cselect_b32 s0, s12, s0
	s_and_b64 s[4:5], s[0:1], s[10:11]
	s_mul_i32 s5, s5, 24
	s_mul_hi_u32 s10, s4, 24
	s_mul_i32 s4, s4, 24
	s_add_i32 s5, s10, s5
	s_waitcnt vmcnt(0)
	v_lshl_add_u64 v[8:9], v[2:3], 0, s[4:5]
	v_mov_b32_e32 v12, s0
	global_store_dwordx2 v[8:9], v[14:15], off
	v_mov_b32_e32 v13, s1
	buffer_wbl2 sc0 sc1
	s_waitcnt vmcnt(0)
	global_atomic_cmpswap_x2 v[2:3], v10, v[12:15], s[2:3] offset:24 sc0 sc1
	s_mov_b64 s[4:5], 0
	s_waitcnt vmcnt(0)
	v_cmp_ne_u64_e32 vcc, v[2:3], v[14:15]
	s_and_b64 exec, exec, vcc
	s_cbranch_execz .LBB1_252
.LBB1_251:                              ; =>This Inner Loop Header: Depth=1
	s_sleep 1
	global_store_dwordx2 v[8:9], v[2:3], off
	v_mov_b32_e32 v0, s0
	v_mov_b32_e32 v1, s1
	buffer_wbl2 sc0 sc1
	s_waitcnt vmcnt(0)
	global_atomic_cmpswap_x2 v[0:1], v10, v[0:3], s[2:3] offset:24 sc0 sc1
	s_waitcnt vmcnt(0)
	v_cmp_eq_u64_e32 vcc, v[0:1], v[2:3]
	s_or_b64 s[4:5], vcc, s[4:5]
	v_mov_b64_e32 v[2:3], v[0:1]
	s_andn2_b64 exec, exec, s[4:5]
	s_cbranch_execnz .LBB1_251
.LBB1_252:
	s_or_b64 exec, exec, s[6:7]
.LBB1_253:
	v_readfirstlane_b32 s0, v38
	v_mov_b64_e32 v[8:9], 0
	s_nop 0
	v_cmp_eq_u32_e64 s[0:1], s0, v38
	s_and_saveexec_b64 s[4:5], s[0:1]
	s_cbranch_execz .LBB1_259
; %bb.254:
	s_waitcnt vmcnt(0)
	v_mov_b32_e32 v0, 0
	global_load_dwordx2 v[10:11], v0, s[2:3] offset:24 sc0 sc1
	s_waitcnt vmcnt(0)
	buffer_inv sc0 sc1
	global_load_dwordx2 v[2:3], v0, s[2:3] offset:40
	global_load_dwordx2 v[8:9], v0, s[2:3]
	s_waitcnt vmcnt(1)
	v_and_b32_e32 v1, v2, v10
	v_and_b32_e32 v2, v3, v11
	v_mul_lo_u32 v2, v2, 24
	v_mul_hi_u32 v3, v1, 24
	v_add_u32_e32 v3, v3, v2
	v_mul_lo_u32 v2, v1, 24
	s_waitcnt vmcnt(0)
	v_lshl_add_u64 v[2:3], v[8:9], 0, v[2:3]
	global_load_dwordx2 v[8:9], v[2:3], off sc0 sc1
	s_waitcnt vmcnt(0)
	global_atomic_cmpswap_x2 v[8:9], v0, v[8:11], s[2:3] offset:24 sc0 sc1
	s_waitcnt vmcnt(0)
	buffer_inv sc0 sc1
	v_cmp_ne_u64_e32 vcc, v[8:9], v[10:11]
	s_and_saveexec_b64 s[6:7], vcc
	s_cbranch_execz .LBB1_258
; %bb.255:
	s_mov_b64 s[10:11], 0
.LBB1_256:                              ; =>This Inner Loop Header: Depth=1
	s_sleep 1
	global_load_dwordx2 v[2:3], v0, s[2:3] offset:40
	global_load_dwordx2 v[12:13], v0, s[2:3]
	v_mov_b64_e32 v[10:11], v[8:9]
	s_waitcnt vmcnt(1)
	v_and_b32_e32 v2, v2, v10
	v_and_b32_e32 v1, v3, v11
	s_waitcnt vmcnt(0)
	v_mad_u64_u32 v[2:3], s[12:13], v2, 24, v[12:13]
	v_mov_b32_e32 v8, v3
	v_mad_u64_u32 v[8:9], s[12:13], v1, 24, v[8:9]
	v_mov_b32_e32 v3, v8
	global_load_dwordx2 v[8:9], v[2:3], off sc0 sc1
	s_waitcnt vmcnt(0)
	global_atomic_cmpswap_x2 v[8:9], v0, v[8:11], s[2:3] offset:24 sc0 sc1
	s_waitcnt vmcnt(0)
	buffer_inv sc0 sc1
	v_cmp_eq_u64_e32 vcc, v[8:9], v[10:11]
	s_or_b64 s[10:11], vcc, s[10:11]
	s_andn2_b64 exec, exec, s[10:11]
	s_cbranch_execnz .LBB1_256
; %bb.257:
	s_or_b64 exec, exec, s[10:11]
.LBB1_258:
	s_or_b64 exec, exec, s[6:7]
.LBB1_259:
	s_or_b64 exec, exec, s[4:5]
	v_mov_b32_e32 v31, 0
	global_load_dwordx2 v[10:11], v31, s[2:3] offset:40
	global_load_dwordx4 v[0:3], v31, s[2:3]
	v_readfirstlane_b32 s5, v9
	v_readfirstlane_b32 s4, v8
	s_mov_b64 s[6:7], exec
	s_waitcnt vmcnt(1)
	v_readfirstlane_b32 s10, v10
	v_readfirstlane_b32 s11, v11
	s_and_b64 s[10:11], s[10:11], s[4:5]
	s_mul_i32 s12, s11, 24
	s_mul_hi_u32 s13, s10, 24
	s_add_i32 s13, s13, s12
	s_mul_i32 s12, s10, 24
	s_waitcnt vmcnt(0)
	v_lshl_add_u64 v[10:11], v[0:1], 0, s[12:13]
	s_and_saveexec_b64 s[12:13], s[0:1]
	s_cbranch_execz .LBB1_261
; %bb.260:
	v_mov_b64_e32 v[12:13], s[6:7]
	v_mov_b32_e32 v14, 2
	v_mov_b32_e32 v15, 1
	global_store_dwordx4 v[10:11], v[12:15], off offset:8
.LBB1_261:
	s_or_b64 exec, exec, s[12:13]
	s_lshl_b64 s[6:7], s[10:11], 12
	v_lshl_add_u64 v[12:13], v[2:3], 0, s[6:7]
	s_movk_i32 s6, 0xff1f
	s_mov_b32 s12, 0
	v_and_or_b32 v6, v6, s6, 32
	v_mov_b32_e32 v8, 0x331
	v_mov_b32_e32 v9, v31
	v_readfirstlane_b32 s6, v12
	v_readfirstlane_b32 s7, v13
	s_mov_b32 s13, s12
	s_mov_b32 s14, s12
	;; [unrolled: 1-line block ×3, first 2 shown]
	s_nop 1
	global_store_dwordx4 v30, v[6:9], s[6:7]
	s_nop 1
	v_mov_b64_e32 v[6:7], s[12:13]
	v_mov_b64_e32 v[8:9], s[14:15]
	global_store_dwordx4 v30, v[6:9], s[6:7] offset:16
	global_store_dwordx4 v30, v[6:9], s[6:7] offset:32
	;; [unrolled: 1-line block ×3, first 2 shown]
	s_and_saveexec_b64 s[6:7], s[0:1]
	s_cbranch_execz .LBB1_269
; %bb.262:
	v_mov_b32_e32 v8, 0
	global_load_dwordx2 v[16:17], v8, s[2:3] offset:32 sc0 sc1
	global_load_dwordx2 v[2:3], v8, s[2:3] offset:40
	v_mov_b32_e32 v14, s4
	v_mov_b32_e32 v15, s5
	s_waitcnt vmcnt(0)
	v_readfirstlane_b32 s10, v2
	v_readfirstlane_b32 s11, v3
	s_and_b64 s[10:11], s[10:11], s[4:5]
	s_mul_i32 s11, s11, 24
	s_mul_hi_u32 s12, s10, 24
	s_mul_i32 s10, s10, 24
	s_add_i32 s11, s12, s11
	v_lshl_add_u64 v[6:7], v[0:1], 0, s[10:11]
	global_store_dwordx2 v[6:7], v[16:17], off
	buffer_wbl2 sc0 sc1
	s_waitcnt vmcnt(0)
	global_atomic_cmpswap_x2 v[2:3], v8, v[14:17], s[2:3] offset:32 sc0 sc1
	s_waitcnt vmcnt(0)
	v_cmp_ne_u64_e32 vcc, v[2:3], v[16:17]
	s_and_saveexec_b64 s[10:11], vcc
	s_cbranch_execz .LBB1_265
; %bb.263:
	s_mov_b64 s[12:13], 0
.LBB1_264:                              ; =>This Inner Loop Header: Depth=1
	s_sleep 1
	global_store_dwordx2 v[6:7], v[2:3], off
	v_mov_b32_e32 v0, s4
	v_mov_b32_e32 v1, s5
	buffer_wbl2 sc0 sc1
	s_waitcnt vmcnt(0)
	global_atomic_cmpswap_x2 v[0:1], v8, v[0:3], s[2:3] offset:32 sc0 sc1
	s_waitcnt vmcnt(0)
	v_cmp_eq_u64_e32 vcc, v[0:1], v[2:3]
	s_or_b64 s[12:13], vcc, s[12:13]
	v_mov_b64_e32 v[2:3], v[0:1]
	s_andn2_b64 exec, exec, s[12:13]
	s_cbranch_execnz .LBB1_264
.LBB1_265:
	s_or_b64 exec, exec, s[10:11]
	v_mov_b32_e32 v3, 0
	global_load_dwordx2 v[0:1], v3, s[2:3] offset:16
	s_mov_b64 s[10:11], exec
	v_mbcnt_lo_u32_b32 v2, s10, 0
	v_mbcnt_hi_u32_b32 v2, s11, v2
	v_cmp_eq_u32_e32 vcc, 0, v2
	s_and_saveexec_b64 s[12:13], vcc
	s_cbranch_execz .LBB1_267
; %bb.266:
	s_bcnt1_i32_b64 s10, s[10:11]
	v_mov_b32_e32 v2, s10
	buffer_wbl2 sc0 sc1
	s_waitcnt vmcnt(0)
	global_atomic_add_x2 v[0:1], v[2:3], off offset:8 sc1
.LBB1_267:
	s_or_b64 exec, exec, s[12:13]
	s_waitcnt vmcnt(0)
	global_load_dwordx2 v[2:3], v[0:1], off offset:16
	s_waitcnt vmcnt(0)
	v_cmp_eq_u64_e32 vcc, 0, v[2:3]
	s_cbranch_vccnz .LBB1_269
; %bb.268:
	global_load_dword v0, v[0:1], off offset:24
	v_mov_b32_e32 v1, 0
	s_waitcnt vmcnt(0)
	v_readfirstlane_b32 s10, v0
	s_and_b32 m0, s10, 0xffffff
	buffer_wbl2 sc0 sc1
	global_store_dwordx2 v[2:3], v[0:1], off sc0 sc1
	s_sendmsg sendmsg(MSG_INTERRUPT)
.LBB1_269:
	s_or_b64 exec, exec, s[6:7]
	v_lshl_add_u64 v[0:1], v[12:13], 0, v[30:31]
	s_branch .LBB1_273
.LBB1_270:                              ;   in Loop: Header=BB1_273 Depth=1
	s_or_b64 exec, exec, s[6:7]
	v_readfirstlane_b32 s6, v2
	s_cmp_eq_u32 s6, 0
	s_cbranch_scc1 .LBB1_272
; %bb.271:                              ;   in Loop: Header=BB1_273 Depth=1
	s_sleep 1
	s_cbranch_execnz .LBB1_273
	s_branch .LBB1_275
.LBB1_272:
	s_branch .LBB1_275
.LBB1_273:                              ; =>This Inner Loop Header: Depth=1
	v_mov_b32_e32 v2, 1
	s_and_saveexec_b64 s[6:7], s[0:1]
	s_cbranch_execz .LBB1_270
; %bb.274:                              ;   in Loop: Header=BB1_273 Depth=1
	global_load_dword v2, v[10:11], off offset:20 sc0 sc1
	s_waitcnt vmcnt(0)
	buffer_inv sc0 sc1
	v_and_b32_e32 v2, 1, v2
	s_branch .LBB1_270
.LBB1_275:
	global_load_dwordx2 v[0:1], v[0:1], off
	s_and_saveexec_b64 s[6:7], s[0:1]
	s_cbranch_execz .LBB1_278
; %bb.276:
	v_mov_b32_e32 v10, 0
	global_load_dwordx2 v[2:3], v10, s[2:3] offset:40
	global_load_dwordx2 v[14:15], v10, s[2:3] offset:24 sc0 sc1
	global_load_dwordx2 v[6:7], v10, s[2:3]
	s_waitcnt vmcnt(2)
	v_readfirstlane_b32 s10, v2
	v_readfirstlane_b32 s11, v3
	s_add_u32 s12, s10, 1
	s_addc_u32 s13, s11, 0
	s_add_u32 s0, s12, s4
	s_addc_u32 s1, s13, s5
	s_cmp_eq_u64 s[0:1], 0
	s_cselect_b32 s1, s13, s1
	s_cselect_b32 s0, s12, s0
	s_and_b64 s[4:5], s[0:1], s[10:11]
	s_mul_i32 s5, s5, 24
	s_mul_hi_u32 s10, s4, 24
	s_mul_i32 s4, s4, 24
	s_add_i32 s5, s10, s5
	s_waitcnt vmcnt(0)
	v_lshl_add_u64 v[2:3], v[6:7], 0, s[4:5]
	v_mov_b32_e32 v12, s0
	global_store_dwordx2 v[2:3], v[14:15], off
	v_mov_b32_e32 v13, s1
	buffer_wbl2 sc0 sc1
	s_waitcnt vmcnt(0)
	global_atomic_cmpswap_x2 v[8:9], v10, v[12:15], s[2:3] offset:24 sc0 sc1
	s_mov_b64 s[4:5], 0
	s_waitcnt vmcnt(0)
	v_cmp_ne_u64_e32 vcc, v[8:9], v[14:15]
	s_and_b64 exec, exec, vcc
	s_cbranch_execz .LBB1_278
.LBB1_277:                              ; =>This Inner Loop Header: Depth=1
	s_sleep 1
	global_store_dwordx2 v[2:3], v[8:9], off
	v_mov_b32_e32 v6, s0
	v_mov_b32_e32 v7, s1
	buffer_wbl2 sc0 sc1
	s_waitcnt vmcnt(0)
	global_atomic_cmpswap_x2 v[6:7], v10, v[6:9], s[2:3] offset:24 sc0 sc1
	s_waitcnt vmcnt(0)
	v_cmp_eq_u64_e32 vcc, v[6:7], v[8:9]
	s_or_b64 s[4:5], vcc, s[4:5]
	v_mov_b64_e32 v[8:9], v[6:7]
	s_andn2_b64 exec, exec, s[4:5]
	s_cbranch_execnz .LBB1_277
.LBB1_278:
	s_or_b64 exec, exec, s[6:7]
	s_mov_b64 s[0:1], 0
	v_mov_b64_e32 v[2:3], v[4:5]
.LBB1_279:                              ; =>This Inner Loop Header: Depth=1
	global_load_ubyte v6, v[2:3], off
	v_lshl_add_u64 v[2:3], v[2:3], 0, 1
	s_waitcnt vmcnt(0)
	v_cmp_eq_u16_e32 vcc, 0, v6
	s_or_b64 s[0:1], vcc, s[0:1]
	s_andn2_b64 exec, exec, s[0:1]
	s_cbranch_execnz .LBB1_279
; %bb.280:
	s_or_b64 exec, exec, s[0:1]
	s_mov_b64 s[4:5], 0
	v_cmp_ne_u64_e32 vcc, 0, v[4:5]
	s_and_saveexec_b64 s[0:1], vcc
	s_xor_b64 s[6:7], exec, s[0:1]
	s_cbranch_execz .LBB1_366
; %bb.281:
	v_sub_u32_e32 v26, v2, v4
	v_ashrrev_i32_e32 v27, 31, v26
	v_and_b32_e32 v28, 2, v0
	v_mov_b32_e32 v31, 0
	v_and_b32_e32 v0, -3, v0
	s_mov_b32 s18, 0
	s_movk_i32 s19, 0x1e0
	v_mov_b32_e32 v8, 2
	v_mov_b32_e32 v9, 1
	s_branch .LBB1_283
.LBB1_282:                              ;   in Loop: Header=BB1_283 Depth=1
	s_or_b64 exec, exec, s[12:13]
	v_sub_co_u32_e32 v26, vcc, v26, v32
	v_lshl_add_u64 v[4:5], v[4:5], 0, v[32:33]
	s_nop 0
	v_subb_co_u32_e32 v27, vcc, v27, v33, vcc
	v_cmp_eq_u64_e32 vcc, 0, v[26:27]
	s_or_b64 s[4:5], vcc, s[4:5]
	s_andn2_b64 exec, exec, s[4:5]
	s_cbranch_execz .LBB1_365
.LBB1_283:                              ; =>This Loop Header: Depth=1
                                        ;     Child Loop BB1_286 Depth 2
                                        ;     Child Loop BB1_294 Depth 2
	;; [unrolled: 1-line block ×11, first 2 shown]
	v_cmp_gt_u64_e32 vcc, 56, v[26:27]
	v_lshl_add_u64 v[12:13], v[4:5], 0, 8
	s_nop 0
	v_cndmask_b32_e32 v33, 0, v27, vcc
	v_cndmask_b32_e32 v32, 56, v26, vcc
	v_cmp_gt_u64_e32 vcc, 8, v[26:27]
	s_and_saveexec_b64 s[0:1], vcc
	s_xor_b64 s[0:1], exec, s[0:1]
	s_cbranch_execz .LBB1_289
; %bb.284:                              ;   in Loop: Header=BB1_283 Depth=1
	v_mov_b64_e32 v[2:3], 0
	v_cmp_ne_u64_e32 vcc, 0, v[26:27]
	s_and_saveexec_b64 s[10:11], vcc
	s_cbranch_execz .LBB1_288
; %bb.285:                              ;   in Loop: Header=BB1_283 Depth=1
	v_lshlrev_b64 v[6:7], 3, v[32:33]
	s_mov_b64 s[12:13], 0
	v_mov_b64_e32 v[2:3], 0
	v_mov_b64_e32 v[10:11], v[4:5]
	s_mov_b64 s[14:15], 0
.LBB1_286:                              ;   Parent Loop BB1_283 Depth=1
                                        ; =>  This Inner Loop Header: Depth=2
	global_load_ubyte v7, v[10:11], off
	v_mov_b32_e32 v13, s18
	v_lshl_add_u64 v[10:11], v[10:11], 0, 1
	s_waitcnt vmcnt(0)
	v_and_b32_e32 v12, 0xffff, v7
	v_lshlrev_b64 v[12:13], s14, v[12:13]
	s_add_u32 s14, s14, 8
	s_addc_u32 s15, s15, 0
	v_cmp_eq_u32_e32 vcc, s14, v6
	v_or_b32_e32 v3, v13, v3
	s_or_b64 s[12:13], vcc, s[12:13]
	v_or_b32_e32 v2, v12, v2
	s_andn2_b64 exec, exec, s[12:13]
	s_cbranch_execnz .LBB1_286
; %bb.287:                              ;   in Loop: Header=BB1_283 Depth=1
	s_or_b64 exec, exec, s[12:13]
.LBB1_288:                              ;   in Loop: Header=BB1_283 Depth=1
	s_or_b64 exec, exec, s[10:11]
	v_mov_b64_e32 v[12:13], v[4:5]
.LBB1_289:                              ;   in Loop: Header=BB1_283 Depth=1
	s_or_saveexec_b64 s[0:1], s[0:1]
	v_mov_b32_e32 v14, 0
	s_xor_b64 exec, exec, s[0:1]
	s_cbranch_execz .LBB1_291
; %bb.290:                              ;   in Loop: Header=BB1_283 Depth=1
	global_load_dwordx2 v[2:3], v[4:5], off
	v_add_u32_e32 v14, -8, v32
.LBB1_291:                              ;   in Loop: Header=BB1_283 Depth=1
	s_or_b64 exec, exec, s[0:1]
	v_cmp_gt_u32_e32 vcc, 8, v14
	v_lshl_add_u64 v[6:7], v[12:13], 0, 8
                                        ; implicit-def: $vgpr10_vgpr11
	s_and_saveexec_b64 s[0:1], vcc
	s_xor_b64 s[0:1], exec, s[0:1]
	s_cbranch_execz .LBB1_297
; %bb.292:                              ;   in Loop: Header=BB1_283 Depth=1
	v_cmp_ne_u32_e32 vcc, 0, v14
	v_mov_b64_e32 v[10:11], 0
	s_and_saveexec_b64 s[10:11], vcc
	s_cbranch_execz .LBB1_296
; %bb.293:                              ;   in Loop: Header=BB1_283 Depth=1
	s_mov_b64 s[12:13], 0
	v_mov_b64_e32 v[10:11], 0
	s_mov_b64 s[14:15], 0
	s_mov_b64 s[16:17], 0
.LBB1_294:                              ;   Parent Loop BB1_283 Depth=1
                                        ; =>  This Inner Loop Header: Depth=2
	v_lshl_add_u64 v[6:7], v[12:13], 0, s[16:17]
	global_load_ubyte v6, v[6:7], off
	s_add_u32 s16, s16, 1
	v_mov_b32_e32 v7, s18
	s_addc_u32 s17, s17, 0
	v_cmp_eq_u32_e32 vcc, s16, v14
	s_waitcnt vmcnt(0)
	v_and_b32_e32 v6, 0xffff, v6
	v_lshlrev_b64 v[6:7], s14, v[6:7]
	s_add_u32 s14, s14, 8
	s_addc_u32 s15, s15, 0
	v_or_b32_e32 v11, v7, v11
	s_or_b64 s[12:13], vcc, s[12:13]
	v_or_b32_e32 v10, v6, v10
	s_andn2_b64 exec, exec, s[12:13]
	s_cbranch_execnz .LBB1_294
; %bb.295:                              ;   in Loop: Header=BB1_283 Depth=1
	s_or_b64 exec, exec, s[12:13]
.LBB1_296:                              ;   in Loop: Header=BB1_283 Depth=1
	s_or_b64 exec, exec, s[10:11]
	v_mov_b64_e32 v[6:7], v[12:13]
                                        ; implicit-def: $vgpr14
.LBB1_297:                              ;   in Loop: Header=BB1_283 Depth=1
	s_or_saveexec_b64 s[0:1], s[0:1]
	v_mov_b32_e32 v15, 0
	s_xor_b64 exec, exec, s[0:1]
	s_cbranch_execz .LBB1_299
; %bb.298:                              ;   in Loop: Header=BB1_283 Depth=1
	global_load_dwordx2 v[10:11], v[12:13], off
	v_add_u32_e32 v15, -8, v14
.LBB1_299:                              ;   in Loop: Header=BB1_283 Depth=1
	s_or_b64 exec, exec, s[0:1]
	v_cmp_gt_u32_e32 vcc, 8, v15
	v_lshl_add_u64 v[16:17], v[6:7], 0, 8
	s_and_saveexec_b64 s[0:1], vcc
	s_xor_b64 s[0:1], exec, s[0:1]
	s_cbranch_execz .LBB1_305
; %bb.300:                              ;   in Loop: Header=BB1_283 Depth=1
	v_cmp_ne_u32_e32 vcc, 0, v15
	v_mov_b64_e32 v[12:13], 0
	s_and_saveexec_b64 s[10:11], vcc
	s_cbranch_execz .LBB1_304
; %bb.301:                              ;   in Loop: Header=BB1_283 Depth=1
	s_mov_b64 s[12:13], 0
	v_mov_b64_e32 v[12:13], 0
	s_mov_b64 s[14:15], 0
	s_mov_b64 s[16:17], 0
.LBB1_302:                              ;   Parent Loop BB1_283 Depth=1
                                        ; =>  This Inner Loop Header: Depth=2
	v_lshl_add_u64 v[16:17], v[6:7], 0, s[16:17]
	global_load_ubyte v14, v[16:17], off
	s_add_u32 s16, s16, 1
	v_mov_b32_e32 v17, s18
	s_addc_u32 s17, s17, 0
	v_cmp_eq_u32_e32 vcc, s16, v15
	s_waitcnt vmcnt(0)
	v_and_b32_e32 v16, 0xffff, v14
	v_lshlrev_b64 v[16:17], s14, v[16:17]
	s_add_u32 s14, s14, 8
	s_addc_u32 s15, s15, 0
	v_or_b32_e32 v13, v17, v13
	s_or_b64 s[12:13], vcc, s[12:13]
	v_or_b32_e32 v12, v16, v12
	s_andn2_b64 exec, exec, s[12:13]
	s_cbranch_execnz .LBB1_302
; %bb.303:                              ;   in Loop: Header=BB1_283 Depth=1
	s_or_b64 exec, exec, s[12:13]
.LBB1_304:                              ;   in Loop: Header=BB1_283 Depth=1
	s_or_b64 exec, exec, s[10:11]
	v_mov_b64_e32 v[16:17], v[6:7]
                                        ; implicit-def: $vgpr15
.LBB1_305:                              ;   in Loop: Header=BB1_283 Depth=1
	s_or_saveexec_b64 s[0:1], s[0:1]
	v_mov_b32_e32 v18, 0
	s_xor_b64 exec, exec, s[0:1]
	s_cbranch_execz .LBB1_307
; %bb.306:                              ;   in Loop: Header=BB1_283 Depth=1
	global_load_dwordx2 v[12:13], v[6:7], off
	v_add_u32_e32 v18, -8, v15
.LBB1_307:                              ;   in Loop: Header=BB1_283 Depth=1
	s_or_b64 exec, exec, s[0:1]
	v_cmp_gt_u32_e32 vcc, 8, v18
	v_lshl_add_u64 v[6:7], v[16:17], 0, 8
                                        ; implicit-def: $vgpr14_vgpr15
	s_and_saveexec_b64 s[0:1], vcc
	s_xor_b64 s[0:1], exec, s[0:1]
	s_cbranch_execz .LBB1_313
; %bb.308:                              ;   in Loop: Header=BB1_283 Depth=1
	v_cmp_ne_u32_e32 vcc, 0, v18
	v_mov_b64_e32 v[14:15], 0
	s_and_saveexec_b64 s[10:11], vcc
	s_cbranch_execz .LBB1_312
; %bb.309:                              ;   in Loop: Header=BB1_283 Depth=1
	s_mov_b64 s[12:13], 0
	v_mov_b64_e32 v[14:15], 0
	s_mov_b64 s[14:15], 0
	s_mov_b64 s[16:17], 0
.LBB1_310:                              ;   Parent Loop BB1_283 Depth=1
                                        ; =>  This Inner Loop Header: Depth=2
	v_lshl_add_u64 v[6:7], v[16:17], 0, s[16:17]
	global_load_ubyte v6, v[6:7], off
	s_add_u32 s16, s16, 1
	v_mov_b32_e32 v7, s18
	s_addc_u32 s17, s17, 0
	v_cmp_eq_u32_e32 vcc, s16, v18
	s_waitcnt vmcnt(0)
	v_and_b32_e32 v6, 0xffff, v6
	v_lshlrev_b64 v[6:7], s14, v[6:7]
	s_add_u32 s14, s14, 8
	s_addc_u32 s15, s15, 0
	v_or_b32_e32 v15, v7, v15
	s_or_b64 s[12:13], vcc, s[12:13]
	v_or_b32_e32 v14, v6, v14
	s_andn2_b64 exec, exec, s[12:13]
	s_cbranch_execnz .LBB1_310
; %bb.311:                              ;   in Loop: Header=BB1_283 Depth=1
	s_or_b64 exec, exec, s[12:13]
.LBB1_312:                              ;   in Loop: Header=BB1_283 Depth=1
	s_or_b64 exec, exec, s[10:11]
	v_mov_b64_e32 v[6:7], v[16:17]
                                        ; implicit-def: $vgpr18
.LBB1_313:                              ;   in Loop: Header=BB1_283 Depth=1
	s_or_saveexec_b64 s[0:1], s[0:1]
	v_mov_b32_e32 v19, 0
	s_xor_b64 exec, exec, s[0:1]
	s_cbranch_execz .LBB1_315
; %bb.314:                              ;   in Loop: Header=BB1_283 Depth=1
	global_load_dwordx2 v[14:15], v[16:17], off
	v_add_u32_e32 v19, -8, v18
.LBB1_315:                              ;   in Loop: Header=BB1_283 Depth=1
	s_or_b64 exec, exec, s[0:1]
	v_cmp_gt_u32_e32 vcc, 8, v19
	v_lshl_add_u64 v[20:21], v[6:7], 0, 8
	s_and_saveexec_b64 s[0:1], vcc
	s_xor_b64 s[0:1], exec, s[0:1]
	s_cbranch_execz .LBB1_321
; %bb.316:                              ;   in Loop: Header=BB1_283 Depth=1
	v_cmp_ne_u32_e32 vcc, 0, v19
	v_mov_b64_e32 v[16:17], 0
	s_and_saveexec_b64 s[10:11], vcc
	s_cbranch_execz .LBB1_320
; %bb.317:                              ;   in Loop: Header=BB1_283 Depth=1
	s_mov_b64 s[12:13], 0
	v_mov_b64_e32 v[16:17], 0
	s_mov_b64 s[14:15], 0
	s_mov_b64 s[16:17], 0
.LBB1_318:                              ;   Parent Loop BB1_283 Depth=1
                                        ; =>  This Inner Loop Header: Depth=2
	v_lshl_add_u64 v[20:21], v[6:7], 0, s[16:17]
	global_load_ubyte v18, v[20:21], off
	s_add_u32 s16, s16, 1
	v_mov_b32_e32 v21, s18
	s_addc_u32 s17, s17, 0
	v_cmp_eq_u32_e32 vcc, s16, v19
	s_waitcnt vmcnt(0)
	v_and_b32_e32 v20, 0xffff, v18
	v_lshlrev_b64 v[20:21], s14, v[20:21]
	s_add_u32 s14, s14, 8
	s_addc_u32 s15, s15, 0
	v_or_b32_e32 v17, v21, v17
	s_or_b64 s[12:13], vcc, s[12:13]
	v_or_b32_e32 v16, v20, v16
	s_andn2_b64 exec, exec, s[12:13]
	s_cbranch_execnz .LBB1_318
; %bb.319:                              ;   in Loop: Header=BB1_283 Depth=1
	s_or_b64 exec, exec, s[12:13]
.LBB1_320:                              ;   in Loop: Header=BB1_283 Depth=1
	s_or_b64 exec, exec, s[10:11]
	v_mov_b64_e32 v[20:21], v[6:7]
                                        ; implicit-def: $vgpr19
.LBB1_321:                              ;   in Loop: Header=BB1_283 Depth=1
	s_or_saveexec_b64 s[0:1], s[0:1]
	v_mov_b32_e32 v22, 0
	s_xor_b64 exec, exec, s[0:1]
	s_cbranch_execz .LBB1_323
; %bb.322:                              ;   in Loop: Header=BB1_283 Depth=1
	global_load_dwordx2 v[16:17], v[6:7], off
	v_add_u32_e32 v22, -8, v19
.LBB1_323:                              ;   in Loop: Header=BB1_283 Depth=1
	s_or_b64 exec, exec, s[0:1]
	v_cmp_gt_u32_e32 vcc, 8, v22
	v_lshl_add_u64 v[6:7], v[20:21], 0, 8
                                        ; implicit-def: $vgpr18_vgpr19
	s_and_saveexec_b64 s[0:1], vcc
	s_xor_b64 s[0:1], exec, s[0:1]
	s_cbranch_execz .LBB1_329
; %bb.324:                              ;   in Loop: Header=BB1_283 Depth=1
	v_cmp_ne_u32_e32 vcc, 0, v22
	v_mov_b64_e32 v[18:19], 0
	s_and_saveexec_b64 s[10:11], vcc
	s_cbranch_execz .LBB1_328
; %bb.325:                              ;   in Loop: Header=BB1_283 Depth=1
	s_mov_b64 s[12:13], 0
	v_mov_b64_e32 v[18:19], 0
	s_mov_b64 s[14:15], 0
	s_mov_b64 s[16:17], 0
.LBB1_326:                              ;   Parent Loop BB1_283 Depth=1
                                        ; =>  This Inner Loop Header: Depth=2
	v_lshl_add_u64 v[6:7], v[20:21], 0, s[16:17]
	global_load_ubyte v6, v[6:7], off
	s_add_u32 s16, s16, 1
	v_mov_b32_e32 v7, s18
	s_addc_u32 s17, s17, 0
	v_cmp_eq_u32_e32 vcc, s16, v22
	s_waitcnt vmcnt(0)
	v_and_b32_e32 v6, 0xffff, v6
	v_lshlrev_b64 v[6:7], s14, v[6:7]
	s_add_u32 s14, s14, 8
	s_addc_u32 s15, s15, 0
	v_or_b32_e32 v19, v7, v19
	s_or_b64 s[12:13], vcc, s[12:13]
	v_or_b32_e32 v18, v6, v18
	s_andn2_b64 exec, exec, s[12:13]
	s_cbranch_execnz .LBB1_326
; %bb.327:                              ;   in Loop: Header=BB1_283 Depth=1
	s_or_b64 exec, exec, s[12:13]
.LBB1_328:                              ;   in Loop: Header=BB1_283 Depth=1
	s_or_b64 exec, exec, s[10:11]
	v_mov_b64_e32 v[6:7], v[20:21]
                                        ; implicit-def: $vgpr22
.LBB1_329:                              ;   in Loop: Header=BB1_283 Depth=1
	s_or_saveexec_b64 s[0:1], s[0:1]
	v_mov_b32_e32 v23, 0
	s_xor_b64 exec, exec, s[0:1]
	s_cbranch_execz .LBB1_331
; %bb.330:                              ;   in Loop: Header=BB1_283 Depth=1
	global_load_dwordx2 v[18:19], v[20:21], off
	v_add_u32_e32 v23, -8, v22
.LBB1_331:                              ;   in Loop: Header=BB1_283 Depth=1
	s_or_b64 exec, exec, s[0:1]
	v_cmp_gt_u32_e32 vcc, 8, v23
	s_and_saveexec_b64 s[0:1], vcc
	s_xor_b64 s[0:1], exec, s[0:1]
	s_cbranch_execz .LBB1_337
; %bb.332:                              ;   in Loop: Header=BB1_283 Depth=1
	v_cmp_ne_u32_e32 vcc, 0, v23
	v_mov_b64_e32 v[20:21], 0
	s_and_saveexec_b64 s[10:11], vcc
	s_cbranch_execz .LBB1_336
; %bb.333:                              ;   in Loop: Header=BB1_283 Depth=1
	s_mov_b64 s[12:13], 0
	v_mov_b64_e32 v[20:21], 0
	s_mov_b64 s[14:15], 0
.LBB1_334:                              ;   Parent Loop BB1_283 Depth=1
                                        ; =>  This Inner Loop Header: Depth=2
	global_load_ubyte v22, v[6:7], off
	v_mov_b32_e32 v25, s18
	v_add_u32_e32 v23, -1, v23
	v_cmp_eq_u32_e32 vcc, 0, v23
	v_lshl_add_u64 v[6:7], v[6:7], 0, 1
	s_waitcnt vmcnt(0)
	v_and_b32_e32 v24, 0xffff, v22
	v_lshlrev_b64 v[24:25], s14, v[24:25]
	s_add_u32 s14, s14, 8
	s_addc_u32 s15, s15, 0
	v_or_b32_e32 v21, v25, v21
	s_or_b64 s[12:13], vcc, s[12:13]
	v_or_b32_e32 v20, v24, v20
	s_andn2_b64 exec, exec, s[12:13]
	s_cbranch_execnz .LBB1_334
; %bb.335:                              ;   in Loop: Header=BB1_283 Depth=1
	s_or_b64 exec, exec, s[12:13]
.LBB1_336:                              ;   in Loop: Header=BB1_283 Depth=1
	s_or_b64 exec, exec, s[10:11]
                                        ; implicit-def: $vgpr6_vgpr7
.LBB1_337:                              ;   in Loop: Header=BB1_283 Depth=1
	s_andn2_saveexec_b64 s[0:1], s[0:1]
	s_cbranch_execz .LBB1_339
; %bb.338:                              ;   in Loop: Header=BB1_283 Depth=1
	global_load_dwordx2 v[20:21], v[6:7], off
.LBB1_339:                              ;   in Loop: Header=BB1_283 Depth=1
	s_or_b64 exec, exec, s[0:1]
	v_readfirstlane_b32 s0, v38
	v_mov_b64_e32 v[6:7], 0
	s_nop 0
	v_cmp_eq_u32_e64 s[0:1], s0, v38
	s_and_saveexec_b64 s[10:11], s[0:1]
	s_cbranch_execz .LBB1_345
; %bb.340:                              ;   in Loop: Header=BB1_283 Depth=1
	global_load_dwordx2 v[24:25], v31, s[2:3] offset:24 sc0 sc1
	s_waitcnt vmcnt(0)
	buffer_inv sc0 sc1
	global_load_dwordx2 v[6:7], v31, s[2:3] offset:40
	global_load_dwordx2 v[22:23], v31, s[2:3]
	s_waitcnt vmcnt(1)
	v_and_b32_e32 v6, v6, v24
	v_and_b32_e32 v7, v7, v25
	v_mul_lo_u32 v7, v7, 24
	v_mul_hi_u32 v29, v6, 24
	v_add_u32_e32 v7, v29, v7
	v_mul_lo_u32 v6, v6, 24
	s_waitcnt vmcnt(0)
	v_lshl_add_u64 v[6:7], v[22:23], 0, v[6:7]
	global_load_dwordx2 v[22:23], v[6:7], off sc0 sc1
	s_waitcnt vmcnt(0)
	global_atomic_cmpswap_x2 v[6:7], v31, v[22:25], s[2:3] offset:24 sc0 sc1
	s_waitcnt vmcnt(0)
	buffer_inv sc0 sc1
	v_cmp_ne_u64_e32 vcc, v[6:7], v[24:25]
	s_and_saveexec_b64 s[12:13], vcc
	s_cbranch_execz .LBB1_344
; %bb.341:                              ;   in Loop: Header=BB1_283 Depth=1
	s_mov_b64 s[14:15], 0
.LBB1_342:                              ;   Parent Loop BB1_283 Depth=1
                                        ; =>  This Inner Loop Header: Depth=2
	s_sleep 1
	global_load_dwordx2 v[22:23], v31, s[2:3] offset:40
	global_load_dwordx2 v[34:35], v31, s[2:3]
	v_mov_b64_e32 v[24:25], v[6:7]
	s_waitcnt vmcnt(1)
	v_and_b32_e32 v6, v22, v24
	s_waitcnt vmcnt(0)
	v_mad_u64_u32 v[6:7], s[16:17], v6, 24, v[34:35]
	v_and_b32_e32 v23, v23, v25
	v_mov_b32_e32 v22, v7
	v_mad_u64_u32 v[22:23], s[16:17], v23, 24, v[22:23]
	v_mov_b32_e32 v7, v22
	global_load_dwordx2 v[22:23], v[6:7], off sc0 sc1
	s_waitcnt vmcnt(0)
	global_atomic_cmpswap_x2 v[6:7], v31, v[22:25], s[2:3] offset:24 sc0 sc1
	s_waitcnt vmcnt(0)
	buffer_inv sc0 sc1
	v_cmp_eq_u64_e32 vcc, v[6:7], v[24:25]
	s_or_b64 s[14:15], vcc, s[14:15]
	s_andn2_b64 exec, exec, s[14:15]
	s_cbranch_execnz .LBB1_342
; %bb.343:                              ;   in Loop: Header=BB1_283 Depth=1
	s_or_b64 exec, exec, s[14:15]
.LBB1_344:                              ;   in Loop: Header=BB1_283 Depth=1
	s_or_b64 exec, exec, s[12:13]
.LBB1_345:                              ;   in Loop: Header=BB1_283 Depth=1
	s_or_b64 exec, exec, s[10:11]
	global_load_dwordx2 v[34:35], v31, s[2:3] offset:40
	global_load_dwordx4 v[22:25], v31, s[2:3]
	v_readfirstlane_b32 s11, v7
	v_readfirstlane_b32 s10, v6
	s_mov_b64 s[12:13], exec
	s_waitcnt vmcnt(1)
	v_readfirstlane_b32 s14, v34
	v_readfirstlane_b32 s15, v35
	s_and_b64 s[14:15], s[14:15], s[10:11]
	s_mul_i32 s16, s15, 24
	s_mul_hi_u32 s17, s14, 24
	s_add_i32 s17, s17, s16
	s_mul_i32 s16, s14, 24
	s_waitcnt vmcnt(0)
	v_lshl_add_u64 v[34:35], v[22:23], 0, s[16:17]
	s_and_saveexec_b64 s[16:17], s[0:1]
	s_cbranch_execz .LBB1_347
; %bb.346:                              ;   in Loop: Header=BB1_283 Depth=1
	v_mov_b64_e32 v[6:7], s[12:13]
	global_store_dwordx4 v[34:35], v[6:9], off offset:8
.LBB1_347:                              ;   in Loop: Header=BB1_283 Depth=1
	s_or_b64 exec, exec, s[16:17]
	s_lshl_b64 s[12:13], s[14:15], 12
	v_cmp_gt_u64_e32 vcc, 57, v[26:27]
	v_lshl_add_u64 v[6:7], v[24:25], 0, s[12:13]
	v_and_b32_e32 v0, 0xffffff1f, v0
	v_cndmask_b32_e32 v24, 0, v28, vcc
	v_lshl_add_u32 v25, v32, 2, 28
	v_or_b32_e32 v0, v0, v24
	v_and_or_b32 v0, v25, s19, v0
	v_readfirstlane_b32 s12, v6
	v_readfirstlane_b32 s13, v7
	s_nop 4
	global_store_dwordx4 v30, v[0:3], s[12:13]
	global_store_dwordx4 v30, v[10:13], s[12:13] offset:16
	global_store_dwordx4 v30, v[14:17], s[12:13] offset:32
	;; [unrolled: 1-line block ×3, first 2 shown]
	s_and_saveexec_b64 s[12:13], s[0:1]
	s_cbranch_execz .LBB1_355
; %bb.348:                              ;   in Loop: Header=BB1_283 Depth=1
	global_load_dwordx2 v[14:15], v31, s[2:3] offset:32 sc0 sc1
	global_load_dwordx2 v[0:1], v31, s[2:3] offset:40
	v_mov_b32_e32 v12, s10
	v_mov_b32_e32 v13, s11
	s_waitcnt vmcnt(0)
	v_readfirstlane_b32 s14, v0
	v_readfirstlane_b32 s15, v1
	s_and_b64 s[14:15], s[14:15], s[10:11]
	s_mul_i32 s15, s15, 24
	s_mul_hi_u32 s16, s14, 24
	s_mul_i32 s14, s14, 24
	s_add_i32 s15, s16, s15
	v_lshl_add_u64 v[10:11], v[22:23], 0, s[14:15]
	global_store_dwordx2 v[10:11], v[14:15], off
	buffer_wbl2 sc0 sc1
	s_waitcnt vmcnt(0)
	global_atomic_cmpswap_x2 v[2:3], v31, v[12:15], s[2:3] offset:32 sc0 sc1
	s_waitcnt vmcnt(0)
	v_cmp_ne_u64_e32 vcc, v[2:3], v[14:15]
	s_and_saveexec_b64 s[14:15], vcc
	s_cbranch_execz .LBB1_351
; %bb.349:                              ;   in Loop: Header=BB1_283 Depth=1
	s_mov_b64 s[16:17], 0
.LBB1_350:                              ;   Parent Loop BB1_283 Depth=1
                                        ; =>  This Inner Loop Header: Depth=2
	s_sleep 1
	global_store_dwordx2 v[10:11], v[2:3], off
	v_mov_b32_e32 v0, s10
	v_mov_b32_e32 v1, s11
	buffer_wbl2 sc0 sc1
	s_waitcnt vmcnt(0)
	global_atomic_cmpswap_x2 v[0:1], v31, v[0:3], s[2:3] offset:32 sc0 sc1
	s_waitcnt vmcnt(0)
	v_cmp_eq_u64_e32 vcc, v[0:1], v[2:3]
	s_or_b64 s[16:17], vcc, s[16:17]
	v_mov_b64_e32 v[2:3], v[0:1]
	s_andn2_b64 exec, exec, s[16:17]
	s_cbranch_execnz .LBB1_350
.LBB1_351:                              ;   in Loop: Header=BB1_283 Depth=1
	s_or_b64 exec, exec, s[14:15]
	global_load_dwordx2 v[0:1], v31, s[2:3] offset:16
	s_mov_b64 s[16:17], exec
	v_mbcnt_lo_u32_b32 v2, s16, 0
	v_mbcnt_hi_u32_b32 v2, s17, v2
	v_cmp_eq_u32_e32 vcc, 0, v2
	s_and_saveexec_b64 s[14:15], vcc
	s_cbranch_execz .LBB1_353
; %bb.352:                              ;   in Loop: Header=BB1_283 Depth=1
	s_bcnt1_i32_b64 s16, s[16:17]
	v_mov_b32_e32 v2, s16
	v_mov_b32_e32 v3, v31
	buffer_wbl2 sc0 sc1
	s_waitcnt vmcnt(0)
	global_atomic_add_x2 v[0:1], v[2:3], off offset:8 sc1
.LBB1_353:                              ;   in Loop: Header=BB1_283 Depth=1
	s_or_b64 exec, exec, s[14:15]
	s_waitcnt vmcnt(0)
	global_load_dwordx2 v[2:3], v[0:1], off offset:16
	s_waitcnt vmcnt(0)
	v_cmp_eq_u64_e32 vcc, 0, v[2:3]
	s_cbranch_vccnz .LBB1_355
; %bb.354:                              ;   in Loop: Header=BB1_283 Depth=1
	global_load_dword v0, v[0:1], off offset:24
	v_mov_b32_e32 v1, v31
	s_waitcnt vmcnt(0)
	v_readfirstlane_b32 s14, v0
	s_and_b32 m0, s14, 0xffffff
	buffer_wbl2 sc0 sc1
	global_store_dwordx2 v[2:3], v[0:1], off sc0 sc1
	s_sendmsg sendmsg(MSG_INTERRUPT)
.LBB1_355:                              ;   in Loop: Header=BB1_283 Depth=1
	s_or_b64 exec, exec, s[12:13]
	v_lshl_add_u64 v[0:1], v[6:7], 0, v[30:31]
	s_branch .LBB1_359
.LBB1_356:                              ;   in Loop: Header=BB1_359 Depth=2
	s_or_b64 exec, exec, s[12:13]
	v_readfirstlane_b32 s12, v2
	s_cmp_eq_u32 s12, 0
	s_cbranch_scc1 .LBB1_358
; %bb.357:                              ;   in Loop: Header=BB1_359 Depth=2
	s_sleep 1
	s_cbranch_execnz .LBB1_359
	s_branch .LBB1_361
.LBB1_358:                              ;   in Loop: Header=BB1_283 Depth=1
	s_branch .LBB1_361
.LBB1_359:                              ;   Parent Loop BB1_283 Depth=1
                                        ; =>  This Inner Loop Header: Depth=2
	v_mov_b32_e32 v2, 1
	s_and_saveexec_b64 s[12:13], s[0:1]
	s_cbranch_execz .LBB1_356
; %bb.360:                              ;   in Loop: Header=BB1_359 Depth=2
	global_load_dword v2, v[34:35], off offset:20 sc0 sc1
	s_waitcnt vmcnt(0)
	buffer_inv sc0 sc1
	v_and_b32_e32 v2, 1, v2
	s_branch .LBB1_356
.LBB1_361:                              ;   in Loop: Header=BB1_283 Depth=1
	global_load_dwordx2 v[0:1], v[0:1], off
	s_and_saveexec_b64 s[12:13], s[0:1]
	s_cbranch_execz .LBB1_282
; %bb.362:                              ;   in Loop: Header=BB1_283 Depth=1
	global_load_dwordx2 v[2:3], v31, s[2:3] offset:40
	global_load_dwordx2 v[14:15], v31, s[2:3] offset:24 sc0 sc1
	global_load_dwordx2 v[6:7], v31, s[2:3]
	s_waitcnt vmcnt(2)
	v_readfirstlane_b32 s14, v2
	v_readfirstlane_b32 s15, v3
	s_add_u32 s16, s14, 1
	s_addc_u32 s17, s15, 0
	s_add_u32 s0, s16, s10
	s_addc_u32 s1, s17, s11
	s_cmp_eq_u64 s[0:1], 0
	s_cselect_b32 s1, s17, s1
	s_cselect_b32 s0, s16, s0
	s_and_b64 s[10:11], s[0:1], s[14:15]
	s_mul_i32 s11, s11, 24
	s_mul_hi_u32 s14, s10, 24
	s_mul_i32 s10, s10, 24
	s_add_i32 s11, s14, s11
	s_waitcnt vmcnt(0)
	v_lshl_add_u64 v[2:3], v[6:7], 0, s[10:11]
	v_mov_b32_e32 v12, s0
	global_store_dwordx2 v[2:3], v[14:15], off
	v_mov_b32_e32 v13, s1
	buffer_wbl2 sc0 sc1
	s_waitcnt vmcnt(0)
	global_atomic_cmpswap_x2 v[12:13], v31, v[12:15], s[2:3] offset:24 sc0 sc1
	s_waitcnt vmcnt(0)
	v_cmp_ne_u64_e32 vcc, v[12:13], v[14:15]
	s_and_b64 exec, exec, vcc
	s_cbranch_execz .LBB1_282
; %bb.363:                              ;   in Loop: Header=BB1_283 Depth=1
	s_mov_b64 s[10:11], 0
.LBB1_364:                              ;   Parent Loop BB1_283 Depth=1
                                        ; =>  This Inner Loop Header: Depth=2
	s_sleep 1
	global_store_dwordx2 v[2:3], v[12:13], off
	v_mov_b32_e32 v10, s0
	v_mov_b32_e32 v11, s1
	buffer_wbl2 sc0 sc1
	s_waitcnt vmcnt(0)
	global_atomic_cmpswap_x2 v[6:7], v31, v[10:13], s[2:3] offset:24 sc0 sc1
	s_waitcnt vmcnt(0)
	v_cmp_eq_u64_e32 vcc, v[6:7], v[12:13]
	s_or_b64 s[10:11], vcc, s[10:11]
	v_mov_b64_e32 v[12:13], v[6:7]
	s_andn2_b64 exec, exec, s[10:11]
	s_cbranch_execnz .LBB1_364
	s_branch .LBB1_282
.LBB1_365:
	s_or_b64 exec, exec, s[4:5]
                                        ; implicit-def: $vgpr30
                                        ; implicit-def: $vgpr38
.LBB1_366:
	s_andn2_saveexec_b64 s[4:5], s[6:7]
	s_cbranch_execz .LBB1_393
; %bb.367:
	v_readfirstlane_b32 s0, v38
	v_mov_b64_e32 v[2:3], 0
	s_nop 0
	v_cmp_eq_u32_e64 s[0:1], s0, v38
	s_and_saveexec_b64 s[6:7], s[0:1]
	s_cbranch_execz .LBB1_373
; %bb.368:
	v_mov_b32_e32 v4, 0
	global_load_dwordx2 v[8:9], v4, s[2:3] offset:24 sc0 sc1
	s_waitcnt vmcnt(0)
	buffer_inv sc0 sc1
	global_load_dwordx2 v[2:3], v4, s[2:3] offset:40
	global_load_dwordx2 v[6:7], v4, s[2:3]
	s_waitcnt vmcnt(1)
	v_and_b32_e32 v2, v2, v8
	v_and_b32_e32 v3, v3, v9
	v_mul_lo_u32 v3, v3, 24
	v_mul_hi_u32 v5, v2, 24
	v_add_u32_e32 v3, v5, v3
	v_mul_lo_u32 v2, v2, 24
	s_waitcnt vmcnt(0)
	v_lshl_add_u64 v[2:3], v[6:7], 0, v[2:3]
	global_load_dwordx2 v[6:7], v[2:3], off sc0 sc1
	s_waitcnt vmcnt(0)
	global_atomic_cmpswap_x2 v[2:3], v4, v[6:9], s[2:3] offset:24 sc0 sc1
	s_waitcnt vmcnt(0)
	buffer_inv sc0 sc1
	v_cmp_ne_u64_e32 vcc, v[2:3], v[8:9]
	s_and_saveexec_b64 s[10:11], vcc
	s_cbranch_execz .LBB1_372
; %bb.369:
	s_mov_b64 s[12:13], 0
.LBB1_370:                              ; =>This Inner Loop Header: Depth=1
	s_sleep 1
	global_load_dwordx2 v[6:7], v4, s[2:3] offset:40
	global_load_dwordx2 v[10:11], v4, s[2:3]
	v_mov_b64_e32 v[8:9], v[2:3]
	s_waitcnt vmcnt(1)
	v_and_b32_e32 v2, v6, v8
	s_waitcnt vmcnt(0)
	v_mad_u64_u32 v[2:3], s[14:15], v2, 24, v[10:11]
	v_and_b32_e32 v5, v7, v9
	v_mov_b32_e32 v6, v3
	v_mad_u64_u32 v[6:7], s[14:15], v5, 24, v[6:7]
	v_mov_b32_e32 v3, v6
	global_load_dwordx2 v[6:7], v[2:3], off sc0 sc1
	s_waitcnt vmcnt(0)
	global_atomic_cmpswap_x2 v[2:3], v4, v[6:9], s[2:3] offset:24 sc0 sc1
	s_waitcnt vmcnt(0)
	buffer_inv sc0 sc1
	v_cmp_eq_u64_e32 vcc, v[2:3], v[8:9]
	s_or_b64 s[12:13], vcc, s[12:13]
	s_andn2_b64 exec, exec, s[12:13]
	s_cbranch_execnz .LBB1_370
; %bb.371:
	s_or_b64 exec, exec, s[12:13]
.LBB1_372:
	s_or_b64 exec, exec, s[10:11]
.LBB1_373:
	s_or_b64 exec, exec, s[6:7]
	v_mov_b32_e32 v31, 0
	global_load_dwordx2 v[8:9], v31, s[2:3] offset:40
	global_load_dwordx4 v[4:7], v31, s[2:3]
	v_readfirstlane_b32 s7, v3
	v_readfirstlane_b32 s6, v2
	s_mov_b64 s[10:11], exec
	s_waitcnt vmcnt(1)
	v_readfirstlane_b32 s12, v8
	v_readfirstlane_b32 s13, v9
	s_and_b64 s[12:13], s[12:13], s[6:7]
	s_mul_i32 s14, s13, 24
	s_mul_hi_u32 s15, s12, 24
	s_add_i32 s15, s15, s14
	s_mul_i32 s14, s12, 24
	s_waitcnt vmcnt(0)
	v_lshl_add_u64 v[8:9], v[4:5], 0, s[14:15]
	s_and_saveexec_b64 s[14:15], s[0:1]
	s_cbranch_execz .LBB1_375
; %bb.374:
	v_mov_b64_e32 v[10:11], s[10:11]
	v_mov_b32_e32 v12, 2
	v_mov_b32_e32 v13, 1
	global_store_dwordx4 v[8:9], v[10:13], off offset:8
.LBB1_375:
	s_or_b64 exec, exec, s[14:15]
	s_lshl_b64 s[10:11], s[12:13], 12
	v_lshl_add_u64 v[6:7], v[6:7], 0, s[10:11]
	s_movk_i32 s10, 0xff1f
	s_mov_b32 s12, 0
	v_and_or_b32 v0, v0, s10, 32
	v_mov_b32_e32 v2, v31
	v_mov_b32_e32 v3, v31
	v_readfirstlane_b32 s10, v6
	v_readfirstlane_b32 s11, v7
	s_mov_b32 s13, s12
	s_mov_b32 s14, s12
	s_mov_b32 s15, s12
	s_nop 1
	global_store_dwordx4 v30, v[0:3], s[10:11]
	s_nop 1
	v_mov_b64_e32 v[0:1], s[12:13]
	v_mov_b64_e32 v[2:3], s[14:15]
	global_store_dwordx4 v30, v[0:3], s[10:11] offset:16
	global_store_dwordx4 v30, v[0:3], s[10:11] offset:32
	;; [unrolled: 1-line block ×3, first 2 shown]
	s_and_saveexec_b64 s[10:11], s[0:1]
	s_cbranch_execz .LBB1_383
; %bb.376:
	v_mov_b32_e32 v10, 0
	global_load_dwordx2 v[14:15], v10, s[2:3] offset:32 sc0 sc1
	global_load_dwordx2 v[0:1], v10, s[2:3] offset:40
	v_mov_b32_e32 v12, s6
	v_mov_b32_e32 v13, s7
	s_waitcnt vmcnt(0)
	v_readfirstlane_b32 s12, v0
	v_readfirstlane_b32 s13, v1
	s_and_b64 s[12:13], s[12:13], s[6:7]
	s_mul_i32 s13, s13, 24
	s_mul_hi_u32 s14, s12, 24
	s_mul_i32 s12, s12, 24
	s_add_i32 s13, s14, s13
	v_lshl_add_u64 v[4:5], v[4:5], 0, s[12:13]
	global_store_dwordx2 v[4:5], v[14:15], off
	buffer_wbl2 sc0 sc1
	s_waitcnt vmcnt(0)
	global_atomic_cmpswap_x2 v[2:3], v10, v[12:15], s[2:3] offset:32 sc0 sc1
	s_waitcnt vmcnt(0)
	v_cmp_ne_u64_e32 vcc, v[2:3], v[14:15]
	s_and_saveexec_b64 s[12:13], vcc
	s_cbranch_execz .LBB1_379
; %bb.377:
	s_mov_b64 s[14:15], 0
.LBB1_378:                              ; =>This Inner Loop Header: Depth=1
	s_sleep 1
	global_store_dwordx2 v[4:5], v[2:3], off
	v_mov_b32_e32 v0, s6
	v_mov_b32_e32 v1, s7
	buffer_wbl2 sc0 sc1
	s_waitcnt vmcnt(0)
	global_atomic_cmpswap_x2 v[0:1], v10, v[0:3], s[2:3] offset:32 sc0 sc1
	s_waitcnt vmcnt(0)
	v_cmp_eq_u64_e32 vcc, v[0:1], v[2:3]
	s_or_b64 s[14:15], vcc, s[14:15]
	v_mov_b64_e32 v[2:3], v[0:1]
	s_andn2_b64 exec, exec, s[14:15]
	s_cbranch_execnz .LBB1_378
.LBB1_379:
	s_or_b64 exec, exec, s[12:13]
	v_mov_b32_e32 v3, 0
	global_load_dwordx2 v[0:1], v3, s[2:3] offset:16
	s_mov_b64 s[12:13], exec
	v_mbcnt_lo_u32_b32 v2, s12, 0
	v_mbcnt_hi_u32_b32 v2, s13, v2
	v_cmp_eq_u32_e32 vcc, 0, v2
	s_and_saveexec_b64 s[14:15], vcc
	s_cbranch_execz .LBB1_381
; %bb.380:
	s_bcnt1_i32_b64 s12, s[12:13]
	v_mov_b32_e32 v2, s12
	buffer_wbl2 sc0 sc1
	s_waitcnt vmcnt(0)
	global_atomic_add_x2 v[0:1], v[2:3], off offset:8 sc1
.LBB1_381:
	s_or_b64 exec, exec, s[14:15]
	s_waitcnt vmcnt(0)
	global_load_dwordx2 v[2:3], v[0:1], off offset:16
	s_waitcnt vmcnt(0)
	v_cmp_eq_u64_e32 vcc, 0, v[2:3]
	s_cbranch_vccnz .LBB1_383
; %bb.382:
	global_load_dword v0, v[0:1], off offset:24
	v_mov_b32_e32 v1, 0
	s_waitcnt vmcnt(0)
	v_readfirstlane_b32 s12, v0
	s_and_b32 m0, s12, 0xffffff
	buffer_wbl2 sc0 sc1
	global_store_dwordx2 v[2:3], v[0:1], off sc0 sc1
	s_sendmsg sendmsg(MSG_INTERRUPT)
.LBB1_383:
	s_or_b64 exec, exec, s[10:11]
	v_lshl_add_u64 v[0:1], v[6:7], 0, v[30:31]
	s_branch .LBB1_387
.LBB1_384:                              ;   in Loop: Header=BB1_387 Depth=1
	s_or_b64 exec, exec, s[10:11]
	v_readfirstlane_b32 s10, v2
	s_cmp_eq_u32 s10, 0
	s_cbranch_scc1 .LBB1_386
; %bb.385:                              ;   in Loop: Header=BB1_387 Depth=1
	s_sleep 1
	s_cbranch_execnz .LBB1_387
	s_branch .LBB1_389
.LBB1_386:
	s_branch .LBB1_389
.LBB1_387:                              ; =>This Inner Loop Header: Depth=1
	v_mov_b32_e32 v2, 1
	s_and_saveexec_b64 s[10:11], s[0:1]
	s_cbranch_execz .LBB1_384
; %bb.388:                              ;   in Loop: Header=BB1_387 Depth=1
	global_load_dword v2, v[8:9], off offset:20 sc0 sc1
	s_waitcnt vmcnt(0)
	buffer_inv sc0 sc1
	v_and_b32_e32 v2, 1, v2
	s_branch .LBB1_384
.LBB1_389:
	global_load_dwordx2 v[0:1], v[0:1], off
	s_and_saveexec_b64 s[10:11], s[0:1]
	s_cbranch_execz .LBB1_392
; %bb.390:
	v_mov_b32_e32 v8, 0
	global_load_dwordx2 v[2:3], v8, s[2:3] offset:40
	global_load_dwordx2 v[12:13], v8, s[2:3] offset:24 sc0 sc1
	global_load_dwordx2 v[4:5], v8, s[2:3]
	s_waitcnt vmcnt(2)
	v_readfirstlane_b32 s12, v2
	v_readfirstlane_b32 s13, v3
	s_add_u32 s14, s12, 1
	s_addc_u32 s15, s13, 0
	s_add_u32 s0, s14, s6
	s_addc_u32 s1, s15, s7
	s_cmp_eq_u64 s[0:1], 0
	s_cselect_b32 s1, s15, s1
	s_cselect_b32 s0, s14, s0
	s_and_b64 s[6:7], s[0:1], s[12:13]
	s_mul_i32 s7, s7, 24
	s_mul_hi_u32 s12, s6, 24
	s_mul_i32 s6, s6, 24
	s_add_i32 s7, s12, s7
	s_waitcnt vmcnt(0)
	v_lshl_add_u64 v[6:7], v[4:5], 0, s[6:7]
	v_mov_b32_e32 v10, s0
	global_store_dwordx2 v[6:7], v[12:13], off
	v_mov_b32_e32 v11, s1
	buffer_wbl2 sc0 sc1
	s_waitcnt vmcnt(0)
	global_atomic_cmpswap_x2 v[4:5], v8, v[10:13], s[2:3] offset:24 sc0 sc1
	s_mov_b64 s[6:7], 0
	s_waitcnt vmcnt(0)
	v_cmp_ne_u64_e32 vcc, v[4:5], v[12:13]
	s_and_b64 exec, exec, vcc
	s_cbranch_execz .LBB1_392
.LBB1_391:                              ; =>This Inner Loop Header: Depth=1
	s_sleep 1
	global_store_dwordx2 v[6:7], v[4:5], off
	v_mov_b32_e32 v2, s0
	v_mov_b32_e32 v3, s1
	buffer_wbl2 sc0 sc1
	s_waitcnt vmcnt(0)
	global_atomic_cmpswap_x2 v[2:3], v8, v[2:5], s[2:3] offset:24 sc0 sc1
	s_waitcnt vmcnt(0)
	v_cmp_eq_u64_e32 vcc, v[2:3], v[4:5]
	s_or_b64 s[6:7], vcc, s[6:7]
	v_mov_b64_e32 v[4:5], v[2:3]
	s_andn2_b64 exec, exec, s[6:7]
	s_cbranch_execnz .LBB1_391
.LBB1_392:
	s_or_b64 exec, exec, s[10:11]
.LBB1_393:
	s_or_b64 exec, exec, s[4:5]
	s_getpc_b64 s[0:1]
	s_add_u32 s0, s0, .str.3@rel32@lo+4
	s_addc_u32 s1, s1, .str.3@rel32@hi+12
	s_getpc_b64 s[2:3]
	s_add_u32 s2, s2, .str.3@rel32@lo+32
	s_addc_u32 s3, s3, .str.3@rel32@hi+40
	s_sub_i32 s4, s2, s0
	s_ashr_i32 s5, s4, 31
	s_getpc_b64 s[2:3]
	s_add_u32 s2, s2, __ockl_fprintf_append_string_n@rel32@lo+4
	s_addc_u32 s3, s3, __ockl_fprintf_append_string_n@rel32@hi+12
	v_mov_b32_e32 v2, s0
	v_mov_b32_e32 v3, s1
	;; [unrolled: 1-line block ×5, first 2 shown]
	s_swappc_b64 s[30:31], s[2:3]
	s_trap 2
.Lfunc_end1:
	.size	__assert_fail, .Lfunc_end1-__assert_fail
                                        ; -- End function
	.set .L__assert_fail.num_vgpr, max(41, .L__ockl_fprintf_append_string_n.num_vgpr)
	.set .L__assert_fail.num_agpr, max(0, .L__ockl_fprintf_append_string_n.num_agpr)
	.set .L__assert_fail.numbered_sgpr, max(34, .L__ockl_fprintf_append_string_n.numbered_sgpr)
	.set .L__assert_fail.num_named_barrier, max(0, .L__ockl_fprintf_append_string_n.num_named_barrier)
	.set .L__assert_fail.private_seg_size, 64+max(.L__ockl_fprintf_append_string_n.private_seg_size)
	.set .L__assert_fail.uses_vcc, or(1, .L__ockl_fprintf_append_string_n.uses_vcc)
	.set .L__assert_fail.uses_flat_scratch, or(0, .L__ockl_fprintf_append_string_n.uses_flat_scratch)
	.set .L__assert_fail.has_dyn_sized_stack, or(0, .L__ockl_fprintf_append_string_n.has_dyn_sized_stack)
	.set .L__assert_fail.has_recursion, or(0, .L__ockl_fprintf_append_string_n.has_recursion)
	.set .L__assert_fail.has_indirect_call, or(0, .L__ockl_fprintf_append_string_n.has_indirect_call)
	.section	.AMDGPU.csdata,"",@progbits
; Function info:
; codeLenInByte = 13480
; TotalNumSgprs: 40
; NumVgprs: 41
; NumAgprs: 0
; TotalNumVgprs: 41
; ScratchSize: 64
; MemoryBound: 0
	.text
	.p2align	2                               ; -- Begin function _ZN12_GLOBAL__N_17runRingI12hip_bfloat1610FuncMinMaxIS1_E11ProtoSimpleILi1ELi4ELi0ELi1ELi0ELi0EELi0ELi0ELi1ELi0EEEviiP15ncclDevWorkColl
	.type	_ZN12_GLOBAL__N_17runRingI12hip_bfloat1610FuncMinMaxIS1_E11ProtoSimpleILi1ELi4ELi0ELi1ELi0ELi0EELi0ELi0ELi1ELi0EEEviiP15ncclDevWorkColl,@function
_ZN12_GLOBAL__N_17runRingI12hip_bfloat1610FuncMinMaxIS1_E11ProtoSimpleILi1ELi4ELi0ELi1ELi0ELi0EELi0ELi0ELi1ELi0EEEviiP15ncclDevWorkColl: ; @_ZN12_GLOBAL__N_17runRingI12hip_bfloat1610FuncMinMaxIS1_E11ProtoSimpleILi1ELi4ELi0ELi1ELi0ELi0EELi0ELi0ELi1ELi0EEEviiP15ncclDevWorkColl
; %bb.0:
	s_waitcnt vmcnt(0) expcnt(0) lgkmcnt(0)
	s_mov_b32 s0, s33
	s_mov_b32 s33, s32
	s_or_saveexec_b64 s[2:3], -1
	scratch_store_dword off, v91, s33 offset:108 ; 4-byte Folded Spill
	s_mov_b64 exec, s[2:3]
	v_writelane_b32 v91, s0, 27
	s_addk_i32 s32, 0x80
	scratch_store_dword off, v40, s33 offset:104 ; 4-byte Folded Spill
	scratch_store_dword off, v41, s33 offset:100 ; 4-byte Folded Spill
	;; [unrolled: 1-line block ×26, first 2 shown]
	scratch_store_dword off, v90, s33       ; 4-byte Folded Spill
	v_writelane_b32 v91, s34, 0
	v_writelane_b32 v91, s35, 1
	;; [unrolled: 1-line block ×26, first 2 shown]
	s_nop 1
	v_writelane_b32 v91, s31, 26
	s_trap 2
	flat_load_dword v9, v[2:3]
	ds_read_b32 v6, v0
                                        ; implicit-def: $vgpr14_vgpr15
                                        ; implicit-def: $vgpr16_vgpr17
                                        ; implicit-def: $vgpr4_vgpr5
	s_waitcnt lgkmcnt(0)
	v_readfirstlane_b32 s54, v6
	s_waitcnt vmcnt(0)
	v_cmp_ne_u32_sdwa s[0:1], v6, v9 src0_sel:DWORD src1_sel:BYTE_0
	s_and_saveexec_b64 s[2:3], s[0:1]
	s_xor_b64 s[0:1], exec, s[2:3]
	s_cbranch_execz .LBB2_6
; %bb.1:
	v_not_b32_sdwa v8, v9 dst_sel:DWORD dst_unused:UNUSED_PAD src0_sel:BYTE_0
	v_cmp_ne_u32_sdwa s[2:3], v6, v9 src0_sel:DWORD src1_sel:BYTE_1
                                        ; implicit-def: $vgpr14_vgpr15
                                        ; implicit-def: $vgpr16_vgpr17
                                        ; implicit-def: $vgpr4_vgpr5
	s_and_saveexec_b64 s[4:5], s[2:3]
	s_xor_b64 s[2:3], exec, s[4:5]
	s_cbranch_execz .LBB2_3
; %bb.2:
	flat_load_dwordx4 v[10:13], v[2:3] offset:72
	flat_load_dwordx2 v[4:5], v[2:3] offset:96
	v_add_u32_e32 v6, v6, v8
	v_ashrrev_i32_e32 v7, 31, v6
                                        ; implicit-def: $vgpr9
                                        ; implicit-def: $vgpr8
	s_waitcnt vmcnt(0) lgkmcnt(0)
	v_mul_lo_u32 v7, v12, v7
	v_mad_u64_u32 v[16:17], s[4:5], v12, v6, v[10:11]
	v_mul_lo_u32 v6, v13, v6
	v_lshrrev_b64 v[14:15], 13, v[4:5]
	v_add3_u32 v17, v6, v17, v7
	v_mov_b64_e32 v[4:5], v[12:13]
.LBB2_3:
	s_andn2_saveexec_b64 s[2:3], s[2:3]
	s_cbranch_execz .LBB2_5
; %bb.4:
	flat_load_dwordx4 v[10:13], v[2:3] offset:72
	flat_load_dwordx4 v[4:7], v[2:3] offset:88
	s_waitcnt vmcnt(0) lgkmcnt(0)
	v_add_u32_sdwa v6, v9, v8 dst_sel:DWORD dst_unused:UNUSED_PAD src0_sel:BYTE_1 src1_sel:DWORD
	v_ashrrev_i32_e32 v8, 31, v6
	v_mul_lo_u32 v8, v12, v8
	v_mad_u64_u32 v[16:17], s[4:5], v12, v6, v[10:11]
	v_mul_lo_u32 v6, v13, v6
	v_add3_u32 v17, v6, v17, v8
	v_lshrrev_b32_e32 v14, 2, v7
.LBB2_5:
	s_or_b64 exec, exec, s[2:3]
.LBB2_6:
	s_andn2_saveexec_b64 s[0:1], s[0:1]
	s_cbranch_execz .LBB2_8
; %bb.7:
	flat_load_dwordx2 v[6:7], v[2:3] offset:96
	flat_load_dwordx2 v[4:5], v[2:3] offset:72
	v_mov_b64_e32 v[16:17], 0
	s_waitcnt vmcnt(0) lgkmcnt(0)
	v_lshlrev_b64 v[14:15], 8, v[6:7]
.LBB2_8:
	s_or_b64 exec, exec, s[0:1]
	s_trap 2
	ds_read_b64 v[6:7], v0
	s_waitcnt lgkmcnt(0)
	v_cmp_ne_u32_e32 vcc, -1, v6
	s_nop 1
	v_cndmask_b32_e64 v15, 0, 1, vcc
	v_cmp_ne_u32_e32 vcc, -1, v7
	s_nop 1
	v_addc_co_u32_e64 v8, s[0:1], 0, v15, vcc
	v_lshlrev_b32_e32 v6, 1, v8
	v_cmp_le_u32_e64 s[0:1], v6, v1
	s_and_saveexec_b64 s[2:3], s[0:1]
	s_xor_b64 s[44:45], exec, s[2:3]
	s_cbranch_execz .LBB2_1476
; %bb.9:
	flat_load_dwordx4 v[10:13], v[2:3] offset:16
	flat_load_dwordx2 v[32:33], v[2:3] offset:104
	flat_load_ushort v7, v[2:3] offset:8
	flat_load_dword v6, v[2:3] offset:4
	s_trap 2
	s_load_dword s0, s[8:9], 0x0
	v_mov_b32_e32 v9, 0
	v_mov_b32_e32 v46, 4
	s_waitcnt lgkmcnt(0)
	s_cmp_lt_u32 s12, s0
	s_cselect_b32 s0, 12, 18
	s_add_u32 s0, s8, s0
	s_addc_u32 s1, s9, 0
	global_load_ushort v30, v9, s[0:1]
	ds_read_b32 v9, v0
	v_cmp_ge_u32_e64 s[0:1], v0, v15
	s_waitcnt lgkmcnt(0)
	v_readfirstlane_b32 s22, v9
	s_and_saveexec_b64 s[2:3], s[0:1]
	s_cbranch_execz .LBB2_19
; %bb.10:
	v_cmp_ge_u32_e64 s[0:1], v0, v8
                                        ; implicit-def: $vgpr46
	s_and_saveexec_b64 s[4:5], s[0:1]
	s_xor_b64 s[0:1], exec, s[4:5]
	s_cbranch_execz .LBB2_16
; %bb.11:
	v_cndmask_b32_e64 v9, 0, 1, vcc
	v_sub_u32_e32 v9, v1, v9
	v_cmp_ge_u32_e32 vcc, v0, v9
	s_and_saveexec_b64 s[4:5], vcc
	s_xor_b64 s[4:5], exec, s[4:5]
; %bb.12:
                                        ; implicit-def: $vgpr8
; %bb.13:
	s_or_saveexec_b64 s[4:5], s[4:5]
	v_mov_b32_e32 v46, 16
	s_xor_b64 exec, exec, s[4:5]
; %bb.14:
	v_sub_u32_e32 v8, v1, v8
	v_cmp_lt_i32_e32 vcc, v0, v8
	s_nop 1
	v_cndmask_b32_e64 v46, 32, 0, vcc
; %bb.15:
	s_or_b64 exec, exec, s[4:5]
.LBB2_16:
	s_andn2_saveexec_b64 s[0:1], s[0:1]
; %bb.17:
	v_mov_b32_e32 v46, 8
; %bb.18:
	s_or_b64 exec, exec, s[0:1]
.LBB2_19:
	s_or_b64 exec, exec, s[2:3]
	v_and_b32_e32 v8, 36, v46
	v_cmp_ne_u32_e32 vcc, 0, v8
	v_mov_b32_e32 v8, -1
	s_and_saveexec_b64 s[0:1], vcc
	s_cbranch_execz .LBB2_21
; %bb.20:
	s_trap 2
	ds_read_b32 v8, v0
.LBB2_21:
	s_or_b64 exec, exec, s[0:1]
	v_and_b32_e32 v9, 24, v46
	v_cmp_ne_u32_e64 s[0:1], 0, v9
	s_and_saveexec_b64 s[2:3], s[0:1]
	s_cbranch_execz .LBB2_23
; %bb.22:
	s_trap 2
	s_waitcnt lgkmcnt(0)
	ds_read_b32 v8, v0
.LBB2_23:
	s_or_b64 exec, exec, s[2:3]
	s_waitcnt vmcnt(0)
	v_lshrrev_b64 v[6:7], 31, v[6:7]
	v_and_b32_e32 v25, 3, v6
	v_mov_b64_e32 v[20:21], 0
	s_waitcnt lgkmcnt(0)
	v_ashrrev_i32_e32 v9, 31, v8
	v_mov_b64_e32 v[6:7], 0
                                        ; implicit-def: $vgpr18_vgpr19
                                        ; implicit-def: $vgpr24
                                        ; implicit-def: $vgpr96_vgpr97
                                        ; implicit-def: $vgpr26_vgpr27
                                        ; implicit-def: $vgpr34_vgpr35
                                        ; implicit-def: $vgpr22_vgpr23
	s_and_saveexec_b64 s[0:1], vcc
	s_cbranch_execz .LBB2_33
; %bb.24:
	s_trap 2
	ds_read_b64 v[6:7], v0
	v_and_b32_e32 v18, 0xffff, v25
	s_movk_i32 s2, 0xa8
	s_waitcnt lgkmcnt(0)
	v_lshl_add_u64 v[6:7], v[8:9], 3, v[6:7]
	flat_load_dwordx2 v[6:7], v[6:7]
	s_waitcnt vmcnt(0) lgkmcnt(0)
	v_mad_u64_u32 v[28:29], s[2:3], v18, s2, v[6:7]
	flat_load_dword v6, v[28:29] offset:640
                                        ; implicit-def: $vgpr18_vgpr19
	s_waitcnt vmcnt(0) lgkmcnt(0)
	v_cmp_eq_u32_e32 vcc, 1, v6
	s_and_saveexec_b64 s[2:3], vcc
	s_cbranch_execz .LBB2_26
; %bb.25:
	flat_load_dwordx2 v[18:19], v[28:29] offset:648
	v_or_b32_e32 v46, 0x2000, v46
	s_waitcnt vmcnt(0) lgkmcnt(0)
	flat_load_dwordx2 v[6:7], v[18:19]
	s_trap 2
	s_waitcnt vmcnt(0) lgkmcnt(0)
	ds_write_b64 v0, v[6:7]
	flat_load_dwordx2 v[6:7], v[18:19] offset:8
	s_waitcnt vmcnt(0) lgkmcnt(0)
	ds_write_b64 v0, v[6:7]
	flat_load_dwordx2 v[6:7], v[18:19] offset:16
	s_waitcnt vmcnt(0) lgkmcnt(0)
	ds_write_b64 v0, v[6:7]
.LBB2_26:
	s_or_b64 exec, exec, s[2:3]
	flat_load_dwordx2 v[6:7], v[28:29] offset:608
	v_and_b32_e32 v20, 32, v46
	v_cmp_ne_u32_e32 vcc, 0, v20
                                        ; implicit-def: $vgpr22_vgpr23
	s_waitcnt vmcnt(0) lgkmcnt(0)
	v_lshl_add_u64 v[96:97], v[6:7], 0, 3
	v_and_b32_e32 v96, -4, v96
	s_and_saveexec_b64 s[2:3], vcc
	s_cbranch_execz .LBB2_28
; %bb.27:
	flat_load_dwordx2 v[22:23], v[28:29] offset:560
	s_waitcnt vmcnt(0) lgkmcnt(0)
	flat_store_dwordx2 v[22:23], v[96:97] sc0 sc1
.LBB2_28:
	s_or_b64 exec, exec, s[2:3]
	s_mov_b64 s[2:3], 0x1f8
	v_and_b32_e32 v6, 4, v46
	v_lshl_add_u64 v[20:21], v[28:29], 0, s[2:3]
	v_cmp_ne_u32_e32 vcc, 0, v6
	v_mov_b64_e32 v[6:7], 0
                                        ; implicit-def: $vgpr24
                                        ; implicit-def: $vgpr26_vgpr27
                                        ; implicit-def: $vgpr34_vgpr35
	s_and_saveexec_b64 s[2:3], vcc
	s_cbranch_execz .LBB2_32
; %bb.29:
	v_and_b32_e32 v6, 0x800, v46
	v_cmp_eq_u32_e32 vcc, 0, v6
	s_and_saveexec_b64 s[4:5], vcc
	s_cbranch_execz .LBB2_31
; %bb.30:
	s_trap 2
	ds_write_b64 v0, v[20:21]
.LBB2_31:
	s_or_b64 exec, exec, s[4:5]
	flat_load_dwordx2 v[22:23], v[28:29] offset:552
	s_waitcnt vmcnt(0) lgkmcnt(0)
	flat_load_dwordx2 v[34:35], v[22:23] sc0 sc1
	flat_load_dword v24, v[28:29] offset:576
	flat_load_dwordx2 v[6:7], v[28:29] offset:600
	flat_load_dwordx2 v[26:27], v[28:29] offset:520
	v_or_b32_e32 v28, 0x100, v46
	s_waitcnt vmcnt(0) lgkmcnt(0)
	v_ashrrev_i32_e32 v24, 1, v24
	v_cmp_eq_u64_e32 vcc, 0, v[6:7]
	s_nop 1
	v_cndmask_b32_e32 v46, v28, v46, vcc
.LBB2_32:
	s_or_b64 exec, exec, s[2:3]
.LBB2_33:
	s_or_b64 exec, exec, s[0:1]
	v_and_b32_e32 v28, 24, v46
	v_cmp_ne_u32_e32 vcc, 0, v28
                                        ; implicit-def: $vgpr28_vgpr29
	s_and_saveexec_b64 s[0:1], vcc
	s_cbranch_execz .LBB2_41
; %bb.34:
	s_trap 2
	ds_read_b64 v[6:7], v0
	s_movk_i32 s2, 0xa8
                                        ; implicit-def: $vgpr28_vgpr29
	s_waitcnt lgkmcnt(0)
	v_lshl_add_u64 v[6:7], v[8:9], 3, v[6:7]
	flat_load_dwordx2 v[6:7], v[6:7]
	v_and_b32_e32 v8, 0xffff, v25
	v_or_b32_e32 v25, 0x100, v46
	s_waitcnt vmcnt(0) lgkmcnt(0)
	v_mad_u64_u32 v[20:21], s[2:3], v8, s2, v[6:7]
	flat_load_dwordx4 v[6:9], v[20:21] offset:96
	s_waitcnt vmcnt(0) lgkmcnt(0)
	v_cmp_eq_u64_e32 vcc, 0, v[6:7]
	s_nop 1
	v_cndmask_b32_e32 v46, v25, v46, vcc
	v_and_b32_e32 v25, 16, v46
	v_cmp_ne_u32_e32 vcc, 0, v25
	s_and_saveexec_b64 s[2:3], vcc
	s_cbranch_execz .LBB2_36
; %bb.35:
	flat_load_dwordx2 v[22:23], v[20:21] offset:48
	flat_load_dwordx2 v[28:29], v[20:21] offset:120
	;; [unrolled: 1-line block ×3, first 2 shown]
.LBB2_36:
	s_or_b64 exec, exec, s[2:3]
	v_lshl_add_u64 v[96:97], v[8:9], 0, 3
	v_and_b32_e32 v8, 8, v46
	v_and_b32_e32 v96, -4, v96
	v_cmp_ne_u32_e32 vcc, 0, v8
	s_and_saveexec_b64 s[2:3], vcc
	s_cbranch_execz .LBB2_40
; %bb.37:
	v_and_b32_e32 v8, 0x800, v46
	v_cmp_eq_u32_e32 vcc, 0, v8
	s_and_saveexec_b64 s[4:5], vcc
	s_cbranch_execz .LBB2_39
; %bb.38:
	s_trap 2
	ds_write_b64 v0, v[20:21]
.LBB2_39:
	s_or_b64 exec, exec, s[4:5]
	s_waitcnt vmcnt(0) lgkmcnt(0)
	flat_load_dwordx2 v[22:23], v[20:21] offset:56
	s_waitcnt vmcnt(0) lgkmcnt(0)
	flat_load_dwordx2 v[34:35], v[22:23] sc0 sc1
	flat_load_dword v8, v[20:21] offset:72
	flat_load_dwordx2 v[26:27], v[20:21] offset:16
	s_waitcnt vmcnt(0) lgkmcnt(0)
	v_ashrrev_i32_e32 v24, 1, v8
.LBB2_40:
	s_or_b64 exec, exec, s[2:3]
.LBB2_41:
	s_or_b64 exec, exec, s[0:1]
	v_cmp_eq_u32_e64 s[0:1], 0, v0
	s_and_saveexec_b64 s[2:3], s[0:1]
	s_cbranch_execz .LBB2_43
; %bb.42:
	flat_load_dwordx2 v[8:9], v[2:3] offset:32
	ds_write2_b64 v0, v[12:13], v[10:11] offset1:1
	s_trap 2
	s_waitcnt vmcnt(0) lgkmcnt(0)
	ds_write_b64 v0, v[8:9]
	ds_write_b64 v0, v[32:33]
.LBB2_43:
	s_or_b64 exec, exec, s[2:3]
	v_mov_b64_e32 v[32:33], 0
	v_cmp_lt_i64_e32 vcc, 0, v[4:5]
	s_trap 2
	s_and_saveexec_b64 s[46:47], vcc
	s_cbranch_execz .LBB2_1442
; %bb.44:
	flat_load_dword v8, v[2:3] offset:4
	s_ashr_i32 s16, s22, 31
	s_lshr_b32 s23, s16, 29
	s_add_i32 s22, s22, s23
	s_ashr_i32 s55, s54, 31
	s_ashr_i32 s23, s22, 4
	s_add_u32 s74, s54, -1
	s_addc_u32 s75, s55, -1
	s_add_i32 s68, s54, s54
	s_not_b32 s24, s54
	s_cmp_gt_i32 s54, 0
	s_cselect_b32 s24, s24, -1
	s_ashr_i32 s22, s22, 31
	s_lshr_b32 s22, s22, 29
	s_add_i32 s69, s24, s68
	s_add_i32 s23, s23, s22
	s_ashr_i32 s70, s69, 31
	s_ashr_i32 s71, s23, 3
	s_cmp_gt_i32 s54, 2
	v_lshrrev_b32_e32 v36, 6, v1
	v_lshlrev_b32_e32 v10, 1, v1
	s_cselect_b64 s[76:77], -1, 0
	s_add_i32 s24, s54, 1
	v_and_b32_e32 v2, 0x1fffff00, v14
	v_lshlrev_b32_e32 v54, 10, v36
	v_and_b32_e32 v66, 0x7f80, v10
	v_and_b32_e32 v9, 63, v31
	;; [unrolled: 1-line block ×3, first 2 shown]
	v_mad_i64_i32 v[50:51], s[14:15], v2, s54, 0
	v_add_u32_e32 v70, 0xfffffc00, v54
	v_add_u32_e32 v80, 0xffffff80, v66
	v_mov_b32_e32 v3, 0
	v_lshrrev_b32_e32 v56, 6, v0
	s_mov_b64 s[62:63], 0x400
	s_mov_b64 s[72:73], 0x80
	v_cmp_eq_u32_e64 s[14:15], 0, v9
	v_lshlrev_b32_e32 v9, 4, v47
	v_ashrrev_i32_e32 v71, 31, v70
	v_ashrrev_i32_e32 v81, 31, v80
	s_mov_b32 s57, 0
	v_cmp_ge_u32_e64 s[2:3], v0, v1
	v_ashrrev_i32_e32 v25, 31, v24
	v_cmp_eq_u32_e64 s[4:5], 64, v1
	v_cmp_ne_u32_e64 s[6:7], 64, v1
	v_cmp_ne_u32_sdwa s[58:59], v1, v30 src0_sel:DWORD src1_sel:WORD_0
	s_mov_b64 s[60:61], 0
	s_waitcnt vmcnt(0) lgkmcnt(0)
	v_cmp_eq_u64_e64 s[10:11], 0, v[28:29]
	v_cmp_ne_u64_e64 s[12:13], 0, v[28:29]
	v_lshlrev_b32_e32 v38, 4, v0
	v_mov_b64_e32 v[48:49], 0
	v_mov_b64_e32 v[32:33], 0
	v_mov_b32_e32 v57, 1
	s_movk_i32 s64, 0x108
	s_mov_b32 s65, 0x7f800000
	s_movk_i32 s66, 0x7fff
	s_mov_b32 s67, 0xffff0000
	v_mov_b32_e32 v58, 0xc8
	v_mov_b32_e32 v37, v3
	v_cmp_eq_u32_e64 s[16:17], 0, v47
	v_cmp_lt_u32_e64 s[18:19], v47, v15
	v_lshlrev_b32_e32 v52, 11, v36
	v_mov_b32_e32 v53, v3
	v_mov_b32_e32 v55, v3
	v_lshlrev_b32_e32 v64, 9, v36
	v_mov_b32_e32 v65, v3
	v_mov_b32_e32 v67, v3
	v_cmp_le_u32_e64 s[20:21], v47, v15
	v_mov_b32_e32 v39, v3
	v_mov_b32_e32 v69, v3
	;; [unrolled: 1-line block ×4, first 2 shown]
	v_lshl_or_b32 v68, v56, 11, v9
	v_lshl_add_u64 v[82:83], v[70:71], 0, s[62:63]
	v_lshl_add_u64 v[84:85], v[80:81], 0, s[72:73]
	v_mov_b32_e32 v59, 0x90
	v_mov_b32_e32 v60, 0xd0
	;; [unrolled: 1-line block ×3, first 2 shown]
	v_mov_b64_e32 v[86:87], v[2:3]
	s_trap 2
	v_and_b32_e32 v8, 1, v8
	v_cmp_eq_u32_e64 s[22:23], 1, v8
	s_xor_b64 s[78:79], s[22:23], -1
	s_cmp_ge_i32 s24, s54
	s_cselect_b32 s25, s54, 0
	s_sub_i32 s81, s24, s25
	s_add_i32 s80, s54, -2
	s_ashr_i32 s88, s55, 31
	s_ashr_i32 s82, s81, 31
	s_branch .LBB2_47
.LBB2_45:                               ;   in Loop: Header=BB2_47 Depth=1
	s_or_b64 exec, exec, s[24:25]
.LBB2_46:                               ;   in Loop: Header=BB2_47 Depth=1
	s_or_b64 exec, exec, s[28:29]
	v_lshl_add_u64 v[48:49], v[48:49], 0, v[50:51]
	v_cmp_ge_i64_e32 vcc, v[48:49], v[4:5]
	s_or_b64 s[60:61], vcc, s[60:61]
	s_andn2_b64 exec, exec, s[60:61]
	s_cbranch_execz .LBB2_1441
.LBB2_47:                               ; =>This Loop Header: Depth=1
                                        ;     Child Loop BB2_62 Depth 2
                                        ;     Child Loop BB2_86 Depth 2
	;; [unrolled: 1-line block ×13, first 2 shown]
                                        ;       Child Loop BB2_274 Depth 3
                                        ;       Child Loop BB2_302 Depth 3
	;; [unrolled: 1-line block ×12, first 2 shown]
                                        ;     Child Loop BB2_577 Depth 2
                                        ;     Child Loop BB2_612 Depth 2
                                        ;     Child Loop BB2_659 Depth 2
                                        ;     Child Loop BB2_705 Depth 2
                                        ;       Child Loop BB2_738 Depth 3
                                        ;     Child Loop BB2_744 Depth 2
                                        ;       Child Loop BB2_777 Depth 3
                                        ;     Child Loop BB2_785 Depth 2
                                        ;     Child Loop BB2_817 Depth 2
                                        ;       Child Loop BB2_822 Depth 3
                                        ;     Child Loop BB2_835 Depth 2
                                        ;     Child Loop BB2_872 Depth 2
	;; [unrolled: 1-line block ×10, first 2 shown]
                                        ;       Child Loop BB2_998 Depth 3
                                        ;       Child Loop BB2_1033 Depth 3
	;; [unrolled: 1-line block ×4, first 2 shown]
                                        ;         Child Loop BB2_1127 Depth 4
                                        ;       Child Loop BB2_1133 Depth 3
                                        ;         Child Loop BB2_1134 Depth 4
                                        ;       Child Loop BB2_1141 Depth 3
                                        ;       Child Loop BB2_1146 Depth 3
                                        ;         Child Loop BB2_1147 Depth 4
                                        ;       Child Loop BB2_1159 Depth 3
                                        ;       Child Loop BB2_1164 Depth 3
	;; [unrolled: 1-line block ×9, first 2 shown]
                                        ;     Child Loop BB2_1247 Depth 2
                                        ;     Child Loop BB2_1271 Depth 2
	;; [unrolled: 1-line block ×12, first 2 shown]
	v_sub_co_u32_e32 v98, vcc, v4, v48
	s_nop 1
	v_subb_co_u32_e32 v99, vcc, v5, v49, vcc
	v_cmp_lt_i64_e32 vcc, v[98:99], v[50:51]
	s_and_saveexec_b64 s[26:27], vcc
	s_cbranch_execz .LBB2_53
; %bb.48:                               ;   in Loop: Header=BB2_47 Depth=1
	v_lshl_add_u64 v[8:9], s[74:75], 0, v[98:99]
	v_or_b32_e32 v11, s55, v9
	v_mov_b32_e32 v10, v3
	v_cmp_ne_u64_e32 vcc, 0, v[10:11]
                                        ; implicit-def: $vgpr10_vgpr11
	s_and_saveexec_b64 s[24:25], vcc
	s_xor_b64 s[28:29], exec, s[24:25]
	s_cbranch_execz .LBB2_50
; %bb.49:                               ;   in Loop: Header=BB2_47 Depth=1
	s_add_u32 s24, s54, s88
	s_mov_b32 s89, s88
	s_addc_u32 s25, s55, s88
	s_xor_b64 s[40:41], s[24:25], s[88:89]
	v_cvt_f32_u32_e32 v2, s40
	v_cvt_f32_u32_e32 v10, s41
	s_sub_u32 s42, 0, s40
	s_subb_u32 s43, 0, s41
	v_fmac_f32_e32 v2, 0x4f800000, v10
	v_rcp_f32_e32 v2, v2
	s_nop 0
	v_mul_f32_e32 v2, 0x5f7ffffc, v2
	v_mul_f32_e32 v10, 0x2f800000, v2
	v_trunc_f32_e32 v10, v10
	v_fmac_f32_e32 v2, 0xcf800000, v10
	v_cvt_u32_f32_e32 v10, v10
	v_cvt_u32_f32_e32 v2, v2
	v_readfirstlane_b32 s56, v10
	v_readfirstlane_b32 s24, v2
	s_mul_i32 s25, s42, s56
	s_mul_hi_u32 s90, s42, s24
	s_mul_i32 s89, s43, s24
	s_add_i32 s25, s90, s25
	s_add_i32 s25, s25, s89
	s_mul_i32 s91, s42, s24
	s_mul_i32 s90, s24, s25
	s_mul_hi_u32 s92, s24, s91
	s_mul_hi_u32 s89, s24, s25
	s_add_u32 s90, s92, s90
	s_addc_u32 s89, 0, s89
	s_mul_hi_u32 s93, s56, s91
	s_mul_i32 s91, s56, s91
	s_add_u32 s90, s90, s91
	s_mul_hi_u32 s92, s56, s25
	s_addc_u32 s89, s89, s93
	s_addc_u32 s90, s92, 0
	s_mul_i32 s25, s56, s25
	s_add_u32 s25, s89, s25
	s_addc_u32 s89, 0, s90
	s_add_u32 s90, s24, s25
	s_cselect_b64 s[24:25], -1, 0
	s_cmp_lg_u64 s[24:25], 0
	s_addc_u32 s56, s56, s89
	s_mul_i32 s24, s42, s56
	s_mul_hi_u32 s25, s42, s90
	s_add_i32 s24, s25, s24
	s_mul_i32 s43, s43, s90
	s_add_i32 s24, s24, s43
	s_mul_i32 s42, s42, s90
	s_mul_hi_u32 s43, s56, s42
	s_mul_i32 s89, s56, s42
	s_mul_i32 s92, s90, s24
	s_mul_hi_u32 s42, s90, s42
	s_mul_hi_u32 s91, s90, s24
	s_add_u32 s42, s42, s92
	s_addc_u32 s91, 0, s91
	s_add_u32 s42, s42, s89
	s_mul_hi_u32 s25, s56, s24
	s_addc_u32 s42, s91, s43
	s_addc_u32 s25, s25, 0
	s_mul_i32 s24, s56, s24
	s_add_u32 s24, s42, s24
	s_addc_u32 s42, 0, s25
	s_add_u32 s43, s90, s24
	v_ashrrev_i32_e32 v10, 31, v9
	s_cselect_b64 s[24:25], -1, 0
	v_mov_b32_e32 v11, v10
	s_cmp_lg_u64 s[24:25], 0
	v_lshl_add_u64 v[8:9], v[8:9], 0, v[10:11]
	s_addc_u32 s42, s56, s42
	v_xor_b32_e32 v86, v8, v10
	v_xor_b32_e32 v11, v9, v10
	v_mad_u64_u32 v[8:9], s[24:25], v86, s42, 0
	v_mul_hi_u32 v2, v86, s43
	v_lshl_add_u64 v[8:9], v[2:3], 0, v[8:9]
	v_mad_u64_u32 v[14:15], s[24:25], v11, s43, 0
	v_add_co_u32_e32 v2, vcc, v8, v14
	v_mad_u64_u32 v[12:13], s[24:25], v11, s42, 0
	s_nop 0
	v_addc_co_u32_e32 v2, vcc, v9, v15, vcc
	s_nop 1
	v_addc_co_u32_e32 v13, vcc, 0, v13, vcc
	v_lshl_add_u64 v[8:9], v[2:3], 0, v[12:13]
	v_mul_lo_u32 v2, s41, v8
	v_mul_lo_u32 v14, s40, v9
	v_mad_u64_u32 v[12:13], s[24:25], s40, v8, 0
	v_add3_u32 v2, v13, v14, v2
	v_sub_u32_e32 v13, v11, v2
	v_mov_b32_e32 v14, s41
	v_sub_co_u32_e32 v86, vcc, v86, v12
	s_nop 1
	v_subb_co_u32_e64 v12, s[24:25], v13, v14, vcc
	v_subrev_co_u32_e64 v13, s[24:25], s40, v86
	v_subb_co_u32_e32 v2, vcc, v11, v2, vcc
	s_nop 0
	v_subbrev_co_u32_e64 v12, s[24:25], 0, v12, s[24:25]
	v_cmp_le_u32_e64 s[24:25], s41, v12
	v_cmp_le_u32_e32 vcc, s41, v2
	s_nop 0
	v_cndmask_b32_e64 v14, 0, -1, s[24:25]
	v_cmp_le_u32_e64 s[24:25], s40, v13
	v_cndmask_b32_e64 v11, 0, -1, vcc
	v_cmp_le_u32_e32 vcc, s40, v86
	v_cndmask_b32_e64 v13, 0, -1, s[24:25]
	v_cmp_eq_u32_e64 s[24:25], s41, v12
	s_nop 1
	v_cndmask_b32_e64 v87, v14, v13, s[24:25]
	v_lshl_add_u64 v[12:13], v[8:9], 0, 2
	v_lshl_add_u64 v[14:15], v[8:9], 0, 1
	v_cmp_ne_u32_e64 s[24:25], 0, v87
	s_nop 1
	v_cndmask_b32_e64 v13, v15, v13, s[24:25]
	v_cndmask_b32_e64 v15, 0, -1, vcc
	v_cmp_eq_u32_e32 vcc, s41, v2
	s_nop 1
	v_cndmask_b32_e32 v2, v11, v15, vcc
	v_cmp_ne_u32_e32 vcc, 0, v2
	s_nop 1
	v_cndmask_b32_e32 v2, v9, v13, vcc
	v_cndmask_b32_e64 v9, v14, v12, s[24:25]
	v_cndmask_b32_e32 v8, v8, v9, vcc
	v_xor_b32_e32 v9, s88, v10
	v_xor_b32_e32 v8, v8, v9
	;; [unrolled: 1-line block ×3, first 2 shown]
	v_sub_co_u32_e32 v10, vcc, v8, v9
	s_nop 1
	v_subb_co_u32_e32 v11, vcc, v2, v9, vcc
                                        ; implicit-def: $vgpr8_vgpr9
.LBB2_50:                               ;   in Loop: Header=BB2_47 Depth=1
	s_andn2_saveexec_b64 s[24:25], s[28:29]
	s_cbranch_execz .LBB2_52
; %bb.51:                               ;   in Loop: Header=BB2_47 Depth=1
	v_cvt_f32_u32_e32 v2, s54
	s_sub_i32 s28, 0, s54
	v_rcp_iflag_f32_e32 v2, v2
	s_nop 0
	v_mul_f32_e32 v2, 0x4f7ffffe, v2
	v_cvt_u32_f32_e32 v2, v2
	v_mul_lo_u32 v9, s28, v2
	v_mul_hi_u32 v9, v2, v9
	v_add_u32_e32 v2, v2, v9
	v_mul_hi_u32 v2, v8, v2
	v_mul_lo_u32 v9, v2, s54
	v_sub_u32_e32 v8, v8, v9
	v_add_u32_e32 v10, 1, v2
	v_subrev_u32_e32 v9, s54, v8
	v_cmp_le_u32_e32 vcc, s54, v8
	s_nop 1
	v_cndmask_b32_e32 v8, v8, v9, vcc
	v_cndmask_b32_e32 v2, v2, v10, vcc
	v_add_u32_e32 v9, 1, v2
	v_cmp_le_u32_e32 vcc, s54, v8
	s_nop 1
	v_cndmask_b32_e32 v2, v2, v9, vcc
	v_mov_b64_e32 v[10:11], v[2:3]
.LBB2_52:                               ;   in Loop: Header=BB2_47 Depth=1
	s_or_b64 exec, exec, s[24:25]
	v_lshl_add_u64 v[86:87], v[10:11], 0, 7
	v_and_b32_e32 v86, -8, v86
.LBB2_53:                               ;   in Loop: Header=BB2_47 Depth=1
	s_or_b64 exec, exec, s[26:27]
	v_mul_lo_u32 v2, v87, s69
	v_mul_lo_u32 v8, v86, s70
	v_mad_u64_u32 v[10:11], s[24:25], v86, s69, 0
	v_add3_u32 v11, v11, v8, v2
	v_sub_co_u32_e32 v8, vcc, v98, v10
	v_lshl_add_u64 v[100:101], v[48:49], 0, v[16:17]
	s_nop 0
	v_subb_co_u32_e32 v9, vcc, v99, v11, vcc
	v_cmp_lt_i64_e32 vcc, v[86:87], v[8:9]
	v_mov_b32_e32 v2, 0
	s_nop 0
	v_cndmask_b32_e32 v9, v8, v86, vcc
	v_max_i32_e32 v114, 0, v9
	v_add_u32_e32 v8, 15, v114
	v_ashrrev_i32_e32 v12, 31, v8
	v_lshrrev_b32_e32 v12, 28, v12
	v_add_u32_e32 v8, v8, v12
	v_cmp_gt_i32_e32 vcc, 1, v9
	v_and_b32_e32 v8, -16, v8
	s_or_b64 s[26:27], s[2:3], vcc
	v_max_i32_e32 v8, s71, v8
	s_xor_b64 s[24:25], s[26:27], -1
	s_and_saveexec_b64 s[28:29], s[24:25]
	s_cbranch_execz .LBB2_191
; %bb.54:                               ;   in Loop: Header=BB2_47 Depth=1
	s_and_saveexec_b64 s[24:25], s[0:1]
	s_cbranch_execz .LBB2_56
; %bb.55:                               ;   in Loop: Header=BB2_47 Depth=1
	s_trap 2
	ds_read_b64 v[12:13], v0
	s_waitcnt lgkmcnt(0)
	v_lshl_add_u64 v[12:13], v[100:101], 1, v[12:13]
	v_lshl_add_u64 v[10:11], v[10:11], 1, v[12:13]
	ds_write_b64 v0, v[10:11]
	ds_write_b64 v0, v[88:89]
.LBB2_56:                               ;   in Loop: Header=BB2_47 Depth=1
	s_or_b64 exec, exec, s[24:25]
	v_and_b32_e32 v2, 8, v46
	v_min_i32_e32 v8, v8, v114
	v_cmp_ne_u32_e32 vcc, 0, v2
	s_and_saveexec_b64 s[40:41], vcc
	s_cbranch_execz .LBB2_78
; %bb.57:                               ;   in Loop: Header=BB2_47 Depth=1
	s_waitcnt vmcnt(0) lgkmcnt(0)
	v_lshl_add_u64 v[12:13], v[34:35], 0, 8
	v_lshl_add_u64 v[10:11], v[96:97], 0, 4
	v_cmp_lt_u64_e32 vcc, v[12:13], v[10:11]
	s_and_saveexec_b64 s[42:43], vcc
	s_cbranch_execz .LBB2_69
; %bb.58:                               ;   in Loop: Header=BB2_47 Depth=1
	v_and_b32_e32 v2, 64, v46
	s_mov_b32 s56, 0
	v_cmp_eq_u32_e32 vcc, 0, v2
	s_mov_b64 s[90:91], 0
                                        ; implicit-def: $sgpr92_sgpr93
                                        ; implicit-def: $sgpr94_sgpr95
                                        ; implicit-def: $sgpr30_sgpr31
	s_branch .LBB2_62
.LBB2_59:                               ;   in Loop: Header=BB2_62 Depth=2
	s_waitcnt vmcnt(0) lgkmcnt(0)
	v_lshl_add_u64 v[12:13], v[34:35], 0, 8
	v_cmp_ge_u64_e64 s[24:25], v[12:13], v[10:11]
	s_or_b64 s[38:39], s[38:39], exec
	s_orn2_b64 s[36:37], s[24:25], exec
.LBB2_60:                               ;   in Loop: Header=BB2_62 Depth=2
	s_or_b64 exec, exec, s[50:51]
	s_andn2_b64 s[24:25], s[30:31], exec
	s_and_b64 s[30:31], s[38:39], exec
	s_or_b64 s[30:31], s[24:25], s[30:31]
	s_andn2_b64 s[24:25], s[94:95], exec
	s_and_b64 s[94:95], s[36:37], exec
	s_or_b64 s[94:95], s[24:25], s[94:95]
.LBB2_61:                               ;   in Loop: Header=BB2_62 Depth=2
	s_or_b64 exec, exec, s[34:35]
	s_and_b64 s[24:25], exec, s[94:95]
	s_or_b64 s[90:91], s[24:25], s[90:91]
	s_andn2_b64 s[24:25], s[92:93], exec
	s_and_b64 s[92:93], s[30:31], exec
	s_or_b64 s[92:93], s[24:25], s[92:93]
	s_andn2_b64 exec, exec, s[90:91]
	s_cbranch_execz .LBB2_66
.LBB2_62:                               ;   Parent Loop BB2_47 Depth=1
                                        ; =>  This Inner Loop Header: Depth=2
	s_sleep 1
	s_waitcnt vmcnt(0) lgkmcnt(0)
	flat_load_dwordx2 v[34:35], v[22:23] sc0 sc1
	s_or_b64 s[30:31], s[30:31], exec
	s_or_b64 s[94:95], s[94:95], exec
                                        ; implicit-def: $vgpr2
	s_and_saveexec_b64 s[34:35], vcc
	s_cbranch_execz .LBB2_61
; %bb.63:                               ;   in Loop: Header=BB2_62 Depth=2
	s_cmpk_lt_i32 s56, 0x270f
	s_cselect_b64 s[48:49], -1, 0
	s_cmpk_gt_i32 s56, 0x270e
	s_mov_b64 s[36:37], -1
	s_cbranch_scc0 .LBB2_65
; %bb.64:                               ;   in Loop: Header=BB2_62 Depth=2
	s_trap 2
	ds_read_b64 v[12:13], v0
	s_andn2_b64 s[48:49], s[48:49], exec
	s_mov_b32 s56, 0
	s_mov_b64 s[38:39], 0
	s_waitcnt vmcnt(0) lgkmcnt(0)
	flat_load_dword v2, v[12:13] sc0 sc1
	s_waitcnt vmcnt(0) lgkmcnt(0)
	buffer_inv sc0 sc1
	v_cmp_eq_u32_e64 s[24:25], 0, v2
	s_and_b64 s[24:25], s[24:25], exec
	s_or_b64 s[48:49], s[48:49], s[24:25]
	s_and_saveexec_b64 s[50:51], s[48:49]
	s_cbranch_execz .LBB2_60
	s_branch .LBB2_59
.LBB2_65:                               ;   in Loop: Header=BB2_62 Depth=2
	s_add_i32 s56, s56, 1
	s_mov_b64 s[38:39], -1
                                        ; implicit-def: $vgpr2
	s_and_saveexec_b64 s[50:51], s[48:49]
	s_cbranch_execz .LBB2_60
	s_branch .LBB2_59
.LBB2_66:                               ;   in Loop: Header=BB2_47 Depth=1
	s_or_b64 exec, exec, s[90:91]
	s_xor_b64 s[24:25], s[92:93], -1
	s_and_saveexec_b64 s[90:91], s[24:25]
	s_xor_b64 s[24:25], exec, s[90:91]
	s_cbranch_execz .LBB2_68
; %bb.67:                               ;   in Loop: Header=BB2_47 Depth=1
	v_or_b32_e32 v46, 64, v46
	s_waitcnt lgkmcnt(0)
	ds_write_b32 v0, v2
	s_trap 2
.LBB2_68:                               ;   in Loop: Header=BB2_47 Depth=1
	s_or_b64 exec, exec, s[24:25]
.LBB2_69:                               ;   in Loop: Header=BB2_47 Depth=1
	s_or_b64 exec, exec, s[42:43]
	v_and_b32_e32 v2, 0x100, v46
	v_cmp_ne_u32_e32 vcc, 0, v2
	v_and_b32_e32 v2, 7, v96
	s_mov_b64 s[24:25], -1
	;;#ASMSTART
	s_wakeup
	;;#ASMEND
                                        ; implicit-def: $vgpr12_vgpr13
	s_and_saveexec_b64 s[42:43], vcc
	s_cbranch_execz .LBB2_73
; %bb.70:                               ;   in Loop: Header=BB2_47 Depth=1
	v_mad_u64_u32 v[14:15], s[24:25], v2, 24, v[6:7]
	flat_load_dword v96, v[14:15]
	v_ashrrev_i32_e32 v9, 31, v8
	v_lshlrev_b64 v[12:13], 1, v[8:9]
	flat_store_dwordx2 v[14:15], v[12:13] offset:8
                                        ; implicit-def: $vgpr12_vgpr13
	s_waitcnt vmcnt(0) lgkmcnt(0)
	v_cmp_ne_u32_e32 vcc, 1, v96
	v_cmp_eq_u32_e64 s[24:25], 1, v96
	s_and_saveexec_b64 s[90:91], s[24:25]
	s_cbranch_execz .LBB2_72
; %bb.71:                               ;   in Loop: Header=BB2_47 Depth=1
	flat_load_dword v12, v[14:15] offset:4 sc0 sc1
	s_waitcnt vmcnt(0) lgkmcnt(0)
	v_ashrrev_i32_e32 v13, 31, v12
	v_lshrrev_b64 v[12:13], 1, v[12:13]
.LBB2_72:                               ;   in Loop: Header=BB2_47 Depth=1
	s_or_b64 exec, exec, s[90:91]
	s_orn2_b64 s[24:25], vcc, exec
.LBB2_73:                               ;   in Loop: Header=BB2_47 Depth=1
	s_or_b64 exec, exec, s[42:43]
	s_and_saveexec_b64 s[42:43], s[24:25]
; %bb.74:                               ;   in Loop: Header=BB2_47 Depth=1
	v_mad_i64_i32 v[12:13], s[24:25], v2, v24, 0
; %bb.75:                               ;   in Loop: Header=BB2_47 Depth=1
	s_or_b64 exec, exec, s[42:43]
	v_and_b32_e32 v2, 0x2000, v46
	v_lshl_add_u64 v[12:13], v[12:13], 1, v[26:27]
	v_cmp_ne_u32_e32 vcc, 0, v2
	ds_write_b64 v0, v[12:13] offset:784
	s_and_saveexec_b64 s[24:25], vcc
	s_cbranch_execz .LBB2_77
; %bb.76:                               ;   in Loop: Header=BB2_47 Depth=1
	ds_read_b64 v[12:13], v0 offset:872
	s_waitcnt lgkmcnt(0)
	v_lshl_add_u64 v[12:13], v[12:13], 0, 1
	ds_write_b64 v0, v[12:13] offset:872
.LBB2_77:                               ;   in Loop: Header=BB2_47 Depth=1
	s_or_b64 exec, exec, s[24:25]
	v_mov_b64_e32 v[96:97], v[10:11]
.LBB2_78:                               ;   in Loop: Header=BB2_47 Depth=1
	s_or_b64 exec, exec, s[40:41]
	s_and_saveexec_b64 s[24:25], s[6:7]
	s_cbranch_execz .LBB2_97
; %bb.79:                               ;   in Loop: Header=BB2_47 Depth=1
	s_and_saveexec_b64 s[40:41], s[58:59]
	s_xor_b64 s[40:41], exec, s[40:41]
	s_cbranch_execz .LBB2_94
; %bb.80:                               ;   in Loop: Header=BB2_47 Depth=1
	s_and_saveexec_b64 s[42:43], s[14:15]
	s_cbranch_execz .LBB2_93
; %bb.81:                               ;   in Loop: Header=BB2_47 Depth=1
	s_mov_b64 s[92:93], exec
	v_mbcnt_lo_u32_b32 v2, s92, 0
	v_mbcnt_hi_u32_b32 v2, s93, v2
	v_cmp_eq_u32_e32 vcc, 0, v2
	s_waitcnt lgkmcnt(0)
	s_and_saveexec_b64 s[90:91], vcc
	s_cbranch_execz .LBB2_83
; %bb.82:                               ;   in Loop: Header=BB2_47 Depth=1
	s_bcnt1_i32_b64 s56, s[92:93]
	v_mov_b32_e32 v2, s56
	ds_add_u64 v0, v[2:3]
	s_trap 2
.LBB2_83:                               ;   in Loop: Header=BB2_47 Depth=1
	s_or_b64 exec, exec, s[90:91]
	s_trap 2
	ds_read_b64 v[10:11], v0
	s_waitcnt lgkmcnt(0)
	v_lshl_add_u64 v[32:33], v[32:33], 0, v[36:37]
	v_cmp_lt_u64_e32 vcc, v[10:11], v[32:33]
	s_and_saveexec_b64 s[90:91], vcc
	s_cbranch_execz .LBB2_92
; %bb.84:                               ;   in Loop: Header=BB2_47 Depth=1
	s_mov_b32 s56, 0
	s_mov_b64 s[92:93], 0
                                        ; implicit-def: $sgpr94_sgpr95
                                        ; implicit-def: $sgpr30_sgpr31
	s_branch .LBB2_86
.LBB2_85:                               ;   in Loop: Header=BB2_86 Depth=2
	s_or_b64 exec, exec, s[36:37]
	s_and_b64 vcc, exec, vcc
	s_or_b64 s[92:93], vcc, s[92:93]
	s_andn2_b64 s[94:95], s[94:95], exec
	s_and_b64 vcc, s[30:31], exec
	s_or_b64 s[94:95], s[94:95], vcc
	s_andn2_b64 exec, exec, s[92:93]
	s_cbranch_execz .LBB2_90
.LBB2_86:                               ;   Parent Loop BB2_47 Depth=1
                                        ; =>  This Inner Loop Header: Depth=2
	s_add_i32 s56, s56, 1
	s_cmpk_lg_i32 s56, 0x2710
	s_cselect_b64 s[34:35], -1, 0
	s_and_b64 vcc, exec, s[34:35]
	s_cbranch_vccz .LBB2_88
; %bb.87:                               ;   in Loop: Header=BB2_86 Depth=2
	s_mov_b64 vcc, -1
	s_or_b64 s[30:31], s[30:31], exec
	s_and_saveexec_b64 s[36:37], s[34:35]
	s_cbranch_execz .LBB2_85
	s_branch .LBB2_89
.LBB2_88:                               ;   in Loop: Header=BB2_86 Depth=2
	s_trap 2
	ds_read_b64 v[10:11], v0
	s_andn2_b64 s[34:35], s[34:35], exec
	s_mov_b32 s56, 0
	s_waitcnt vmcnt(0) lgkmcnt(0)
	flat_load_dword v2, v[10:11] sc0 sc1
	s_waitcnt vmcnt(0) lgkmcnt(0)
	buffer_inv sc0 sc1
	v_cmp_eq_u32_e32 vcc, 0, v2
	s_and_b64 vcc, vcc, exec
	s_or_b64 s[34:35], s[34:35], vcc
	s_mov_b64 vcc, -1
	s_or_b64 s[30:31], s[30:31], exec
	s_and_saveexec_b64 s[36:37], s[34:35]
	s_cbranch_execz .LBB2_85
.LBB2_89:                               ;   in Loop: Header=BB2_86 Depth=2
	s_sleep 1
	s_trap 2
	ds_read_b64 v[10:11], v0
	s_waitcnt lgkmcnt(0)
	s_andn2_b64 s[30:31], s[30:31], exec
	v_cmp_ge_u64_e32 vcc, v[10:11], v[32:33]
	s_orn2_b64 vcc, vcc, exec
	s_branch .LBB2_85
.LBB2_90:                               ;   in Loop: Header=BB2_47 Depth=1
	s_or_b64 exec, exec, s[92:93]
	s_and_saveexec_b64 s[92:93], s[94:95]
	s_xor_b64 s[92:93], exec, s[92:93]
	s_cbranch_execz .LBB2_92
; %bb.91:                               ;   in Loop: Header=BB2_47 Depth=1
	ds_write_b32 v0, v57
	s_trap 2
.LBB2_92:                               ;   in Loop: Header=BB2_47 Depth=1
	s_or_b64 exec, exec, s[90:91]
	;;#ASMSTART
	s_wakeup
	;;#ASMEND
.LBB2_93:                               ;   in Loop: Header=BB2_47 Depth=1
	s_or_b64 exec, exec, s[42:43]
.LBB2_94:                               ;   in Loop: Header=BB2_47 Depth=1
	s_andn2_saveexec_b64 s[40:41], s[40:41]
	s_cbranch_execz .LBB2_96
; %bb.95:                               ;   in Loop: Header=BB2_47 Depth=1
	s_waitcnt lgkmcnt(0)
	s_barrier
.LBB2_96:                               ;   in Loop: Header=BB2_47 Depth=1
	s_or_b64 exec, exec, s[40:41]
.LBB2_97:                               ;   in Loop: Header=BB2_47 Depth=1
	s_or_b64 exec, exec, s[24:25]
	s_trap 2
	ds_read_b32 v9, v0
	v_and_b32_e32 v2, 0x4000, v46
	v_cmp_ne_u32_e32 vcc, 0, v2
	s_xor_b64 s[24:25], s[4:5], -1
	s_and_b64 s[40:41], s[24:25], vcc
	s_and_saveexec_b64 s[24:25], s[40:41]
	s_cbranch_execz .LBB2_116
; %bb.98:                               ;   in Loop: Header=BB2_47 Depth=1
	s_and_saveexec_b64 s[40:41], s[58:59]
	s_xor_b64 s[40:41], exec, s[40:41]
	s_cbranch_execz .LBB2_113
; %bb.99:                               ;   in Loop: Header=BB2_47 Depth=1
	s_and_saveexec_b64 s[42:43], s[14:15]
	s_cbranch_execz .LBB2_112
; %bb.100:                              ;   in Loop: Header=BB2_47 Depth=1
	s_mov_b64 s[92:93], exec
	v_mbcnt_lo_u32_b32 v2, s92, 0
	v_mbcnt_hi_u32_b32 v2, s93, v2
	v_cmp_eq_u32_e32 vcc, 0, v2
	s_waitcnt lgkmcnt(0)
	s_and_saveexec_b64 s[90:91], vcc
	s_cbranch_execz .LBB2_102
; %bb.101:                              ;   in Loop: Header=BB2_47 Depth=1
	s_bcnt1_i32_b64 s56, s[92:93]
	v_mov_b32_e32 v2, s56
	ds_add_u64 v0, v[2:3]
	s_trap 2
.LBB2_102:                              ;   in Loop: Header=BB2_47 Depth=1
	s_or_b64 exec, exec, s[90:91]
	s_trap 2
	ds_read_b64 v[10:11], v0
	s_waitcnt lgkmcnt(0)
	v_lshl_add_u64 v[32:33], v[32:33], 0, v[36:37]
	v_cmp_lt_u64_e32 vcc, v[10:11], v[32:33]
	s_and_saveexec_b64 s[90:91], vcc
	s_cbranch_execz .LBB2_111
; %bb.103:                              ;   in Loop: Header=BB2_47 Depth=1
	s_mov_b32 s56, 0
	s_mov_b64 s[92:93], 0
                                        ; implicit-def: $sgpr94_sgpr95
                                        ; implicit-def: $sgpr30_sgpr31
	s_branch .LBB2_105
.LBB2_104:                              ;   in Loop: Header=BB2_105 Depth=2
	s_or_b64 exec, exec, s[36:37]
	s_and_b64 vcc, exec, vcc
	s_or_b64 s[92:93], vcc, s[92:93]
	s_andn2_b64 s[94:95], s[94:95], exec
	s_and_b64 vcc, s[30:31], exec
	s_or_b64 s[94:95], s[94:95], vcc
	s_andn2_b64 exec, exec, s[92:93]
	s_cbranch_execz .LBB2_109
.LBB2_105:                              ;   Parent Loop BB2_47 Depth=1
                                        ; =>  This Inner Loop Header: Depth=2
	s_add_i32 s56, s56, 1
	s_cmpk_lg_i32 s56, 0x2710
	s_cselect_b64 s[34:35], -1, 0
	s_and_b64 vcc, exec, s[34:35]
	s_cbranch_vccz .LBB2_107
; %bb.106:                              ;   in Loop: Header=BB2_105 Depth=2
	s_mov_b64 vcc, -1
	s_or_b64 s[30:31], s[30:31], exec
	s_and_saveexec_b64 s[36:37], s[34:35]
	s_cbranch_execz .LBB2_104
	s_branch .LBB2_108
.LBB2_107:                              ;   in Loop: Header=BB2_105 Depth=2
	s_trap 2
	ds_read_b64 v[10:11], v0
	s_andn2_b64 s[34:35], s[34:35], exec
	s_mov_b32 s56, 0
	s_waitcnt vmcnt(0) lgkmcnt(0)
	flat_load_dword v2, v[10:11] sc0 sc1
	s_waitcnt vmcnt(0) lgkmcnt(0)
	buffer_inv sc0 sc1
	v_cmp_eq_u32_e32 vcc, 0, v2
	s_and_b64 vcc, vcc, exec
	s_or_b64 s[34:35], s[34:35], vcc
	s_mov_b64 vcc, -1
	s_or_b64 s[30:31], s[30:31], exec
	s_and_saveexec_b64 s[36:37], s[34:35]
	s_cbranch_execz .LBB2_104
.LBB2_108:                              ;   in Loop: Header=BB2_105 Depth=2
	s_sleep 1
	s_trap 2
	ds_read_b64 v[10:11], v0
	s_waitcnt lgkmcnt(0)
	s_andn2_b64 s[30:31], s[30:31], exec
	v_cmp_ge_u64_e32 vcc, v[10:11], v[32:33]
	s_orn2_b64 vcc, vcc, exec
	s_branch .LBB2_104
.LBB2_109:                              ;   in Loop: Header=BB2_47 Depth=1
	s_or_b64 exec, exec, s[92:93]
	s_and_saveexec_b64 s[92:93], s[94:95]
	s_xor_b64 s[92:93], exec, s[92:93]
	s_cbranch_execz .LBB2_111
; %bb.110:                              ;   in Loop: Header=BB2_47 Depth=1
	ds_write_b32 v0, v57
	s_trap 2
.LBB2_111:                              ;   in Loop: Header=BB2_47 Depth=1
	s_or_b64 exec, exec, s[90:91]
	;;#ASMSTART
	s_wakeup
	;;#ASMEND
.LBB2_112:                              ;   in Loop: Header=BB2_47 Depth=1
	s_or_b64 exec, exec, s[42:43]
.LBB2_113:                              ;   in Loop: Header=BB2_47 Depth=1
	s_andn2_saveexec_b64 s[40:41], s[40:41]
	s_cbranch_execz .LBB2_115
; %bb.114:                              ;   in Loop: Header=BB2_47 Depth=1
	s_waitcnt lgkmcnt(0)
	s_barrier
.LBB2_115:                              ;   in Loop: Header=BB2_47 Depth=1
	s_or_b64 exec, exec, s[40:41]
.LBB2_116:                              ;   in Loop: Header=BB2_47 Depth=1
	s_or_b64 exec, exec, s[24:25]
	s_trap 2
	ds_read_b64 v[10:11], v0
	s_waitcnt lgkmcnt(0)
	v_cmp_eq_u64_e32 vcc, 0, v[10:11]
	s_cbranch_vccnz .LBB2_124
; %bb.117:                              ;   in Loop: Header=BB2_47 Depth=1
	s_trap 2
	ds_read_b64 v[12:13], v0
	s_waitcnt lgkmcnt(0)
	v_cmp_eq_u64_e32 vcc, 0, v[12:13]
	s_cbranch_vccnz .LBB2_124
; %bb.118:                              ;   in Loop: Header=BB2_47 Depth=1
	s_mov_b64 s[24:25], -1
	s_and_saveexec_b64 s[40:41], s[16:17]
	s_cbranch_execz .LBB2_120
; %bb.119:                              ;   in Loop: Header=BB2_47 Depth=1
	ds_read_b32 v2, v0 offset:720
	s_waitcnt lgkmcnt(0)
	v_and_b32_e32 v2, 15, v2
	v_cmp_eq_u32_e32 vcc, 0, v2
	s_orn2_b64 s[24:25], vcc, exec
.LBB2_120:                              ;   in Loop: Header=BB2_47 Depth=1
	s_or_b64 exec, exec, s[40:41]
	s_and_saveexec_b64 s[40:41], s[18:19]
	s_cbranch_execz .LBB2_122
; %bb.121:                              ;   in Loop: Header=BB2_47 Depth=1
	ds_read_b32 v2, v0 offset:784
	s_waitcnt lgkmcnt(0)
	v_and_b32_e32 v2, 15, v2
	v_cmp_eq_u32_e32 vcc, 0, v2
	s_and_b64 s[42:43], s[24:25], vcc
	s_andn2_b64 s[24:25], s[24:25], exec
	s_and_b64 s[42:43], s[42:43], exec
	s_or_b64 s[24:25], s[24:25], s[42:43]
.LBB2_122:                              ;   in Loop: Header=BB2_47 Depth=1
	s_or_b64 exec, exec, s[40:41]
	v_cmp_eq_u32_e32 vcc, 0, v9
	s_xor_b64 s[24:25], s[24:25], -1
	v_cndmask_b32_e64 v14, 0, 1, s[24:25]
	v_cndmask_b32_e32 v2, 0, v8, vcc
	v_lshlrev_b32_e32 v9, 1, v2
	s_mov_b64 s[42:43], -1
	v_cmp_ne_u32_e32 vcc, 0, v14
	v_mov_b32_e32 v115, 0
	s_cbranch_vccz .LBB2_125
; %bb.123:                              ;   in Loop: Header=BB2_47 Depth=1
	v_mov_b32_e32 v116, v0
	s_and_saveexec_b64 s[24:25], s[42:43]
	s_cbranch_execnz .LBB2_136
	s_branch .LBB2_144
.LBB2_124:                              ;   in Loop: Header=BB2_47 Depth=1
	s_mov_b64 s[24:25], 0
	s_and_saveexec_b64 s[40:41], s[6:7]
	s_cbranch_execnz .LBB2_145
	s_branch .LBB2_163
.LBB2_125:                              ;   in Loop: Header=BB2_47 Depth=1
	v_ashrrev_i32_e32 v14, 31, v9
	v_lshrrev_b32_e32 v14, 21, v14
	v_add_u32_e32 v14, v9, v14
	v_ashrrev_i32_e32 v102, 11, v14
	v_sub_u32_e32 v103, v102, v56
	v_cmp_lt_i32_e32 vcc, 0, v103
	s_and_saveexec_b64 s[24:25], vcc
	s_cbranch_execz .LBB2_129
; %bb.126:                              ;   in Loop: Header=BB2_47 Depth=1
	s_mov_b64 s[40:41], 0
	v_mov_b64_e32 v[14:15], v[68:69]
.LBB2_127:                              ;   Parent Loop BB2_47 Depth=1
                                        ; =>  This Inner Loop Header: Depth=2
	v_lshl_add_u64 v[112:113], v[10:11], 0, v[14:15]
	global_load_dwordx4 v[116:119], v[112:113], off nt
	global_load_dwordx4 v[40:43], v[112:113], off offset:1024 nt
	v_sub_u32_e32 v103, v103, v36
	v_cmp_gt_i32_e32 vcc, 1, v103
	v_lshl_add_u64 v[112:113], v[12:13], 0, v[14:15]
	v_lshl_add_u64 v[14:15], v[14:15], 0, v[52:53]
	s_or_b64 s[40:41], vcc, s[40:41]
	s_waitcnt vmcnt(0)
	global_store_dwordx4 v[112:113], v[116:119], off
	global_store_dwordx4 v[112:113], v[40:43], off offset:1024
	s_andn2_b64 exec, exec, s[40:41]
	s_cbranch_execnz .LBB2_127
; %bb.128:                              ;   in Loop: Header=BB2_47 Depth=1
	s_or_b64 exec, exec, s[40:41]
.LBB2_129:                              ;   in Loop: Header=BB2_47 Depth=1
	s_or_b64 exec, exec, s[24:25]
	v_lshlrev_b32_e32 v102, 11, v102
	v_cmp_ne_u32_e32 vcc, v9, v102
	s_mov_b64 s[42:43], 0
	v_mov_b32_e32 v115, 0
                                        ; implicit-def: $vgpr116
	s_and_saveexec_b64 s[40:41], vcc
	s_cbranch_execz .LBB2_135
; %bb.130:                              ;   in Loop: Header=BB2_47 Depth=1
	v_lshlrev_b32_e32 v14, 6, v103
	v_sub_u32_e32 v14, v47, v14
	v_sub_u32_e32 v15, v9, v102
	v_ashrrev_i32_e32 v103, 31, v14
	v_lshrrev_b32_e32 v103, 26, v103
	v_ashrrev_i32_e32 v112, 31, v15
	v_add_u32_e32 v103, v14, v103
	v_lshrrev_b32_e32 v112, 22, v112
	v_ashrrev_i32_e32 v116, 6, v103
	v_and_b32_e32 v103, 0xffffffc0, v103
	v_add_u32_e32 v112, v15, v112
	v_sub_u32_e32 v103, v14, v103
	v_ashrrev_i32_e32 v117, 10, v112
	v_and_b32_e32 v112, 0xfffffc00, v112
	v_lshlrev_b32_e32 v14, 4, v103
	v_sub_u32_e32 v113, v15, v112
	v_lshl_add_u32 v14, v116, 10, v14
	v_cmp_lt_i32_e32 vcc, 15, v113
	v_sub_u32_e32 v115, v15, v14
	s_nop 0
	v_addc_co_u32_e64 v15, s[24:25], 0, v117, vcc
	v_sub_u32_e32 v116, v15, v116
	v_cmp_lt_i32_e64 s[24:25], 15, v115
	s_and_saveexec_b64 s[42:43], s[24:25]
	s_cbranch_execz .LBB2_134
; %bb.131:                              ;   in Loop: Header=BB2_47 Depth=1
	v_add_u32_e32 v14, v14, v102
	v_ashrrev_i32_e32 v15, 31, v14
	s_mov_b64 s[90:91], 0
.LBB2_132:                              ;   Parent Loop BB2_47 Depth=1
                                        ; =>  This Inner Loop Header: Depth=2
	v_lshl_add_u64 v[118:119], v[10:11], 0, v[14:15]
	global_load_dwordx4 v[40:43], v[118:119], off nt
	v_sub_u32_e32 v115, v115, v54
	v_cmp_gt_i32_e64 s[24:25], 16, v115
	v_lshl_add_u64 v[118:119], v[12:13], 0, v[14:15]
	v_sub_u32_e32 v116, v116, v36
	v_lshl_add_u64 v[14:15], v[14:15], 0, v[54:55]
	s_or_b64 s[90:91], s[24:25], s[90:91]
	s_waitcnt vmcnt(0)
	global_store_dwordx4 v[118:119], v[40:43], off
	s_andn2_b64 exec, exec, s[90:91]
	s_cbranch_execnz .LBB2_132
; %bb.133:                              ;   in Loop: Header=BB2_47 Depth=1
	s_or_b64 exec, exec, s[90:91]
.LBB2_134:                              ;   in Loop: Header=BB2_47 Depth=1
	s_or_b64 exec, exec, s[42:43]
	v_and_b32_e32 v9, 14, v9
	v_sub_u32_e32 v14, v113, v9
	v_cndmask_b32_e32 v14, 0, v14, vcc
	v_cndmask_b32_e32 v9, v113, v9, vcc
	v_cmp_lt_i32_e32 vcc, 0, v116
	v_add3_u32 v115, v112, v102, v14
	s_nop 0
	v_cndmask_b32_e32 v14, 0, v36, vcc
	v_sub_u32_e32 v14, v14, v116
	v_cmp_ne_u32_e32 vcc, 0, v9
	v_lshl_add_u32 v116, v14, 6, v103
	s_and_b64 s[42:43], vcc, exec
.LBB2_135:                              ;   in Loop: Header=BB2_47 Depth=1
	s_or_b64 exec, exec, s[40:41]
	s_and_saveexec_b64 s[24:25], s[42:43]
	s_cbranch_execz .LBB2_144
.LBB2_136:                              ;   in Loop: Header=BB2_47 Depth=1
	v_ashrrev_i32_e32 v14, 31, v116
	v_ashrrev_i32_e32 v15, 31, v9
	v_lshrrev_b32_e32 v14, 26, v14
	v_lshrrev_b32_e32 v15, 23, v15
	v_add_u32_e32 v14, v116, v14
	v_add_u32_e32 v15, v9, v15
	v_ashrrev_i32_e32 v117, 6, v14
	v_ashrrev_i32_e32 v119, 9, v15
	v_sub_u32_e32 v118, v119, v117
	v_cmp_lt_i32_e32 vcc, 0, v118
	s_and_saveexec_b64 s[40:41], vcc
	s_cbranch_execz .LBB2_140
; %bb.137:                              ;   in Loop: Header=BB2_47 Depth=1
	v_and_b32_e32 v14, 0x7fffffc0, v14
	v_sub_u32_e32 v14, v116, v14
	v_lshlrev_b32_e32 v14, 1, v14
	v_lshlrev_b32_e32 v15, 9, v117
	v_add3_u32 v14, v14, v115, v15
	v_ashrrev_i32_e32 v15, 31, v14
	s_mov_b64 s[42:43], 0
	v_mov_b64_e32 v[102:103], v[12:13]
	v_mov_b64_e32 v[112:113], v[10:11]
.LBB2_138:                              ;   Parent Loop BB2_47 Depth=1
                                        ; =>  This Inner Loop Header: Depth=2
	v_lshl_add_u64 v[40:41], v[14:15], 0, v[112:113]
	flat_load_ushort v42, v[40:41] nt
	flat_load_ushort v43, v[40:41] offset:128 nt
	flat_load_ushort v44, v[40:41] offset:256 nt
	;; [unrolled: 1-line block ×3, first 2 shown]
	v_sub_u32_e32 v118, v118, v36
	v_cmp_gt_i32_e32 vcc, 1, v118
	v_lshl_add_u64 v[40:41], v[14:15], 0, v[102:103]
	v_lshl_add_u64 v[112:113], v[112:113], 0, v[64:65]
	;; [unrolled: 1-line block ×3, first 2 shown]
	s_or_b64 s[42:43], vcc, s[42:43]
	s_waitcnt vmcnt(0) lgkmcnt(0)
	flat_store_short v[40:41], v42 nt
	flat_store_short v[40:41], v43 offset:128 nt
	flat_store_short v[40:41], v44 offset:256 nt
	;; [unrolled: 1-line block ×3, first 2 shown]
	s_andn2_b64 exec, exec, s[42:43]
	s_cbranch_execnz .LBB2_138
; %bb.139:                              ;   in Loop: Header=BB2_47 Depth=1
	s_or_b64 exec, exec, s[42:43]
.LBB2_140:                              ;   in Loop: Header=BB2_47 Depth=1
	s_or_b64 exec, exec, s[40:41]
	v_lshlrev_b32_e32 v14, 9, v119
	v_cmp_ne_u32_e32 vcc, v9, v14
	s_and_b64 exec, exec, vcc
	s_cbranch_execz .LBB2_144
; %bb.141:                              ;   in Loop: Header=BB2_47 Depth=1
	v_lshlrev_b32_e32 v15, 6, v117
	v_sub_u32_e32 v15, v116, v15
	v_lshlrev_b32_e32 v102, 6, v118
	v_sub_u32_e32 v15, v15, v102
	v_ashrrev_i32_e32 v102, 31, v15
	v_lshrrev_b32_e32 v102, 26, v102
	v_add_u32_e32 v102, v15, v102
	v_and_b32_e32 v103, 0x7fffffc0, v102
	v_sub_u32_e32 v15, v15, v103
	v_lshlrev_b32_e32 v102, 1, v102
	v_and_b32_e32 v102, 0xffffff80, v102
	v_lshlrev_b32_e32 v15, 1, v15
	v_add3_u32 v14, v102, v15, v14
	v_sub_u32_e32 v9, v9, v14
	v_cmp_lt_i32_e32 vcc, 1, v9
	s_and_b64 exec, exec, vcc
	s_cbranch_execz .LBB2_144
; %bb.142:                              ;   in Loop: Header=BB2_47 Depth=1
	v_add_u32_e32 v14, v14, v115
	v_ashrrev_i32_e32 v15, 31, v14
	s_mov_b64 s[40:41], 0
.LBB2_143:                              ;   Parent Loop BB2_47 Depth=1
                                        ; =>  This Inner Loop Header: Depth=2
	v_lshl_add_u64 v[102:103], v[10:11], 0, v[14:15]
	flat_load_ushort v112, v[102:103] nt
	v_sub_u32_e32 v9, v9, v66
	v_cmp_gt_i32_e32 vcc, 2, v9
	v_lshl_add_u64 v[102:103], v[12:13], 0, v[14:15]
	v_lshl_add_u64 v[14:15], v[14:15], 0, v[66:67]
	s_or_b64 s[40:41], vcc, s[40:41]
	s_waitcnt vmcnt(0) lgkmcnt(0)
	flat_store_short v[102:103], v112 nt
	s_andn2_b64 exec, exec, s[40:41]
	s_cbranch_execnz .LBB2_143
.LBB2_144:                              ;   in Loop: Header=BB2_47 Depth=1
	s_or_b64 exec, exec, s[24:25]
	v_cmp_lt_i32_e64 s[24:25], 0, v2
	s_and_saveexec_b64 s[40:41], s[6:7]
	s_cbranch_execz .LBB2_163
.LBB2_145:                              ;   in Loop: Header=BB2_47 Depth=1
	s_and_saveexec_b64 s[42:43], s[58:59]
	s_xor_b64 s[42:43], exec, s[42:43]
	s_cbranch_execz .LBB2_160
; %bb.146:                              ;   in Loop: Header=BB2_47 Depth=1
	s_and_saveexec_b64 s[90:91], s[14:15]
	s_cbranch_execz .LBB2_159
; %bb.147:                              ;   in Loop: Header=BB2_47 Depth=1
	s_mov_b64 s[94:95], exec
	v_mbcnt_lo_u32_b32 v2, s94, 0
	v_mbcnt_hi_u32_b32 v2, s95, v2
	v_cmp_eq_u32_e32 vcc, 0, v2
	s_waitcnt lgkmcnt(0)
	s_and_saveexec_b64 s[92:93], vcc
	s_cbranch_execz .LBB2_149
; %bb.148:                              ;   in Loop: Header=BB2_47 Depth=1
	s_bcnt1_i32_b64 s56, s[94:95]
	v_mov_b32_e32 v2, s56
	ds_add_u64 v0, v[2:3]
	s_trap 2
.LBB2_149:                              ;   in Loop: Header=BB2_47 Depth=1
	s_or_b64 exec, exec, s[92:93]
	s_trap 2
	ds_read_b64 v[10:11], v0
	s_waitcnt lgkmcnt(0)
	v_lshl_add_u64 v[32:33], v[32:33], 0, v[36:37]
	v_cmp_lt_u64_e32 vcc, v[10:11], v[32:33]
	s_and_saveexec_b64 s[92:93], vcc
	s_cbranch_execz .LBB2_158
; %bb.150:                              ;   in Loop: Header=BB2_47 Depth=1
	s_mov_b32 s56, 0
	s_mov_b64 s[94:95], 0
                                        ; implicit-def: $sgpr30_sgpr31
                                        ; implicit-def: $sgpr34_sgpr35
	s_branch .LBB2_152
.LBB2_151:                              ;   in Loop: Header=BB2_152 Depth=2
	s_or_b64 exec, exec, s[38:39]
	s_and_b64 vcc, exec, vcc
	s_or_b64 s[94:95], vcc, s[94:95]
	s_andn2_b64 vcc, s[30:31], exec
	s_and_b64 s[30:31], s[34:35], exec
	s_or_b64 s[30:31], vcc, s[30:31]
	s_andn2_b64 exec, exec, s[94:95]
	s_cbranch_execz .LBB2_156
.LBB2_152:                              ;   Parent Loop BB2_47 Depth=1
                                        ; =>  This Inner Loop Header: Depth=2
	s_add_i32 s56, s56, 1
	s_cmpk_lg_i32 s56, 0x2710
	s_cselect_b64 s[36:37], -1, 0
	s_and_b64 vcc, exec, s[36:37]
	s_cbranch_vccz .LBB2_154
; %bb.153:                              ;   in Loop: Header=BB2_152 Depth=2
	s_mov_b64 vcc, -1
	s_or_b64 s[34:35], s[34:35], exec
	s_and_saveexec_b64 s[38:39], s[36:37]
	s_cbranch_execz .LBB2_151
	s_branch .LBB2_155
.LBB2_154:                              ;   in Loop: Header=BB2_152 Depth=2
	s_trap 2
	ds_read_b64 v[10:11], v0
	s_andn2_b64 s[36:37], s[36:37], exec
	s_mov_b32 s56, 0
	s_waitcnt vmcnt(0) lgkmcnt(0)
	flat_load_dword v2, v[10:11] sc0 sc1
	s_waitcnt vmcnt(0) lgkmcnt(0)
	buffer_inv sc0 sc1
	v_cmp_eq_u32_e32 vcc, 0, v2
	s_and_b64 vcc, vcc, exec
	s_or_b64 s[36:37], s[36:37], vcc
	s_mov_b64 vcc, -1
	s_or_b64 s[34:35], s[34:35], exec
	s_and_saveexec_b64 s[38:39], s[36:37]
	s_cbranch_execz .LBB2_151
.LBB2_155:                              ;   in Loop: Header=BB2_152 Depth=2
	s_sleep 1
	s_trap 2
	ds_read_b64 v[10:11], v0
	s_waitcnt lgkmcnt(0)
	s_andn2_b64 s[34:35], s[34:35], exec
	v_cmp_ge_u64_e32 vcc, v[10:11], v[32:33]
	s_orn2_b64 vcc, vcc, exec
	s_branch .LBB2_151
.LBB2_156:                              ;   in Loop: Header=BB2_47 Depth=1
	s_or_b64 exec, exec, s[94:95]
	s_and_saveexec_b64 s[94:95], s[30:31]
	s_xor_b64 s[94:95], exec, s[94:95]
	s_cbranch_execz .LBB2_158
; %bb.157:                              ;   in Loop: Header=BB2_47 Depth=1
	ds_write_b32 v0, v57
	s_trap 2
.LBB2_158:                              ;   in Loop: Header=BB2_47 Depth=1
	s_or_b64 exec, exec, s[92:93]
	;;#ASMSTART
	s_wakeup
	;;#ASMEND
.LBB2_159:                              ;   in Loop: Header=BB2_47 Depth=1
	s_or_b64 exec, exec, s[90:91]
.LBB2_160:                              ;   in Loop: Header=BB2_47 Depth=1
	s_andn2_saveexec_b64 s[42:43], s[42:43]
	s_cbranch_execz .LBB2_162
; %bb.161:                              ;   in Loop: Header=BB2_47 Depth=1
	s_waitcnt lgkmcnt(0)
	s_barrier
.LBB2_162:                              ;   in Loop: Header=BB2_47 Depth=1
	s_or_b64 exec, exec, s[42:43]
.LBB2_163:                              ;   in Loop: Header=BB2_47 Depth=1
	s_or_b64 exec, exec, s[40:41]
	v_and_b32_e32 v9, 16, v46
	s_and_saveexec_b64 s[40:41], s[22:23]
	s_xor_b64 s[40:41], exec, s[40:41]
	s_cbranch_execz .LBB2_168
; %bb.164:                              ;   in Loop: Header=BB2_47 Depth=1
	v_and_b32_e32 v2, 16, v46
	v_cmp_ne_u32_e32 vcc, 0, v2
	v_and_b32_e32 v9, 16, v46
	s_and_b64 s[42:43], vcc, s[24:25]
	s_and_saveexec_b64 s[24:25], s[42:43]
	s_cbranch_execz .LBB2_166
; %bb.165:                              ;   in Loop: Header=BB2_47 Depth=1
	v_mov_b32_e32 v9, 1
	buffer_wbl2 sc1
	s_waitcnt vmcnt(0) lgkmcnt(0)
	buffer_inv sc1
.LBB2_166:                              ;   in Loop: Header=BB2_47 Depth=1
	s_or_b64 exec, exec, s[24:25]
	s_andn2_saveexec_b64 s[24:25], s[40:41]
	s_cbranch_execnz .LBB2_169
.LBB2_167:                              ;   in Loop: Header=BB2_47 Depth=1
	s_or_b64 exec, exec, s[24:25]
	v_cmp_ne_u32_e32 vcc, 0, v9
	s_and_saveexec_b64 s[24:25], vcc
	s_cbranch_execnz .LBB2_187
	s_branch .LBB2_190
.LBB2_168:                              ;   in Loop: Header=BB2_47 Depth=1
	s_andn2_saveexec_b64 s[24:25], s[40:41]
	s_cbranch_execz .LBB2_167
.LBB2_169:                              ;   in Loop: Header=BB2_47 Depth=1
	s_and_saveexec_b64 s[40:41], s[58:59]
	s_xor_b64 s[40:41], exec, s[40:41]
	s_cbranch_execz .LBB2_184
; %bb.170:                              ;   in Loop: Header=BB2_47 Depth=1
	s_and_saveexec_b64 s[42:43], s[14:15]
	s_cbranch_execz .LBB2_183
; %bb.171:                              ;   in Loop: Header=BB2_47 Depth=1
	s_mov_b64 s[92:93], exec
	v_mbcnt_lo_u32_b32 v2, s92, 0
	v_mbcnt_hi_u32_b32 v2, s93, v2
	v_cmp_eq_u32_e32 vcc, 0, v2
	;;#ASMSTART
	s_waitcnt lgkmcnt(0) vmcnt(0)
	;;#ASMEND
	s_and_saveexec_b64 s[90:91], vcc
	s_cbranch_execz .LBB2_173
; %bb.172:                              ;   in Loop: Header=BB2_47 Depth=1
	s_bcnt1_i32_b64 s56, s[92:93]
	v_mov_b32_e32 v2, s56
	s_waitcnt lgkmcnt(0)
	ds_add_u64 v0, v[2:3]
	s_trap 2
.LBB2_173:                              ;   in Loop: Header=BB2_47 Depth=1
	s_or_b64 exec, exec, s[90:91]
	s_trap 2
	ds_read_b64 v[10:11], v0
	s_waitcnt lgkmcnt(0)
	v_lshl_add_u64 v[32:33], v[32:33], 0, v[36:37]
	v_cmp_lt_u64_e32 vcc, v[10:11], v[32:33]
	s_and_saveexec_b64 s[90:91], vcc
	s_cbranch_execz .LBB2_182
; %bb.174:                              ;   in Loop: Header=BB2_47 Depth=1
	s_mov_b32 s56, 0
	s_mov_b64 s[92:93], 0
                                        ; implicit-def: $sgpr94_sgpr95
                                        ; implicit-def: $sgpr30_sgpr31
	s_branch .LBB2_176
.LBB2_175:                              ;   in Loop: Header=BB2_176 Depth=2
	s_or_b64 exec, exec, s[36:37]
	s_and_b64 vcc, exec, vcc
	s_or_b64 s[92:93], vcc, s[92:93]
	s_andn2_b64 s[94:95], s[94:95], exec
	s_and_b64 vcc, s[30:31], exec
	s_or_b64 s[94:95], s[94:95], vcc
	s_andn2_b64 exec, exec, s[92:93]
	s_cbranch_execz .LBB2_180
.LBB2_176:                              ;   Parent Loop BB2_47 Depth=1
                                        ; =>  This Inner Loop Header: Depth=2
	s_add_i32 s56, s56, 1
	s_cmpk_lg_i32 s56, 0x2710
	s_cselect_b64 s[34:35], -1, 0
	s_and_b64 vcc, exec, s[34:35]
	s_cbranch_vccz .LBB2_178
; %bb.177:                              ;   in Loop: Header=BB2_176 Depth=2
	s_mov_b64 vcc, -1
	s_or_b64 s[30:31], s[30:31], exec
	s_and_saveexec_b64 s[36:37], s[34:35]
	s_cbranch_execz .LBB2_175
	s_branch .LBB2_179
.LBB2_178:                              ;   in Loop: Header=BB2_176 Depth=2
	s_trap 2
	ds_read_b64 v[10:11], v0
	s_andn2_b64 s[34:35], s[34:35], exec
	s_mov_b32 s56, 0
	s_waitcnt vmcnt(0) lgkmcnt(0)
	flat_load_dword v2, v[10:11] sc0 sc1
	s_waitcnt vmcnt(0) lgkmcnt(0)
	buffer_inv sc0 sc1
	v_cmp_eq_u32_e32 vcc, 0, v2
	s_and_b64 vcc, vcc, exec
	s_or_b64 s[34:35], s[34:35], vcc
	s_mov_b64 vcc, -1
	s_or_b64 s[30:31], s[30:31], exec
	s_and_saveexec_b64 s[36:37], s[34:35]
	s_cbranch_execz .LBB2_175
.LBB2_179:                              ;   in Loop: Header=BB2_176 Depth=2
	s_sleep 1
	s_trap 2
	ds_read_b64 v[10:11], v0
	s_waitcnt lgkmcnt(0)
	s_andn2_b64 s[30:31], s[30:31], exec
	v_cmp_ge_u64_e32 vcc, v[10:11], v[32:33]
	s_orn2_b64 vcc, vcc, exec
	s_branch .LBB2_175
.LBB2_180:                              ;   in Loop: Header=BB2_47 Depth=1
	s_or_b64 exec, exec, s[92:93]
	s_and_saveexec_b64 s[92:93], s[94:95]
	s_xor_b64 s[92:93], exec, s[92:93]
	s_cbranch_execz .LBB2_182
; %bb.181:                              ;   in Loop: Header=BB2_47 Depth=1
	ds_write_b32 v0, v57
	s_trap 2
.LBB2_182:                              ;   in Loop: Header=BB2_47 Depth=1
	s_or_b64 exec, exec, s[90:91]
	;;#ASMSTART
	s_wakeup
	;;#ASMEND
.LBB2_183:                              ;   in Loop: Header=BB2_47 Depth=1
	s_or_b64 exec, exec, s[42:43]
.LBB2_184:                              ;   in Loop: Header=BB2_47 Depth=1
	s_andn2_saveexec_b64 s[40:41], s[40:41]
	s_cbranch_execz .LBB2_186
; %bb.185:                              ;   in Loop: Header=BB2_47 Depth=1
	;;#ASMSTART
	s_waitcnt lgkmcnt(0) vmcnt(0)
	;;#ASMEND
	s_barrier
.LBB2_186:                              ;   in Loop: Header=BB2_47 Depth=1
	s_or_b64 exec, exec, s[40:41]
	s_or_b64 exec, exec, s[24:25]
	v_cmp_ne_u32_e32 vcc, 0, v9
	s_and_saveexec_b64 s[24:25], vcc
	s_cbranch_execz .LBB2_190
.LBB2_187:                              ;   in Loop: Header=BB2_47 Depth=1
	s_and_saveexec_b64 s[40:41], s[12:13]
	s_cbranch_execz .LBB2_189
; %bb.188:                              ;   in Loop: Header=BB2_47 Depth=1
	flat_store_dword v[28:29], v57 sc0 sc1
.LBB2_189:                              ;   in Loop: Header=BB2_47 Depth=1
	s_or_b64 exec, exec, s[40:41]
	v_lshl_add_u64 v[96:97], v[96:97], 0, 4
	flat_store_dwordx2 v[22:23], v[96:97] sc0 sc1
.LBB2_190:                              ;   in Loop: Header=BB2_47 Depth=1
	s_or_b64 exec, exec, s[24:25]
	v_mov_b32_e32 v2, v8
.LBB2_191:                              ;   in Loop: Header=BB2_47 Depth=1
	s_or_b64 exec, exec, s[28:29]
	s_and_saveexec_b64 s[28:29], s[26:27]
	s_cbranch_execz .LBB2_261
; %bb.192:                              ;   in Loop: Header=BB2_47 Depth=1
	v_sub_u32_e32 v2, v114, v2
	v_min_i32_e32 v8, v8, v2
	v_and_b32_e32 v2, 8, v46
	v_cmp_ne_u32_e32 vcc, 0, v2
	s_and_saveexec_b64 s[26:27], vcc
	s_cbranch_execz .LBB2_214
; %bb.193:                              ;   in Loop: Header=BB2_47 Depth=1
	s_waitcnt vmcnt(0) lgkmcnt(0)
	v_lshl_add_u64 v[12:13], v[34:35], 0, 8
	v_lshl_add_u64 v[10:11], v[96:97], 0, 4
	v_cmp_lt_u64_e32 vcc, v[12:13], v[10:11]
	s_and_saveexec_b64 s[40:41], vcc
	s_cbranch_execz .LBB2_205
; %bb.194:                              ;   in Loop: Header=BB2_47 Depth=1
	v_and_b32_e32 v2, 64, v46
	s_mov_b32 s56, 0
	v_cmp_eq_u32_e32 vcc, 0, v2
	s_mov_b64 s[42:43], 0
                                        ; implicit-def: $sgpr90_sgpr91
                                        ; implicit-def: $sgpr92_sgpr93
                                        ; implicit-def: $sgpr94_sgpr95
	s_branch .LBB2_198
.LBB2_195:                              ;   in Loop: Header=BB2_198 Depth=2
	s_waitcnt vmcnt(0) lgkmcnt(0)
	v_lshl_add_u64 v[12:13], v[34:35], 0, 8
	v_cmp_ge_u64_e64 s[24:25], v[12:13], v[10:11]
	s_or_b64 s[36:37], s[36:37], exec
	s_orn2_b64 s[34:35], s[24:25], exec
.LBB2_196:                              ;   in Loop: Header=BB2_198 Depth=2
	s_or_b64 exec, exec, s[48:49]
	s_andn2_b64 s[24:25], s[94:95], exec
	s_and_b64 s[94:95], s[36:37], exec
	s_or_b64 s[94:95], s[24:25], s[94:95]
	s_andn2_b64 s[24:25], s[92:93], exec
	s_and_b64 s[92:93], s[34:35], exec
	s_or_b64 s[92:93], s[24:25], s[92:93]
.LBB2_197:                              ;   in Loop: Header=BB2_198 Depth=2
	s_or_b64 exec, exec, s[30:31]
	s_and_b64 s[24:25], exec, s[92:93]
	s_or_b64 s[42:43], s[24:25], s[42:43]
	s_andn2_b64 s[24:25], s[90:91], exec
	s_and_b64 s[90:91], s[94:95], exec
	s_or_b64 s[90:91], s[24:25], s[90:91]
	s_andn2_b64 exec, exec, s[42:43]
	s_cbranch_execz .LBB2_202
.LBB2_198:                              ;   Parent Loop BB2_47 Depth=1
                                        ; =>  This Inner Loop Header: Depth=2
	s_sleep 1
	s_waitcnt vmcnt(0) lgkmcnt(0)
	flat_load_dwordx2 v[34:35], v[22:23] sc0 sc1
	s_or_b64 s[94:95], s[94:95], exec
	s_or_b64 s[92:93], s[92:93], exec
                                        ; implicit-def: $vgpr2
	s_and_saveexec_b64 s[30:31], vcc
	s_cbranch_execz .LBB2_197
; %bb.199:                              ;   in Loop: Header=BB2_198 Depth=2
	s_cmpk_lt_i32 s56, 0x270f
	s_cselect_b64 s[38:39], -1, 0
	s_cmpk_gt_i32 s56, 0x270e
	s_mov_b64 s[34:35], -1
	s_cbranch_scc0 .LBB2_201
; %bb.200:                              ;   in Loop: Header=BB2_198 Depth=2
	s_trap 2
	ds_read_b64 v[12:13], v0
	s_andn2_b64 s[38:39], s[38:39], exec
	s_mov_b32 s56, 0
	s_mov_b64 s[36:37], 0
	s_waitcnt vmcnt(0) lgkmcnt(0)
	flat_load_dword v2, v[12:13] sc0 sc1
	s_waitcnt vmcnt(0) lgkmcnt(0)
	buffer_inv sc0 sc1
	v_cmp_eq_u32_e64 s[24:25], 0, v2
	s_and_b64 s[24:25], s[24:25], exec
	s_or_b64 s[38:39], s[38:39], s[24:25]
	s_and_saveexec_b64 s[48:49], s[38:39]
	s_cbranch_execz .LBB2_196
	s_branch .LBB2_195
.LBB2_201:                              ;   in Loop: Header=BB2_198 Depth=2
	s_add_i32 s56, s56, 1
	s_mov_b64 s[36:37], -1
                                        ; implicit-def: $vgpr2
	s_and_saveexec_b64 s[48:49], s[38:39]
	s_cbranch_execz .LBB2_196
	s_branch .LBB2_195
.LBB2_202:                              ;   in Loop: Header=BB2_47 Depth=1
	s_or_b64 exec, exec, s[42:43]
	s_xor_b64 s[24:25], s[90:91], -1
	s_and_saveexec_b64 s[42:43], s[24:25]
	s_xor_b64 s[24:25], exec, s[42:43]
	s_cbranch_execz .LBB2_204
; %bb.203:                              ;   in Loop: Header=BB2_47 Depth=1
	v_or_b32_e32 v46, 64, v46
	s_waitcnt lgkmcnt(0)
	ds_write_b32 v0, v2
	s_trap 2
.LBB2_204:                              ;   in Loop: Header=BB2_47 Depth=1
	s_or_b64 exec, exec, s[24:25]
.LBB2_205:                              ;   in Loop: Header=BB2_47 Depth=1
	s_or_b64 exec, exec, s[40:41]
	v_and_b32_e32 v2, 0x100, v46
	v_cmp_ne_u32_e32 vcc, 0, v2
	v_and_b32_e32 v2, 7, v96
	s_mov_b64 s[24:25], -1
	;;#ASMSTART
	s_wakeup
	;;#ASMEND
                                        ; implicit-def: $vgpr12_vgpr13
	s_and_saveexec_b64 s[40:41], vcc
	s_cbranch_execz .LBB2_209
; %bb.206:                              ;   in Loop: Header=BB2_47 Depth=1
	v_mad_u64_u32 v[14:15], s[24:25], v2, 24, v[6:7]
	flat_load_dword v96, v[14:15]
	v_ashrrev_i32_e32 v9, 31, v8
	v_lshlrev_b64 v[12:13], 1, v[8:9]
	flat_store_dwordx2 v[14:15], v[12:13] offset:8
                                        ; implicit-def: $vgpr12_vgpr13
	s_waitcnt vmcnt(0) lgkmcnt(0)
	v_cmp_ne_u32_e32 vcc, 1, v96
	v_cmp_eq_u32_e64 s[24:25], 1, v96
	s_and_saveexec_b64 s[42:43], s[24:25]
	s_cbranch_execz .LBB2_208
; %bb.207:                              ;   in Loop: Header=BB2_47 Depth=1
	flat_load_dword v12, v[14:15] offset:4 sc0 sc1
	s_waitcnt vmcnt(0) lgkmcnt(0)
	v_ashrrev_i32_e32 v13, 31, v12
	v_lshrrev_b64 v[12:13], 1, v[12:13]
.LBB2_208:                              ;   in Loop: Header=BB2_47 Depth=1
	s_or_b64 exec, exec, s[42:43]
	s_orn2_b64 s[24:25], vcc, exec
.LBB2_209:                              ;   in Loop: Header=BB2_47 Depth=1
	s_or_b64 exec, exec, s[40:41]
	s_and_saveexec_b64 s[40:41], s[24:25]
; %bb.210:                              ;   in Loop: Header=BB2_47 Depth=1
	v_mad_i64_i32 v[12:13], s[24:25], v2, v24, 0
; %bb.211:                              ;   in Loop: Header=BB2_47 Depth=1
	s_or_b64 exec, exec, s[40:41]
	v_and_b32_e32 v2, 0x2000, v46
	v_lshl_add_u64 v[12:13], v[12:13], 1, v[26:27]
	v_cmp_ne_u32_e32 vcc, 0, v2
	ds_write_b64 v0, v[12:13] offset:784
	s_and_saveexec_b64 s[24:25], vcc
	s_cbranch_execz .LBB2_213
; %bb.212:                              ;   in Loop: Header=BB2_47 Depth=1
	ds_read_b64 v[12:13], v0 offset:872
	s_waitcnt lgkmcnt(0)
	v_lshl_add_u64 v[12:13], v[12:13], 0, 1
	ds_write_b64 v0, v[12:13] offset:872
.LBB2_213:                              ;   in Loop: Header=BB2_47 Depth=1
	s_or_b64 exec, exec, s[24:25]
	v_mov_b64_e32 v[96:97], v[10:11]
.LBB2_214:                              ;   in Loop: Header=BB2_47 Depth=1
	s_or_b64 exec, exec, s[26:27]
	s_and_saveexec_b64 s[24:25], s[6:7]
	s_cbranch_execz .LBB2_233
; %bb.215:                              ;   in Loop: Header=BB2_47 Depth=1
	s_and_saveexec_b64 s[26:27], s[58:59]
	s_xor_b64 s[26:27], exec, s[26:27]
	s_cbranch_execz .LBB2_230
; %bb.216:                              ;   in Loop: Header=BB2_47 Depth=1
	s_and_saveexec_b64 s[40:41], s[14:15]
	s_cbranch_execz .LBB2_229
; %bb.217:                              ;   in Loop: Header=BB2_47 Depth=1
	s_mov_b64 s[90:91], exec
	v_mbcnt_lo_u32_b32 v2, s90, 0
	v_mbcnt_hi_u32_b32 v2, s91, v2
	v_cmp_eq_u32_e32 vcc, 0, v2
	s_waitcnt lgkmcnt(0)
	s_and_saveexec_b64 s[42:43], vcc
	s_cbranch_execz .LBB2_219
; %bb.218:                              ;   in Loop: Header=BB2_47 Depth=1
	s_bcnt1_i32_b64 s56, s[90:91]
	v_mov_b32_e32 v2, s56
	ds_add_u64 v0, v[2:3]
	s_trap 2
.LBB2_219:                              ;   in Loop: Header=BB2_47 Depth=1
	s_or_b64 exec, exec, s[42:43]
	s_trap 2
	ds_read_b64 v[10:11], v0
	s_waitcnt lgkmcnt(0)
	v_lshl_add_u64 v[32:33], v[32:33], 0, v[36:37]
	v_cmp_lt_u64_e32 vcc, v[10:11], v[32:33]
	s_and_saveexec_b64 s[42:43], vcc
	s_cbranch_execz .LBB2_228
; %bb.220:                              ;   in Loop: Header=BB2_47 Depth=1
	s_mov_b32 s56, 0
	s_mov_b64 s[90:91], 0
                                        ; implicit-def: $sgpr92_sgpr93
                                        ; implicit-def: $sgpr94_sgpr95
	s_branch .LBB2_222
.LBB2_221:                              ;   in Loop: Header=BB2_222 Depth=2
	s_or_b64 exec, exec, s[34:35]
	s_and_b64 vcc, exec, vcc
	s_or_b64 s[90:91], vcc, s[90:91]
	s_andn2_b64 s[92:93], s[92:93], exec
	s_and_b64 vcc, s[94:95], exec
	s_or_b64 s[92:93], s[92:93], vcc
	s_andn2_b64 exec, exec, s[90:91]
	s_cbranch_execz .LBB2_226
.LBB2_222:                              ;   Parent Loop BB2_47 Depth=1
                                        ; =>  This Inner Loop Header: Depth=2
	s_add_i32 s56, s56, 1
	s_cmpk_lg_i32 s56, 0x2710
	s_cselect_b64 s[30:31], -1, 0
	s_and_b64 vcc, exec, s[30:31]
	s_cbranch_vccz .LBB2_224
; %bb.223:                              ;   in Loop: Header=BB2_222 Depth=2
	s_mov_b64 vcc, -1
	s_or_b64 s[94:95], s[94:95], exec
	s_and_saveexec_b64 s[34:35], s[30:31]
	s_cbranch_execz .LBB2_221
	s_branch .LBB2_225
.LBB2_224:                              ;   in Loop: Header=BB2_222 Depth=2
	s_trap 2
	ds_read_b64 v[10:11], v0
	s_andn2_b64 s[30:31], s[30:31], exec
	s_mov_b32 s56, 0
	s_waitcnt vmcnt(0) lgkmcnt(0)
	flat_load_dword v2, v[10:11] sc0 sc1
	s_waitcnt vmcnt(0) lgkmcnt(0)
	buffer_inv sc0 sc1
	v_cmp_eq_u32_e32 vcc, 0, v2
	s_and_b64 vcc, vcc, exec
	s_or_b64 s[30:31], s[30:31], vcc
	s_mov_b64 vcc, -1
	s_or_b64 s[94:95], s[94:95], exec
	s_and_saveexec_b64 s[34:35], s[30:31]
	s_cbranch_execz .LBB2_221
.LBB2_225:                              ;   in Loop: Header=BB2_222 Depth=2
	s_sleep 1
	s_trap 2
	ds_read_b64 v[10:11], v0
	s_waitcnt lgkmcnt(0)
	s_andn2_b64 s[94:95], s[94:95], exec
	v_cmp_ge_u64_e32 vcc, v[10:11], v[32:33]
	s_orn2_b64 vcc, vcc, exec
	s_branch .LBB2_221
.LBB2_226:                              ;   in Loop: Header=BB2_47 Depth=1
	s_or_b64 exec, exec, s[90:91]
	s_and_saveexec_b64 s[90:91], s[92:93]
	s_xor_b64 s[90:91], exec, s[90:91]
	s_cbranch_execz .LBB2_228
; %bb.227:                              ;   in Loop: Header=BB2_47 Depth=1
	ds_write_b32 v0, v57
	s_trap 2
.LBB2_228:                              ;   in Loop: Header=BB2_47 Depth=1
	s_or_b64 exec, exec, s[42:43]
	;;#ASMSTART
	s_wakeup
	;;#ASMEND
.LBB2_229:                              ;   in Loop: Header=BB2_47 Depth=1
	s_or_b64 exec, exec, s[40:41]
.LBB2_230:                              ;   in Loop: Header=BB2_47 Depth=1
	s_andn2_saveexec_b64 s[26:27], s[26:27]
	s_cbranch_execz .LBB2_232
; %bb.231:                              ;   in Loop: Header=BB2_47 Depth=1
	s_waitcnt lgkmcnt(0)
	s_barrier
.LBB2_232:                              ;   in Loop: Header=BB2_47 Depth=1
	s_or_b64 exec, exec, s[26:27]
.LBB2_233:                              ;   in Loop: Header=BB2_47 Depth=1
	s_or_b64 exec, exec, s[24:25]
	v_and_b32_e32 v9, 16, v46
	s_and_saveexec_b64 s[24:25], s[22:23]
	s_xor_b64 s[24:25], exec, s[24:25]
	s_cbranch_execz .LBB2_238
; %bb.234:                              ;   in Loop: Header=BB2_47 Depth=1
	s_trap 2
	ds_read_b32 v2, v0
	v_cmp_lt_i32_e32 vcc, 0, v8
	v_and_b32_e32 v8, 16, v46
	v_and_b32_e32 v9, 16, v46
	s_waitcnt lgkmcnt(0)
	v_readfirstlane_b32 s26, v2
	s_cmp_eq_u32 s26, 0
	s_cselect_b64 s[26:27], -1, 0
	s_and_b64 s[26:27], vcc, s[26:27]
	v_cmp_ne_u32_e32 vcc, 0, v8
	s_and_b64 s[40:41], vcc, s[26:27]
	s_and_saveexec_b64 s[26:27], s[40:41]
	s_cbranch_execz .LBB2_236
; %bb.235:                              ;   in Loop: Header=BB2_47 Depth=1
	v_mov_b32_e32 v9, 1
	buffer_wbl2 sc1
	s_waitcnt vmcnt(0)
	buffer_inv sc1
.LBB2_236:                              ;   in Loop: Header=BB2_47 Depth=1
	s_or_b64 exec, exec, s[26:27]
	s_andn2_saveexec_b64 s[24:25], s[24:25]
	s_cbranch_execnz .LBB2_239
.LBB2_237:                              ;   in Loop: Header=BB2_47 Depth=1
	s_or_b64 exec, exec, s[24:25]
	v_cmp_ne_u32_e32 vcc, 0, v9
	s_and_saveexec_b64 s[24:25], vcc
	s_cbranch_execnz .LBB2_257
	s_branch .LBB2_260
.LBB2_238:                              ;   in Loop: Header=BB2_47 Depth=1
	s_andn2_saveexec_b64 s[24:25], s[24:25]
	s_cbranch_execz .LBB2_237
.LBB2_239:                              ;   in Loop: Header=BB2_47 Depth=1
	s_and_saveexec_b64 s[26:27], s[58:59]
	s_xor_b64 s[26:27], exec, s[26:27]
	s_cbranch_execz .LBB2_254
; %bb.240:                              ;   in Loop: Header=BB2_47 Depth=1
	s_and_saveexec_b64 s[40:41], s[14:15]
	s_cbranch_execz .LBB2_253
; %bb.241:                              ;   in Loop: Header=BB2_47 Depth=1
	s_mov_b64 s[90:91], exec
	v_mbcnt_lo_u32_b32 v2, s90, 0
	v_mbcnt_hi_u32_b32 v2, s91, v2
	v_cmp_eq_u32_e32 vcc, 0, v2
	;;#ASMSTART
	s_waitcnt lgkmcnt(0) vmcnt(0)
	;;#ASMEND
	s_and_saveexec_b64 s[42:43], vcc
	s_cbranch_execz .LBB2_243
; %bb.242:                              ;   in Loop: Header=BB2_47 Depth=1
	s_bcnt1_i32_b64 s56, s[90:91]
	v_mov_b32_e32 v2, s56
	s_waitcnt lgkmcnt(0)
	ds_add_u64 v0, v[2:3]
	s_trap 2
.LBB2_243:                              ;   in Loop: Header=BB2_47 Depth=1
	s_or_b64 exec, exec, s[42:43]
	s_trap 2
	ds_read_b64 v[10:11], v0
	s_waitcnt lgkmcnt(0)
	v_lshl_add_u64 v[32:33], v[32:33], 0, v[36:37]
	v_cmp_lt_u64_e32 vcc, v[10:11], v[32:33]
	s_and_saveexec_b64 s[42:43], vcc
	s_cbranch_execz .LBB2_252
; %bb.244:                              ;   in Loop: Header=BB2_47 Depth=1
	s_mov_b32 s56, 0
	s_mov_b64 s[90:91], 0
                                        ; implicit-def: $sgpr92_sgpr93
                                        ; implicit-def: $sgpr94_sgpr95
	s_branch .LBB2_246
.LBB2_245:                              ;   in Loop: Header=BB2_246 Depth=2
	s_or_b64 exec, exec, s[34:35]
	s_and_b64 vcc, exec, vcc
	s_or_b64 s[90:91], vcc, s[90:91]
	s_andn2_b64 s[92:93], s[92:93], exec
	s_and_b64 vcc, s[94:95], exec
	s_or_b64 s[92:93], s[92:93], vcc
	s_andn2_b64 exec, exec, s[90:91]
	s_cbranch_execz .LBB2_250
.LBB2_246:                              ;   Parent Loop BB2_47 Depth=1
                                        ; =>  This Inner Loop Header: Depth=2
	s_add_i32 s56, s56, 1
	s_cmpk_lg_i32 s56, 0x2710
	s_cselect_b64 s[30:31], -1, 0
	s_and_b64 vcc, exec, s[30:31]
	s_cbranch_vccz .LBB2_248
; %bb.247:                              ;   in Loop: Header=BB2_246 Depth=2
	s_mov_b64 vcc, -1
	s_or_b64 s[94:95], s[94:95], exec
	s_and_saveexec_b64 s[34:35], s[30:31]
	s_cbranch_execz .LBB2_245
	s_branch .LBB2_249
.LBB2_248:                              ;   in Loop: Header=BB2_246 Depth=2
	s_trap 2
	ds_read_b64 v[10:11], v0
	s_andn2_b64 s[30:31], s[30:31], exec
	s_mov_b32 s56, 0
	s_waitcnt vmcnt(0) lgkmcnt(0)
	flat_load_dword v2, v[10:11] sc0 sc1
	s_waitcnt vmcnt(0) lgkmcnt(0)
	buffer_inv sc0 sc1
	v_cmp_eq_u32_e32 vcc, 0, v2
	s_and_b64 vcc, vcc, exec
	s_or_b64 s[30:31], s[30:31], vcc
	s_mov_b64 vcc, -1
	s_or_b64 s[94:95], s[94:95], exec
	s_and_saveexec_b64 s[34:35], s[30:31]
	s_cbranch_execz .LBB2_245
.LBB2_249:                              ;   in Loop: Header=BB2_246 Depth=2
	s_sleep 1
	s_trap 2
	ds_read_b64 v[10:11], v0
	s_waitcnt lgkmcnt(0)
	s_andn2_b64 s[94:95], s[94:95], exec
	v_cmp_ge_u64_e32 vcc, v[10:11], v[32:33]
	s_orn2_b64 vcc, vcc, exec
	s_branch .LBB2_245
.LBB2_250:                              ;   in Loop: Header=BB2_47 Depth=1
	s_or_b64 exec, exec, s[90:91]
	s_and_saveexec_b64 s[90:91], s[92:93]
	s_xor_b64 s[90:91], exec, s[90:91]
	s_cbranch_execz .LBB2_252
; %bb.251:                              ;   in Loop: Header=BB2_47 Depth=1
	ds_write_b32 v0, v57
	s_trap 2
.LBB2_252:                              ;   in Loop: Header=BB2_47 Depth=1
	s_or_b64 exec, exec, s[42:43]
	;;#ASMSTART
	s_wakeup
	;;#ASMEND
.LBB2_253:                              ;   in Loop: Header=BB2_47 Depth=1
	s_or_b64 exec, exec, s[40:41]
.LBB2_254:                              ;   in Loop: Header=BB2_47 Depth=1
	s_andn2_saveexec_b64 s[26:27], s[26:27]
	s_cbranch_execz .LBB2_256
; %bb.255:                              ;   in Loop: Header=BB2_47 Depth=1
	;;#ASMSTART
	s_waitcnt lgkmcnt(0) vmcnt(0)
	;;#ASMEND
	s_barrier
.LBB2_256:                              ;   in Loop: Header=BB2_47 Depth=1
	s_or_b64 exec, exec, s[26:27]
	s_or_b64 exec, exec, s[24:25]
	v_cmp_ne_u32_e32 vcc, 0, v9
	s_and_saveexec_b64 s[24:25], vcc
	s_cbranch_execz .LBB2_260
.LBB2_257:                              ;   in Loop: Header=BB2_47 Depth=1
	s_and_saveexec_b64 s[26:27], s[12:13]
	s_cbranch_execz .LBB2_259
; %bb.258:                              ;   in Loop: Header=BB2_47 Depth=1
	flat_store_dword v[28:29], v57 sc0 sc1
.LBB2_259:                              ;   in Loop: Header=BB2_47 Depth=1
	s_or_b64 exec, exec, s[26:27]
	v_lshl_add_u64 v[96:97], v[96:97], 0, 4
	flat_store_dwordx2 v[22:23], v[96:97] sc0 sc1
.LBB2_260:                              ;   in Loop: Header=BB2_47 Depth=1
	s_or_b64 exec, exec, s[24:25]
.LBB2_261:                              ;   in Loop: Header=BB2_47 Depth=1
	s_or_b64 exec, exec, s[28:29]
	v_cndmask_b32_e64 v2, 0, 1, s[76:77]
	v_cmp_ne_u32_e64 s[24:25], 1, v2
	s_andn2_b64 vcc, exec, s[76:77]
	s_cbranch_vccnz .LBB2_564
; %bb.262:                              ;   in Loop: Header=BB2_47 Depth=1
	s_mov_b32 s89, 2
	s_branch .LBB2_265
.LBB2_263:                              ;   in Loop: Header=BB2_265 Depth=2
	s_or_b64 exec, exec, s[26:27]
.LBB2_264:                              ;   in Loop: Header=BB2_265 Depth=2
	s_or_b64 exec, exec, s[28:29]
	s_add_i32 s89, s89, 1
	s_cmp_eq_u32 s89, s54
	s_cbranch_scc1 .LBB2_564
.LBB2_265:                              ;   Parent Loop BB2_47 Depth=1
                                        ; =>  This Loop Header: Depth=2
                                        ;       Child Loop BB2_274 Depth 3
                                        ;       Child Loop BB2_302 Depth 3
	;; [unrolled: 1-line block ×12, first 2 shown]
	s_sub_i32 s26, s68, s89
	s_cmp_ge_i32 s26, s54
	s_cselect_b32 s27, s54, 0
	s_sub_i32 s26, s26, s27
	s_ashr_i32 s27, s26, 31
	v_mul_lo_u32 v2, v86, s27
	v_mul_lo_u32 v10, v87, s26
	v_mad_u64_u32 v[8:9], s[26:27], v86, s26, 0
	v_add3_u32 v9, v9, v2, v10
	v_sub_co_u32_e32 v10, vcc, v98, v8
	s_nop 1
	v_subb_co_u32_e32 v11, vcc, v99, v9, vcc
	v_cmp_lt_i64_e32 vcc, v[86:87], v[10:11]
	s_nop 1
	v_cndmask_b32_e32 v2, v10, v86, vcc
	v_max_i32_e32 v42, 0, v2
	v_add_u32_e32 v10, 15, v42
	v_ashrrev_i32_e32 v11, 31, v10
	v_lshrrev_b32_e32 v11, 28, v11
	v_add_u32_e32 v10, v10, v11
	v_cmp_gt_i32_e32 vcc, 1, v2
	v_and_b32_e32 v10, -16, v10
	s_or_b64 s[40:41], s[2:3], vcc
	v_max_i32_e32 v102, s71, v10
	s_xor_b64 s[26:27], s[40:41], -1
	v_mov_b32_e32 v2, 0
	s_and_saveexec_b64 s[42:43], s[26:27]
	s_cbranch_execz .LBB2_491
; %bb.266:                              ;   in Loop: Header=BB2_265 Depth=2
	s_and_saveexec_b64 s[26:27], s[0:1]
	s_cbranch_execz .LBB2_268
; %bb.267:                              ;   in Loop: Header=BB2_265 Depth=2
	s_trap 2
	ds_read_b64 v[10:11], v0
	s_waitcnt lgkmcnt(0)
	v_lshl_add_u64 v[10:11], v[100:101], 1, v[10:11]
	v_lshl_add_u64 v[8:9], v[8:9], 1, v[10:11]
	ds_write_b64 v0, v[8:9]
	ds_write_b64 v0, v[88:89]
.LBB2_268:                              ;   in Loop: Header=BB2_265 Depth=2
	s_or_b64 exec, exec, s[26:27]
	v_and_b32_e32 v2, 12, v46
	v_min_i32_e32 v102, v102, v42
	v_cmp_ne_u32_e32 vcc, 0, v2
	s_and_saveexec_b64 s[28:29], vcc
	s_cbranch_execz .LBB2_294
; %bb.269:                              ;   in Loop: Header=BB2_265 Depth=2
	v_and_b32_e32 v2, 8, v46
	s_waitcnt vmcnt(0) lgkmcnt(0)
	v_lshl_add_u64 v[10:11], v[34:35], 0, v[2:3]
	v_lshl_add_u64 v[8:9], v[96:97], 0, 4
	v_cmp_lt_u64_e32 vcc, v[10:11], v[8:9]
	s_and_saveexec_b64 s[90:91], vcc
	s_cbranch_execz .LBB2_281
; %bb.270:                              ;   in Loop: Header=BB2_265 Depth=2
	v_and_b32_e32 v10, 64, v46
	s_mov_b32 s56, 0
	v_cmp_eq_u32_e32 vcc, 0, v10
	s_mov_b64 s[92:93], 0
                                        ; implicit-def: $sgpr94_sgpr95
                                        ; implicit-def: $sgpr30_sgpr31
                                        ; implicit-def: $sgpr34_sgpr35
	s_branch .LBB2_274
.LBB2_271:                              ;   in Loop: Header=BB2_274 Depth=3
	s_waitcnt vmcnt(0) lgkmcnt(0)
	v_lshl_add_u64 v[12:13], v[34:35], 0, v[2:3]
	v_cmp_ge_u64_e64 s[26:27], v[12:13], v[8:9]
	s_or_b64 s[48:49], s[48:49], exec
	s_orn2_b64 s[38:39], s[26:27], exec
.LBB2_272:                              ;   in Loop: Header=BB2_274 Depth=3
	s_or_b64 exec, exec, s[52:53]
	s_andn2_b64 s[26:27], s[34:35], exec
	s_and_b64 s[34:35], s[48:49], exec
	s_or_b64 s[34:35], s[26:27], s[34:35]
	s_andn2_b64 s[26:27], s[30:31], exec
	s_and_b64 s[30:31], s[38:39], exec
	s_or_b64 s[30:31], s[26:27], s[30:31]
.LBB2_273:                              ;   in Loop: Header=BB2_274 Depth=3
	s_or_b64 exec, exec, s[36:37]
	s_and_b64 s[26:27], exec, s[30:31]
	s_or_b64 s[92:93], s[26:27], s[92:93]
	s_andn2_b64 s[26:27], s[94:95], exec
	s_and_b64 s[94:95], s[34:35], exec
	s_or_b64 s[94:95], s[26:27], s[94:95]
	s_andn2_b64 exec, exec, s[92:93]
	s_cbranch_execz .LBB2_278
.LBB2_274:                              ;   Parent Loop BB2_47 Depth=1
                                        ;     Parent Loop BB2_265 Depth=2
                                        ; =>    This Inner Loop Header: Depth=3
	s_sleep 1
	s_waitcnt vmcnt(0) lgkmcnt(0)
	flat_load_dwordx2 v[34:35], v[22:23] sc0 sc1
	s_or_b64 s[34:35], s[34:35], exec
	s_or_b64 s[30:31], s[30:31], exec
                                        ; implicit-def: $vgpr10
	s_and_saveexec_b64 s[36:37], vcc
	s_cbranch_execz .LBB2_273
; %bb.275:                              ;   in Loop: Header=BB2_274 Depth=3
	s_cmpk_lt_i32 s56, 0x270f
	s_cselect_b64 s[50:51], -1, 0
	s_cmpk_gt_i32 s56, 0x270e
	s_mov_b64 s[38:39], -1
	s_cbranch_scc0 .LBB2_277
; %bb.276:                              ;   in Loop: Header=BB2_274 Depth=3
	s_trap 2
	ds_read_b64 v[10:11], v0
	s_andn2_b64 s[50:51], s[50:51], exec
	s_mov_b32 s56, 0
	s_mov_b64 s[48:49], 0
	s_waitcnt vmcnt(0) lgkmcnt(0)
	flat_load_dword v10, v[10:11] sc0 sc1
	s_waitcnt vmcnt(0) lgkmcnt(0)
	buffer_inv sc0 sc1
	v_cmp_eq_u32_e64 s[26:27], 0, v10
	s_and_b64 s[26:27], s[26:27], exec
	s_or_b64 s[50:51], s[50:51], s[26:27]
	s_and_saveexec_b64 s[52:53], s[50:51]
	s_cbranch_execz .LBB2_272
	s_branch .LBB2_271
.LBB2_277:                              ;   in Loop: Header=BB2_274 Depth=3
	s_add_i32 s56, s56, 1
	s_mov_b64 s[48:49], -1
                                        ; implicit-def: $vgpr10
	s_and_saveexec_b64 s[52:53], s[50:51]
	s_cbranch_execz .LBB2_272
	s_branch .LBB2_271
.LBB2_278:                              ;   in Loop: Header=BB2_265 Depth=2
	s_or_b64 exec, exec, s[92:93]
	s_xor_b64 s[26:27], s[94:95], -1
	s_and_saveexec_b64 s[92:93], s[26:27]
	s_xor_b64 s[26:27], exec, s[92:93]
	s_cbranch_execz .LBB2_280
; %bb.279:                              ;   in Loop: Header=BB2_265 Depth=2
	v_or_b32_e32 v46, 64, v46
	s_waitcnt lgkmcnt(0)
	ds_write_b32 v0, v10
	s_trap 2
.LBB2_280:                              ;   in Loop: Header=BB2_265 Depth=2
	s_or_b64 exec, exec, s[26:27]
.LBB2_281:                              ;   in Loop: Header=BB2_265 Depth=2
	s_or_b64 exec, exec, s[90:91]
	v_and_b32_e32 v10, 0x108, v46
	v_cmp_ne_u32_e32 vcc, s64, v10
	;;#ASMSTART
	s_wakeup
	;;#ASMEND
                                        ; implicit-def: $vgpr10_vgpr11
	s_and_saveexec_b64 s[26:27], vcc
	s_xor_b64 s[26:27], exec, s[26:27]
; %bb.282:                              ;   in Loop: Header=BB2_265 Depth=2
	v_and_b32_e32 v10, 7, v96
	v_mov_b32_e32 v11, v3
                                        ; implicit-def: $vgpr96_vgpr97
; %bb.283:                              ;   in Loop: Header=BB2_265 Depth=2
	s_andn2_saveexec_b64 s[26:27], s[26:27]
	s_cbranch_execz .LBB2_285
; %bb.284:                              ;   in Loop: Header=BB2_265 Depth=2
	v_and_b32_e32 v10, 7, v96
	v_ashrrev_i32_e32 v103, 31, v102
	v_mov_b32_e32 v11, v3
	v_mad_u64_u32 v[12:13], s[90:91], v10, 24, v[6:7]
	v_lshlrev_b64 v[14:15], 1, v[102:103]
	flat_store_dwordx2 v[12:13], v[14:15] offset:8
.LBB2_285:                              ;   in Loop: Header=BB2_265 Depth=2
	s_or_b64 exec, exec, s[26:27]
	v_and_b32_e32 v12, 0x100, v46
	v_cmp_ne_u32_e32 vcc, 0, v12
	s_mov_b64 s[26:27], -1
                                        ; implicit-def: $vgpr12_vgpr13
	s_and_saveexec_b64 s[90:91], vcc
	s_cbranch_execz .LBB2_289
; %bb.286:                              ;   in Loop: Header=BB2_265 Depth=2
	v_mad_u64_u32 v[14:15], s[26:27], v10, 24, v[6:7]
	v_mov_b32_e32 v12, v15
	v_mad_u64_u32 v[12:13], s[26:27], v11, 24, v[12:13]
	v_mov_b32_e32 v15, v12
	flat_load_dword v12, v[14:15]
	s_waitcnt vmcnt(0) lgkmcnt(0)
	v_cmp_ne_u32_e32 vcc, 1, v12
	v_cmp_eq_u32_e64 s[26:27], 1, v12
                                        ; implicit-def: $vgpr12_vgpr13
	s_and_saveexec_b64 s[92:93], s[26:27]
	s_cbranch_execz .LBB2_288
; %bb.287:                              ;   in Loop: Header=BB2_265 Depth=2
	flat_load_dword v12, v[14:15] offset:4 sc0 sc1
	s_waitcnt vmcnt(0) lgkmcnt(0)
	v_ashrrev_i32_e32 v13, 31, v12
	v_lshrrev_b64 v[12:13], 1, v[12:13]
.LBB2_288:                              ;   in Loop: Header=BB2_265 Depth=2
	s_or_b64 exec, exec, s[92:93]
	s_orn2_b64 s[26:27], vcc, exec
.LBB2_289:                              ;   in Loop: Header=BB2_265 Depth=2
	s_or_b64 exec, exec, s[90:91]
	s_and_saveexec_b64 s[90:91], s[26:27]
; %bb.290:                              ;   in Loop: Header=BB2_265 Depth=2
	v_mul_lo_u32 v11, v11, v24
	v_mul_lo_u32 v14, v10, v25
	v_mad_u64_u32 v[12:13], s[26:27], v10, v24, 0
	v_add3_u32 v13, v13, v14, v11
; %bb.291:                              ;   in Loop: Header=BB2_265 Depth=2
	s_or_b64 exec, exec, s[90:91]
	v_cmp_eq_u32_e32 vcc, 0, v2
	v_lshl_add_u64 v[10:11], v[12:13], 1, v[26:27]
	s_nop 0
	v_cndmask_b32_e32 v2, v58, v59, vcc
	v_add_u32_e32 v2, v0, v2
	ds_write_b64 v2, v[10:11] offset:584
	v_and_b32_e32 v2, 0x2000, v46
	v_cmp_ne_u32_e32 vcc, 0, v2
	s_and_saveexec_b64 s[26:27], vcc
	s_cbranch_execz .LBB2_293
; %bb.292:                              ;   in Loop: Header=BB2_265 Depth=2
	ds_read_b64 v[10:11], v0 offset:872
	s_waitcnt lgkmcnt(0)
	v_lshl_add_u64 v[10:11], v[10:11], 0, 1
	ds_write_b64 v0, v[10:11] offset:872
.LBB2_293:                              ;   in Loop: Header=BB2_265 Depth=2
	s_or_b64 exec, exec, s[26:27]
	v_mov_b64_e32 v[96:97], v[8:9]
.LBB2_294:                              ;   in Loop: Header=BB2_265 Depth=2
	s_or_b64 exec, exec, s[28:29]
	s_and_saveexec_b64 s[26:27], s[6:7]
	s_cbranch_execz .LBB2_313
; %bb.295:                              ;   in Loop: Header=BB2_265 Depth=2
	s_and_saveexec_b64 s[28:29], s[58:59]
	s_xor_b64 s[28:29], exec, s[28:29]
	s_cbranch_execz .LBB2_310
; %bb.296:                              ;   in Loop: Header=BB2_265 Depth=2
	s_and_saveexec_b64 s[90:91], s[14:15]
	s_cbranch_execz .LBB2_309
; %bb.297:                              ;   in Loop: Header=BB2_265 Depth=2
	s_mov_b64 s[94:95], exec
	v_mbcnt_lo_u32_b32 v2, s94, 0
	v_mbcnt_hi_u32_b32 v2, s95, v2
	v_cmp_eq_u32_e32 vcc, 0, v2
	s_waitcnt lgkmcnt(0)
	s_and_saveexec_b64 s[92:93], vcc
	s_cbranch_execz .LBB2_299
; %bb.298:                              ;   in Loop: Header=BB2_265 Depth=2
	s_bcnt1_i32_b64 s56, s[94:95]
	v_mov_b32_e32 v2, s56
	ds_add_u64 v0, v[2:3]
	s_trap 2
.LBB2_299:                              ;   in Loop: Header=BB2_265 Depth=2
	s_or_b64 exec, exec, s[92:93]
	s_trap 2
	ds_read_b64 v[8:9], v0
	s_waitcnt lgkmcnt(0)
	v_lshl_add_u64 v[32:33], v[32:33], 0, v[36:37]
	v_cmp_lt_u64_e32 vcc, v[8:9], v[32:33]
	s_and_saveexec_b64 s[92:93], vcc
	s_cbranch_execz .LBB2_308
; %bb.300:                              ;   in Loop: Header=BB2_265 Depth=2
	s_mov_b32 s56, 0
	s_mov_b64 s[94:95], 0
                                        ; implicit-def: $sgpr30_sgpr31
                                        ; implicit-def: $sgpr34_sgpr35
	s_branch .LBB2_302
.LBB2_301:                              ;   in Loop: Header=BB2_302 Depth=3
	s_or_b64 exec, exec, s[38:39]
	s_and_b64 vcc, exec, vcc
	s_or_b64 s[94:95], vcc, s[94:95]
	s_andn2_b64 vcc, s[30:31], exec
	s_and_b64 s[30:31], s[34:35], exec
	s_or_b64 s[30:31], vcc, s[30:31]
	s_andn2_b64 exec, exec, s[94:95]
	s_cbranch_execz .LBB2_306
.LBB2_302:                              ;   Parent Loop BB2_47 Depth=1
                                        ;     Parent Loop BB2_265 Depth=2
                                        ; =>    This Inner Loop Header: Depth=3
	s_add_i32 s56, s56, 1
	s_cmpk_lg_i32 s56, 0x2710
	s_cselect_b64 s[36:37], -1, 0
	s_and_b64 vcc, exec, s[36:37]
	s_cbranch_vccz .LBB2_304
; %bb.303:                              ;   in Loop: Header=BB2_302 Depth=3
	s_mov_b64 vcc, -1
	s_or_b64 s[34:35], s[34:35], exec
	s_and_saveexec_b64 s[38:39], s[36:37]
	s_cbranch_execz .LBB2_301
	s_branch .LBB2_305
.LBB2_304:                              ;   in Loop: Header=BB2_302 Depth=3
	s_trap 2
	ds_read_b64 v[8:9], v0
	s_andn2_b64 s[36:37], s[36:37], exec
	s_mov_b32 s56, 0
	s_waitcnt vmcnt(0) lgkmcnt(0)
	flat_load_dword v2, v[8:9] sc0 sc1
	s_waitcnt vmcnt(0) lgkmcnt(0)
	buffer_inv sc0 sc1
	v_cmp_eq_u32_e32 vcc, 0, v2
	s_and_b64 vcc, vcc, exec
	s_or_b64 s[36:37], s[36:37], vcc
	s_mov_b64 vcc, -1
	s_or_b64 s[34:35], s[34:35], exec
	s_and_saveexec_b64 s[38:39], s[36:37]
	s_cbranch_execz .LBB2_301
.LBB2_305:                              ;   in Loop: Header=BB2_302 Depth=3
	s_sleep 1
	s_trap 2
	ds_read_b64 v[8:9], v0
	s_waitcnt lgkmcnt(0)
	s_andn2_b64 s[34:35], s[34:35], exec
	v_cmp_ge_u64_e32 vcc, v[8:9], v[32:33]
	s_orn2_b64 vcc, vcc, exec
	s_branch .LBB2_301
.LBB2_306:                              ;   in Loop: Header=BB2_265 Depth=2
	s_or_b64 exec, exec, s[94:95]
	s_and_saveexec_b64 s[94:95], s[30:31]
	s_xor_b64 s[94:95], exec, s[94:95]
	s_cbranch_execz .LBB2_308
; %bb.307:                              ;   in Loop: Header=BB2_265 Depth=2
	ds_write_b32 v0, v57
	s_trap 2
.LBB2_308:                              ;   in Loop: Header=BB2_265 Depth=2
	s_or_b64 exec, exec, s[92:93]
	;;#ASMSTART
	s_wakeup
	;;#ASMEND
.LBB2_309:                              ;   in Loop: Header=BB2_265 Depth=2
	s_or_b64 exec, exec, s[90:91]
.LBB2_310:                              ;   in Loop: Header=BB2_265 Depth=2
	s_andn2_saveexec_b64 s[28:29], s[28:29]
	s_cbranch_execz .LBB2_312
; %bb.311:                              ;   in Loop: Header=BB2_265 Depth=2
	s_waitcnt lgkmcnt(0)
	s_barrier
.LBB2_312:                              ;   in Loop: Header=BB2_265 Depth=2
	s_or_b64 exec, exec, s[28:29]
.LBB2_313:                              ;   in Loop: Header=BB2_265 Depth=2
	s_or_b64 exec, exec, s[26:27]
	s_trap 2
	ds_read_b32 v8, v0
	v_and_b32_e32 v2, 0x4000, v46
	v_cmp_ne_u32_e32 vcc, 0, v2
	s_xor_b64 s[26:27], s[4:5], -1
	s_and_b64 s[28:29], s[26:27], vcc
	s_and_saveexec_b64 s[26:27], s[28:29]
	s_cbranch_execz .LBB2_332
; %bb.314:                              ;   in Loop: Header=BB2_265 Depth=2
	s_and_saveexec_b64 s[28:29], s[58:59]
	s_xor_b64 s[28:29], exec, s[28:29]
	s_cbranch_execz .LBB2_329
; %bb.315:                              ;   in Loop: Header=BB2_265 Depth=2
	s_and_saveexec_b64 s[90:91], s[14:15]
	s_cbranch_execz .LBB2_328
; %bb.316:                              ;   in Loop: Header=BB2_265 Depth=2
	s_mov_b64 s[94:95], exec
	v_mbcnt_lo_u32_b32 v2, s94, 0
	v_mbcnt_hi_u32_b32 v2, s95, v2
	v_cmp_eq_u32_e32 vcc, 0, v2
	s_waitcnt lgkmcnt(0)
	s_and_saveexec_b64 s[92:93], vcc
	s_cbranch_execz .LBB2_318
; %bb.317:                              ;   in Loop: Header=BB2_265 Depth=2
	s_bcnt1_i32_b64 s56, s[94:95]
	v_mov_b32_e32 v2, s56
	ds_add_u64 v0, v[2:3]
	s_trap 2
.LBB2_318:                              ;   in Loop: Header=BB2_265 Depth=2
	s_or_b64 exec, exec, s[92:93]
	s_trap 2
	ds_read_b64 v[10:11], v0
	s_waitcnt lgkmcnt(0)
	v_lshl_add_u64 v[32:33], v[32:33], 0, v[36:37]
	v_cmp_lt_u64_e32 vcc, v[10:11], v[32:33]
	s_and_saveexec_b64 s[92:93], vcc
	s_cbranch_execz .LBB2_327
; %bb.319:                              ;   in Loop: Header=BB2_265 Depth=2
	s_mov_b32 s56, 0
	s_mov_b64 s[94:95], 0
                                        ; implicit-def: $sgpr30_sgpr31
                                        ; implicit-def: $sgpr34_sgpr35
	s_branch .LBB2_321
.LBB2_320:                              ;   in Loop: Header=BB2_321 Depth=3
	s_or_b64 exec, exec, s[38:39]
	s_and_b64 vcc, exec, vcc
	s_or_b64 s[94:95], vcc, s[94:95]
	s_andn2_b64 vcc, s[30:31], exec
	s_and_b64 s[30:31], s[34:35], exec
	s_or_b64 s[30:31], vcc, s[30:31]
	s_andn2_b64 exec, exec, s[94:95]
	s_cbranch_execz .LBB2_325
.LBB2_321:                              ;   Parent Loop BB2_47 Depth=1
                                        ;     Parent Loop BB2_265 Depth=2
                                        ; =>    This Inner Loop Header: Depth=3
	s_add_i32 s56, s56, 1
	s_cmpk_lg_i32 s56, 0x2710
	s_cselect_b64 s[36:37], -1, 0
	s_and_b64 vcc, exec, s[36:37]
	s_cbranch_vccz .LBB2_323
; %bb.322:                              ;   in Loop: Header=BB2_321 Depth=3
	s_mov_b64 vcc, -1
	s_or_b64 s[34:35], s[34:35], exec
	s_and_saveexec_b64 s[38:39], s[36:37]
	s_cbranch_execz .LBB2_320
	s_branch .LBB2_324
.LBB2_323:                              ;   in Loop: Header=BB2_321 Depth=3
	s_trap 2
	ds_read_b64 v[10:11], v0
	s_andn2_b64 s[36:37], s[36:37], exec
	s_mov_b32 s56, 0
	s_waitcnt vmcnt(0) lgkmcnt(0)
	flat_load_dword v2, v[10:11] sc0 sc1
	s_waitcnt vmcnt(0) lgkmcnt(0)
	buffer_inv sc0 sc1
	v_cmp_eq_u32_e32 vcc, 0, v2
	s_and_b64 vcc, vcc, exec
	s_or_b64 s[36:37], s[36:37], vcc
	s_mov_b64 vcc, -1
	s_or_b64 s[34:35], s[34:35], exec
	s_and_saveexec_b64 s[38:39], s[36:37]
	s_cbranch_execz .LBB2_320
.LBB2_324:                              ;   in Loop: Header=BB2_321 Depth=3
	s_sleep 1
	s_trap 2
	ds_read_b64 v[10:11], v0
	s_waitcnt lgkmcnt(0)
	s_andn2_b64 s[34:35], s[34:35], exec
	v_cmp_ge_u64_e32 vcc, v[10:11], v[32:33]
	s_orn2_b64 vcc, vcc, exec
	s_branch .LBB2_320
.LBB2_325:                              ;   in Loop: Header=BB2_265 Depth=2
	s_or_b64 exec, exec, s[94:95]
	s_and_saveexec_b64 s[94:95], s[30:31]
	s_xor_b64 s[94:95], exec, s[94:95]
	s_cbranch_execz .LBB2_327
; %bb.326:                              ;   in Loop: Header=BB2_265 Depth=2
	ds_write_b32 v0, v57
	s_trap 2
.LBB2_327:                              ;   in Loop: Header=BB2_265 Depth=2
	s_or_b64 exec, exec, s[92:93]
	;;#ASMSTART
	s_wakeup
	;;#ASMEND
.LBB2_328:                              ;   in Loop: Header=BB2_265 Depth=2
	s_or_b64 exec, exec, s[90:91]
.LBB2_329:                              ;   in Loop: Header=BB2_265 Depth=2
	s_andn2_saveexec_b64 s[28:29], s[28:29]
	s_cbranch_execz .LBB2_331
; %bb.330:                              ;   in Loop: Header=BB2_265 Depth=2
	s_waitcnt lgkmcnt(0)
	s_barrier
.LBB2_331:                              ;   in Loop: Header=BB2_265 Depth=2
	s_or_b64 exec, exec, s[28:29]
.LBB2_332:                              ;   in Loop: Header=BB2_265 Depth=2
	s_or_b64 exec, exec, s[26:27]
	s_trap 2
	ds_read_b64 v[112:113], v0
	s_waitcnt lgkmcnt(0)
	v_cmp_eq_u64_e32 vcc, 0, v[112:113]
	s_cbranch_vccnz .LBB2_340
; %bb.333:                              ;   in Loop: Header=BB2_265 Depth=2
	s_trap 2
	ds_read_b64 v[114:115], v0
	s_waitcnt lgkmcnt(0)
	v_cmp_eq_u64_e32 vcc, 0, v[114:115]
	s_cbranch_vccnz .LBB2_340
; %bb.334:                              ;   in Loop: Header=BB2_265 Depth=2
	s_trap 2
	ds_read_b64 v[10:11], v0
	s_mov_b64 s[26:27], -1
	s_waitcnt lgkmcnt(0)
	v_readfirstlane_b32 s34, v10
	s_and_saveexec_b64 s[28:29], s[20:21]
	s_cbranch_execz .LBB2_336
; %bb.335:                              ;   in Loop: Header=BB2_265 Depth=2
	ds_read_b32 v2, v0 offset:720
	s_waitcnt lgkmcnt(0)
	v_and_b32_e32 v2, 15, v2
	v_cmp_eq_u32_e32 vcc, 0, v2
	s_orn2_b64 s[26:27], vcc, exec
.LBB2_336:                              ;   in Loop: Header=BB2_265 Depth=2
	s_or_b64 exec, exec, s[28:29]
	s_and_saveexec_b64 s[28:29], s[18:19]
	s_cbranch_execz .LBB2_338
; %bb.337:                              ;   in Loop: Header=BB2_265 Depth=2
	ds_read_b32 v2, v0 offset:784
	s_waitcnt lgkmcnt(0)
	v_and_b32_e32 v2, 15, v2
	v_cmp_eq_u32_e32 vcc, 0, v2
	s_and_b64 s[90:91], s[26:27], vcc
	s_andn2_b64 s[26:27], s[26:27], exec
	s_and_b64 s[90:91], s[90:91], exec
	s_or_b64 s[26:27], s[26:27], s[90:91]
.LBB2_338:                              ;   in Loop: Header=BB2_265 Depth=2
	s_or_b64 exec, exec, s[28:29]
	v_cmp_eq_u32_e32 vcc, 0, v8
	s_xor_b64 s[26:27], s[26:27], -1
	v_cndmask_b32_e64 v8, 0, 1, s[26:27]
	v_cndmask_b32_e32 v2, 0, v102, vcc
	v_lshlrev_b32_e32 v103, 1, v2
	s_mov_b64 s[92:93], -1
	v_cmp_ne_u32_e32 vcc, 0, v8
	v_mov_b32_e32 v14, 0
	s_cbranch_vccz .LBB2_341
; %bb.339:                              ;   in Loop: Header=BB2_265 Depth=2
	v_mov_b32_e32 v15, v0
	s_and_saveexec_b64 s[28:29], s[92:93]
	s_cbranch_execnz .LBB2_416
	s_branch .LBB2_444
.LBB2_340:                              ;   in Loop: Header=BB2_265 Depth=2
	s_mov_b64 s[26:27], 0
	s_and_saveexec_b64 s[28:29], s[6:7]
	s_cbranch_execnz .LBB2_445
	s_branch .LBB2_463
.LBB2_341:                              ;   in Loop: Header=BB2_265 Depth=2
	v_ashrrev_i32_e32 v8, 31, v103
	v_lshrrev_b32_e32 v8, 22, v8
	v_add_u32_e32 v8, v103, v8
	v_and_b32_e32 v44, 0xfffffc00, v8
	v_ashrrev_i32_e32 v9, 10, v8
	v_sub_u32_e32 v62, v103, v44
	v_sub_u32_e32 v8, v9, v56
	v_cmp_lt_i32_e32 vcc, 15, v62
	v_sub_u32_e32 v43, v103, v38
	s_nop 0
	v_addc_co_u32_e64 v45, s[26:27], 0, v8, vcc
	v_cmp_lt_i32_e64 s[26:27], 15, v43
	s_and_saveexec_b64 s[90:91], s[26:27]
	s_cbranch_execz .LBB2_377
; %bb.342:                              ;   in Loop: Header=BB2_265 Depth=2
	s_trap 2
	ds_read_b64 v[8:9], v0
	s_and_b32 s56, s34, 1
	s_cmp_eq_u64 s[56:57], 0
	v_lshl_add_u64 v[116:117], v[112:113], 0, v[38:39]
	v_lshl_add_u64 v[118:119], v[114:115], 0, v[38:39]
	s_waitcnt lgkmcnt(0)
	v_lshl_add_u64 v[40:41], v[8:9], 0, v[38:39]
	s_mov_b64 s[92:93], 0
	s_cselect_b64 s[26:27], -1, 0
	s_branch .LBB2_344
.LBB2_343:                              ;   in Loop: Header=BB2_344 Depth=3
	s_or_b64 exec, exec, s[94:95]
	v_lshrrev_b32_e32 v12, 16, v12
	v_and_or_b32 v9, v9, s67, v12
	v_lshrrev_b32_e32 v12, 16, v63
	v_and_or_b32 v8, v8, s67, v12
	;; [unrolled: 2-line block ×3, first 2 shown]
	v_lshrrev_b32_e32 v12, 16, v14
	v_sub_u32_e32 v43, v43, v54
	v_and_or_b32 v11, v11, s67, v12
	v_cmp_gt_i32_e64 s[28:29], 16, v43
	global_store_dwordx4 v[118:119], v[8:11], off
	v_lshl_add_u64 v[116:117], v[116:117], 0, v[54:55]
	v_lshl_add_u64 v[40:41], v[40:41], 0, v[54:55]
	;; [unrolled: 1-line block ×3, first 2 shown]
	s_or_b64 s[92:93], s[28:29], s[92:93]
	v_sub_u32_e32 v45, v45, v36
	s_andn2_b64 exec, exec, s[92:93]
	s_cbranch_execz .LBB2_376
.LBB2_344:                              ;   Parent Loop BB2_47 Depth=1
                                        ;     Parent Loop BB2_265 Depth=2
                                        ; =>    This Inner Loop Header: Depth=3
	global_load_dwordx4 v[8:11], v[40:41], off nt
	global_load_dwordx4 v[12:15], v[116:117], off nt
	s_waitcnt vmcnt(0)
	v_lshlrev_b32_e32 v63, 16, v8
	v_lshlrev_b32_e32 v72, 16, v12
	v_max_f32_e32 v63, v63, v63
	v_max_f32_e32 v72, v72, v72
	v_min_f32_e32 v73, v72, v63
	v_max_f32_e32 v63, v72, v63
	v_cndmask_b32_e64 v72, v63, v73, s[26:27]
	v_and_b32_e32 v63, 0x7f800000, v72
	v_cmp_ne_u32_e64 s[28:29], s65, v63
                                        ; implicit-def: $vgpr63
	s_and_saveexec_b64 s[94:95], s[28:29]
	s_xor_b64 s[28:29], exec, s[94:95]
; %bb.345:                              ;   in Loop: Header=BB2_344 Depth=3
	v_bfe_u32 v63, v72, 16, 1
	v_add3_u32 v63, v72, v63, s66
                                        ; implicit-def: $vgpr72
; %bb.346:                              ;   in Loop: Header=BB2_344 Depth=3
	s_andn2_saveexec_b64 s[94:95], s[28:29]
; %bb.347:                              ;   in Loop: Header=BB2_344 Depth=3
	v_or_b32_e32 v63, 0x10000, v72
	v_cmp_eq_u32_sdwa s[28:29], v72, v3 src0_sel:WORD_0 src1_sel:DWORD
	s_nop 1
	v_cndmask_b32_e64 v63, v63, v72, s[28:29]
; %bb.348:                              ;   in Loop: Header=BB2_344 Depth=3
	s_or_b64 exec, exec, s[94:95]
	v_and_b32_e32 v8, 0xffff0000, v8
	v_and_b32_e32 v12, 0xffff0000, v12
	v_max_f32_e32 v8, v8, v8
	v_max_f32_e32 v12, v12, v12
	v_min_f32_e32 v72, v12, v8
	v_max_f32_e32 v8, v12, v8
	v_cndmask_b32_e64 v12, v8, v72, s[26:27]
	v_and_b32_e32 v8, 0x7f800000, v12
	v_cmp_ne_u32_e64 s[28:29], s65, v8
                                        ; implicit-def: $vgpr8
	s_and_saveexec_b64 s[94:95], s[28:29]
	s_xor_b64 s[28:29], exec, s[94:95]
; %bb.349:                              ;   in Loop: Header=BB2_344 Depth=3
	v_bfe_u32 v8, v12, 16, 1
	v_add3_u32 v8, v12, v8, s66
                                        ; implicit-def: $vgpr12
; %bb.350:                              ;   in Loop: Header=BB2_344 Depth=3
	s_andn2_saveexec_b64 s[94:95], s[28:29]
; %bb.351:                              ;   in Loop: Header=BB2_344 Depth=3
	v_or_b32_e32 v8, 0x10000, v12
	v_cmp_eq_u32_sdwa s[28:29], v12, v3 src0_sel:WORD_0 src1_sel:DWORD
	s_nop 1
	v_cndmask_b32_e64 v8, v8, v12, s[28:29]
; %bb.352:                              ;   in Loop: Header=BB2_344 Depth=3
	s_or_b64 exec, exec, s[94:95]
	v_lshlrev_b32_e32 v12, 16, v9
	v_lshlrev_b32_e32 v72, 16, v13
	v_max_f32_e32 v12, v12, v12
	v_max_f32_e32 v72, v72, v72
	v_min_f32_e32 v73, v72, v12
	v_max_f32_e32 v12, v72, v12
	v_cndmask_b32_e64 v72, v12, v73, s[26:27]
	v_and_b32_e32 v12, 0x7f800000, v72
	v_cmp_ne_u32_e64 s[28:29], s65, v12
                                        ; implicit-def: $vgpr12
	s_and_saveexec_b64 s[94:95], s[28:29]
	s_xor_b64 s[28:29], exec, s[94:95]
; %bb.353:                              ;   in Loop: Header=BB2_344 Depth=3
	v_bfe_u32 v12, v72, 16, 1
	v_add3_u32 v12, v72, v12, s66
                                        ; implicit-def: $vgpr72
; %bb.354:                              ;   in Loop: Header=BB2_344 Depth=3
	s_andn2_saveexec_b64 s[94:95], s[28:29]
; %bb.355:                              ;   in Loop: Header=BB2_344 Depth=3
	v_or_b32_e32 v12, 0x10000, v72
	v_cmp_eq_u32_sdwa s[28:29], v72, v3 src0_sel:WORD_0 src1_sel:DWORD
	s_nop 1
	v_cndmask_b32_e64 v12, v12, v72, s[28:29]
; %bb.356:                              ;   in Loop: Header=BB2_344 Depth=3
	s_or_b64 exec, exec, s[94:95]
	v_and_b32_e32 v13, 0xffff0000, v13
	v_and_b32_e32 v9, 0xffff0000, v9
	v_max_f32_e32 v9, v9, v9
	v_max_f32_e32 v13, v13, v13
	v_min_f32_e32 v72, v13, v9
	v_max_f32_e32 v9, v13, v9
	v_cndmask_b32_e64 v13, v9, v72, s[26:27]
	v_and_b32_e32 v9, 0x7f800000, v13
	v_cmp_ne_u32_e64 s[28:29], s65, v9
                                        ; implicit-def: $vgpr9
	s_and_saveexec_b64 s[94:95], s[28:29]
	s_xor_b64 s[28:29], exec, s[94:95]
; %bb.357:                              ;   in Loop: Header=BB2_344 Depth=3
	v_bfe_u32 v9, v13, 16, 1
	v_add3_u32 v9, v13, v9, s66
                                        ; implicit-def: $vgpr13
; %bb.358:                              ;   in Loop: Header=BB2_344 Depth=3
	s_andn2_saveexec_b64 s[94:95], s[28:29]
; %bb.359:                              ;   in Loop: Header=BB2_344 Depth=3
	v_or_b32_e32 v9, 0x10000, v13
	v_cmp_eq_u32_sdwa s[28:29], v13, v3 src0_sel:WORD_0 src1_sel:DWORD
	s_nop 1
	v_cndmask_b32_e64 v9, v9, v13, s[28:29]
; %bb.360:                              ;   in Loop: Header=BB2_344 Depth=3
	s_or_b64 exec, exec, s[94:95]
	v_lshlrev_b32_e32 v13, 16, v10
	v_lshlrev_b32_e32 v72, 16, v14
	v_max_f32_e32 v13, v13, v13
	v_max_f32_e32 v72, v72, v72
	v_min_f32_e32 v73, v72, v13
	v_max_f32_e32 v13, v72, v13
	v_cndmask_b32_e64 v72, v13, v73, s[26:27]
	v_and_b32_e32 v13, 0x7f800000, v72
	v_cmp_ne_u32_e64 s[28:29], s65, v13
                                        ; implicit-def: $vgpr13
	s_and_saveexec_b64 s[94:95], s[28:29]
	s_xor_b64 s[28:29], exec, s[94:95]
; %bb.361:                              ;   in Loop: Header=BB2_344 Depth=3
	v_bfe_u32 v13, v72, 16, 1
	v_add3_u32 v13, v72, v13, s66
                                        ; implicit-def: $vgpr72
; %bb.362:                              ;   in Loop: Header=BB2_344 Depth=3
	s_andn2_saveexec_b64 s[94:95], s[28:29]
; %bb.363:                              ;   in Loop: Header=BB2_344 Depth=3
	v_or_b32_e32 v13, 0x10000, v72
	v_cmp_eq_u32_sdwa s[28:29], v72, v3 src0_sel:WORD_0 src1_sel:DWORD
	s_nop 1
	v_cndmask_b32_e64 v13, v13, v72, s[28:29]
; %bb.364:                              ;   in Loop: Header=BB2_344 Depth=3
	s_or_b64 exec, exec, s[94:95]
	v_and_b32_e32 v14, 0xffff0000, v14
	v_and_b32_e32 v10, 0xffff0000, v10
	v_max_f32_e32 v10, v10, v10
	v_max_f32_e32 v14, v14, v14
	v_min_f32_e32 v72, v14, v10
	v_max_f32_e32 v10, v14, v10
	v_cndmask_b32_e64 v14, v10, v72, s[26:27]
	v_and_b32_e32 v10, 0x7f800000, v14
	v_cmp_ne_u32_e64 s[28:29], s65, v10
                                        ; implicit-def: $vgpr10
	s_and_saveexec_b64 s[94:95], s[28:29]
	s_xor_b64 s[28:29], exec, s[94:95]
; %bb.365:                              ;   in Loop: Header=BB2_344 Depth=3
	v_bfe_u32 v10, v14, 16, 1
	v_add3_u32 v10, v14, v10, s66
                                        ; implicit-def: $vgpr14
; %bb.366:                              ;   in Loop: Header=BB2_344 Depth=3
	s_andn2_saveexec_b64 s[94:95], s[28:29]
; %bb.367:                              ;   in Loop: Header=BB2_344 Depth=3
	v_or_b32_e32 v10, 0x10000, v14
	v_cmp_eq_u32_sdwa s[28:29], v14, v3 src0_sel:WORD_0 src1_sel:DWORD
	s_nop 1
	v_cndmask_b32_e64 v10, v10, v14, s[28:29]
; %bb.368:                              ;   in Loop: Header=BB2_344 Depth=3
	s_or_b64 exec, exec, s[94:95]
	v_lshlrev_b32_e32 v14, 16, v11
	v_lshlrev_b32_e32 v72, 16, v15
	v_max_f32_e32 v14, v14, v14
	v_max_f32_e32 v72, v72, v72
	v_min_f32_e32 v73, v72, v14
	v_max_f32_e32 v14, v72, v14
	v_cndmask_b32_e64 v72, v14, v73, s[26:27]
	v_and_b32_e32 v14, 0x7f800000, v72
	v_cmp_ne_u32_e64 s[28:29], s65, v14
                                        ; implicit-def: $vgpr14
	s_and_saveexec_b64 s[94:95], s[28:29]
	s_xor_b64 s[28:29], exec, s[94:95]
; %bb.369:                              ;   in Loop: Header=BB2_344 Depth=3
	v_bfe_u32 v14, v72, 16, 1
	v_add3_u32 v14, v72, v14, s66
                                        ; implicit-def: $vgpr72
; %bb.370:                              ;   in Loop: Header=BB2_344 Depth=3
	s_andn2_saveexec_b64 s[94:95], s[28:29]
; %bb.371:                              ;   in Loop: Header=BB2_344 Depth=3
	v_or_b32_e32 v14, 0x10000, v72
	v_cmp_eq_u32_sdwa s[28:29], v72, v3 src0_sel:WORD_0 src1_sel:DWORD
	s_nop 1
	v_cndmask_b32_e64 v14, v14, v72, s[28:29]
; %bb.372:                              ;   in Loop: Header=BB2_344 Depth=3
	s_or_b64 exec, exec, s[94:95]
	v_and_b32_e32 v15, 0xffff0000, v15
	v_and_b32_e32 v11, 0xffff0000, v11
	v_max_f32_e32 v11, v11, v11
	v_max_f32_e32 v15, v15, v15
	v_min_f32_e32 v72, v15, v11
	v_max_f32_e32 v11, v15, v11
	v_cndmask_b32_e64 v15, v11, v72, s[26:27]
	v_and_b32_e32 v11, 0x7f800000, v15
	v_cmp_ne_u32_e64 s[28:29], s65, v11
                                        ; implicit-def: $vgpr11
	s_and_saveexec_b64 s[94:95], s[28:29]
	s_xor_b64 s[28:29], exec, s[94:95]
; %bb.373:                              ;   in Loop: Header=BB2_344 Depth=3
	v_bfe_u32 v11, v15, 16, 1
	v_add3_u32 v11, v15, v11, s66
                                        ; implicit-def: $vgpr15
; %bb.374:                              ;   in Loop: Header=BB2_344 Depth=3
	s_andn2_saveexec_b64 s[94:95], s[28:29]
	s_cbranch_execz .LBB2_343
; %bb.375:                              ;   in Loop: Header=BB2_344 Depth=3
	v_or_b32_e32 v11, 0x10000, v15
	v_cmp_eq_u32_sdwa s[28:29], v15, v3 src0_sel:WORD_0 src1_sel:DWORD
	s_nop 1
	v_cndmask_b32_e64 v11, v11, v15, s[28:29]
	s_branch .LBB2_343
.LBB2_376:                              ;   in Loop: Header=BB2_265 Depth=2
	s_or_b64 exec, exec, s[92:93]
.LBB2_377:                              ;   in Loop: Header=BB2_265 Depth=2
	s_or_b64 exec, exec, s[90:91]
	v_and_b32_e32 v8, 14, v103
	v_cndmask_b32_e32 v43, v62, v8, vcc
	v_mov_b32_e32 v14, 0
	v_cmp_ne_u32_e64 s[26:27], 0, v43
	s_mov_b64 s[92:93], 0
                                        ; implicit-def: $vgpr103
                                        ; implicit-def: $vgpr15
	s_and_saveexec_b64 s[90:91], s[26:27]
	s_cbranch_execz .LBB2_415
; %bb.378:                              ;   in Loop: Header=BB2_265 Depth=2
	v_sub_u32_e32 v8, v62, v8
	v_cndmask_b32_e32 v8, 0, v8, vcc
	v_cmp_lt_i32_e32 vcc, 0, v45
	v_add_u32_e32 v103, v8, v44
	s_nop 0
	v_cndmask_b32_e32 v8, 0, v36, vcc
	v_sub_u32_e32 v8, v8, v45
	v_lshl_or_b32 v8, v8, 6, v47
	v_ashrrev_i32_e32 v9, 31, v8
	v_lshrrev_b32_e32 v9, 26, v9
	v_add_u32_e32 v9, v8, v9
	v_ashrrev_i32_e32 v10, 6, v9
	v_and_b32_e32 v9, 0xffffffc0, v9
	v_sub_u32_e32 v44, v8, v9
	v_ashrrev_i32_e32 v9, 31, v43
	v_lshrrev_b32_e32 v9, 22, v9
	v_add_u32_e32 v9, v43, v9
	v_and_b32_e32 v45, 0xfffffc00, v9
	v_lshlrev_b32_e32 v8, 4, v44
	v_sub_u32_e32 v62, v43, v45
	v_lshl_add_u32 v8, v10, 10, v8
	v_ashrrev_i32_e32 v11, 10, v9
	v_cmp_lt_i32_e32 vcc, 15, v62
	v_sub_u32_e32 v72, v43, v8
	s_nop 0
	v_addc_co_u32_e64 v9, s[26:27], 0, v11, vcc
	v_sub_u32_e32 v63, v9, v10
	v_cmp_lt_i32_e64 s[26:27], 15, v72
	s_and_saveexec_b64 s[92:93], s[26:27]
	s_cbranch_execz .LBB2_414
; %bb.379:                              ;   in Loop: Header=BB2_265 Depth=2
	s_trap 2
	ds_read_b64 v[10:11], v0
	v_add_u32_e32 v8, v8, v103
	s_and_b32 s56, s34, 1
	v_ashrrev_i32_e32 v9, 31, v8
	s_cmp_eq_u64 s[56:57], 0
	v_lshl_add_u64 v[116:117], v[8:9], 0, v[112:113]
	s_waitcnt lgkmcnt(0)
	v_lshl_add_u64 v[118:119], v[10:11], 0, v[8:9]
	v_lshl_add_u64 v[40:41], v[8:9], 0, v[114:115]
	s_mov_b64 s[94:95], 0
	s_cselect_b64 s[26:27], -1, 0
	s_branch .LBB2_381
.LBB2_380:                              ;   in Loop: Header=BB2_381 Depth=3
	s_or_b64 exec, exec, s[30:31]
	v_lshrrev_b32_e32 v12, 16, v12
	v_and_or_b32 v9, v9, s67, v12
	v_lshrrev_b32_e32 v12, 16, v73
	v_and_or_b32 v8, v8, s67, v12
	;; [unrolled: 2-line block ×3, first 2 shown]
	v_lshrrev_b32_e32 v12, 16, v14
	v_sub_u32_e32 v72, v72, v54
	v_and_or_b32 v11, v11, s67, v12
	v_cmp_gt_i32_e64 s[28:29], 16, v72
	global_store_dwordx4 v[40:41], v[8:11], off
	v_lshl_add_u64 v[116:117], v[116:117], 0, v[54:55]
	v_lshl_add_u64 v[118:119], v[118:119], 0, v[54:55]
	;; [unrolled: 1-line block ×3, first 2 shown]
	s_or_b64 s[94:95], s[28:29], s[94:95]
	v_sub_u32_e32 v63, v63, v36
	s_andn2_b64 exec, exec, s[94:95]
	s_cbranch_execz .LBB2_413
.LBB2_381:                              ;   Parent Loop BB2_47 Depth=1
                                        ;     Parent Loop BB2_265 Depth=2
                                        ; =>    This Inner Loop Header: Depth=3
	global_load_dwordx4 v[8:11], v[118:119], off nt
	global_load_dwordx4 v[12:15], v[116:117], off nt
	s_waitcnt vmcnt(0)
	v_lshlrev_b32_e32 v73, 16, v8
	v_lshlrev_b32_e32 v74, 16, v12
	v_max_f32_e32 v73, v73, v73
	v_max_f32_e32 v74, v74, v74
	v_min_f32_e32 v75, v74, v73
	v_max_f32_e32 v73, v74, v73
	v_cndmask_b32_e64 v74, v73, v75, s[26:27]
	v_and_b32_e32 v73, 0x7f800000, v74
	v_cmp_ne_u32_e64 s[28:29], s65, v73
                                        ; implicit-def: $vgpr73
	s_and_saveexec_b64 s[30:31], s[28:29]
	s_xor_b64 s[28:29], exec, s[30:31]
; %bb.382:                              ;   in Loop: Header=BB2_381 Depth=3
	v_bfe_u32 v73, v74, 16, 1
	v_add3_u32 v73, v74, v73, s66
                                        ; implicit-def: $vgpr74
; %bb.383:                              ;   in Loop: Header=BB2_381 Depth=3
	s_andn2_saveexec_b64 s[30:31], s[28:29]
; %bb.384:                              ;   in Loop: Header=BB2_381 Depth=3
	v_or_b32_e32 v73, 0x10000, v74
	v_cmp_eq_u32_sdwa s[28:29], v74, v3 src0_sel:WORD_0 src1_sel:DWORD
	s_nop 1
	v_cndmask_b32_e64 v73, v73, v74, s[28:29]
; %bb.385:                              ;   in Loop: Header=BB2_381 Depth=3
	s_or_b64 exec, exec, s[30:31]
	v_and_b32_e32 v8, 0xffff0000, v8
	v_and_b32_e32 v12, 0xffff0000, v12
	v_max_f32_e32 v8, v8, v8
	v_max_f32_e32 v12, v12, v12
	v_min_f32_e32 v74, v12, v8
	v_max_f32_e32 v8, v12, v8
	v_cndmask_b32_e64 v12, v8, v74, s[26:27]
	v_and_b32_e32 v8, 0x7f800000, v12
	v_cmp_ne_u32_e64 s[28:29], s65, v8
                                        ; implicit-def: $vgpr8
	s_and_saveexec_b64 s[30:31], s[28:29]
	s_xor_b64 s[28:29], exec, s[30:31]
; %bb.386:                              ;   in Loop: Header=BB2_381 Depth=3
	v_bfe_u32 v8, v12, 16, 1
	v_add3_u32 v8, v12, v8, s66
                                        ; implicit-def: $vgpr12
; %bb.387:                              ;   in Loop: Header=BB2_381 Depth=3
	s_andn2_saveexec_b64 s[30:31], s[28:29]
; %bb.388:                              ;   in Loop: Header=BB2_381 Depth=3
	v_or_b32_e32 v8, 0x10000, v12
	v_cmp_eq_u32_sdwa s[28:29], v12, v3 src0_sel:WORD_0 src1_sel:DWORD
	s_nop 1
	v_cndmask_b32_e64 v8, v8, v12, s[28:29]
; %bb.389:                              ;   in Loop: Header=BB2_381 Depth=3
	s_or_b64 exec, exec, s[30:31]
	v_lshlrev_b32_e32 v12, 16, v9
	v_lshlrev_b32_e32 v74, 16, v13
	v_max_f32_e32 v12, v12, v12
	v_max_f32_e32 v74, v74, v74
	v_min_f32_e32 v75, v74, v12
	v_max_f32_e32 v12, v74, v12
	v_cndmask_b32_e64 v74, v12, v75, s[26:27]
	v_and_b32_e32 v12, 0x7f800000, v74
	v_cmp_ne_u32_e64 s[28:29], s65, v12
                                        ; implicit-def: $vgpr12
	s_and_saveexec_b64 s[30:31], s[28:29]
	s_xor_b64 s[28:29], exec, s[30:31]
; %bb.390:                              ;   in Loop: Header=BB2_381 Depth=3
	v_bfe_u32 v12, v74, 16, 1
	v_add3_u32 v12, v74, v12, s66
                                        ; implicit-def: $vgpr74
; %bb.391:                              ;   in Loop: Header=BB2_381 Depth=3
	s_andn2_saveexec_b64 s[30:31], s[28:29]
; %bb.392:                              ;   in Loop: Header=BB2_381 Depth=3
	v_or_b32_e32 v12, 0x10000, v74
	v_cmp_eq_u32_sdwa s[28:29], v74, v3 src0_sel:WORD_0 src1_sel:DWORD
	s_nop 1
	v_cndmask_b32_e64 v12, v12, v74, s[28:29]
; %bb.393:                              ;   in Loop: Header=BB2_381 Depth=3
	s_or_b64 exec, exec, s[30:31]
	v_and_b32_e32 v13, 0xffff0000, v13
	v_and_b32_e32 v9, 0xffff0000, v9
	v_max_f32_e32 v9, v9, v9
	v_max_f32_e32 v13, v13, v13
	v_min_f32_e32 v74, v13, v9
	v_max_f32_e32 v9, v13, v9
	v_cndmask_b32_e64 v13, v9, v74, s[26:27]
	v_and_b32_e32 v9, 0x7f800000, v13
	v_cmp_ne_u32_e64 s[28:29], s65, v9
                                        ; implicit-def: $vgpr9
	s_and_saveexec_b64 s[30:31], s[28:29]
	s_xor_b64 s[28:29], exec, s[30:31]
; %bb.394:                              ;   in Loop: Header=BB2_381 Depth=3
	v_bfe_u32 v9, v13, 16, 1
	v_add3_u32 v9, v13, v9, s66
                                        ; implicit-def: $vgpr13
; %bb.395:                              ;   in Loop: Header=BB2_381 Depth=3
	s_andn2_saveexec_b64 s[30:31], s[28:29]
; %bb.396:                              ;   in Loop: Header=BB2_381 Depth=3
	v_or_b32_e32 v9, 0x10000, v13
	v_cmp_eq_u32_sdwa s[28:29], v13, v3 src0_sel:WORD_0 src1_sel:DWORD
	s_nop 1
	v_cndmask_b32_e64 v9, v9, v13, s[28:29]
; %bb.397:                              ;   in Loop: Header=BB2_381 Depth=3
	s_or_b64 exec, exec, s[30:31]
	v_lshlrev_b32_e32 v13, 16, v10
	v_lshlrev_b32_e32 v74, 16, v14
	v_max_f32_e32 v13, v13, v13
	v_max_f32_e32 v74, v74, v74
	v_min_f32_e32 v75, v74, v13
	v_max_f32_e32 v13, v74, v13
	v_cndmask_b32_e64 v74, v13, v75, s[26:27]
	v_and_b32_e32 v13, 0x7f800000, v74
	v_cmp_ne_u32_e64 s[28:29], s65, v13
                                        ; implicit-def: $vgpr13
	s_and_saveexec_b64 s[30:31], s[28:29]
	s_xor_b64 s[28:29], exec, s[30:31]
; %bb.398:                              ;   in Loop: Header=BB2_381 Depth=3
	v_bfe_u32 v13, v74, 16, 1
	v_add3_u32 v13, v74, v13, s66
                                        ; implicit-def: $vgpr74
; %bb.399:                              ;   in Loop: Header=BB2_381 Depth=3
	s_andn2_saveexec_b64 s[30:31], s[28:29]
; %bb.400:                              ;   in Loop: Header=BB2_381 Depth=3
	v_or_b32_e32 v13, 0x10000, v74
	v_cmp_eq_u32_sdwa s[28:29], v74, v3 src0_sel:WORD_0 src1_sel:DWORD
	s_nop 1
	v_cndmask_b32_e64 v13, v13, v74, s[28:29]
; %bb.401:                              ;   in Loop: Header=BB2_381 Depth=3
	s_or_b64 exec, exec, s[30:31]
	v_and_b32_e32 v14, 0xffff0000, v14
	v_and_b32_e32 v10, 0xffff0000, v10
	v_max_f32_e32 v10, v10, v10
	v_max_f32_e32 v14, v14, v14
	v_min_f32_e32 v74, v14, v10
	v_max_f32_e32 v10, v14, v10
	v_cndmask_b32_e64 v14, v10, v74, s[26:27]
	v_and_b32_e32 v10, 0x7f800000, v14
	v_cmp_ne_u32_e64 s[28:29], s65, v10
                                        ; implicit-def: $vgpr10
	s_and_saveexec_b64 s[30:31], s[28:29]
	s_xor_b64 s[28:29], exec, s[30:31]
; %bb.402:                              ;   in Loop: Header=BB2_381 Depth=3
	v_bfe_u32 v10, v14, 16, 1
	v_add3_u32 v10, v14, v10, s66
                                        ; implicit-def: $vgpr14
; %bb.403:                              ;   in Loop: Header=BB2_381 Depth=3
	s_andn2_saveexec_b64 s[30:31], s[28:29]
; %bb.404:                              ;   in Loop: Header=BB2_381 Depth=3
	v_or_b32_e32 v10, 0x10000, v14
	v_cmp_eq_u32_sdwa s[28:29], v14, v3 src0_sel:WORD_0 src1_sel:DWORD
	s_nop 1
	v_cndmask_b32_e64 v10, v10, v14, s[28:29]
; %bb.405:                              ;   in Loop: Header=BB2_381 Depth=3
	s_or_b64 exec, exec, s[30:31]
	v_lshlrev_b32_e32 v14, 16, v11
	v_lshlrev_b32_e32 v74, 16, v15
	v_max_f32_e32 v14, v14, v14
	v_max_f32_e32 v74, v74, v74
	v_min_f32_e32 v75, v74, v14
	v_max_f32_e32 v14, v74, v14
	v_cndmask_b32_e64 v74, v14, v75, s[26:27]
	v_and_b32_e32 v14, 0x7f800000, v74
	v_cmp_ne_u32_e64 s[28:29], s65, v14
                                        ; implicit-def: $vgpr14
	s_and_saveexec_b64 s[30:31], s[28:29]
	s_xor_b64 s[28:29], exec, s[30:31]
; %bb.406:                              ;   in Loop: Header=BB2_381 Depth=3
	v_bfe_u32 v14, v74, 16, 1
	v_add3_u32 v14, v74, v14, s66
                                        ; implicit-def: $vgpr74
; %bb.407:                              ;   in Loop: Header=BB2_381 Depth=3
	s_andn2_saveexec_b64 s[30:31], s[28:29]
; %bb.408:                              ;   in Loop: Header=BB2_381 Depth=3
	v_or_b32_e32 v14, 0x10000, v74
	v_cmp_eq_u32_sdwa s[28:29], v74, v3 src0_sel:WORD_0 src1_sel:DWORD
	s_nop 1
	v_cndmask_b32_e64 v14, v14, v74, s[28:29]
; %bb.409:                              ;   in Loop: Header=BB2_381 Depth=3
	s_or_b64 exec, exec, s[30:31]
	v_and_b32_e32 v15, 0xffff0000, v15
	v_and_b32_e32 v11, 0xffff0000, v11
	v_max_f32_e32 v11, v11, v11
	v_max_f32_e32 v15, v15, v15
	v_min_f32_e32 v74, v15, v11
	v_max_f32_e32 v11, v15, v11
	v_cndmask_b32_e64 v15, v11, v74, s[26:27]
	v_and_b32_e32 v11, 0x7f800000, v15
	v_cmp_ne_u32_e64 s[28:29], s65, v11
                                        ; implicit-def: $vgpr11
	s_and_saveexec_b64 s[30:31], s[28:29]
	s_xor_b64 s[28:29], exec, s[30:31]
; %bb.410:                              ;   in Loop: Header=BB2_381 Depth=3
	v_bfe_u32 v11, v15, 16, 1
	v_add3_u32 v11, v15, v11, s66
                                        ; implicit-def: $vgpr15
; %bb.411:                              ;   in Loop: Header=BB2_381 Depth=3
	s_andn2_saveexec_b64 s[30:31], s[28:29]
	s_cbranch_execz .LBB2_380
; %bb.412:                              ;   in Loop: Header=BB2_381 Depth=3
	v_or_b32_e32 v11, 0x10000, v15
	v_cmp_eq_u32_sdwa s[28:29], v15, v3 src0_sel:WORD_0 src1_sel:DWORD
	s_nop 1
	v_cndmask_b32_e64 v11, v11, v15, s[28:29]
	s_branch .LBB2_380
.LBB2_413:                              ;   in Loop: Header=BB2_265 Depth=2
	s_or_b64 exec, exec, s[94:95]
.LBB2_414:                              ;   in Loop: Header=BB2_265 Depth=2
	s_or_b64 exec, exec, s[92:93]
	v_and_b32_e32 v8, 14, v43
	v_sub_u32_e32 v9, v62, v8
	v_cndmask_b32_e32 v9, 0, v9, vcc
	v_add3_u32 v14, v45, v103, v9
	v_cndmask_b32_e32 v103, v62, v8, vcc
	v_cmp_lt_i32_e32 vcc, 0, v63
	s_nop 1
	v_cndmask_b32_e32 v8, 0, v36, vcc
	v_sub_u32_e32 v8, v8, v63
	v_cmp_ne_u32_e32 vcc, 0, v103
	v_lshl_add_u32 v15, v8, 6, v44
	s_and_b64 s[92:93], vcc, exec
.LBB2_415:                              ;   in Loop: Header=BB2_265 Depth=2
	s_or_b64 exec, exec, s[90:91]
	s_and_saveexec_b64 s[28:29], s[92:93]
	s_cbranch_execz .LBB2_444
.LBB2_416:                              ;   in Loop: Header=BB2_265 Depth=2
	v_ashrrev_i32_e32 v8, 31, v15
	v_ashrrev_i32_e32 v9, 31, v103
	v_lshrrev_b32_e32 v8, 26, v8
	v_lshrrev_b32_e32 v9, 23, v9
	v_add_u32_e32 v8, v15, v8
	v_add_u32_e32 v9, v103, v9
	v_ashrrev_i32_e32 v116, 6, v8
	v_ashrrev_i32_e32 v118, 9, v9
	v_sub_u32_e32 v117, v118, v116
	v_cmp_lt_i32_e32 vcc, 0, v117
	s_and_saveexec_b64 s[90:91], vcc
	s_cbranch_execz .LBB2_436
; %bb.417:                              ;   in Loop: Header=BB2_265 Depth=2
	v_and_b32_e32 v8, 0x7fffffc0, v8
	s_trap 2
	ds_read_b64 v[10:11], v0
	v_sub_u32_e32 v8, v15, v8
	v_lshlrev_b32_e32 v8, 1, v8
	v_lshlrev_b32_e32 v9, 9, v116
	v_add3_u32 v12, v8, v14, v9
	s_and_b32 s56, s34, 1
	v_ashrrev_i32_e32 v13, 31, v12
	s_cmp_eq_u64 s[56:57], 0
	v_lshl_add_u64 v[8:9], v[12:13], 0, v[112:113]
	s_waitcnt lgkmcnt(0)
	v_lshl_add_u64 v[10:11], v[10:11], 0, v[12:13]
	v_lshl_add_u64 v[12:13], v[12:13], 0, v[114:115]
	s_mov_b64 s[92:93], 0
	s_cselect_b64 vcc, -1, 0
	s_branch .LBB2_419
.LBB2_418:                              ;   in Loop: Header=BB2_419 Depth=3
	s_or_b64 exec, exec, s[94:95]
	v_sub_u32_e32 v117, v117, v36
	v_cmp_gt_i32_e64 s[26:27], 1, v117
	flat_store_short_d16_hi v[12:13], v119 nt
	flat_store_short_d16_hi v[12:13], v43 offset:128 nt
	flat_store_short_d16_hi v[12:13], v44 offset:256 nt
	;; [unrolled: 1-line block ×3, first 2 shown]
	v_lshl_add_u64 v[8:9], v[8:9], 0, v[64:65]
	v_lshl_add_u64 v[10:11], v[10:11], 0, v[64:65]
	s_or_b64 s[92:93], s[26:27], s[92:93]
	v_lshl_add_u64 v[12:13], v[12:13], 0, v[64:65]
	s_andn2_b64 exec, exec, s[92:93]
	s_cbranch_execz .LBB2_435
.LBB2_419:                              ;   Parent Loop BB2_47 Depth=1
                                        ;     Parent Loop BB2_265 Depth=2
                                        ; =>    This Inner Loop Header: Depth=3
	flat_load_ushort v44, v[8:9] offset:256 nt
	flat_load_ushort v40, v[8:9] offset:384 nt
	flat_load_ushort v119, v[8:9] nt
	flat_load_ushort v45, v[10:11] offset:256 nt
	flat_load_ushort v41, v[10:11] offset:384 nt
	flat_load_ushort v63, v[10:11] nt
	flat_load_ushort v43, v[8:9] offset:128 nt
	flat_load_ushort v62, v[10:11] offset:128 nt
	s_waitcnt vmcnt(0) lgkmcnt(0)
	v_lshlrev_b32_e32 v119, 16, v119
	v_max_f32_e32 v119, v119, v119
	v_lshlrev_b32_e32 v63, 16, v63
	v_max_f32_e32 v63, v63, v63
	v_min_f32_e32 v72, v119, v63
	v_max_f32_e32 v119, v119, v63
	v_cndmask_b32_e32 v63, v119, v72, vcc
	v_and_b32_e32 v119, 0x7f800000, v63
	v_cmp_ne_u32_e64 s[26:27], s65, v119
                                        ; implicit-def: $vgpr119
	s_and_saveexec_b64 s[94:95], s[26:27]
	s_xor_b64 s[26:27], exec, s[94:95]
; %bb.420:                              ;   in Loop: Header=BB2_419 Depth=3
	v_bfe_u32 v119, v63, 16, 1
	v_add3_u32 v119, v63, v119, s66
                                        ; implicit-def: $vgpr63
; %bb.421:                              ;   in Loop: Header=BB2_419 Depth=3
	s_andn2_saveexec_b64 s[94:95], s[26:27]
; %bb.422:                              ;   in Loop: Header=BB2_419 Depth=3
	v_or_b32_e32 v119, 0x10000, v63
	v_cmp_eq_u32_sdwa s[26:27], v63, v3 src0_sel:WORD_0 src1_sel:DWORD
	s_nop 1
	v_cndmask_b32_e64 v119, v119, v63, s[26:27]
; %bb.423:                              ;   in Loop: Header=BB2_419 Depth=3
	s_or_b64 exec, exec, s[94:95]
	v_lshlrev_b32_e32 v43, 16, v43
	v_lshlrev_b32_e32 v62, 16, v62
	v_max_f32_e32 v62, v62, v62
	v_max_f32_e32 v43, v43, v43
	v_min_f32_e32 v63, v43, v62
	v_max_f32_e32 v43, v43, v62
	v_cndmask_b32_e32 v62, v43, v63, vcc
	v_and_b32_e32 v43, 0x7f800000, v62
	v_cmp_ne_u32_e64 s[26:27], s65, v43
                                        ; implicit-def: $vgpr43
	s_and_saveexec_b64 s[94:95], s[26:27]
	s_xor_b64 s[26:27], exec, s[94:95]
; %bb.424:                              ;   in Loop: Header=BB2_419 Depth=3
	v_bfe_u32 v43, v62, 16, 1
	v_add3_u32 v43, v62, v43, s66
                                        ; implicit-def: $vgpr62
; %bb.425:                              ;   in Loop: Header=BB2_419 Depth=3
	s_andn2_saveexec_b64 s[94:95], s[26:27]
; %bb.426:                              ;   in Loop: Header=BB2_419 Depth=3
	v_or_b32_e32 v43, 0x10000, v62
	v_cmp_eq_u32_sdwa s[26:27], v62, v3 src0_sel:WORD_0 src1_sel:DWORD
	s_nop 1
	v_cndmask_b32_e64 v43, v43, v62, s[26:27]
; %bb.427:                              ;   in Loop: Header=BB2_419 Depth=3
	s_or_b64 exec, exec, s[94:95]
	v_lshlrev_b32_e32 v44, 16, v44
	v_lshlrev_b32_e32 v45, 16, v45
	v_max_f32_e32 v45, v45, v45
	v_max_f32_e32 v44, v44, v44
	v_min_f32_e32 v62, v44, v45
	v_max_f32_e32 v44, v44, v45
	v_cndmask_b32_e32 v45, v44, v62, vcc
	v_and_b32_e32 v44, 0x7f800000, v45
	v_cmp_ne_u32_e64 s[26:27], s65, v44
                                        ; implicit-def: $vgpr44
	s_and_saveexec_b64 s[94:95], s[26:27]
	s_xor_b64 s[26:27], exec, s[94:95]
; %bb.428:                              ;   in Loop: Header=BB2_419 Depth=3
	v_bfe_u32 v44, v45, 16, 1
	v_add3_u32 v44, v45, v44, s66
                                        ; implicit-def: $vgpr45
; %bb.429:                              ;   in Loop: Header=BB2_419 Depth=3
	s_andn2_saveexec_b64 s[94:95], s[26:27]
; %bb.430:                              ;   in Loop: Header=BB2_419 Depth=3
	v_or_b32_e32 v44, 0x10000, v45
	v_cmp_eq_u32_sdwa s[26:27], v45, v3 src0_sel:WORD_0 src1_sel:DWORD
	s_nop 1
	v_cndmask_b32_e64 v44, v44, v45, s[26:27]
; %bb.431:                              ;   in Loop: Header=BB2_419 Depth=3
	s_or_b64 exec, exec, s[94:95]
	v_lshlrev_b32_e32 v40, 16, v40
	v_lshlrev_b32_e32 v41, 16, v41
	v_max_f32_e32 v41, v41, v41
	v_max_f32_e32 v40, v40, v40
	v_min_f32_e32 v45, v40, v41
	v_max_f32_e32 v40, v40, v41
	v_cndmask_b32_e32 v41, v40, v45, vcc
	v_and_b32_e32 v40, 0x7f800000, v41
	v_cmp_ne_u32_e64 s[26:27], s65, v40
                                        ; implicit-def: $vgpr40
	s_and_saveexec_b64 s[94:95], s[26:27]
	s_xor_b64 s[26:27], exec, s[94:95]
; %bb.432:                              ;   in Loop: Header=BB2_419 Depth=3
	v_bfe_u32 v40, v41, 16, 1
	v_add3_u32 v40, v41, v40, s66
                                        ; implicit-def: $vgpr41
; %bb.433:                              ;   in Loop: Header=BB2_419 Depth=3
	s_andn2_saveexec_b64 s[94:95], s[26:27]
	s_cbranch_execz .LBB2_418
; %bb.434:                              ;   in Loop: Header=BB2_419 Depth=3
	v_or_b32_e32 v40, 0x10000, v41
	v_cmp_eq_u32_sdwa s[26:27], v41, v3 src0_sel:WORD_0 src1_sel:DWORD
	s_nop 1
	v_cndmask_b32_e64 v40, v40, v41, s[26:27]
	s_branch .LBB2_418
.LBB2_435:                              ;   in Loop: Header=BB2_265 Depth=2
	s_or_b64 exec, exec, s[92:93]
.LBB2_436:                              ;   in Loop: Header=BB2_265 Depth=2
	s_or_b64 exec, exec, s[90:91]
	v_lshlrev_b32_e32 v8, 9, v118
	v_cmp_ne_u32_e32 vcc, v103, v8
	s_and_b64 exec, exec, vcc
	s_cbranch_execz .LBB2_444
; %bb.437:                              ;   in Loop: Header=BB2_265 Depth=2
	v_lshlrev_b32_e32 v9, 6, v116
	v_sub_u32_e32 v9, v15, v9
	v_lshlrev_b32_e32 v10, 6, v117
	v_sub_u32_e32 v9, v9, v10
	v_ashrrev_i32_e32 v10, 31, v9
	v_lshrrev_b32_e32 v10, 26, v10
	v_add_u32_e32 v10, v9, v10
	v_and_b32_e32 v11, 0x7fffffc0, v10
	v_sub_u32_e32 v9, v9, v11
	v_lshlrev_b32_e32 v10, 1, v10
	v_and_b32_e32 v10, 0xffffff80, v10
	v_lshlrev_b32_e32 v9, 1, v9
	v_add3_u32 v8, v10, v9, v8
	v_sub_u32_e32 v15, v103, v8
	v_cmp_lt_i32_e32 vcc, 1, v15
	s_and_b64 exec, exec, vcc
	s_cbranch_execz .LBB2_444
; %bb.438:                              ;   in Loop: Header=BB2_265 Depth=2
	s_trap 2
	ds_read_b64 v[10:11], v0
	v_add_u32_e32 v12, v8, v14
	s_and_b32 s56, s34, 1
	v_ashrrev_i32_e32 v13, 31, v12
	s_cmp_eq_u64 s[56:57], 0
	v_lshl_add_u64 v[8:9], v[12:13], 0, v[112:113]
	s_waitcnt lgkmcnt(0)
	v_lshl_add_u64 v[10:11], v[10:11], 0, v[12:13]
	v_lshl_add_u64 v[12:13], v[12:13], 0, v[114:115]
	s_mov_b64 s[90:91], 0
	s_cselect_b64 vcc, -1, 0
	s_branch .LBB2_440
.LBB2_439:                              ;   in Loop: Header=BB2_440 Depth=3
	s_or_b64 exec, exec, s[92:93]
	v_sub_u32_e32 v15, v15, v66
	v_cmp_gt_i32_e64 s[26:27], 2, v15
	flat_store_short_d16_hi v[12:13], v103 nt
	v_lshl_add_u64 v[8:9], v[8:9], 0, v[66:67]
	v_lshl_add_u64 v[10:11], v[10:11], 0, v[66:67]
	s_or_b64 s[90:91], s[26:27], s[90:91]
	v_lshl_add_u64 v[12:13], v[12:13], 0, v[66:67]
	s_andn2_b64 exec, exec, s[90:91]
	s_cbranch_execz .LBB2_444
.LBB2_440:                              ;   Parent Loop BB2_47 Depth=1
                                        ;     Parent Loop BB2_265 Depth=2
                                        ; =>    This Inner Loop Header: Depth=3
	flat_load_ushort v14, v[10:11] nt
	flat_load_ushort v103, v[8:9] nt
	s_waitcnt vmcnt(0) lgkmcnt(0)
	v_lshlrev_b32_e32 v14, 16, v14
	v_lshlrev_b32_e32 v103, 16, v103
	v_max_f32_e32 v14, v14, v14
	v_max_f32_e32 v103, v103, v103
	v_min_f32_e32 v112, v103, v14
	v_max_f32_e32 v14, v103, v14
	v_cndmask_b32_e32 v14, v14, v112, vcc
	v_and_b32_e32 v103, 0x7f800000, v14
	v_cmp_ne_u32_e64 s[26:27], s65, v103
                                        ; implicit-def: $vgpr103
	s_and_saveexec_b64 s[92:93], s[26:27]
	s_xor_b64 s[26:27], exec, s[92:93]
; %bb.441:                              ;   in Loop: Header=BB2_440 Depth=3
	v_bfe_u32 v103, v14, 16, 1
	v_add3_u32 v103, v14, v103, s66
                                        ; implicit-def: $vgpr14
; %bb.442:                              ;   in Loop: Header=BB2_440 Depth=3
	s_andn2_saveexec_b64 s[92:93], s[26:27]
	s_cbranch_execz .LBB2_439
; %bb.443:                              ;   in Loop: Header=BB2_440 Depth=3
	v_or_b32_e32 v103, 0x10000, v14
	v_cmp_eq_u32_sdwa s[26:27], v14, v3 src0_sel:WORD_0 src1_sel:DWORD
	s_nop 1
	v_cndmask_b32_e64 v103, v103, v14, s[26:27]
	s_branch .LBB2_439
.LBB2_444:                              ;   in Loop: Header=BB2_265 Depth=2
	s_or_b64 exec, exec, s[28:29]
	v_cmp_lt_i32_e64 s[26:27], 0, v2
	s_and_saveexec_b64 s[28:29], s[6:7]
	s_cbranch_execz .LBB2_463
.LBB2_445:                              ;   in Loop: Header=BB2_265 Depth=2
	s_and_saveexec_b64 s[90:91], s[58:59]
	s_xor_b64 s[90:91], exec, s[90:91]
	s_cbranch_execz .LBB2_460
; %bb.446:                              ;   in Loop: Header=BB2_265 Depth=2
	s_and_saveexec_b64 s[92:93], s[14:15]
	s_cbranch_execz .LBB2_459
; %bb.447:                              ;   in Loop: Header=BB2_265 Depth=2
	s_mov_b64 s[30:31], exec
	v_mbcnt_lo_u32_b32 v2, s30, 0
	v_mbcnt_hi_u32_b32 v2, s31, v2
	v_cmp_eq_u32_e32 vcc, 0, v2
	s_waitcnt lgkmcnt(0)
	s_and_saveexec_b64 s[94:95], vcc
	s_cbranch_execz .LBB2_449
; %bb.448:                              ;   in Loop: Header=BB2_265 Depth=2
	s_bcnt1_i32_b64 s56, s[30:31]
	v_mov_b32_e32 v2, s56
	ds_add_u64 v0, v[2:3]
	s_trap 2
.LBB2_449:                              ;   in Loop: Header=BB2_265 Depth=2
	s_or_b64 exec, exec, s[94:95]
	s_trap 2
	ds_read_b64 v[8:9], v0
	s_waitcnt lgkmcnt(0)
	v_lshl_add_u64 v[32:33], v[32:33], 0, v[36:37]
	v_cmp_lt_u64_e32 vcc, v[8:9], v[32:33]
	s_and_saveexec_b64 s[94:95], vcc
	s_cbranch_execz .LBB2_458
; %bb.450:                              ;   in Loop: Header=BB2_265 Depth=2
	s_mov_b32 s56, 0
	s_mov_b64 s[30:31], 0
                                        ; implicit-def: $sgpr34_sgpr35
                                        ; implicit-def: $sgpr36_sgpr37
	s_branch .LBB2_452
.LBB2_451:                              ;   in Loop: Header=BB2_452 Depth=3
	s_or_b64 exec, exec, s[48:49]
	s_and_b64 vcc, exec, vcc
	s_or_b64 s[30:31], vcc, s[30:31]
	s_andn2_b64 vcc, s[34:35], exec
	s_and_b64 s[34:35], s[36:37], exec
	s_or_b64 s[34:35], vcc, s[34:35]
	s_andn2_b64 exec, exec, s[30:31]
	s_cbranch_execz .LBB2_456
.LBB2_452:                              ;   Parent Loop BB2_47 Depth=1
                                        ;     Parent Loop BB2_265 Depth=2
                                        ; =>    This Inner Loop Header: Depth=3
	s_add_i32 s56, s56, 1
	s_cmpk_lg_i32 s56, 0x2710
	s_cselect_b64 s[38:39], -1, 0
	s_and_b64 vcc, exec, s[38:39]
	s_cbranch_vccz .LBB2_454
; %bb.453:                              ;   in Loop: Header=BB2_452 Depth=3
	s_mov_b64 vcc, -1
	s_or_b64 s[36:37], s[36:37], exec
	s_and_saveexec_b64 s[48:49], s[38:39]
	s_cbranch_execz .LBB2_451
	s_branch .LBB2_455
.LBB2_454:                              ;   in Loop: Header=BB2_452 Depth=3
	s_trap 2
	ds_read_b64 v[8:9], v0
	s_andn2_b64 s[38:39], s[38:39], exec
	s_mov_b32 s56, 0
	s_waitcnt vmcnt(0) lgkmcnt(0)
	flat_load_dword v2, v[8:9] sc0 sc1
	s_waitcnt vmcnt(0) lgkmcnt(0)
	buffer_inv sc0 sc1
	v_cmp_eq_u32_e32 vcc, 0, v2
	s_and_b64 vcc, vcc, exec
	s_or_b64 s[38:39], s[38:39], vcc
	s_mov_b64 vcc, -1
	s_or_b64 s[36:37], s[36:37], exec
	s_and_saveexec_b64 s[48:49], s[38:39]
	s_cbranch_execz .LBB2_451
.LBB2_455:                              ;   in Loop: Header=BB2_452 Depth=3
	s_sleep 1
	s_trap 2
	ds_read_b64 v[8:9], v0
	s_waitcnt lgkmcnt(0)
	s_andn2_b64 s[36:37], s[36:37], exec
	v_cmp_ge_u64_e32 vcc, v[8:9], v[32:33]
	s_orn2_b64 vcc, vcc, exec
	s_branch .LBB2_451
.LBB2_456:                              ;   in Loop: Header=BB2_265 Depth=2
	s_or_b64 exec, exec, s[30:31]
	s_and_saveexec_b64 vcc, s[34:35]
	s_xor_b64 vcc, exec, vcc
	s_cbranch_execz .LBB2_458
; %bb.457:                              ;   in Loop: Header=BB2_265 Depth=2
	ds_write_b32 v0, v57
	s_trap 2
.LBB2_458:                              ;   in Loop: Header=BB2_265 Depth=2
	s_or_b64 exec, exec, s[94:95]
	;;#ASMSTART
	s_wakeup
	;;#ASMEND
.LBB2_459:                              ;   in Loop: Header=BB2_265 Depth=2
	s_or_b64 exec, exec, s[92:93]
.LBB2_460:                              ;   in Loop: Header=BB2_265 Depth=2
	s_andn2_saveexec_b64 s[90:91], s[90:91]
	s_cbranch_execz .LBB2_462
; %bb.461:                              ;   in Loop: Header=BB2_265 Depth=2
	s_waitcnt lgkmcnt(0)
	s_barrier
.LBB2_462:                              ;   in Loop: Header=BB2_265 Depth=2
	s_or_b64 exec, exec, s[90:91]
.LBB2_463:                              ;   in Loop: Header=BB2_265 Depth=2
	s_or_b64 exec, exec, s[28:29]
	v_and_b32_e32 v8, 16, v46
	s_and_saveexec_b64 s[28:29], s[22:23]
	s_xor_b64 s[28:29], exec, s[28:29]
	s_cbranch_execz .LBB2_467
; %bb.464:                              ;   in Loop: Header=BB2_265 Depth=2
	v_and_b32_e32 v2, 16, v46
	v_cmp_ne_u32_e32 vcc, 0, v2
	v_and_b32_e32 v8, 16, v46
	s_and_b64 s[90:91], vcc, s[26:27]
	s_and_saveexec_b64 s[26:27], s[90:91]
	s_cbranch_execz .LBB2_466
; %bb.465:                              ;   in Loop: Header=BB2_265 Depth=2
	v_mov_b32_e32 v8, 1
	buffer_wbl2 sc1
	s_waitcnt vmcnt(0) lgkmcnt(0)
	buffer_inv sc1
.LBB2_466:                              ;   in Loop: Header=BB2_265 Depth=2
	s_or_b64 exec, exec, s[26:27]
.LBB2_467:                              ;   in Loop: Header=BB2_265 Depth=2
	s_andn2_saveexec_b64 s[26:27], s[28:29]
	s_cbranch_execz .LBB2_486
; %bb.468:                              ;   in Loop: Header=BB2_265 Depth=2
	s_and_saveexec_b64 s[28:29], s[58:59]
	s_xor_b64 s[28:29], exec, s[28:29]
	s_cbranch_execz .LBB2_483
; %bb.469:                              ;   in Loop: Header=BB2_265 Depth=2
	s_and_saveexec_b64 s[90:91], s[14:15]
	s_cbranch_execz .LBB2_482
; %bb.470:                              ;   in Loop: Header=BB2_265 Depth=2
	s_mov_b64 s[94:95], exec
	v_mbcnt_lo_u32_b32 v2, s94, 0
	v_mbcnt_hi_u32_b32 v2, s95, v2
	v_cmp_eq_u32_e32 vcc, 0, v2
	;;#ASMSTART
	s_waitcnt lgkmcnt(0) vmcnt(0)
	;;#ASMEND
	s_and_saveexec_b64 s[92:93], vcc
	s_cbranch_execz .LBB2_472
; %bb.471:                              ;   in Loop: Header=BB2_265 Depth=2
	s_bcnt1_i32_b64 s56, s[94:95]
	v_mov_b32_e32 v2, s56
	s_waitcnt lgkmcnt(0)
	ds_add_u64 v0, v[2:3]
	s_trap 2
.LBB2_472:                              ;   in Loop: Header=BB2_265 Depth=2
	s_or_b64 exec, exec, s[92:93]
	s_trap 2
	ds_read_b64 v[10:11], v0
	s_waitcnt lgkmcnt(0)
	v_lshl_add_u64 v[32:33], v[32:33], 0, v[36:37]
	v_cmp_lt_u64_e32 vcc, v[10:11], v[32:33]
	s_and_saveexec_b64 s[92:93], vcc
	s_cbranch_execz .LBB2_481
; %bb.473:                              ;   in Loop: Header=BB2_265 Depth=2
	s_mov_b32 s56, 0
	s_mov_b64 s[94:95], 0
                                        ; implicit-def: $sgpr30_sgpr31
                                        ; implicit-def: $sgpr34_sgpr35
	s_branch .LBB2_475
.LBB2_474:                              ;   in Loop: Header=BB2_475 Depth=3
	s_or_b64 exec, exec, s[38:39]
	s_and_b64 vcc, exec, vcc
	s_or_b64 s[94:95], vcc, s[94:95]
	s_andn2_b64 vcc, s[30:31], exec
	s_and_b64 s[30:31], s[34:35], exec
	s_or_b64 s[30:31], vcc, s[30:31]
	s_andn2_b64 exec, exec, s[94:95]
	s_cbranch_execz .LBB2_479
.LBB2_475:                              ;   Parent Loop BB2_47 Depth=1
                                        ;     Parent Loop BB2_265 Depth=2
                                        ; =>    This Inner Loop Header: Depth=3
	s_add_i32 s56, s56, 1
	s_cmpk_lg_i32 s56, 0x2710
	s_cselect_b64 s[36:37], -1, 0
	s_and_b64 vcc, exec, s[36:37]
	s_cbranch_vccz .LBB2_477
; %bb.476:                              ;   in Loop: Header=BB2_475 Depth=3
	s_mov_b64 vcc, -1
	s_or_b64 s[34:35], s[34:35], exec
	s_and_saveexec_b64 s[38:39], s[36:37]
	s_cbranch_execz .LBB2_474
	s_branch .LBB2_478
.LBB2_477:                              ;   in Loop: Header=BB2_475 Depth=3
	s_trap 2
	ds_read_b64 v[10:11], v0
	s_andn2_b64 s[36:37], s[36:37], exec
	s_mov_b32 s56, 0
	s_waitcnt vmcnt(0) lgkmcnt(0)
	flat_load_dword v2, v[10:11] sc0 sc1
	s_waitcnt vmcnt(0) lgkmcnt(0)
	buffer_inv sc0 sc1
	v_cmp_eq_u32_e32 vcc, 0, v2
	s_and_b64 vcc, vcc, exec
	s_or_b64 s[36:37], s[36:37], vcc
	s_mov_b64 vcc, -1
	s_or_b64 s[34:35], s[34:35], exec
	s_and_saveexec_b64 s[38:39], s[36:37]
	s_cbranch_execz .LBB2_474
.LBB2_478:                              ;   in Loop: Header=BB2_475 Depth=3
	s_sleep 1
	s_trap 2
	ds_read_b64 v[10:11], v0
	s_waitcnt lgkmcnt(0)
	s_andn2_b64 s[34:35], s[34:35], exec
	v_cmp_ge_u64_e32 vcc, v[10:11], v[32:33]
	s_orn2_b64 vcc, vcc, exec
	s_branch .LBB2_474
.LBB2_479:                              ;   in Loop: Header=BB2_265 Depth=2
	s_or_b64 exec, exec, s[94:95]
	s_and_saveexec_b64 s[94:95], s[30:31]
	s_xor_b64 s[94:95], exec, s[94:95]
	s_cbranch_execz .LBB2_481
; %bb.480:                              ;   in Loop: Header=BB2_265 Depth=2
	ds_write_b32 v0, v57
	s_trap 2
.LBB2_481:                              ;   in Loop: Header=BB2_265 Depth=2
	s_or_b64 exec, exec, s[92:93]
	;;#ASMSTART
	s_wakeup
	;;#ASMEND
.LBB2_482:                              ;   in Loop: Header=BB2_265 Depth=2
	s_or_b64 exec, exec, s[90:91]
.LBB2_483:                              ;   in Loop: Header=BB2_265 Depth=2
	s_andn2_saveexec_b64 s[28:29], s[28:29]
	s_cbranch_execz .LBB2_485
; %bb.484:                              ;   in Loop: Header=BB2_265 Depth=2
	;;#ASMSTART
	s_waitcnt lgkmcnt(0) vmcnt(0)
	;;#ASMEND
	s_barrier
.LBB2_485:                              ;   in Loop: Header=BB2_265 Depth=2
	s_or_b64 exec, exec, s[28:29]
.LBB2_486:                              ;   in Loop: Header=BB2_265 Depth=2
	s_or_b64 exec, exec, s[26:27]
	v_cmp_ne_u32_e32 vcc, 0, v8
	s_xor_b64 s[26:27], s[10:11], -1
	s_and_b64 s[28:29], vcc, s[26:27]
	s_and_saveexec_b64 s[26:27], s[28:29]
	s_cbranch_execz .LBB2_488
; %bb.487:                              ;   in Loop: Header=BB2_265 Depth=2
	flat_store_dword v[28:29], v57 sc0 sc1
.LBB2_488:                              ;   in Loop: Header=BB2_265 Depth=2
	s_or_b64 exec, exec, s[26:27]
	v_and_b32_e32 v2, 48, v46
	v_cmp_ne_u32_e32 vcc, 0, v2
	s_and_saveexec_b64 s[26:27], vcc
	s_cbranch_execz .LBB2_490
; %bb.489:                              ;   in Loop: Header=BB2_265 Depth=2
	v_lshl_add_u64 v[96:97], v[96:97], 0, 4
	flat_store_dwordx2 v[22:23], v[96:97] sc0 sc1
.LBB2_490:                              ;   in Loop: Header=BB2_265 Depth=2
	s_or_b64 exec, exec, s[26:27]
	v_mov_b32_e32 v2, v102
.LBB2_491:                              ;   in Loop: Header=BB2_265 Depth=2
	s_or_b64 exec, exec, s[42:43]
	s_and_saveexec_b64 s[28:29], s[40:41]
	s_cbranch_execz .LBB2_264
; %bb.492:                              ;   in Loop: Header=BB2_265 Depth=2
	v_sub_u32_e32 v2, v42, v2
	v_min_i32_e32 v8, v102, v2
	v_and_b32_e32 v2, 12, v46
	v_cmp_ne_u32_e32 vcc, 0, v2
	s_and_saveexec_b64 s[40:41], vcc
	s_cbranch_execz .LBB2_502
; %bb.493:                              ;   in Loop: Header=BB2_265 Depth=2
	v_and_b32_e32 v2, 8, v46
	s_waitcnt vmcnt(0) lgkmcnt(0)
	v_lshl_add_u64 v[12:13], v[34:35], 0, v[2:3]
	v_lshl_add_u64 v[10:11], v[96:97], 0, 4
	v_cmp_lt_u64_e32 vcc, v[12:13], v[10:11]
	s_and_saveexec_b64 s[42:43], vcc
	s_cbranch_execz .LBB2_518
; %bb.494:                              ;   in Loop: Header=BB2_265 Depth=2
	v_and_b32_e32 v9, 64, v46
	s_mov_b32 s56, 0
	v_cmp_eq_u32_e32 vcc, 0, v9
	s_mov_b64 s[90:91], 0
                                        ; implicit-def: $sgpr92_sgpr93
                                        ; implicit-def: $sgpr94_sgpr95
                                        ; implicit-def: $sgpr30_sgpr31
	s_branch .LBB2_498
.LBB2_495:                              ;   in Loop: Header=BB2_498 Depth=3
	s_waitcnt vmcnt(0) lgkmcnt(0)
	v_lshl_add_u64 v[12:13], v[34:35], 0, v[2:3]
	v_cmp_ge_u64_e64 s[26:27], v[12:13], v[10:11]
	s_or_b64 s[38:39], s[38:39], exec
	s_orn2_b64 s[36:37], s[26:27], exec
.LBB2_496:                              ;   in Loop: Header=BB2_498 Depth=3
	s_or_b64 exec, exec, s[50:51]
	s_andn2_b64 s[26:27], s[30:31], exec
	s_and_b64 s[30:31], s[38:39], exec
	s_or_b64 s[30:31], s[26:27], s[30:31]
	s_andn2_b64 s[26:27], s[94:95], exec
	s_and_b64 s[94:95], s[36:37], exec
	s_or_b64 s[94:95], s[26:27], s[94:95]
.LBB2_497:                              ;   in Loop: Header=BB2_498 Depth=3
	s_or_b64 exec, exec, s[34:35]
	s_and_b64 s[26:27], exec, s[94:95]
	s_or_b64 s[90:91], s[26:27], s[90:91]
	s_andn2_b64 s[26:27], s[92:93], exec
	s_and_b64 s[92:93], s[30:31], exec
	s_or_b64 s[92:93], s[26:27], s[92:93]
	s_andn2_b64 exec, exec, s[90:91]
	s_cbranch_execz .LBB2_515
.LBB2_498:                              ;   Parent Loop BB2_47 Depth=1
                                        ;     Parent Loop BB2_265 Depth=2
                                        ; =>    This Inner Loop Header: Depth=3
	s_sleep 1
	s_waitcnt vmcnt(0) lgkmcnt(0)
	flat_load_dwordx2 v[34:35], v[22:23] sc0 sc1
	s_or_b64 s[30:31], s[30:31], exec
	s_or_b64 s[94:95], s[94:95], exec
                                        ; implicit-def: $vgpr9
	s_and_saveexec_b64 s[34:35], vcc
	s_cbranch_execz .LBB2_497
; %bb.499:                              ;   in Loop: Header=BB2_498 Depth=3
	s_cmpk_lt_i32 s56, 0x270f
	s_cselect_b64 s[48:49], -1, 0
	s_cmpk_gt_i32 s56, 0x270e
	s_mov_b64 s[36:37], -1
	s_cbranch_scc0 .LBB2_501
; %bb.500:                              ;   in Loop: Header=BB2_498 Depth=3
	s_trap 2
	ds_read_b64 v[12:13], v0
	s_andn2_b64 s[48:49], s[48:49], exec
	s_mov_b32 s56, 0
	s_mov_b64 s[38:39], 0
	s_waitcnt vmcnt(0) lgkmcnt(0)
	flat_load_dword v9, v[12:13] sc0 sc1
	s_waitcnt vmcnt(0) lgkmcnt(0)
	buffer_inv sc0 sc1
	v_cmp_eq_u32_e64 s[26:27], 0, v9
	s_and_b64 s[26:27], s[26:27], exec
	s_or_b64 s[48:49], s[48:49], s[26:27]
	s_and_saveexec_b64 s[50:51], s[48:49]
	s_cbranch_execz .LBB2_496
	s_branch .LBB2_495
.LBB2_501:                              ;   in Loop: Header=BB2_498 Depth=3
	s_add_i32 s56, s56, 1
	s_mov_b64 s[38:39], -1
                                        ; implicit-def: $vgpr9
	s_and_saveexec_b64 s[50:51], s[48:49]
	s_cbranch_execz .LBB2_496
	s_branch .LBB2_495
.LBB2_502:                              ;   in Loop: Header=BB2_265 Depth=2
	s_or_b64 exec, exec, s[40:41]
	s_and_saveexec_b64 s[26:27], s[6:7]
	s_cbranch_execnz .LBB2_531
.LBB2_503:                              ;   in Loop: Header=BB2_265 Depth=2
	s_or_b64 exec, exec, s[26:27]
                                        ; implicit-def: $vgpr2
	s_and_saveexec_b64 s[26:27], s[78:79]
	s_xor_b64 s[26:27], exec, s[26:27]
	s_cbranch_execz .LBB2_556
.LBB2_504:                              ;   in Loop: Header=BB2_265 Depth=2
	s_and_saveexec_b64 s[40:41], s[58:59]
	s_xor_b64 s[40:41], exec, s[40:41]
	s_cbranch_execz .LBB2_546
; %bb.505:                              ;   in Loop: Header=BB2_265 Depth=2
	s_and_saveexec_b64 s[42:43], s[14:15]
	s_cbranch_execz .LBB2_545
; %bb.506:                              ;   in Loop: Header=BB2_265 Depth=2
	s_mov_b64 s[92:93], exec
	v_mbcnt_lo_u32_b32 v2, s92, 0
	v_mbcnt_hi_u32_b32 v2, s93, v2
	v_cmp_eq_u32_e32 vcc, 0, v2
	;;#ASMSTART
	s_waitcnt lgkmcnt(0) vmcnt(0)
	;;#ASMEND
	s_and_saveexec_b64 s[90:91], vcc
	s_cbranch_execz .LBB2_508
; %bb.507:                              ;   in Loop: Header=BB2_265 Depth=2
	s_bcnt1_i32_b64 s56, s[92:93]
	v_mov_b32_e32 v2, s56
	s_waitcnt lgkmcnt(0)
	ds_add_u64 v0, v[2:3]
	s_trap 2
.LBB2_508:                              ;   in Loop: Header=BB2_265 Depth=2
	s_or_b64 exec, exec, s[90:91]
	s_trap 2
	ds_read_b64 v[8:9], v0
	s_waitcnt lgkmcnt(0)
	v_lshl_add_u64 v[32:33], v[32:33], 0, v[36:37]
	v_cmp_lt_u64_e32 vcc, v[8:9], v[32:33]
	s_and_saveexec_b64 s[90:91], vcc
	s_cbranch_execz .LBB2_544
; %bb.509:                              ;   in Loop: Header=BB2_265 Depth=2
	s_mov_b32 s56, 0
	s_mov_b64 s[92:93], 0
                                        ; implicit-def: $sgpr94_sgpr95
                                        ; implicit-def: $sgpr30_sgpr31
	s_branch .LBB2_511
.LBB2_510:                              ;   in Loop: Header=BB2_511 Depth=3
	s_or_b64 exec, exec, s[36:37]
	s_and_b64 vcc, exec, vcc
	s_or_b64 s[92:93], vcc, s[92:93]
	s_andn2_b64 s[94:95], s[94:95], exec
	s_and_b64 vcc, s[30:31], exec
	s_or_b64 s[94:95], s[94:95], vcc
	s_andn2_b64 exec, exec, s[92:93]
	s_cbranch_execz .LBB2_542
.LBB2_511:                              ;   Parent Loop BB2_47 Depth=1
                                        ;     Parent Loop BB2_265 Depth=2
                                        ; =>    This Inner Loop Header: Depth=3
	s_add_i32 s56, s56, 1
	s_cmpk_lg_i32 s56, 0x2710
	s_cselect_b64 s[34:35], -1, 0
	s_and_b64 vcc, exec, s[34:35]
	s_cbranch_vccz .LBB2_513
; %bb.512:                              ;   in Loop: Header=BB2_511 Depth=3
	s_mov_b64 vcc, -1
	s_or_b64 s[30:31], s[30:31], exec
	s_and_saveexec_b64 s[36:37], s[34:35]
	s_cbranch_execz .LBB2_510
	s_branch .LBB2_514
.LBB2_513:                              ;   in Loop: Header=BB2_511 Depth=3
	s_trap 2
	ds_read_b64 v[8:9], v0
	s_andn2_b64 s[34:35], s[34:35], exec
	s_mov_b32 s56, 0
	s_waitcnt vmcnt(0) lgkmcnt(0)
	flat_load_dword v2, v[8:9] sc0 sc1
	s_waitcnt vmcnt(0) lgkmcnt(0)
	buffer_inv sc0 sc1
	v_cmp_eq_u32_e32 vcc, 0, v2
	s_and_b64 vcc, vcc, exec
	s_or_b64 s[34:35], s[34:35], vcc
	s_mov_b64 vcc, -1
	s_or_b64 s[30:31], s[30:31], exec
	s_and_saveexec_b64 s[36:37], s[34:35]
	s_cbranch_execz .LBB2_510
.LBB2_514:                              ;   in Loop: Header=BB2_511 Depth=3
	s_sleep 1
	s_trap 2
	ds_read_b64 v[8:9], v0
	s_waitcnt lgkmcnt(0)
	s_andn2_b64 s[30:31], s[30:31], exec
	v_cmp_ge_u64_e32 vcc, v[8:9], v[32:33]
	s_orn2_b64 vcc, vcc, exec
	s_branch .LBB2_510
.LBB2_515:                              ;   in Loop: Header=BB2_265 Depth=2
	s_or_b64 exec, exec, s[90:91]
	s_xor_b64 s[26:27], s[92:93], -1
	s_and_saveexec_b64 s[90:91], s[26:27]
	s_xor_b64 s[26:27], exec, s[90:91]
	s_cbranch_execz .LBB2_517
; %bb.516:                              ;   in Loop: Header=BB2_265 Depth=2
	v_or_b32_e32 v46, 64, v46
	s_waitcnt lgkmcnt(0)
	ds_write_b32 v0, v9
	s_trap 2
.LBB2_517:                              ;   in Loop: Header=BB2_265 Depth=2
	s_or_b64 exec, exec, s[26:27]
.LBB2_518:                              ;   in Loop: Header=BB2_265 Depth=2
	s_or_b64 exec, exec, s[42:43]
	v_and_b32_e32 v9, 0x108, v46
	v_cmp_ne_u32_e32 vcc, s64, v9
	;;#ASMSTART
	s_wakeup
	;;#ASMEND
                                        ; implicit-def: $vgpr12_vgpr13
	s_and_saveexec_b64 s[26:27], vcc
	s_xor_b64 s[26:27], exec, s[26:27]
; %bb.519:                              ;   in Loop: Header=BB2_265 Depth=2
	v_and_b32_e32 v12, 7, v96
	v_mov_b32_e32 v13, v3
                                        ; implicit-def: $vgpr96_vgpr97
; %bb.520:                              ;   in Loop: Header=BB2_265 Depth=2
	s_andn2_saveexec_b64 s[26:27], s[26:27]
	s_cbranch_execz .LBB2_522
; %bb.521:                              ;   in Loop: Header=BB2_265 Depth=2
	v_and_b32_e32 v12, 7, v96
	v_ashrrev_i32_e32 v9, 31, v8
	v_mov_b32_e32 v13, v3
	v_mad_u64_u32 v[14:15], s[42:43], v12, 24, v[6:7]
	v_lshlrev_b64 v[96:97], 1, v[8:9]
	flat_store_dwordx2 v[14:15], v[96:97] offset:8
.LBB2_522:                              ;   in Loop: Header=BB2_265 Depth=2
	s_or_b64 exec, exec, s[26:27]
	v_and_b32_e32 v9, 0x100, v46
	v_cmp_ne_u32_e32 vcc, 0, v9
	s_mov_b64 s[26:27], -1
                                        ; implicit-def: $vgpr14_vgpr15
	s_and_saveexec_b64 s[42:43], vcc
	s_cbranch_execz .LBB2_526
; %bb.523:                              ;   in Loop: Header=BB2_265 Depth=2
	v_mad_u64_u32 v[96:97], s[26:27], v12, 24, v[6:7]
	v_mov_b32_e32 v14, v97
	v_mad_u64_u32 v[14:15], s[26:27], v13, 24, v[14:15]
	v_mov_b32_e32 v97, v14
	flat_load_dword v9, v[96:97]
                                        ; implicit-def: $vgpr14_vgpr15
	s_waitcnt vmcnt(0) lgkmcnt(0)
	v_cmp_ne_u32_e32 vcc, 1, v9
	v_cmp_eq_u32_e64 s[26:27], 1, v9
	s_and_saveexec_b64 s[90:91], s[26:27]
	s_cbranch_execz .LBB2_525
; %bb.524:                              ;   in Loop: Header=BB2_265 Depth=2
	flat_load_dword v14, v[96:97] offset:4 sc0 sc1
	s_waitcnt vmcnt(0) lgkmcnt(0)
	v_ashrrev_i32_e32 v15, 31, v14
	v_lshrrev_b64 v[14:15], 1, v[14:15]
.LBB2_525:                              ;   in Loop: Header=BB2_265 Depth=2
	s_or_b64 exec, exec, s[90:91]
	s_orn2_b64 s[26:27], vcc, exec
.LBB2_526:                              ;   in Loop: Header=BB2_265 Depth=2
	s_or_b64 exec, exec, s[42:43]
	s_and_saveexec_b64 s[42:43], s[26:27]
; %bb.527:                              ;   in Loop: Header=BB2_265 Depth=2
	v_mul_lo_u32 v9, v13, v24
	v_mul_lo_u32 v13, v12, v25
	v_mad_u64_u32 v[14:15], s[26:27], v12, v24, 0
	v_add3_u32 v15, v15, v13, v9
; %bb.528:                              ;   in Loop: Header=BB2_265 Depth=2
	s_or_b64 exec, exec, s[42:43]
	v_cmp_eq_u32_e32 vcc, 0, v2
	v_lshl_add_u64 v[12:13], v[14:15], 1, v[26:27]
	s_nop 0
	v_cndmask_b32_e32 v2, v58, v59, vcc
	v_add_u32_e32 v2, v0, v2
	ds_write_b64 v2, v[12:13] offset:584
	v_and_b32_e32 v2, 0x2000, v46
	v_cmp_ne_u32_e32 vcc, 0, v2
	s_and_saveexec_b64 s[26:27], vcc
	s_cbranch_execz .LBB2_530
; %bb.529:                              ;   in Loop: Header=BB2_265 Depth=2
	ds_read_b64 v[12:13], v0 offset:872
	s_waitcnt lgkmcnt(0)
	v_lshl_add_u64 v[12:13], v[12:13], 0, 1
	ds_write_b64 v0, v[12:13] offset:872
.LBB2_530:                              ;   in Loop: Header=BB2_265 Depth=2
	s_or_b64 exec, exec, s[26:27]
	v_mov_b64_e32 v[96:97], v[10:11]
	s_or_b64 exec, exec, s[40:41]
	s_and_saveexec_b64 s[26:27], s[6:7]
	s_cbranch_execz .LBB2_503
.LBB2_531:                              ;   in Loop: Header=BB2_265 Depth=2
	s_and_saveexec_b64 s[40:41], s[58:59]
	s_xor_b64 s[40:41], exec, s[40:41]
	s_cbranch_execz .LBB2_553
; %bb.532:                              ;   in Loop: Header=BB2_265 Depth=2
	s_and_saveexec_b64 s[42:43], s[14:15]
	s_cbranch_execz .LBB2_552
; %bb.533:                              ;   in Loop: Header=BB2_265 Depth=2
	s_mov_b64 s[92:93], exec
	v_mbcnt_lo_u32_b32 v2, s92, 0
	v_mbcnt_hi_u32_b32 v2, s93, v2
	v_cmp_eq_u32_e32 vcc, 0, v2
	s_waitcnt lgkmcnt(0)
	s_and_saveexec_b64 s[90:91], vcc
	s_cbranch_execz .LBB2_535
; %bb.534:                              ;   in Loop: Header=BB2_265 Depth=2
	s_bcnt1_i32_b64 s56, s[92:93]
	v_mov_b32_e32 v2, s56
	ds_add_u64 v0, v[2:3]
	s_trap 2
.LBB2_535:                              ;   in Loop: Header=BB2_265 Depth=2
	s_or_b64 exec, exec, s[90:91]
	s_trap 2
	ds_read_b64 v[10:11], v0
	s_waitcnt lgkmcnt(0)
	v_lshl_add_u64 v[32:33], v[32:33], 0, v[36:37]
	v_cmp_lt_u64_e32 vcc, v[10:11], v[32:33]
	s_and_saveexec_b64 s[90:91], vcc
	s_cbranch_execz .LBB2_551
; %bb.536:                              ;   in Loop: Header=BB2_265 Depth=2
	s_mov_b32 s56, 0
	s_mov_b64 s[92:93], 0
                                        ; implicit-def: $sgpr94_sgpr95
                                        ; implicit-def: $sgpr30_sgpr31
	s_branch .LBB2_538
.LBB2_537:                              ;   in Loop: Header=BB2_538 Depth=3
	s_or_b64 exec, exec, s[36:37]
	s_and_b64 vcc, exec, vcc
	s_or_b64 s[92:93], vcc, s[92:93]
	s_andn2_b64 s[94:95], s[94:95], exec
	s_and_b64 vcc, s[30:31], exec
	s_or_b64 s[94:95], s[94:95], vcc
	s_andn2_b64 exec, exec, s[92:93]
	s_cbranch_execz .LBB2_549
.LBB2_538:                              ;   Parent Loop BB2_47 Depth=1
                                        ;     Parent Loop BB2_265 Depth=2
                                        ; =>    This Inner Loop Header: Depth=3
	s_add_i32 s56, s56, 1
	s_cmpk_lg_i32 s56, 0x2710
	s_cselect_b64 s[34:35], -1, 0
	s_and_b64 vcc, exec, s[34:35]
	s_cbranch_vccz .LBB2_540
; %bb.539:                              ;   in Loop: Header=BB2_538 Depth=3
	s_mov_b64 vcc, -1
	s_or_b64 s[30:31], s[30:31], exec
	s_and_saveexec_b64 s[36:37], s[34:35]
	s_cbranch_execz .LBB2_537
	s_branch .LBB2_541
.LBB2_540:                              ;   in Loop: Header=BB2_538 Depth=3
	s_trap 2
	ds_read_b64 v[10:11], v0
	s_andn2_b64 s[34:35], s[34:35], exec
	s_mov_b32 s56, 0
	s_waitcnt vmcnt(0) lgkmcnt(0)
	flat_load_dword v2, v[10:11] sc0 sc1
	s_waitcnt vmcnt(0) lgkmcnt(0)
	buffer_inv sc0 sc1
	v_cmp_eq_u32_e32 vcc, 0, v2
	s_and_b64 vcc, vcc, exec
	s_or_b64 s[34:35], s[34:35], vcc
	s_mov_b64 vcc, -1
	s_or_b64 s[30:31], s[30:31], exec
	s_and_saveexec_b64 s[36:37], s[34:35]
	s_cbranch_execz .LBB2_537
.LBB2_541:                              ;   in Loop: Header=BB2_538 Depth=3
	s_sleep 1
	s_trap 2
	ds_read_b64 v[10:11], v0
	s_waitcnt lgkmcnt(0)
	s_andn2_b64 s[30:31], s[30:31], exec
	v_cmp_ge_u64_e32 vcc, v[10:11], v[32:33]
	s_orn2_b64 vcc, vcc, exec
	s_branch .LBB2_537
.LBB2_542:                              ;   in Loop: Header=BB2_265 Depth=2
	s_or_b64 exec, exec, s[92:93]
	s_and_saveexec_b64 s[92:93], s[94:95]
	s_xor_b64 s[92:93], exec, s[92:93]
	s_cbranch_execz .LBB2_544
; %bb.543:                              ;   in Loop: Header=BB2_265 Depth=2
	ds_write_b32 v0, v57
	s_trap 2
.LBB2_544:                              ;   in Loop: Header=BB2_265 Depth=2
	s_or_b64 exec, exec, s[90:91]
	;;#ASMSTART
	s_wakeup
	;;#ASMEND
.LBB2_545:                              ;   in Loop: Header=BB2_265 Depth=2
	s_or_b64 exec, exec, s[42:43]
.LBB2_546:                              ;   in Loop: Header=BB2_265 Depth=2
	s_andn2_saveexec_b64 s[40:41], s[40:41]
	s_cbranch_execz .LBB2_548
; %bb.547:                              ;   in Loop: Header=BB2_265 Depth=2
	;;#ASMSTART
	s_waitcnt lgkmcnt(0) vmcnt(0)
	;;#ASMEND
	s_barrier
.LBB2_548:                              ;   in Loop: Header=BB2_265 Depth=2
	s_or_b64 exec, exec, s[40:41]
	v_and_b32_e32 v2, 16, v46
                                        ; implicit-def: $vgpr8
	s_andn2_saveexec_b64 s[26:27], s[26:27]
	s_cbranch_execz .LBB2_560
	s_branch .LBB2_557
.LBB2_549:                              ;   in Loop: Header=BB2_265 Depth=2
	s_or_b64 exec, exec, s[92:93]
	s_and_saveexec_b64 s[92:93], s[94:95]
	s_xor_b64 s[92:93], exec, s[92:93]
	s_cbranch_execz .LBB2_551
; %bb.550:                              ;   in Loop: Header=BB2_265 Depth=2
	ds_write_b32 v0, v57
	s_trap 2
.LBB2_551:                              ;   in Loop: Header=BB2_265 Depth=2
	s_or_b64 exec, exec, s[90:91]
	;;#ASMSTART
	s_wakeup
	;;#ASMEND
.LBB2_552:                              ;   in Loop: Header=BB2_265 Depth=2
	s_or_b64 exec, exec, s[42:43]
.LBB2_553:                              ;   in Loop: Header=BB2_265 Depth=2
	s_andn2_saveexec_b64 s[40:41], s[40:41]
	s_cbranch_execz .LBB2_555
; %bb.554:                              ;   in Loop: Header=BB2_265 Depth=2
	s_waitcnt lgkmcnt(0)
	s_barrier
.LBB2_555:                              ;   in Loop: Header=BB2_265 Depth=2
	s_or_b64 exec, exec, s[40:41]
	s_or_b64 exec, exec, s[26:27]
                                        ; implicit-def: $vgpr2
	s_and_saveexec_b64 s[26:27], s[78:79]
	s_xor_b64 s[26:27], exec, s[26:27]
	s_cbranch_execnz .LBB2_504
.LBB2_556:                              ;   in Loop: Header=BB2_265 Depth=2
	s_andn2_saveexec_b64 s[26:27], s[26:27]
	s_cbranch_execz .LBB2_560
.LBB2_557:                              ;   in Loop: Header=BB2_265 Depth=2
	s_trap 2
	ds_read_b32 v9, v0
	v_cmp_lt_i32_e32 vcc, 0, v8
	v_and_b32_e32 v8, 16, v46
	v_and_b32_e32 v2, 16, v46
	s_waitcnt lgkmcnt(0)
	v_readfirstlane_b32 s40, v9
	s_cmp_eq_u32 s40, 0
	s_cselect_b64 s[40:41], -1, 0
	s_and_b64 s[40:41], vcc, s[40:41]
	v_cmp_ne_u32_e32 vcc, 0, v8
	s_and_b64 s[42:43], vcc, s[40:41]
	s_and_saveexec_b64 s[40:41], s[42:43]
	s_cbranch_execz .LBB2_559
; %bb.558:                              ;   in Loop: Header=BB2_265 Depth=2
	v_mov_b32_e32 v2, 1
	buffer_wbl2 sc1
	s_waitcnt vmcnt(0)
	buffer_inv sc1
.LBB2_559:                              ;   in Loop: Header=BB2_265 Depth=2
	s_or_b64 exec, exec, s[40:41]
.LBB2_560:                              ;   in Loop: Header=BB2_265 Depth=2
	s_or_b64 exec, exec, s[26:27]
	v_cmp_ne_u32_e32 vcc, 0, v2
	s_xor_b64 s[26:27], s[10:11], -1
	s_and_b64 s[40:41], vcc, s[26:27]
	s_and_saveexec_b64 s[26:27], s[40:41]
	s_cbranch_execz .LBB2_562
; %bb.561:                              ;   in Loop: Header=BB2_265 Depth=2
	flat_store_dword v[28:29], v57 sc0 sc1
.LBB2_562:                              ;   in Loop: Header=BB2_265 Depth=2
	s_or_b64 exec, exec, s[26:27]
	v_and_b32_e32 v2, 48, v46
	v_cmp_ne_u32_e32 vcc, 0, v2
	s_and_saveexec_b64 s[26:27], vcc
	s_cbranch_execz .LBB2_263
; %bb.563:                              ;   in Loop: Header=BB2_265 Depth=2
	v_lshl_add_u64 v[96:97], v[96:97], 0, 4
	flat_store_dwordx2 v[22:23], v[96:97] sc0 sc1
	s_branch .LBB2_263
.LBB2_564:                              ;   in Loop: Header=BB2_47 Depth=1
	v_mul_lo_u32 v2, v87, s54
	v_mul_lo_u32 v10, v86, s55
	v_mad_u64_u32 v[8:9], s[26:27], v86, s54, 0
	v_add3_u32 v9, v9, v10, v2
	v_sub_co_u32_e32 v10, vcc, v98, v8
	v_mov_b32_e32 v2, 0
	s_nop 0
	v_subb_co_u32_e32 v11, vcc, v99, v9, vcc
	v_cmp_lt_i64_e32 vcc, v[86:87], v[10:11]
	s_nop 1
	v_cndmask_b32_e32 v10, v10, v86, vcc
	v_max_i32_e32 v62, 0, v10
	v_add_u32_e32 v11, 15, v62
	v_ashrrev_i32_e32 v12, 31, v11
	v_lshrrev_b32_e32 v12, 28, v12
	v_add_u32_e32 v11, v11, v12
	v_cmp_gt_i32_e32 vcc, 1, v10
	v_and_b32_e32 v11, -16, v11
	s_or_b64 s[90:91], s[2:3], vcc
	v_max_i32_e32 v102, s71, v11
	s_xor_b64 s[26:27], s[90:91], -1
	s_and_saveexec_b64 s[92:93], s[26:27]
	s_cbranch_execz .LBB2_570
; %bb.565:                              ;   in Loop: Header=BB2_47 Depth=1
	s_and_saveexec_b64 s[26:27], s[0:1]
	s_cbranch_execz .LBB2_567
; %bb.566:                              ;   in Loop: Header=BB2_47 Depth=1
	s_trap 2
	ds_read2_b64 v[10:13], v0 offset1:1
	ds_read_b64 v[14:15], v0
	v_lshl_add_u64 v[8:9], v[8:9], 0, v[100:101]
	v_lshlrev_b64 v[8:9], 1, v[8:9]
	s_waitcnt lgkmcnt(0)
	v_lshl_add_u64 v[10:11], v[10:11], 0, v[8:9]
	ds_write_b64 v0, v[10:11]
	v_lshl_add_u64 v[10:11], v[12:13], 0, v[8:9]
	v_lshl_add_u64 v[8:9], v[14:15], 0, v[8:9]
	v_cmp_ne_u64_e32 vcc, 0, v[14:15]
	ds_write_b64 v0, v[10:11]
	s_nop 0
	v_cndmask_b32_e32 v9, 0, v9, vcc
	v_cndmask_b32_e32 v8, 0, v8, vcc
	ds_write_b64 v0, v[8:9]
.LBB2_567:                              ;   in Loop: Header=BB2_47 Depth=1
	s_or_b64 exec, exec, s[26:27]
	v_and_b32_e32 v2, 12, v46
	v_min_i32_e32 v102, v102, v62
	v_cmp_ne_u32_e32 vcc, 0, v2
	s_and_saveexec_b64 s[28:29], vcc
	s_cbranch_execz .LBB2_604
; %bb.568:                              ;   in Loop: Header=BB2_47 Depth=1
	v_and_b32_e32 v2, 8, v46
	s_waitcnt vmcnt(0) lgkmcnt(0)
	v_lshl_add_u64 v[10:11], v[34:35], 0, v[2:3]
	v_lshl_add_u64 v[8:9], v[96:97], 0, 4
	v_cmp_lt_u64_e32 vcc, v[10:11], v[8:9]
	s_and_saveexec_b64 s[40:41], vcc
	s_cbranch_execz .LBB2_591
; %bb.569:                              ;   in Loop: Header=BB2_47 Depth=1
	v_and_b32_e32 v10, 64, v46
	s_mov_b32 s56, 0
	v_cmp_eq_u32_e32 vcc, 0, v10
	s_mov_b64 s[42:43], 0
                                        ; implicit-def: $sgpr94_sgpr95
                                        ; implicit-def: $sgpr30_sgpr31
                                        ; implicit-def: $sgpr34_sgpr35
	s_branch .LBB2_577
.LBB2_570:                              ;   in Loop: Header=BB2_47 Depth=1
	s_or_b64 exec, exec, s[92:93]
	s_and_saveexec_b64 s[28:29], s[90:91]
	s_cbranch_execz .LBB2_983
.LBB2_571:                              ;   in Loop: Header=BB2_47 Depth=1
	v_sub_u32_e32 v2, v62, v2
	v_min_i32_e32 v8, v102, v2
	v_and_b32_e32 v2, 12, v46
	v_cmp_ne_u32_e32 vcc, 0, v2
	s_and_saveexec_b64 s[40:41], vcc
	s_cbranch_execz .LBB2_632
; %bb.572:                              ;   in Loop: Header=BB2_47 Depth=1
	v_and_b32_e32 v2, 8, v46
	s_waitcnt vmcnt(0) lgkmcnt(0)
	v_lshl_add_u64 v[12:13], v[34:35], 0, v[2:3]
	v_lshl_add_u64 v[10:11], v[96:97], 0, 4
	v_cmp_lt_u64_e32 vcc, v[12:13], v[10:11]
	s_and_saveexec_b64 s[42:43], vcc
	s_cbranch_execz .LBB2_619
; %bb.573:                              ;   in Loop: Header=BB2_47 Depth=1
	v_and_b32_e32 v9, 64, v46
	s_mov_b32 s56, 0
	v_cmp_eq_u32_e32 vcc, 0, v9
	s_mov_b64 s[90:91], 0
                                        ; implicit-def: $sgpr92_sgpr93
                                        ; implicit-def: $sgpr94_sgpr95
                                        ; implicit-def: $sgpr30_sgpr31
	s_branch .LBB2_584
.LBB2_574:                              ;   in Loop: Header=BB2_577 Depth=2
	s_waitcnt vmcnt(0) lgkmcnt(0)
	v_lshl_add_u64 v[12:13], v[34:35], 0, v[2:3]
	v_cmp_ge_u64_e64 s[26:27], v[12:13], v[8:9]
	s_or_b64 s[48:49], s[48:49], exec
	s_orn2_b64 s[38:39], s[26:27], exec
.LBB2_575:                              ;   in Loop: Header=BB2_577 Depth=2
	s_or_b64 exec, exec, s[52:53]
	s_andn2_b64 s[26:27], s[34:35], exec
	s_and_b64 s[34:35], s[48:49], exec
	s_or_b64 s[34:35], s[26:27], s[34:35]
	s_andn2_b64 s[26:27], s[30:31], exec
	s_and_b64 s[30:31], s[38:39], exec
	s_or_b64 s[30:31], s[26:27], s[30:31]
.LBB2_576:                              ;   in Loop: Header=BB2_577 Depth=2
	s_or_b64 exec, exec, s[36:37]
	s_and_b64 s[26:27], exec, s[30:31]
	s_or_b64 s[42:43], s[26:27], s[42:43]
	s_andn2_b64 s[26:27], s[94:95], exec
	s_and_b64 s[94:95], s[34:35], exec
	s_or_b64 s[94:95], s[26:27], s[94:95]
	s_andn2_b64 exec, exec, s[42:43]
	s_cbranch_execz .LBB2_588
.LBB2_577:                              ;   Parent Loop BB2_47 Depth=1
                                        ; =>  This Inner Loop Header: Depth=2
	s_sleep 1
	s_waitcnt vmcnt(0) lgkmcnt(0)
	flat_load_dwordx2 v[34:35], v[22:23] sc0 sc1
	s_or_b64 s[34:35], s[34:35], exec
	s_or_b64 s[30:31], s[30:31], exec
                                        ; implicit-def: $vgpr10
	s_and_saveexec_b64 s[36:37], vcc
	s_cbranch_execz .LBB2_576
; %bb.578:                              ;   in Loop: Header=BB2_577 Depth=2
	s_cmpk_lt_i32 s56, 0x270f
	s_cselect_b64 s[50:51], -1, 0
	s_cmpk_gt_i32 s56, 0x270e
	s_mov_b64 s[38:39], -1
	s_cbranch_scc0 .LBB2_580
; %bb.579:                              ;   in Loop: Header=BB2_577 Depth=2
	s_trap 2
	ds_read_b64 v[10:11], v0
	s_andn2_b64 s[50:51], s[50:51], exec
	s_mov_b32 s56, 0
	s_mov_b64 s[48:49], 0
	s_waitcnt vmcnt(0) lgkmcnt(0)
	flat_load_dword v10, v[10:11] sc0 sc1
	s_waitcnt vmcnt(0) lgkmcnt(0)
	buffer_inv sc0 sc1
	v_cmp_eq_u32_e64 s[26:27], 0, v10
	s_and_b64 s[26:27], s[26:27], exec
	s_or_b64 s[50:51], s[50:51], s[26:27]
	s_and_saveexec_b64 s[52:53], s[50:51]
	s_cbranch_execz .LBB2_575
	s_branch .LBB2_574
.LBB2_580:                              ;   in Loop: Header=BB2_577 Depth=2
	s_add_i32 s56, s56, 1
	s_mov_b64 s[48:49], -1
                                        ; implicit-def: $vgpr10
	s_and_saveexec_b64 s[52:53], s[50:51]
	s_cbranch_execz .LBB2_575
	s_branch .LBB2_574
.LBB2_581:                              ;   in Loop: Header=BB2_584 Depth=2
	s_waitcnt vmcnt(0) lgkmcnt(0)
	v_lshl_add_u64 v[12:13], v[34:35], 0, v[2:3]
	v_cmp_ge_u64_e64 s[26:27], v[12:13], v[10:11]
	s_or_b64 s[38:39], s[38:39], exec
	s_orn2_b64 s[36:37], s[26:27], exec
.LBB2_582:                              ;   in Loop: Header=BB2_584 Depth=2
	s_or_b64 exec, exec, s[50:51]
	s_andn2_b64 s[26:27], s[30:31], exec
	s_and_b64 s[30:31], s[38:39], exec
	s_or_b64 s[30:31], s[26:27], s[30:31]
	s_andn2_b64 s[26:27], s[94:95], exec
	s_and_b64 s[94:95], s[36:37], exec
	s_or_b64 s[94:95], s[26:27], s[94:95]
.LBB2_583:                              ;   in Loop: Header=BB2_584 Depth=2
	s_or_b64 exec, exec, s[34:35]
	s_and_b64 s[26:27], exec, s[94:95]
	s_or_b64 s[90:91], s[26:27], s[90:91]
	s_andn2_b64 s[26:27], s[92:93], exec
	s_and_b64 s[92:93], s[30:31], exec
	s_or_b64 s[92:93], s[26:27], s[92:93]
	s_andn2_b64 exec, exec, s[90:91]
	s_cbranch_execz .LBB2_616
.LBB2_584:                              ;   Parent Loop BB2_47 Depth=1
                                        ; =>  This Inner Loop Header: Depth=2
	s_sleep 1
	s_waitcnt vmcnt(0) lgkmcnt(0)
	flat_load_dwordx2 v[34:35], v[22:23] sc0 sc1
	s_or_b64 s[30:31], s[30:31], exec
	s_or_b64 s[94:95], s[94:95], exec
                                        ; implicit-def: $vgpr9
	s_and_saveexec_b64 s[34:35], vcc
	s_cbranch_execz .LBB2_583
; %bb.585:                              ;   in Loop: Header=BB2_584 Depth=2
	s_cmpk_lt_i32 s56, 0x270f
	s_cselect_b64 s[48:49], -1, 0
	s_cmpk_gt_i32 s56, 0x270e
	s_mov_b64 s[36:37], -1
	s_cbranch_scc0 .LBB2_587
; %bb.586:                              ;   in Loop: Header=BB2_584 Depth=2
	s_trap 2
	ds_read_b64 v[12:13], v0
	s_andn2_b64 s[48:49], s[48:49], exec
	s_mov_b32 s56, 0
	s_mov_b64 s[38:39], 0
	s_waitcnt vmcnt(0) lgkmcnt(0)
	flat_load_dword v9, v[12:13] sc0 sc1
	s_waitcnt vmcnt(0) lgkmcnt(0)
	buffer_inv sc0 sc1
	v_cmp_eq_u32_e64 s[26:27], 0, v9
	s_and_b64 s[26:27], s[26:27], exec
	s_or_b64 s[48:49], s[48:49], s[26:27]
	s_and_saveexec_b64 s[50:51], s[48:49]
	s_cbranch_execz .LBB2_582
	s_branch .LBB2_581
.LBB2_587:                              ;   in Loop: Header=BB2_584 Depth=2
	s_add_i32 s56, s56, 1
	s_mov_b64 s[38:39], -1
                                        ; implicit-def: $vgpr9
	s_and_saveexec_b64 s[50:51], s[48:49]
	s_cbranch_execz .LBB2_582
	s_branch .LBB2_581
.LBB2_588:                              ;   in Loop: Header=BB2_47 Depth=1
	s_or_b64 exec, exec, s[42:43]
	s_xor_b64 s[26:27], s[94:95], -1
	s_and_saveexec_b64 s[42:43], s[26:27]
	s_xor_b64 s[26:27], exec, s[42:43]
	s_cbranch_execz .LBB2_590
; %bb.589:                              ;   in Loop: Header=BB2_47 Depth=1
	v_or_b32_e32 v46, 64, v46
	s_waitcnt lgkmcnt(0)
	ds_write_b32 v0, v10
	s_trap 2
.LBB2_590:                              ;   in Loop: Header=BB2_47 Depth=1
	s_or_b64 exec, exec, s[26:27]
.LBB2_591:                              ;   in Loop: Header=BB2_47 Depth=1
	s_or_b64 exec, exec, s[40:41]
	v_and_b32_e32 v10, 0x108, v46
	v_cmp_ne_u32_e32 vcc, s64, v10
	;;#ASMSTART
	s_wakeup
	;;#ASMEND
                                        ; implicit-def: $vgpr10_vgpr11
	s_and_saveexec_b64 s[26:27], vcc
	s_xor_b64 s[26:27], exec, s[26:27]
; %bb.592:                              ;   in Loop: Header=BB2_47 Depth=1
	v_and_b32_e32 v10, 7, v96
	v_mov_b32_e32 v11, v3
                                        ; implicit-def: $vgpr96_vgpr97
; %bb.593:                              ;   in Loop: Header=BB2_47 Depth=1
	s_andn2_saveexec_b64 s[26:27], s[26:27]
	s_cbranch_execz .LBB2_595
; %bb.594:                              ;   in Loop: Header=BB2_47 Depth=1
	v_and_b32_e32 v10, 7, v96
	v_ashrrev_i32_e32 v103, 31, v102
	v_mov_b32_e32 v11, v3
	v_mad_u64_u32 v[12:13], s[40:41], v10, 24, v[6:7]
	v_lshlrev_b64 v[14:15], 1, v[102:103]
	flat_store_dwordx2 v[12:13], v[14:15] offset:8
.LBB2_595:                              ;   in Loop: Header=BB2_47 Depth=1
	s_or_b64 exec, exec, s[26:27]
	v_and_b32_e32 v12, 0x100, v46
	v_cmp_ne_u32_e32 vcc, 0, v12
	s_mov_b64 s[26:27], -1
                                        ; implicit-def: $vgpr12_vgpr13
	s_and_saveexec_b64 s[40:41], vcc
	s_cbranch_execz .LBB2_599
; %bb.596:                              ;   in Loop: Header=BB2_47 Depth=1
	v_mad_u64_u32 v[14:15], s[26:27], v10, 24, v[6:7]
	v_mov_b32_e32 v12, v15
	v_mad_u64_u32 v[12:13], s[26:27], v11, 24, v[12:13]
	v_mov_b32_e32 v15, v12
	flat_load_dword v12, v[14:15]
	s_waitcnt vmcnt(0) lgkmcnt(0)
	v_cmp_ne_u32_e32 vcc, 1, v12
	v_cmp_eq_u32_e64 s[26:27], 1, v12
                                        ; implicit-def: $vgpr12_vgpr13
	s_and_saveexec_b64 s[42:43], s[26:27]
	s_cbranch_execz .LBB2_598
; %bb.597:                              ;   in Loop: Header=BB2_47 Depth=1
	flat_load_dword v12, v[14:15] offset:4 sc0 sc1
	s_waitcnt vmcnt(0) lgkmcnt(0)
	v_ashrrev_i32_e32 v13, 31, v12
	v_lshrrev_b64 v[12:13], 1, v[12:13]
.LBB2_598:                              ;   in Loop: Header=BB2_47 Depth=1
	s_or_b64 exec, exec, s[42:43]
	s_orn2_b64 s[26:27], vcc, exec
.LBB2_599:                              ;   in Loop: Header=BB2_47 Depth=1
	s_or_b64 exec, exec, s[40:41]
	s_and_saveexec_b64 s[40:41], s[26:27]
; %bb.600:                              ;   in Loop: Header=BB2_47 Depth=1
	v_mul_lo_u32 v11, v11, v24
	v_mul_lo_u32 v14, v10, v25
	v_mad_u64_u32 v[12:13], s[26:27], v10, v24, 0
	v_add3_u32 v13, v13, v14, v11
; %bb.601:                              ;   in Loop: Header=BB2_47 Depth=1
	s_or_b64 exec, exec, s[40:41]
	v_cmp_eq_u32_e32 vcc, 0, v2
	v_lshl_add_u64 v[10:11], v[12:13], 1, v[26:27]
	s_nop 0
	v_cndmask_b32_e32 v2, v60, v59, vcc
	v_add_u32_e32 v2, v0, v2
	ds_write_b64 v2, v[10:11] offset:584
	v_and_b32_e32 v2, 0x2000, v46
	v_cmp_ne_u32_e32 vcc, 0, v2
	s_and_saveexec_b64 s[26:27], vcc
	s_cbranch_execz .LBB2_603
; %bb.602:                              ;   in Loop: Header=BB2_47 Depth=1
	ds_read_b64 v[10:11], v0 offset:872
	s_waitcnt lgkmcnt(0)
	v_lshl_add_u64 v[10:11], v[10:11], 0, 1
	ds_write_b64 v0, v[10:11] offset:872
.LBB2_603:                              ;   in Loop: Header=BB2_47 Depth=1
	s_or_b64 exec, exec, s[26:27]
	v_mov_b64_e32 v[96:97], v[8:9]
.LBB2_604:                              ;   in Loop: Header=BB2_47 Depth=1
	s_or_b64 exec, exec, s[28:29]
	s_and_saveexec_b64 s[26:27], s[6:7]
	s_cbranch_execz .LBB2_651
; %bb.605:                              ;   in Loop: Header=BB2_47 Depth=1
	s_and_saveexec_b64 s[28:29], s[58:59]
	s_xor_b64 s[28:29], exec, s[28:29]
	s_cbranch_execz .LBB2_648
; %bb.606:                              ;   in Loop: Header=BB2_47 Depth=1
	s_and_saveexec_b64 s[40:41], s[14:15]
	s_cbranch_execz .LBB2_647
; %bb.607:                              ;   in Loop: Header=BB2_47 Depth=1
	s_mov_b64 s[94:95], exec
	v_mbcnt_lo_u32_b32 v2, s94, 0
	v_mbcnt_hi_u32_b32 v2, s95, v2
	v_cmp_eq_u32_e32 vcc, 0, v2
	s_waitcnt lgkmcnt(0)
	s_and_saveexec_b64 s[42:43], vcc
	s_cbranch_execz .LBB2_609
; %bb.608:                              ;   in Loop: Header=BB2_47 Depth=1
	s_bcnt1_i32_b64 s56, s[94:95]
	v_mov_b32_e32 v2, s56
	ds_add_u64 v0, v[2:3]
	s_trap 2
.LBB2_609:                              ;   in Loop: Header=BB2_47 Depth=1
	s_or_b64 exec, exec, s[42:43]
	s_trap 2
	ds_read_b64 v[8:9], v0
	s_waitcnt lgkmcnt(0)
	v_lshl_add_u64 v[32:33], v[32:33], 0, v[36:37]
	v_cmp_lt_u64_e32 vcc, v[8:9], v[32:33]
	s_and_saveexec_b64 s[42:43], vcc
	s_cbranch_execz .LBB2_646
; %bb.610:                              ;   in Loop: Header=BB2_47 Depth=1
	s_mov_b32 s56, 0
	s_mov_b64 s[94:95], 0
                                        ; implicit-def: $sgpr30_sgpr31
                                        ; implicit-def: $sgpr34_sgpr35
	s_branch .LBB2_612
.LBB2_611:                              ;   in Loop: Header=BB2_612 Depth=2
	s_or_b64 exec, exec, s[38:39]
	s_and_b64 vcc, exec, vcc
	s_or_b64 s[94:95], vcc, s[94:95]
	s_andn2_b64 vcc, s[30:31], exec
	s_and_b64 s[30:31], s[34:35], exec
	s_or_b64 s[30:31], vcc, s[30:31]
	s_andn2_b64 exec, exec, s[94:95]
	s_cbranch_execz .LBB2_644
.LBB2_612:                              ;   Parent Loop BB2_47 Depth=1
                                        ; =>  This Inner Loop Header: Depth=2
	s_add_i32 s56, s56, 1
	s_cmpk_lg_i32 s56, 0x2710
	s_cselect_b64 s[36:37], -1, 0
	s_and_b64 vcc, exec, s[36:37]
	s_cbranch_vccz .LBB2_614
; %bb.613:                              ;   in Loop: Header=BB2_612 Depth=2
	s_mov_b64 vcc, -1
	s_or_b64 s[34:35], s[34:35], exec
	s_and_saveexec_b64 s[38:39], s[36:37]
	s_cbranch_execz .LBB2_611
	s_branch .LBB2_615
.LBB2_614:                              ;   in Loop: Header=BB2_612 Depth=2
	s_trap 2
	ds_read_b64 v[8:9], v0
	s_andn2_b64 s[36:37], s[36:37], exec
	s_mov_b32 s56, 0
	s_waitcnt vmcnt(0) lgkmcnt(0)
	flat_load_dword v2, v[8:9] sc0 sc1
	s_waitcnt vmcnt(0) lgkmcnt(0)
	buffer_inv sc0 sc1
	v_cmp_eq_u32_e32 vcc, 0, v2
	s_and_b64 vcc, vcc, exec
	s_or_b64 s[36:37], s[36:37], vcc
	s_mov_b64 vcc, -1
	s_or_b64 s[34:35], s[34:35], exec
	s_and_saveexec_b64 s[38:39], s[36:37]
	s_cbranch_execz .LBB2_611
.LBB2_615:                              ;   in Loop: Header=BB2_612 Depth=2
	s_sleep 1
	s_trap 2
	ds_read_b64 v[8:9], v0
	s_waitcnt lgkmcnt(0)
	s_andn2_b64 s[34:35], s[34:35], exec
	v_cmp_ge_u64_e32 vcc, v[8:9], v[32:33]
	s_orn2_b64 vcc, vcc, exec
	s_branch .LBB2_611
.LBB2_616:                              ;   in Loop: Header=BB2_47 Depth=1
	s_or_b64 exec, exec, s[90:91]
	s_xor_b64 s[26:27], s[92:93], -1
	s_and_saveexec_b64 s[90:91], s[26:27]
	s_xor_b64 s[26:27], exec, s[90:91]
	s_cbranch_execz .LBB2_618
; %bb.617:                              ;   in Loop: Header=BB2_47 Depth=1
	v_or_b32_e32 v46, 64, v46
	s_waitcnt lgkmcnt(0)
	ds_write_b32 v0, v9
	s_trap 2
.LBB2_618:                              ;   in Loop: Header=BB2_47 Depth=1
	s_or_b64 exec, exec, s[26:27]
.LBB2_619:                              ;   in Loop: Header=BB2_47 Depth=1
	s_or_b64 exec, exec, s[42:43]
	v_and_b32_e32 v9, 0x108, v46
	v_cmp_ne_u32_e32 vcc, s64, v9
	;;#ASMSTART
	s_wakeup
	;;#ASMEND
                                        ; implicit-def: $vgpr12_vgpr13
	s_and_saveexec_b64 s[26:27], vcc
	s_xor_b64 s[26:27], exec, s[26:27]
; %bb.620:                              ;   in Loop: Header=BB2_47 Depth=1
	v_and_b32_e32 v12, 7, v96
	v_mov_b32_e32 v13, v3
                                        ; implicit-def: $vgpr96_vgpr97
; %bb.621:                              ;   in Loop: Header=BB2_47 Depth=1
	s_andn2_saveexec_b64 s[26:27], s[26:27]
	s_cbranch_execz .LBB2_623
; %bb.622:                              ;   in Loop: Header=BB2_47 Depth=1
	v_and_b32_e32 v12, 7, v96
	v_ashrrev_i32_e32 v9, 31, v8
	v_mov_b32_e32 v13, v3
	v_mad_u64_u32 v[14:15], s[42:43], v12, 24, v[6:7]
	v_lshlrev_b64 v[96:97], 1, v[8:9]
	flat_store_dwordx2 v[14:15], v[96:97] offset:8
.LBB2_623:                              ;   in Loop: Header=BB2_47 Depth=1
	s_or_b64 exec, exec, s[26:27]
	v_and_b32_e32 v9, 0x100, v46
	v_cmp_ne_u32_e32 vcc, 0, v9
	s_mov_b64 s[26:27], -1
                                        ; implicit-def: $vgpr14_vgpr15
	s_and_saveexec_b64 s[42:43], vcc
	s_cbranch_execz .LBB2_627
; %bb.624:                              ;   in Loop: Header=BB2_47 Depth=1
	v_mad_u64_u32 v[96:97], s[26:27], v12, 24, v[6:7]
	v_mov_b32_e32 v14, v97
	v_mad_u64_u32 v[14:15], s[26:27], v13, 24, v[14:15]
	v_mov_b32_e32 v97, v14
	flat_load_dword v9, v[96:97]
                                        ; implicit-def: $vgpr14_vgpr15
	s_waitcnt vmcnt(0) lgkmcnt(0)
	v_cmp_ne_u32_e32 vcc, 1, v9
	v_cmp_eq_u32_e64 s[26:27], 1, v9
	s_and_saveexec_b64 s[90:91], s[26:27]
	s_cbranch_execz .LBB2_626
; %bb.625:                              ;   in Loop: Header=BB2_47 Depth=1
	flat_load_dword v14, v[96:97] offset:4 sc0 sc1
	s_waitcnt vmcnt(0) lgkmcnt(0)
	v_ashrrev_i32_e32 v15, 31, v14
	v_lshrrev_b64 v[14:15], 1, v[14:15]
.LBB2_626:                              ;   in Loop: Header=BB2_47 Depth=1
	s_or_b64 exec, exec, s[90:91]
	s_orn2_b64 s[26:27], vcc, exec
.LBB2_627:                              ;   in Loop: Header=BB2_47 Depth=1
	s_or_b64 exec, exec, s[42:43]
	s_and_saveexec_b64 s[42:43], s[26:27]
; %bb.628:                              ;   in Loop: Header=BB2_47 Depth=1
	v_mul_lo_u32 v9, v13, v24
	v_mul_lo_u32 v13, v12, v25
	v_mad_u64_u32 v[14:15], s[26:27], v12, v24, 0
	v_add3_u32 v15, v15, v13, v9
; %bb.629:                              ;   in Loop: Header=BB2_47 Depth=1
	s_or_b64 exec, exec, s[42:43]
	v_cmp_eq_u32_e32 vcc, 0, v2
	v_lshl_add_u64 v[12:13], v[14:15], 1, v[26:27]
	s_nop 0
	v_cndmask_b32_e32 v2, v60, v59, vcc
	v_add_u32_e32 v2, v0, v2
	ds_write_b64 v2, v[12:13] offset:584
	v_and_b32_e32 v2, 0x2000, v46
	v_cmp_ne_u32_e32 vcc, 0, v2
	s_and_saveexec_b64 s[26:27], vcc
	s_cbranch_execz .LBB2_631
; %bb.630:                              ;   in Loop: Header=BB2_47 Depth=1
	ds_read_b64 v[12:13], v0 offset:872
	s_waitcnt lgkmcnt(0)
	v_lshl_add_u64 v[12:13], v[12:13], 0, 1
	ds_write_b64 v0, v[12:13] offset:872
.LBB2_631:                              ;   in Loop: Header=BB2_47 Depth=1
	s_or_b64 exec, exec, s[26:27]
	v_mov_b64_e32 v[96:97], v[10:11]
.LBB2_632:                              ;   in Loop: Header=BB2_47 Depth=1
	s_or_b64 exec, exec, s[40:41]
	s_and_saveexec_b64 s[26:27], s[6:7]
	s_cbranch_execz .LBB2_670
; %bb.633:                              ;   in Loop: Header=BB2_47 Depth=1
	s_and_saveexec_b64 s[40:41], s[58:59]
	s_xor_b64 s[40:41], exec, s[40:41]
	s_cbranch_execz .LBB2_667
; %bb.634:                              ;   in Loop: Header=BB2_47 Depth=1
	s_and_saveexec_b64 s[42:43], s[14:15]
	s_cbranch_execz .LBB2_666
; %bb.635:                              ;   in Loop: Header=BB2_47 Depth=1
	s_mov_b64 s[92:93], exec
	v_mbcnt_lo_u32_b32 v2, s92, 0
	v_mbcnt_hi_u32_b32 v2, s93, v2
	v_cmp_eq_u32_e32 vcc, 0, v2
	s_waitcnt lgkmcnt(0)
	s_and_saveexec_b64 s[90:91], vcc
	s_cbranch_execz .LBB2_637
; %bb.636:                              ;   in Loop: Header=BB2_47 Depth=1
	s_bcnt1_i32_b64 s56, s[92:93]
	v_mov_b32_e32 v2, s56
	ds_add_u64 v0, v[2:3]
	s_trap 2
.LBB2_637:                              ;   in Loop: Header=BB2_47 Depth=1
	s_or_b64 exec, exec, s[90:91]
	s_trap 2
	ds_read_b64 v[10:11], v0
	s_waitcnt lgkmcnt(0)
	v_lshl_add_u64 v[32:33], v[32:33], 0, v[36:37]
	v_cmp_lt_u64_e32 vcc, v[10:11], v[32:33]
	s_and_saveexec_b64 s[90:91], vcc
	s_cbranch_execz .LBB2_665
; %bb.638:                              ;   in Loop: Header=BB2_47 Depth=1
	s_mov_b32 s56, 0
	s_mov_b64 s[92:93], 0
                                        ; implicit-def: $sgpr94_sgpr95
                                        ; implicit-def: $sgpr30_sgpr31
	s_branch .LBB2_640
.LBB2_639:                              ;   in Loop: Header=BB2_640 Depth=2
	s_or_b64 exec, exec, s[36:37]
	s_and_b64 vcc, exec, vcc
	s_or_b64 s[92:93], vcc, s[92:93]
	s_andn2_b64 s[94:95], s[94:95], exec
	s_and_b64 vcc, s[30:31], exec
	s_or_b64 s[94:95], s[94:95], vcc
	s_andn2_b64 exec, exec, s[92:93]
	s_cbranch_execz .LBB2_663
.LBB2_640:                              ;   Parent Loop BB2_47 Depth=1
                                        ; =>  This Inner Loop Header: Depth=2
	s_add_i32 s56, s56, 1
	s_cmpk_lg_i32 s56, 0x2710
	s_cselect_b64 s[34:35], -1, 0
	s_and_b64 vcc, exec, s[34:35]
	s_cbranch_vccz .LBB2_642
; %bb.641:                              ;   in Loop: Header=BB2_640 Depth=2
	s_mov_b64 vcc, -1
	s_or_b64 s[30:31], s[30:31], exec
	s_and_saveexec_b64 s[36:37], s[34:35]
	s_cbranch_execz .LBB2_639
	s_branch .LBB2_643
.LBB2_642:                              ;   in Loop: Header=BB2_640 Depth=2
	s_trap 2
	ds_read_b64 v[10:11], v0
	s_andn2_b64 s[34:35], s[34:35], exec
	s_mov_b32 s56, 0
	s_waitcnt vmcnt(0) lgkmcnt(0)
	flat_load_dword v2, v[10:11] sc0 sc1
	s_waitcnt vmcnt(0) lgkmcnt(0)
	buffer_inv sc0 sc1
	v_cmp_eq_u32_e32 vcc, 0, v2
	s_and_b64 vcc, vcc, exec
	s_or_b64 s[34:35], s[34:35], vcc
	s_mov_b64 vcc, -1
	s_or_b64 s[30:31], s[30:31], exec
	s_and_saveexec_b64 s[36:37], s[34:35]
	s_cbranch_execz .LBB2_639
.LBB2_643:                              ;   in Loop: Header=BB2_640 Depth=2
	s_sleep 1
	s_trap 2
	ds_read_b64 v[10:11], v0
	s_waitcnt lgkmcnt(0)
	s_andn2_b64 s[30:31], s[30:31], exec
	v_cmp_ge_u64_e32 vcc, v[10:11], v[32:33]
	s_orn2_b64 vcc, vcc, exec
	s_branch .LBB2_639
.LBB2_644:                              ;   in Loop: Header=BB2_47 Depth=1
	s_or_b64 exec, exec, s[94:95]
	s_and_saveexec_b64 s[94:95], s[30:31]
	s_xor_b64 s[94:95], exec, s[94:95]
	s_cbranch_execz .LBB2_646
; %bb.645:                              ;   in Loop: Header=BB2_47 Depth=1
	ds_write_b32 v0, v57
	s_trap 2
.LBB2_646:                              ;   in Loop: Header=BB2_47 Depth=1
	s_or_b64 exec, exec, s[42:43]
	;;#ASMSTART
	s_wakeup
	;;#ASMEND
.LBB2_647:                              ;   in Loop: Header=BB2_47 Depth=1
	s_or_b64 exec, exec, s[40:41]
.LBB2_648:                              ;   in Loop: Header=BB2_47 Depth=1
	s_andn2_saveexec_b64 s[28:29], s[28:29]
	s_cbranch_execz .LBB2_650
; %bb.649:                              ;   in Loop: Header=BB2_47 Depth=1
	s_waitcnt lgkmcnt(0)
	s_barrier
.LBB2_650:                              ;   in Loop: Header=BB2_47 Depth=1
	s_or_b64 exec, exec, s[28:29]
.LBB2_651:                              ;   in Loop: Header=BB2_47 Depth=1
	s_or_b64 exec, exec, s[26:27]
	s_trap 2
	ds_read_b32 v8, v0
	v_and_b32_e32 v2, 0x4000, v46
	v_cmp_ne_u32_e32 vcc, 0, v2
	s_xor_b64 s[26:27], s[4:5], -1
	s_and_b64 s[28:29], s[26:27], vcc
	s_and_saveexec_b64 s[26:27], s[28:29]
	s_cbranch_execz .LBB2_693
; %bb.652:                              ;   in Loop: Header=BB2_47 Depth=1
	s_and_saveexec_b64 s[28:29], s[58:59]
	s_xor_b64 s[28:29], exec, s[28:29]
	s_cbranch_execz .LBB2_690
; %bb.653:                              ;   in Loop: Header=BB2_47 Depth=1
	s_and_saveexec_b64 s[40:41], s[14:15]
	s_cbranch_execz .LBB2_689
; %bb.654:                              ;   in Loop: Header=BB2_47 Depth=1
	s_mov_b64 s[94:95], exec
	v_mbcnt_lo_u32_b32 v2, s94, 0
	v_mbcnt_hi_u32_b32 v2, s95, v2
	v_cmp_eq_u32_e32 vcc, 0, v2
	s_waitcnt lgkmcnt(0)
	s_and_saveexec_b64 s[42:43], vcc
	s_cbranch_execz .LBB2_656
; %bb.655:                              ;   in Loop: Header=BB2_47 Depth=1
	s_bcnt1_i32_b64 s56, s[94:95]
	v_mov_b32_e32 v2, s56
	ds_add_u64 v0, v[2:3]
	s_trap 2
.LBB2_656:                              ;   in Loop: Header=BB2_47 Depth=1
	s_or_b64 exec, exec, s[42:43]
	s_trap 2
	ds_read_b64 v[10:11], v0
	s_waitcnt lgkmcnt(0)
	v_lshl_add_u64 v[32:33], v[32:33], 0, v[36:37]
	v_cmp_lt_u64_e32 vcc, v[10:11], v[32:33]
	s_and_saveexec_b64 s[42:43], vcc
	s_cbranch_execz .LBB2_688
; %bb.657:                              ;   in Loop: Header=BB2_47 Depth=1
	s_mov_b32 s56, 0
	s_mov_b64 s[94:95], 0
                                        ; implicit-def: $sgpr30_sgpr31
                                        ; implicit-def: $sgpr34_sgpr35
	s_branch .LBB2_659
.LBB2_658:                              ;   in Loop: Header=BB2_659 Depth=2
	s_or_b64 exec, exec, s[38:39]
	s_and_b64 vcc, exec, vcc
	s_or_b64 s[94:95], vcc, s[94:95]
	s_andn2_b64 vcc, s[30:31], exec
	s_and_b64 s[30:31], s[34:35], exec
	s_or_b64 s[30:31], vcc, s[30:31]
	s_andn2_b64 exec, exec, s[94:95]
	s_cbranch_execz .LBB2_686
.LBB2_659:                              ;   Parent Loop BB2_47 Depth=1
                                        ; =>  This Inner Loop Header: Depth=2
	s_add_i32 s56, s56, 1
	s_cmpk_lg_i32 s56, 0x2710
	s_cselect_b64 s[36:37], -1, 0
	s_and_b64 vcc, exec, s[36:37]
	s_cbranch_vccz .LBB2_661
; %bb.660:                              ;   in Loop: Header=BB2_659 Depth=2
	s_mov_b64 vcc, -1
	s_or_b64 s[34:35], s[34:35], exec
	s_and_saveexec_b64 s[38:39], s[36:37]
	s_cbranch_execz .LBB2_658
	s_branch .LBB2_662
.LBB2_661:                              ;   in Loop: Header=BB2_659 Depth=2
	s_trap 2
	ds_read_b64 v[10:11], v0
	s_andn2_b64 s[36:37], s[36:37], exec
	s_mov_b32 s56, 0
	s_waitcnt vmcnt(0) lgkmcnt(0)
	flat_load_dword v2, v[10:11] sc0 sc1
	s_waitcnt vmcnt(0) lgkmcnt(0)
	buffer_inv sc0 sc1
	v_cmp_eq_u32_e32 vcc, 0, v2
	s_and_b64 vcc, vcc, exec
	s_or_b64 s[36:37], s[36:37], vcc
	s_mov_b64 vcc, -1
	s_or_b64 s[34:35], s[34:35], exec
	s_and_saveexec_b64 s[38:39], s[36:37]
	s_cbranch_execz .LBB2_658
.LBB2_662:                              ;   in Loop: Header=BB2_659 Depth=2
	s_sleep 1
	s_trap 2
	ds_read_b64 v[10:11], v0
	s_waitcnt lgkmcnt(0)
	s_andn2_b64 s[34:35], s[34:35], exec
	v_cmp_ge_u64_e32 vcc, v[10:11], v[32:33]
	s_orn2_b64 vcc, vcc, exec
	s_branch .LBB2_658
.LBB2_663:                              ;   in Loop: Header=BB2_47 Depth=1
	s_or_b64 exec, exec, s[92:93]
	s_and_saveexec_b64 s[92:93], s[94:95]
	s_xor_b64 s[92:93], exec, s[92:93]
	s_cbranch_execz .LBB2_665
; %bb.664:                              ;   in Loop: Header=BB2_47 Depth=1
	ds_write_b32 v0, v57
	s_trap 2
.LBB2_665:                              ;   in Loop: Header=BB2_47 Depth=1
	s_or_b64 exec, exec, s[90:91]
	;;#ASMSTART
	s_wakeup
	;;#ASMEND
.LBB2_666:                              ;   in Loop: Header=BB2_47 Depth=1
	s_or_b64 exec, exec, s[42:43]
.LBB2_667:                              ;   in Loop: Header=BB2_47 Depth=1
	s_andn2_saveexec_b64 s[40:41], s[40:41]
	s_cbranch_execz .LBB2_669
; %bb.668:                              ;   in Loop: Header=BB2_47 Depth=1
	s_waitcnt lgkmcnt(0)
	s_barrier
.LBB2_669:                              ;   in Loop: Header=BB2_47 Depth=1
	s_or_b64 exec, exec, s[40:41]
.LBB2_670:                              ;   in Loop: Header=BB2_47 Depth=1
	s_or_b64 exec, exec, s[26:27]
	v_and_b32_e32 v9, 16, v46
	s_and_saveexec_b64 s[26:27], s[22:23]
	s_xor_b64 s[26:27], exec, s[26:27]
	s_cbranch_execz .LBB2_674
; %bb.671:                              ;   in Loop: Header=BB2_47 Depth=1
	s_trap 2
	ds_read_b32 v2, v0
	v_cmp_lt_i32_e32 vcc, 0, v8
	v_and_b32_e32 v8, 16, v46
	v_and_b32_e32 v9, 16, v46
	s_waitcnt lgkmcnt(0)
	v_readfirstlane_b32 s40, v2
	s_cmp_eq_u32 s40, 0
	s_cselect_b64 s[40:41], -1, 0
	s_and_b64 s[40:41], vcc, s[40:41]
	v_cmp_ne_u32_e32 vcc, 0, v8
	s_and_b64 s[42:43], vcc, s[40:41]
	s_and_saveexec_b64 s[40:41], s[42:43]
	s_cbranch_execz .LBB2_673
; %bb.672:                              ;   in Loop: Header=BB2_47 Depth=1
	v_mov_b32_e32 v9, 1
	buffer_wbl2 sc1
	s_waitcnt vmcnt(0)
	buffer_inv sc1
.LBB2_673:                              ;   in Loop: Header=BB2_47 Depth=1
	s_or_b64 exec, exec, s[40:41]
.LBB2_674:                              ;   in Loop: Header=BB2_47 Depth=1
	s_andn2_saveexec_b64 s[26:27], s[26:27]
	s_cbranch_execz .LBB2_808
; %bb.675:                              ;   in Loop: Header=BB2_47 Depth=1
	s_and_saveexec_b64 s[40:41], s[58:59]
	s_xor_b64 s[40:41], exec, s[40:41]
	s_cbranch_execz .LBB2_805
; %bb.676:                              ;   in Loop: Header=BB2_47 Depth=1
	s_and_saveexec_b64 s[42:43], s[14:15]
	s_cbranch_execz .LBB2_804
; %bb.677:                              ;   in Loop: Header=BB2_47 Depth=1
	s_mov_b64 s[92:93], exec
	v_mbcnt_lo_u32_b32 v2, s92, 0
	v_mbcnt_hi_u32_b32 v2, s93, v2
	v_cmp_eq_u32_e32 vcc, 0, v2
	;;#ASMSTART
	s_waitcnt lgkmcnt(0) vmcnt(0)
	;;#ASMEND
	s_and_saveexec_b64 s[90:91], vcc
	s_cbranch_execz .LBB2_679
; %bb.678:                              ;   in Loop: Header=BB2_47 Depth=1
	s_bcnt1_i32_b64 s56, s[92:93]
	v_mov_b32_e32 v2, s56
	s_waitcnt lgkmcnt(0)
	ds_add_u64 v0, v[2:3]
	s_trap 2
.LBB2_679:                              ;   in Loop: Header=BB2_47 Depth=1
	s_or_b64 exec, exec, s[90:91]
	s_trap 2
	ds_read_b64 v[10:11], v0
	s_waitcnt lgkmcnt(0)
	v_lshl_add_u64 v[32:33], v[32:33], 0, v[36:37]
	v_cmp_lt_u64_e32 vcc, v[10:11], v[32:33]
	s_and_saveexec_b64 s[90:91], vcc
	s_cbranch_execz .LBB2_803
; %bb.680:                              ;   in Loop: Header=BB2_47 Depth=1
	s_mov_b32 s56, 0
	s_mov_b64 s[92:93], 0
                                        ; implicit-def: $sgpr94_sgpr95
                                        ; implicit-def: $sgpr30_sgpr31
	s_branch .LBB2_682
.LBB2_681:                              ;   in Loop: Header=BB2_682 Depth=2
	s_or_b64 exec, exec, s[36:37]
	s_and_b64 vcc, exec, vcc
	s_or_b64 s[92:93], vcc, s[92:93]
	s_andn2_b64 s[94:95], s[94:95], exec
	s_and_b64 vcc, s[30:31], exec
	s_or_b64 s[94:95], s[94:95], vcc
	s_andn2_b64 exec, exec, s[92:93]
	s_cbranch_execz .LBB2_801
.LBB2_682:                              ;   Parent Loop BB2_47 Depth=1
                                        ; =>  This Inner Loop Header: Depth=2
	s_add_i32 s56, s56, 1
	s_cmpk_lg_i32 s56, 0x2710
	s_cselect_b64 s[34:35], -1, 0
	s_and_b64 vcc, exec, s[34:35]
	s_cbranch_vccz .LBB2_684
; %bb.683:                              ;   in Loop: Header=BB2_682 Depth=2
	s_mov_b64 vcc, -1
	s_or_b64 s[30:31], s[30:31], exec
	s_and_saveexec_b64 s[36:37], s[34:35]
	s_cbranch_execz .LBB2_681
	s_branch .LBB2_685
.LBB2_684:                              ;   in Loop: Header=BB2_682 Depth=2
	s_trap 2
	ds_read_b64 v[10:11], v0
	s_andn2_b64 s[34:35], s[34:35], exec
	s_mov_b32 s56, 0
	s_waitcnt vmcnt(0) lgkmcnt(0)
	flat_load_dword v2, v[10:11] sc0 sc1
	s_waitcnt vmcnt(0) lgkmcnt(0)
	buffer_inv sc0 sc1
	v_cmp_eq_u32_e32 vcc, 0, v2
	s_and_b64 vcc, vcc, exec
	s_or_b64 s[34:35], s[34:35], vcc
	s_mov_b64 vcc, -1
	s_or_b64 s[30:31], s[30:31], exec
	s_and_saveexec_b64 s[36:37], s[34:35]
	s_cbranch_execz .LBB2_681
.LBB2_685:                              ;   in Loop: Header=BB2_682 Depth=2
	s_sleep 1
	s_trap 2
	ds_read_b64 v[10:11], v0
	s_waitcnt lgkmcnt(0)
	s_andn2_b64 s[30:31], s[30:31], exec
	v_cmp_ge_u64_e32 vcc, v[10:11], v[32:33]
	s_orn2_b64 vcc, vcc, exec
	s_branch .LBB2_681
.LBB2_686:                              ;   in Loop: Header=BB2_47 Depth=1
	s_or_b64 exec, exec, s[94:95]
	s_and_saveexec_b64 s[94:95], s[30:31]
	s_xor_b64 s[94:95], exec, s[94:95]
	s_cbranch_execz .LBB2_688
; %bb.687:                              ;   in Loop: Header=BB2_47 Depth=1
	ds_write_b32 v0, v57
	s_trap 2
.LBB2_688:                              ;   in Loop: Header=BB2_47 Depth=1
	s_or_b64 exec, exec, s[42:43]
	;;#ASMSTART
	s_wakeup
	;;#ASMEND
.LBB2_689:                              ;   in Loop: Header=BB2_47 Depth=1
	s_or_b64 exec, exec, s[40:41]
.LBB2_690:                              ;   in Loop: Header=BB2_47 Depth=1
	s_andn2_saveexec_b64 s[28:29], s[28:29]
	s_cbranch_execz .LBB2_692
; %bb.691:                              ;   in Loop: Header=BB2_47 Depth=1
	s_waitcnt lgkmcnt(0)
	s_barrier
.LBB2_692:                              ;   in Loop: Header=BB2_47 Depth=1
	s_or_b64 exec, exec, s[28:29]
.LBB2_693:                              ;   in Loop: Header=BB2_47 Depth=1
	s_or_b64 exec, exec, s[26:27]
	s_trap 2
	ds_read_b64 v[112:113], v0
	s_waitcnt lgkmcnt(0)
	v_cmp_eq_u64_e32 vcc, 0, v[112:113]
	s_cbranch_vccnz .LBB2_702
; %bb.694:                              ;   in Loop: Header=BB2_47 Depth=1
	s_trap 2
	ds_read_b64 v[114:115], v0
	s_waitcnt lgkmcnt(0)
	v_cmp_eq_u64_e32 vcc, 0, v[114:115]
	s_cbranch_vccnz .LBB2_702
; %bb.695:                              ;   in Loop: Header=BB2_47 Depth=1
	s_trap 2
	ds_read_b64 v[116:117], v0
	v_cmp_eq_u32_e32 vcc, 0, v8
	s_mov_b64 s[26:27], -1
	s_waitcnt lgkmcnt(0)
	v_readfirstlane_b32 s89, v116
	v_cndmask_b32_e32 v2, 0, v102, vcc
	v_cmp_ne_u64_e32 vcc, 0, v[116:117]
	v_lshlrev_b32_e32 v103, 1, v2
	s_cbranch_vccz .LBB2_825
; %bb.696:                              ;   in Loop: Header=BB2_47 Depth=1
	s_and_saveexec_b64 s[28:29], s[20:21]
	s_cbranch_execz .LBB2_698
; %bb.697:                              ;   in Loop: Header=BB2_47 Depth=1
	ds_read_b32 v8, v0 offset:720
	s_waitcnt lgkmcnt(0)
	v_and_b32_e32 v8, 15, v8
	v_cmp_eq_u32_e32 vcc, 0, v8
	s_orn2_b64 s[26:27], vcc, exec
.LBB2_698:                              ;   in Loop: Header=BB2_47 Depth=1
	s_or_b64 exec, exec, s[28:29]
	s_and_saveexec_b64 s[28:29], s[20:21]
	s_cbranch_execz .LBB2_700
; %bb.699:                              ;   in Loop: Header=BB2_47 Depth=1
	ds_read_b32 v8, v0 offset:784
	s_waitcnt lgkmcnt(0)
	v_and_b32_e32 v8, 15, v8
	v_cmp_eq_u32_e32 vcc, 0, v8
	s_and_b64 s[40:41], s[26:27], vcc
	s_andn2_b64 s[26:27], s[26:27], exec
	s_and_b64 s[40:41], s[40:41], exec
	s_or_b64 s[26:27], s[26:27], s[40:41]
.LBB2_700:                              ;   in Loop: Header=BB2_47 Depth=1
	s_or_b64 exec, exec, s[28:29]
	s_xor_b64 s[26:27], s[26:27], -1
	v_cndmask_b32_e64 v8, 0, 1, s[26:27]
	s_mov_b64 s[28:29], -1
	v_mov_b32_e32 v118, 0
	v_cmp_ne_u32_e32 vcc, 0, v8
	v_mov_b32_e32 v119, v103
	v_mov_b32_e32 v40, v0
	s_cbranch_vccz .LBB2_703
; %bb.701:                              ;   in Loop: Header=BB2_47 Depth=1
	s_and_saveexec_b64 s[42:43], s[28:29]
	s_cbranch_execnz .LBB2_782
	s_branch .LBB2_824
.LBB2_702:                              ;   in Loop: Header=BB2_47 Depth=1
	s_mov_b64 s[26:27], 0
	s_and_saveexec_b64 s[28:29], s[6:7]
	s_cbranch_execnz .LBB2_937
	s_branch .LBB2_955
.LBB2_703:                              ;   in Loop: Header=BB2_47 Depth=1
	v_ashrrev_i32_e32 v8, 31, v103
	v_lshrrev_b32_e32 v8, 22, v8
	v_add_u32_e32 v8, v103, v8
	v_and_b32_e32 v72, 0xfffffc00, v8
	v_ashrrev_i32_e32 v9, 10, v8
	v_sub_u32_e32 v74, v103, v72
	v_sub_u32_e32 v8, v9, v56
	v_cmp_lt_i32_e64 s[26:27], 15, v74
	v_sub_u32_e32 v63, v103, v38
	s_nop 0
	v_addc_co_u32_e64 v73, vcc, 0, v8, s[26:27]
	v_cmp_lt_i32_e32 vcc, 15, v63
	s_and_saveexec_b64 s[94:95], vcc
	s_cbranch_execz .LBB2_741
; %bb.704:                              ;   in Loop: Header=BB2_47 Depth=1
	s_trap 2
	ds_read_b64 v[8:9], v0
	s_and_b32 s56, s89, 1
	s_cmp_eq_u64 s[56:57], 0
	v_lshl_add_u64 v[118:119], v[114:115], 0, v[38:39]
	v_lshl_add_u64 v[40:41], v[116:117], 0, v[38:39]
	;; [unrolled: 1-line block ×3, first 2 shown]
	s_waitcnt lgkmcnt(0)
	v_lshl_add_u64 v[44:45], v[8:9], 0, v[38:39]
	s_mov_b64 s[30:31], 0
	s_cselect_b64 s[28:29], -1, 0
.LBB2_705:                              ;   Parent Loop BB2_47 Depth=1
                                        ; =>  This Loop Header: Depth=2
                                        ;       Child Loop BB2_738 Depth 3
	global_load_dwordx4 v[8:11], v[44:45], off nt
	global_load_dwordx4 v[12:15], v[42:43], off nt
	s_waitcnt vmcnt(0)
	v_lshlrev_b32_e32 v75, 16, v8
	v_lshlrev_b32_e32 v76, 16, v12
	v_max_f32_e32 v75, v75, v75
	v_max_f32_e32 v76, v76, v76
	v_min_f32_e32 v77, v76, v75
	v_max_f32_e32 v75, v76, v75
	v_cndmask_b32_e64 v76, v75, v77, s[28:29]
	v_and_b32_e32 v75, 0x7f800000, v76
	v_cmp_ne_u32_e32 vcc, s65, v75
                                        ; implicit-def: $vgpr75
	s_and_saveexec_b64 s[40:41], vcc
	s_xor_b64 s[40:41], exec, s[40:41]
; %bb.706:                              ;   in Loop: Header=BB2_705 Depth=2
	v_bfe_u32 v75, v76, 16, 1
	v_add3_u32 v75, v76, v75, s66
                                        ; implicit-def: $vgpr76
; %bb.707:                              ;   in Loop: Header=BB2_705 Depth=2
	s_andn2_saveexec_b64 s[40:41], s[40:41]
; %bb.708:                              ;   in Loop: Header=BB2_705 Depth=2
	v_or_b32_e32 v75, 0x10000, v76
	v_cmp_eq_u32_sdwa vcc, v76, v3 src0_sel:WORD_0 src1_sel:DWORD
	s_nop 1
	v_cndmask_b32_e32 v75, v75, v76, vcc
; %bb.709:                              ;   in Loop: Header=BB2_705 Depth=2
	s_or_b64 exec, exec, s[40:41]
	v_and_b32_e32 v8, 0xffff0000, v8
	v_and_b32_e32 v12, 0xffff0000, v12
	v_max_f32_e32 v8, v8, v8
	v_max_f32_e32 v12, v12, v12
	v_min_f32_e32 v76, v12, v8
	v_max_f32_e32 v8, v12, v8
	v_cndmask_b32_e64 v12, v8, v76, s[28:29]
	v_and_b32_e32 v8, 0x7f800000, v12
	v_cmp_ne_u32_e32 vcc, s65, v8
                                        ; implicit-def: $vgpr8
	s_and_saveexec_b64 s[40:41], vcc
	s_xor_b64 s[40:41], exec, s[40:41]
; %bb.710:                              ;   in Loop: Header=BB2_705 Depth=2
	v_bfe_u32 v8, v12, 16, 1
	v_add3_u32 v8, v12, v8, s66
                                        ; implicit-def: $vgpr12
; %bb.711:                              ;   in Loop: Header=BB2_705 Depth=2
	s_andn2_saveexec_b64 s[40:41], s[40:41]
; %bb.712:                              ;   in Loop: Header=BB2_705 Depth=2
	v_or_b32_e32 v8, 0x10000, v12
	v_cmp_eq_u32_sdwa vcc, v12, v3 src0_sel:WORD_0 src1_sel:DWORD
	s_nop 1
	v_cndmask_b32_e32 v8, v8, v12, vcc
; %bb.713:                              ;   in Loop: Header=BB2_705 Depth=2
	s_or_b64 exec, exec, s[40:41]
	v_lshlrev_b32_e32 v12, 16, v9
	v_lshlrev_b32_e32 v76, 16, v13
	v_max_f32_e32 v12, v12, v12
	v_max_f32_e32 v76, v76, v76
	v_min_f32_e32 v77, v76, v12
	v_max_f32_e32 v12, v76, v12
	v_cndmask_b32_e64 v76, v12, v77, s[28:29]
	v_and_b32_e32 v12, 0x7f800000, v76
	v_cmp_ne_u32_e32 vcc, s65, v12
                                        ; implicit-def: $vgpr12
	s_and_saveexec_b64 s[40:41], vcc
	s_xor_b64 s[40:41], exec, s[40:41]
; %bb.714:                              ;   in Loop: Header=BB2_705 Depth=2
	v_bfe_u32 v12, v76, 16, 1
	v_add3_u32 v12, v76, v12, s66
                                        ; implicit-def: $vgpr76
; %bb.715:                              ;   in Loop: Header=BB2_705 Depth=2
	s_andn2_saveexec_b64 s[40:41], s[40:41]
; %bb.716:                              ;   in Loop: Header=BB2_705 Depth=2
	v_or_b32_e32 v12, 0x10000, v76
	v_cmp_eq_u32_sdwa vcc, v76, v3 src0_sel:WORD_0 src1_sel:DWORD
	s_nop 1
	v_cndmask_b32_e32 v12, v12, v76, vcc
; %bb.717:                              ;   in Loop: Header=BB2_705 Depth=2
	s_or_b64 exec, exec, s[40:41]
	v_and_b32_e32 v13, 0xffff0000, v13
	v_and_b32_e32 v9, 0xffff0000, v9
	v_max_f32_e32 v9, v9, v9
	v_max_f32_e32 v13, v13, v13
	v_min_f32_e32 v76, v13, v9
	v_max_f32_e32 v9, v13, v9
	v_cndmask_b32_e64 v13, v9, v76, s[28:29]
	v_and_b32_e32 v9, 0x7f800000, v13
	v_cmp_ne_u32_e32 vcc, s65, v9
                                        ; implicit-def: $vgpr9
	s_and_saveexec_b64 s[40:41], vcc
	s_xor_b64 s[40:41], exec, s[40:41]
; %bb.718:                              ;   in Loop: Header=BB2_705 Depth=2
	v_bfe_u32 v9, v13, 16, 1
	v_add3_u32 v9, v13, v9, s66
                                        ; implicit-def: $vgpr13
; %bb.719:                              ;   in Loop: Header=BB2_705 Depth=2
	s_andn2_saveexec_b64 s[40:41], s[40:41]
; %bb.720:                              ;   in Loop: Header=BB2_705 Depth=2
	v_or_b32_e32 v9, 0x10000, v13
	v_cmp_eq_u32_sdwa vcc, v13, v3 src0_sel:WORD_0 src1_sel:DWORD
	s_nop 1
	v_cndmask_b32_e32 v9, v9, v13, vcc
; %bb.721:                              ;   in Loop: Header=BB2_705 Depth=2
	s_or_b64 exec, exec, s[40:41]
	v_lshlrev_b32_e32 v13, 16, v10
	v_lshlrev_b32_e32 v76, 16, v14
	v_max_f32_e32 v13, v13, v13
	v_max_f32_e32 v76, v76, v76
	v_min_f32_e32 v77, v76, v13
	v_max_f32_e32 v13, v76, v13
	v_cndmask_b32_e64 v76, v13, v77, s[28:29]
	v_and_b32_e32 v13, 0x7f800000, v76
	v_cmp_ne_u32_e32 vcc, s65, v13
                                        ; implicit-def: $vgpr13
	s_and_saveexec_b64 s[40:41], vcc
	s_xor_b64 s[40:41], exec, s[40:41]
; %bb.722:                              ;   in Loop: Header=BB2_705 Depth=2
	v_bfe_u32 v13, v76, 16, 1
	v_add3_u32 v13, v76, v13, s66
                                        ; implicit-def: $vgpr76
; %bb.723:                              ;   in Loop: Header=BB2_705 Depth=2
	s_andn2_saveexec_b64 s[40:41], s[40:41]
; %bb.724:                              ;   in Loop: Header=BB2_705 Depth=2
	v_or_b32_e32 v13, 0x10000, v76
	v_cmp_eq_u32_sdwa vcc, v76, v3 src0_sel:WORD_0 src1_sel:DWORD
	s_nop 1
	v_cndmask_b32_e32 v13, v13, v76, vcc
; %bb.725:                              ;   in Loop: Header=BB2_705 Depth=2
	s_or_b64 exec, exec, s[40:41]
	v_and_b32_e32 v14, 0xffff0000, v14
	v_and_b32_e32 v10, 0xffff0000, v10
	v_max_f32_e32 v10, v10, v10
	v_max_f32_e32 v14, v14, v14
	v_min_f32_e32 v76, v14, v10
	v_max_f32_e32 v10, v14, v10
	v_cndmask_b32_e64 v14, v10, v76, s[28:29]
	v_and_b32_e32 v10, 0x7f800000, v14
	v_cmp_ne_u32_e32 vcc, s65, v10
                                        ; implicit-def: $vgpr10
	s_and_saveexec_b64 s[40:41], vcc
	s_xor_b64 s[40:41], exec, s[40:41]
; %bb.726:                              ;   in Loop: Header=BB2_705 Depth=2
	v_bfe_u32 v10, v14, 16, 1
	v_add3_u32 v10, v14, v10, s66
                                        ; implicit-def: $vgpr14
; %bb.727:                              ;   in Loop: Header=BB2_705 Depth=2
	s_andn2_saveexec_b64 s[40:41], s[40:41]
; %bb.728:                              ;   in Loop: Header=BB2_705 Depth=2
	v_or_b32_e32 v10, 0x10000, v14
	v_cmp_eq_u32_sdwa vcc, v14, v3 src0_sel:WORD_0 src1_sel:DWORD
	s_nop 1
	v_cndmask_b32_e32 v10, v10, v14, vcc
; %bb.729:                              ;   in Loop: Header=BB2_705 Depth=2
	s_or_b64 exec, exec, s[40:41]
	v_lshlrev_b32_e32 v14, 16, v11
	v_lshlrev_b32_e32 v76, 16, v15
	v_max_f32_e32 v14, v14, v14
	v_max_f32_e32 v76, v76, v76
	v_min_f32_e32 v77, v76, v14
	v_max_f32_e32 v14, v76, v14
	v_cndmask_b32_e64 v76, v14, v77, s[28:29]
	v_and_b32_e32 v14, 0x7f800000, v76
	v_cmp_ne_u32_e32 vcc, s65, v14
                                        ; implicit-def: $vgpr14
	s_and_saveexec_b64 s[40:41], vcc
	s_xor_b64 s[40:41], exec, s[40:41]
; %bb.730:                              ;   in Loop: Header=BB2_705 Depth=2
	v_bfe_u32 v14, v76, 16, 1
	v_add3_u32 v14, v76, v14, s66
                                        ; implicit-def: $vgpr76
; %bb.731:                              ;   in Loop: Header=BB2_705 Depth=2
	s_andn2_saveexec_b64 s[40:41], s[40:41]
; %bb.732:                              ;   in Loop: Header=BB2_705 Depth=2
	v_or_b32_e32 v14, 0x10000, v76
	v_cmp_eq_u32_sdwa vcc, v76, v3 src0_sel:WORD_0 src1_sel:DWORD
	s_nop 1
	v_cndmask_b32_e32 v14, v14, v76, vcc
; %bb.733:                              ;   in Loop: Header=BB2_705 Depth=2
	s_or_b64 exec, exec, s[40:41]
	v_and_b32_e32 v15, 0xffff0000, v15
	v_and_b32_e32 v11, 0xffff0000, v11
	v_max_f32_e32 v11, v11, v11
	v_max_f32_e32 v15, v15, v15
	v_min_f32_e32 v76, v15, v11
	v_max_f32_e32 v11, v15, v11
	v_cndmask_b32_e64 v15, v11, v76, s[28:29]
	v_and_b32_e32 v11, 0x7f800000, v15
	v_cmp_ne_u32_e32 vcc, s65, v11
                                        ; implicit-def: $vgpr11
	s_and_saveexec_b64 s[40:41], vcc
	s_xor_b64 s[40:41], exec, s[40:41]
; %bb.734:                              ;   in Loop: Header=BB2_705 Depth=2
	v_bfe_u32 v11, v15, 16, 1
	v_add3_u32 v11, v15, v11, s66
                                        ; implicit-def: $vgpr15
; %bb.735:                              ;   in Loop: Header=BB2_705 Depth=2
	s_andn2_saveexec_b64 s[40:41], s[40:41]
; %bb.736:                              ;   in Loop: Header=BB2_705 Depth=2
	v_or_b32_e32 v11, 0x10000, v15
	v_cmp_eq_u32_sdwa vcc, v15, v3 src0_sel:WORD_0 src1_sel:DWORD
	s_nop 1
	v_cndmask_b32_e32 v11, v11, v15, vcc
; %bb.737:                              ;   in Loop: Header=BB2_705 Depth=2
	s_or_b64 exec, exec, s[40:41]
	v_lshrrev_b32_e32 v12, 16, v12
	v_and_or_b32 v9, v9, s67, v12
	v_lshrrev_b32_e32 v12, 16, v75
	v_and_or_b32 v8, v8, s67, v12
	;; [unrolled: 2-line block ×4, first 2 shown]
	s_mov_b64 s[36:37], 0
	s_mov_b64 s[34:35], -1
.LBB2_738:                              ;   Parent Loop BB2_47 Depth=1
                                        ;     Parent Loop BB2_705 Depth=2
                                        ; =>    This Inner Loop Header: Depth=3
	s_cmp_eq_u32 s36, 1
	s_cselect_b64 vcc, -1, 0
	v_cndmask_b32_e32 v13, v119, v41, vcc
	s_cmp_eq_u32 s36, 0
	v_cndmask_b32_e32 v12, v118, v40, vcc
	global_store_dwordx4 v[12:13], v[8:11], off
	v_lshl_add_u64 v[12:13], v[12:13], 0, s[62:63]
	s_cselect_b64 s[40:41], -1, 0
	s_and_b64 s[42:43], exec, s[34:35]
	s_mov_b64 s[36:37], 1
	s_mov_b64 s[34:35], 0
	v_cndmask_b32_e32 v41, v41, v13, vcc
	v_cndmask_b32_e32 v40, v40, v12, vcc
	v_cndmask_b32_e64 v119, v119, v13, s[40:41]
	v_cndmask_b32_e64 v118, v118, v12, s[40:41]
	s_mov_b64 vcc, s[42:43]
	s_cbranch_vccnz .LBB2_738
; %bb.739:                              ;   in Loop: Header=BB2_705 Depth=2
	v_sub_u32_e32 v63, v63, v54
	v_cmp_gt_i32_e32 vcc, 16, v63
	v_lshl_add_u64 v[42:43], v[42:43], 0, v[82:83]
	v_lshl_add_u64 v[44:45], v[44:45], 0, v[82:83]
	;; [unrolled: 1-line block ×4, first 2 shown]
	s_or_b64 s[30:31], vcc, s[30:31]
	v_sub_u32_e32 v73, v73, v36
	s_andn2_b64 exec, exec, s[30:31]
	s_cbranch_execnz .LBB2_705
; %bb.740:                              ;   in Loop: Header=BB2_47 Depth=1
	s_or_b64 exec, exec, s[30:31]
.LBB2_741:                              ;   in Loop: Header=BB2_47 Depth=1
	s_or_b64 exec, exec, s[94:95]
	v_and_b32_e32 v8, 14, v103
	v_cndmask_b32_e64 v63, v74, v8, s[26:27]
	v_mov_b32_e32 v118, 0
	v_cmp_ne_u32_e32 vcc, 0, v63
	s_mov_b64 s[28:29], 0
                                        ; implicit-def: $vgpr119
                                        ; implicit-def: $vgpr40
	s_and_saveexec_b64 s[94:95], vcc
	s_cbranch_execz .LBB2_781
; %bb.742:                              ;   in Loop: Header=BB2_47 Depth=1
	v_sub_u32_e32 v8, v74, v8
	v_cndmask_b32_e64 v8, 0, v8, s[26:27]
	v_cmp_lt_i32_e32 vcc, 0, v73
	v_add_u32_e32 v72, v8, v72
	s_nop 0
	v_cndmask_b32_e32 v8, 0, v36, vcc
	v_sub_u32_e32 v8, v8, v73
	v_lshl_or_b32 v8, v8, 6, v47
	v_ashrrev_i32_e32 v9, 31, v8
	v_lshrrev_b32_e32 v9, 26, v9
	v_add_u32_e32 v9, v8, v9
	v_ashrrev_i32_e32 v10, 6, v9
	v_and_b32_e32 v9, 0xffffffc0, v9
	v_sub_u32_e32 v73, v8, v9
	v_ashrrev_i32_e32 v9, 31, v63
	v_lshrrev_b32_e32 v9, 22, v9
	v_add_u32_e32 v9, v63, v9
	v_and_b32_e32 v74, 0xfffffc00, v9
	v_lshlrev_b32_e32 v8, 4, v73
	v_sub_u32_e32 v75, v63, v74
	v_lshl_add_u32 v8, v10, 10, v8
	v_ashrrev_i32_e32 v11, 10, v9
	v_cmp_lt_i32_e64 s[26:27], 15, v75
	v_sub_u32_e32 v77, v63, v8
	s_nop 0
	v_addc_co_u32_e64 v9, vcc, 0, v11, s[26:27]
	v_sub_u32_e32 v76, v9, v10
	v_cmp_lt_i32_e32 vcc, 15, v77
	s_and_saveexec_b64 s[30:31], vcc
	s_cbranch_execz .LBB2_780
; %bb.743:                              ;   in Loop: Header=BB2_47 Depth=1
	s_trap 2
	ds_read_b64 v[10:11], v0
	v_add_u32_e32 v8, v8, v72
	s_and_b32 s56, s89, 1
	v_ashrrev_i32_e32 v9, 31, v8
	s_cmp_eq_u64 s[56:57], 0
	v_lshl_add_u64 v[118:119], v[8:9], 0, v[114:115]
	v_lshl_add_u64 v[40:41], v[8:9], 0, v[116:117]
	;; [unrolled: 1-line block ×3, first 2 shown]
	s_waitcnt lgkmcnt(0)
	v_lshl_add_u64 v[44:45], v[10:11], 0, v[8:9]
	s_mov_b64 s[34:35], 0
	s_cselect_b64 s[28:29], -1, 0
.LBB2_744:                              ;   Parent Loop BB2_47 Depth=1
                                        ; =>  This Loop Header: Depth=2
                                        ;       Child Loop BB2_777 Depth 3
	global_load_dwordx4 v[8:11], v[44:45], off nt
	global_load_dwordx4 v[12:15], v[42:43], off nt
	s_waitcnt vmcnt(0)
	v_lshlrev_b32_e32 v78, 16, v8
	v_lshlrev_b32_e32 v79, 16, v12
	v_max_f32_e32 v78, v78, v78
	v_max_f32_e32 v79, v79, v79
	v_min_f32_e32 v90, v79, v78
	v_max_f32_e32 v78, v79, v78
	v_cndmask_b32_e64 v79, v78, v90, s[28:29]
	v_and_b32_e32 v78, 0x7f800000, v79
	v_cmp_ne_u32_e32 vcc, s65, v78
                                        ; implicit-def: $vgpr78
	s_and_saveexec_b64 s[40:41], vcc
	s_xor_b64 s[40:41], exec, s[40:41]
; %bb.745:                              ;   in Loop: Header=BB2_744 Depth=2
	v_bfe_u32 v78, v79, 16, 1
	v_add3_u32 v78, v79, v78, s66
                                        ; implicit-def: $vgpr79
; %bb.746:                              ;   in Loop: Header=BB2_744 Depth=2
	s_andn2_saveexec_b64 s[40:41], s[40:41]
; %bb.747:                              ;   in Loop: Header=BB2_744 Depth=2
	v_or_b32_e32 v78, 0x10000, v79
	v_cmp_eq_u32_sdwa vcc, v79, v3 src0_sel:WORD_0 src1_sel:DWORD
	s_nop 1
	v_cndmask_b32_e32 v78, v78, v79, vcc
; %bb.748:                              ;   in Loop: Header=BB2_744 Depth=2
	s_or_b64 exec, exec, s[40:41]
	v_and_b32_e32 v8, 0xffff0000, v8
	v_and_b32_e32 v12, 0xffff0000, v12
	v_max_f32_e32 v8, v8, v8
	v_max_f32_e32 v12, v12, v12
	v_min_f32_e32 v79, v12, v8
	v_max_f32_e32 v8, v12, v8
	v_cndmask_b32_e64 v12, v8, v79, s[28:29]
	v_and_b32_e32 v8, 0x7f800000, v12
	v_cmp_ne_u32_e32 vcc, s65, v8
                                        ; implicit-def: $vgpr8
	s_and_saveexec_b64 s[40:41], vcc
	s_xor_b64 s[40:41], exec, s[40:41]
; %bb.749:                              ;   in Loop: Header=BB2_744 Depth=2
	v_bfe_u32 v8, v12, 16, 1
	v_add3_u32 v8, v12, v8, s66
                                        ; implicit-def: $vgpr12
; %bb.750:                              ;   in Loop: Header=BB2_744 Depth=2
	s_andn2_saveexec_b64 s[40:41], s[40:41]
; %bb.751:                              ;   in Loop: Header=BB2_744 Depth=2
	v_or_b32_e32 v8, 0x10000, v12
	v_cmp_eq_u32_sdwa vcc, v12, v3 src0_sel:WORD_0 src1_sel:DWORD
	s_nop 1
	v_cndmask_b32_e32 v8, v8, v12, vcc
; %bb.752:                              ;   in Loop: Header=BB2_744 Depth=2
	s_or_b64 exec, exec, s[40:41]
	v_lshlrev_b32_e32 v12, 16, v9
	v_lshlrev_b32_e32 v79, 16, v13
	v_max_f32_e32 v12, v12, v12
	v_max_f32_e32 v79, v79, v79
	v_min_f32_e32 v90, v79, v12
	v_max_f32_e32 v12, v79, v12
	v_cndmask_b32_e64 v79, v12, v90, s[28:29]
	v_and_b32_e32 v12, 0x7f800000, v79
	v_cmp_ne_u32_e32 vcc, s65, v12
                                        ; implicit-def: $vgpr12
	s_and_saveexec_b64 s[40:41], vcc
	s_xor_b64 s[40:41], exec, s[40:41]
; %bb.753:                              ;   in Loop: Header=BB2_744 Depth=2
	v_bfe_u32 v12, v79, 16, 1
	v_add3_u32 v12, v79, v12, s66
                                        ; implicit-def: $vgpr79
; %bb.754:                              ;   in Loop: Header=BB2_744 Depth=2
	s_andn2_saveexec_b64 s[40:41], s[40:41]
; %bb.755:                              ;   in Loop: Header=BB2_744 Depth=2
	v_or_b32_e32 v12, 0x10000, v79
	v_cmp_eq_u32_sdwa vcc, v79, v3 src0_sel:WORD_0 src1_sel:DWORD
	s_nop 1
	v_cndmask_b32_e32 v12, v12, v79, vcc
; %bb.756:                              ;   in Loop: Header=BB2_744 Depth=2
	s_or_b64 exec, exec, s[40:41]
	v_and_b32_e32 v13, 0xffff0000, v13
	v_and_b32_e32 v9, 0xffff0000, v9
	v_max_f32_e32 v9, v9, v9
	v_max_f32_e32 v13, v13, v13
	v_min_f32_e32 v79, v13, v9
	v_max_f32_e32 v9, v13, v9
	v_cndmask_b32_e64 v13, v9, v79, s[28:29]
	v_and_b32_e32 v9, 0x7f800000, v13
	v_cmp_ne_u32_e32 vcc, s65, v9
                                        ; implicit-def: $vgpr9
	s_and_saveexec_b64 s[40:41], vcc
	s_xor_b64 s[40:41], exec, s[40:41]
; %bb.757:                              ;   in Loop: Header=BB2_744 Depth=2
	v_bfe_u32 v9, v13, 16, 1
	v_add3_u32 v9, v13, v9, s66
                                        ; implicit-def: $vgpr13
; %bb.758:                              ;   in Loop: Header=BB2_744 Depth=2
	s_andn2_saveexec_b64 s[40:41], s[40:41]
; %bb.759:                              ;   in Loop: Header=BB2_744 Depth=2
	v_or_b32_e32 v9, 0x10000, v13
	v_cmp_eq_u32_sdwa vcc, v13, v3 src0_sel:WORD_0 src1_sel:DWORD
	s_nop 1
	v_cndmask_b32_e32 v9, v9, v13, vcc
; %bb.760:                              ;   in Loop: Header=BB2_744 Depth=2
	s_or_b64 exec, exec, s[40:41]
	v_lshlrev_b32_e32 v13, 16, v10
	v_lshlrev_b32_e32 v79, 16, v14
	v_max_f32_e32 v13, v13, v13
	v_max_f32_e32 v79, v79, v79
	v_min_f32_e32 v90, v79, v13
	v_max_f32_e32 v13, v79, v13
	v_cndmask_b32_e64 v79, v13, v90, s[28:29]
	v_and_b32_e32 v13, 0x7f800000, v79
	v_cmp_ne_u32_e32 vcc, s65, v13
                                        ; implicit-def: $vgpr13
	s_and_saveexec_b64 s[40:41], vcc
	s_xor_b64 s[40:41], exec, s[40:41]
; %bb.761:                              ;   in Loop: Header=BB2_744 Depth=2
	v_bfe_u32 v13, v79, 16, 1
	v_add3_u32 v13, v79, v13, s66
                                        ; implicit-def: $vgpr79
; %bb.762:                              ;   in Loop: Header=BB2_744 Depth=2
	s_andn2_saveexec_b64 s[40:41], s[40:41]
; %bb.763:                              ;   in Loop: Header=BB2_744 Depth=2
	v_or_b32_e32 v13, 0x10000, v79
	v_cmp_eq_u32_sdwa vcc, v79, v3 src0_sel:WORD_0 src1_sel:DWORD
	s_nop 1
	v_cndmask_b32_e32 v13, v13, v79, vcc
; %bb.764:                              ;   in Loop: Header=BB2_744 Depth=2
	s_or_b64 exec, exec, s[40:41]
	v_and_b32_e32 v14, 0xffff0000, v14
	v_and_b32_e32 v10, 0xffff0000, v10
	v_max_f32_e32 v10, v10, v10
	v_max_f32_e32 v14, v14, v14
	v_min_f32_e32 v79, v14, v10
	v_max_f32_e32 v10, v14, v10
	v_cndmask_b32_e64 v14, v10, v79, s[28:29]
	v_and_b32_e32 v10, 0x7f800000, v14
	v_cmp_ne_u32_e32 vcc, s65, v10
                                        ; implicit-def: $vgpr10
	s_and_saveexec_b64 s[40:41], vcc
	s_xor_b64 s[40:41], exec, s[40:41]
; %bb.765:                              ;   in Loop: Header=BB2_744 Depth=2
	v_bfe_u32 v10, v14, 16, 1
	v_add3_u32 v10, v14, v10, s66
                                        ; implicit-def: $vgpr14
; %bb.766:                              ;   in Loop: Header=BB2_744 Depth=2
	s_andn2_saveexec_b64 s[40:41], s[40:41]
; %bb.767:                              ;   in Loop: Header=BB2_744 Depth=2
	v_or_b32_e32 v10, 0x10000, v14
	v_cmp_eq_u32_sdwa vcc, v14, v3 src0_sel:WORD_0 src1_sel:DWORD
	s_nop 1
	v_cndmask_b32_e32 v10, v10, v14, vcc
; %bb.768:                              ;   in Loop: Header=BB2_744 Depth=2
	s_or_b64 exec, exec, s[40:41]
	v_lshlrev_b32_e32 v14, 16, v11
	v_lshlrev_b32_e32 v79, 16, v15
	v_max_f32_e32 v14, v14, v14
	v_max_f32_e32 v79, v79, v79
	v_min_f32_e32 v90, v79, v14
	v_max_f32_e32 v14, v79, v14
	v_cndmask_b32_e64 v79, v14, v90, s[28:29]
	v_and_b32_e32 v14, 0x7f800000, v79
	v_cmp_ne_u32_e32 vcc, s65, v14
                                        ; implicit-def: $vgpr14
	s_and_saveexec_b64 s[40:41], vcc
	s_xor_b64 s[40:41], exec, s[40:41]
; %bb.769:                              ;   in Loop: Header=BB2_744 Depth=2
	v_bfe_u32 v14, v79, 16, 1
	v_add3_u32 v14, v79, v14, s66
                                        ; implicit-def: $vgpr79
; %bb.770:                              ;   in Loop: Header=BB2_744 Depth=2
	s_andn2_saveexec_b64 s[40:41], s[40:41]
; %bb.771:                              ;   in Loop: Header=BB2_744 Depth=2
	v_or_b32_e32 v14, 0x10000, v79
	v_cmp_eq_u32_sdwa vcc, v79, v3 src0_sel:WORD_0 src1_sel:DWORD
	s_nop 1
	v_cndmask_b32_e32 v14, v14, v79, vcc
; %bb.772:                              ;   in Loop: Header=BB2_744 Depth=2
	s_or_b64 exec, exec, s[40:41]
	v_and_b32_e32 v15, 0xffff0000, v15
	v_and_b32_e32 v11, 0xffff0000, v11
	v_max_f32_e32 v11, v11, v11
	v_max_f32_e32 v15, v15, v15
	v_min_f32_e32 v79, v15, v11
	v_max_f32_e32 v11, v15, v11
	v_cndmask_b32_e64 v15, v11, v79, s[28:29]
	v_and_b32_e32 v11, 0x7f800000, v15
	v_cmp_ne_u32_e32 vcc, s65, v11
                                        ; implicit-def: $vgpr11
	s_and_saveexec_b64 s[40:41], vcc
	s_xor_b64 s[40:41], exec, s[40:41]
; %bb.773:                              ;   in Loop: Header=BB2_744 Depth=2
	v_bfe_u32 v11, v15, 16, 1
	v_add3_u32 v11, v15, v11, s66
                                        ; implicit-def: $vgpr15
; %bb.774:                              ;   in Loop: Header=BB2_744 Depth=2
	s_andn2_saveexec_b64 s[40:41], s[40:41]
; %bb.775:                              ;   in Loop: Header=BB2_744 Depth=2
	v_or_b32_e32 v11, 0x10000, v15
	v_cmp_eq_u32_sdwa vcc, v15, v3 src0_sel:WORD_0 src1_sel:DWORD
	s_nop 1
	v_cndmask_b32_e32 v11, v11, v15, vcc
; %bb.776:                              ;   in Loop: Header=BB2_744 Depth=2
	s_or_b64 exec, exec, s[40:41]
	v_lshrrev_b32_e32 v12, 16, v12
	v_and_or_b32 v9, v9, s67, v12
	v_lshrrev_b32_e32 v12, 16, v78
	v_and_or_b32 v8, v8, s67, v12
	v_lshrrev_b32_e32 v12, 16, v13
	v_and_or_b32 v10, v10, s67, v12
	v_lshrrev_b32_e32 v12, 16, v14
	v_and_or_b32 v11, v11, s67, v12
	s_mov_b64 s[38:39], 0
	s_mov_b64 s[36:37], -1
.LBB2_777:                              ;   Parent Loop BB2_47 Depth=1
                                        ;     Parent Loop BB2_744 Depth=2
                                        ; =>    This Inner Loop Header: Depth=3
	s_cmp_eq_u32 s38, 1
	s_cselect_b64 vcc, -1, 0
	v_cndmask_b32_e32 v13, v119, v41, vcc
	s_cmp_eq_u32 s38, 0
	v_cndmask_b32_e32 v12, v118, v40, vcc
	global_store_dwordx4 v[12:13], v[8:11], off
	v_lshl_add_u64 v[12:13], v[12:13], 0, s[62:63]
	s_cselect_b64 s[40:41], -1, 0
	s_and_b64 s[42:43], exec, s[36:37]
	s_mov_b64 s[38:39], 1
	s_mov_b64 s[36:37], 0
	v_cndmask_b32_e32 v41, v41, v13, vcc
	v_cndmask_b32_e32 v40, v40, v12, vcc
	v_cndmask_b32_e64 v119, v119, v13, s[40:41]
	v_cndmask_b32_e64 v118, v118, v12, s[40:41]
	s_mov_b64 vcc, s[42:43]
	s_cbranch_vccnz .LBB2_777
; %bb.778:                              ;   in Loop: Header=BB2_744 Depth=2
	v_sub_u32_e32 v77, v77, v54
	v_cmp_gt_i32_e32 vcc, 16, v77
	v_lshl_add_u64 v[42:43], v[42:43], 0, v[82:83]
	v_lshl_add_u64 v[44:45], v[44:45], 0, v[82:83]
	;; [unrolled: 1-line block ×4, first 2 shown]
	s_or_b64 s[34:35], vcc, s[34:35]
	v_sub_u32_e32 v76, v76, v36
	s_andn2_b64 exec, exec, s[34:35]
	s_cbranch_execnz .LBB2_744
; %bb.779:                              ;   in Loop: Header=BB2_47 Depth=1
	s_or_b64 exec, exec, s[34:35]
.LBB2_780:                              ;   in Loop: Header=BB2_47 Depth=1
	s_or_b64 exec, exec, s[30:31]
	v_and_b32_e32 v8, 14, v63
	v_cmp_lt_i32_e32 vcc, 0, v76
	v_sub_u32_e32 v9, v75, v8
	v_cndmask_b32_e64 v119, v75, v8, s[26:27]
	v_cndmask_b32_e32 v8, 0, v36, vcc
	v_cndmask_b32_e64 v9, 0, v9, s[26:27]
	v_sub_u32_e32 v8, v8, v76
	v_cmp_ne_u32_e32 vcc, 0, v119
	v_add3_u32 v118, v74, v72, v9
	v_lshl_add_u32 v40, v8, 6, v73
	s_and_b64 s[28:29], vcc, exec
.LBB2_781:                              ;   in Loop: Header=BB2_47 Depth=1
	s_or_b64 exec, exec, s[94:95]
	s_and_saveexec_b64 s[42:43], s[28:29]
	s_cbranch_execz .LBB2_824
.LBB2_782:                              ;   in Loop: Header=BB2_47 Depth=1
	v_ashrrev_i32_e32 v8, 31, v40
	v_ashrrev_i32_e32 v9, 31, v119
	v_lshrrev_b32_e32 v8, 26, v8
	v_lshrrev_b32_e32 v9, 23, v9
	v_add_u32_e32 v8, v40, v8
	v_add_u32_e32 v9, v119, v9
	v_ashrrev_i32_e32 v41, 6, v8
	v_ashrrev_i32_e32 v43, 9, v9
	v_sub_u32_e32 v42, v43, v41
	v_cmp_lt_i32_e32 vcc, 0, v42
	s_and_saveexec_b64 s[28:29], vcc
	s_cbranch_execz .LBB2_814
; %bb.783:                              ;   in Loop: Header=BB2_47 Depth=1
	v_and_b32_e32 v8, 0x7fffffc0, v8
	s_trap 2
	ds_read_b64 v[44:45], v0
	v_sub_u32_e32 v8, v40, v8
	v_lshlrev_b32_e32 v8, 1, v8
	v_lshlrev_b32_e32 v9, 9, v41
	v_add3_u32 v14, v8, v118, v9
	s_and_b32 s56, s89, 1
	v_ashrrev_i32_e32 v15, 31, v14
	s_cmp_eq_u64 s[56:57], 0
	v_lshl_add_u64 v[8:9], v[14:15], 0, v[114:115]
	v_lshl_add_u64 v[10:11], v[14:15], 0, v[116:117]
	;; [unrolled: 1-line block ×3, first 2 shown]
	s_waitcnt lgkmcnt(0)
	v_lshl_add_u64 v[14:15], v[44:45], 0, v[14:15]
	s_mov_b64 s[40:41], 0
	s_cselect_b64 vcc, -1, 0
	s_branch .LBB2_785
.LBB2_784:                              ;   in Loop: Header=BB2_785 Depth=2
	s_or_b64 exec, exec, s[94:95]
	v_sub_u32_e32 v42, v42, v36
	v_lshrrev_b32_e32 v44, 16, v44
	v_cmp_gt_i32_e64 s[26:27], 1, v42
	v_lshrrev_b32_e32 v63, 16, v73
	v_lshrrev_b32_e32 v72, 16, v72
	;; [unrolled: 1-line block ×3, first 2 shown]
	flat_store_short v[8:9], v44 nt
	flat_store_short v[8:9], v72 offset:128 nt
	flat_store_short v[8:9], v63 offset:256 nt
	;; [unrolled: 1-line block ×3, first 2 shown]
	flat_store_short v[10:11], v44 nt
	flat_store_short v[10:11], v72 offset:128 nt
	flat_store_short v[10:11], v63 offset:256 nt
	;; [unrolled: 1-line block ×3, first 2 shown]
	v_lshl_add_u64 v[12:13], v[12:13], 0, v[64:65]
	v_lshl_add_u64 v[14:15], v[14:15], 0, v[64:65]
	;; [unrolled: 1-line block ×3, first 2 shown]
	s_or_b64 s[40:41], s[26:27], s[40:41]
	v_lshl_add_u64 v[10:11], v[10:11], 0, v[64:65]
	s_andn2_b64 exec, exec, s[40:41]
	s_cbranch_execz .LBB2_813
.LBB2_785:                              ;   Parent Loop BB2_47 Depth=1
                                        ; =>  This Inner Loop Header: Depth=2
	flat_load_ushort v73, v[12:13] offset:256 nt
	flat_load_ushort v45, v[12:13] offset:384 nt
	flat_load_ushort v44, v[12:13] nt
	flat_load_ushort v74, v[14:15] offset:256 nt
	flat_load_ushort v63, v[14:15] offset:384 nt
	flat_load_ushort v76, v[14:15] nt
	flat_load_ushort v72, v[12:13] offset:128 nt
	flat_load_ushort v75, v[14:15] offset:128 nt
	s_waitcnt vmcnt(0) lgkmcnt(0)
	v_lshlrev_b32_e32 v44, 16, v44
	v_max_f32_e32 v44, v44, v44
	v_lshlrev_b32_e32 v76, 16, v76
	v_max_f32_e32 v76, v76, v76
	v_min_f32_e32 v77, v44, v76
	v_max_f32_e32 v44, v44, v76
	v_cndmask_b32_e32 v76, v44, v77, vcc
	v_and_b32_e32 v44, 0x7f800000, v76
	v_cmp_ne_u32_e64 s[26:27], s65, v44
                                        ; implicit-def: $vgpr44
	s_and_saveexec_b64 s[94:95], s[26:27]
	s_xor_b64 s[26:27], exec, s[94:95]
; %bb.786:                              ;   in Loop: Header=BB2_785 Depth=2
	v_bfe_u32 v44, v76, 16, 1
	v_add3_u32 v44, v76, v44, s66
                                        ; implicit-def: $vgpr76
; %bb.787:                              ;   in Loop: Header=BB2_785 Depth=2
	s_andn2_saveexec_b64 s[94:95], s[26:27]
; %bb.788:                              ;   in Loop: Header=BB2_785 Depth=2
	v_or_b32_e32 v44, 0x10000, v76
	v_cmp_eq_u32_sdwa s[26:27], v76, v3 src0_sel:WORD_0 src1_sel:DWORD
	s_nop 1
	v_cndmask_b32_e64 v44, v44, v76, s[26:27]
; %bb.789:                              ;   in Loop: Header=BB2_785 Depth=2
	s_or_b64 exec, exec, s[94:95]
	v_lshlrev_b32_e32 v72, 16, v72
	v_lshlrev_b32_e32 v75, 16, v75
	v_max_f32_e32 v75, v75, v75
	v_max_f32_e32 v72, v72, v72
	v_min_f32_e32 v76, v72, v75
	v_max_f32_e32 v72, v72, v75
	v_cndmask_b32_e32 v75, v72, v76, vcc
	v_and_b32_e32 v72, 0x7f800000, v75
	v_cmp_ne_u32_e64 s[26:27], s65, v72
                                        ; implicit-def: $vgpr72
	s_and_saveexec_b64 s[94:95], s[26:27]
	s_xor_b64 s[26:27], exec, s[94:95]
; %bb.790:                              ;   in Loop: Header=BB2_785 Depth=2
	v_bfe_u32 v72, v75, 16, 1
	v_add3_u32 v72, v75, v72, s66
                                        ; implicit-def: $vgpr75
; %bb.791:                              ;   in Loop: Header=BB2_785 Depth=2
	s_andn2_saveexec_b64 s[94:95], s[26:27]
; %bb.792:                              ;   in Loop: Header=BB2_785 Depth=2
	v_or_b32_e32 v72, 0x10000, v75
	v_cmp_eq_u32_sdwa s[26:27], v75, v3 src0_sel:WORD_0 src1_sel:DWORD
	s_nop 1
	v_cndmask_b32_e64 v72, v72, v75, s[26:27]
; %bb.793:                              ;   in Loop: Header=BB2_785 Depth=2
	s_or_b64 exec, exec, s[94:95]
	v_lshlrev_b32_e32 v73, 16, v73
	v_lshlrev_b32_e32 v74, 16, v74
	v_max_f32_e32 v74, v74, v74
	v_max_f32_e32 v73, v73, v73
	v_min_f32_e32 v75, v73, v74
	v_max_f32_e32 v73, v73, v74
	v_cndmask_b32_e32 v74, v73, v75, vcc
	v_and_b32_e32 v73, 0x7f800000, v74
	v_cmp_ne_u32_e64 s[26:27], s65, v73
                                        ; implicit-def: $vgpr73
	s_and_saveexec_b64 s[94:95], s[26:27]
	s_xor_b64 s[26:27], exec, s[94:95]
; %bb.794:                              ;   in Loop: Header=BB2_785 Depth=2
	v_bfe_u32 v73, v74, 16, 1
	v_add3_u32 v73, v74, v73, s66
                                        ; implicit-def: $vgpr74
; %bb.795:                              ;   in Loop: Header=BB2_785 Depth=2
	s_andn2_saveexec_b64 s[94:95], s[26:27]
; %bb.796:                              ;   in Loop: Header=BB2_785 Depth=2
	v_or_b32_e32 v73, 0x10000, v74
	v_cmp_eq_u32_sdwa s[26:27], v74, v3 src0_sel:WORD_0 src1_sel:DWORD
	s_nop 1
	v_cndmask_b32_e64 v73, v73, v74, s[26:27]
; %bb.797:                              ;   in Loop: Header=BB2_785 Depth=2
	s_or_b64 exec, exec, s[94:95]
	v_lshlrev_b32_e32 v45, 16, v45
	v_lshlrev_b32_e32 v63, 16, v63
	v_max_f32_e32 v63, v63, v63
	v_max_f32_e32 v45, v45, v45
	v_min_f32_e32 v74, v45, v63
	v_max_f32_e32 v45, v45, v63
	v_cndmask_b32_e32 v63, v45, v74, vcc
	v_and_b32_e32 v45, 0x7f800000, v63
	v_cmp_ne_u32_e64 s[26:27], s65, v45
                                        ; implicit-def: $vgpr45
	s_and_saveexec_b64 s[94:95], s[26:27]
	s_xor_b64 s[26:27], exec, s[94:95]
; %bb.798:                              ;   in Loop: Header=BB2_785 Depth=2
	v_bfe_u32 v45, v63, 16, 1
	v_add3_u32 v45, v63, v45, s66
                                        ; implicit-def: $vgpr63
; %bb.799:                              ;   in Loop: Header=BB2_785 Depth=2
	s_andn2_saveexec_b64 s[94:95], s[26:27]
	s_cbranch_execz .LBB2_784
; %bb.800:                              ;   in Loop: Header=BB2_785 Depth=2
	v_or_b32_e32 v45, 0x10000, v63
	v_cmp_eq_u32_sdwa s[26:27], v63, v3 src0_sel:WORD_0 src1_sel:DWORD
	s_nop 1
	v_cndmask_b32_e64 v45, v45, v63, s[26:27]
	s_branch .LBB2_784
.LBB2_801:                              ;   in Loop: Header=BB2_47 Depth=1
	s_or_b64 exec, exec, s[92:93]
	s_and_saveexec_b64 s[92:93], s[94:95]
	s_xor_b64 s[92:93], exec, s[92:93]
	s_cbranch_execz .LBB2_803
; %bb.802:                              ;   in Loop: Header=BB2_47 Depth=1
	ds_write_b32 v0, v57
	s_trap 2
.LBB2_803:                              ;   in Loop: Header=BB2_47 Depth=1
	s_or_b64 exec, exec, s[90:91]
	;;#ASMSTART
	s_wakeup
	;;#ASMEND
.LBB2_804:                              ;   in Loop: Header=BB2_47 Depth=1
	s_or_b64 exec, exec, s[42:43]
.LBB2_805:                              ;   in Loop: Header=BB2_47 Depth=1
	s_andn2_saveexec_b64 s[40:41], s[40:41]
	s_cbranch_execz .LBB2_807
; %bb.806:                              ;   in Loop: Header=BB2_47 Depth=1
	;;#ASMSTART
	s_waitcnt lgkmcnt(0) vmcnt(0)
	;;#ASMEND
	s_barrier
.LBB2_807:                              ;   in Loop: Header=BB2_47 Depth=1
	s_or_b64 exec, exec, s[40:41]
.LBB2_808:                              ;   in Loop: Header=BB2_47 Depth=1
	s_or_b64 exec, exec, s[26:27]
	v_cmp_ne_u32_e32 vcc, 0, v9
	s_xor_b64 s[26:27], s[10:11], -1
	s_and_b64 s[40:41], vcc, s[26:27]
	s_and_saveexec_b64 s[26:27], s[40:41]
	s_cbranch_execz .LBB2_810
; %bb.809:                              ;   in Loop: Header=BB2_47 Depth=1
	flat_store_dword v[28:29], v57 sc0 sc1
.LBB2_810:                              ;   in Loop: Header=BB2_47 Depth=1
	s_or_b64 exec, exec, s[26:27]
	v_and_b32_e32 v2, 48, v46
	v_cmp_ne_u32_e32 vcc, 0, v2
	s_and_saveexec_b64 s[26:27], vcc
	s_cbranch_execz .LBB2_812
; %bb.811:                              ;   in Loop: Header=BB2_47 Depth=1
	v_lshl_add_u64 v[96:97], v[96:97], 0, 4
	flat_store_dwordx2 v[22:23], v[96:97] sc0 sc1
.LBB2_812:                              ;   in Loop: Header=BB2_47 Depth=1
	s_or_b64 exec, exec, s[26:27]
	s_or_b64 exec, exec, s[28:29]
	s_and_b64 vcc, exec, s[24:25]
	s_cbranch_vccnz .LBB2_1238
	s_branch .LBB2_984
.LBB2_813:                              ;   in Loop: Header=BB2_47 Depth=1
	s_or_b64 exec, exec, s[40:41]
.LBB2_814:                              ;   in Loop: Header=BB2_47 Depth=1
	s_or_b64 exec, exec, s[28:29]
	v_lshlrev_b32_e32 v8, 9, v43
	v_cmp_ne_u32_e32 vcc, v119, v8
	s_and_b64 exec, exec, vcc
	s_cbranch_execz .LBB2_824
; %bb.815:                              ;   in Loop: Header=BB2_47 Depth=1
	v_lshlrev_b32_e32 v9, 6, v41
	v_sub_u32_e32 v9, v40, v9
	v_lshlrev_b32_e32 v10, 6, v42
	v_sub_u32_e32 v9, v9, v10
	v_ashrrev_i32_e32 v10, 31, v9
	v_lshrrev_b32_e32 v10, 26, v10
	v_add_u32_e32 v10, v9, v10
	v_and_b32_e32 v11, 0x7fffffc0, v10
	v_sub_u32_e32 v9, v9, v11
	v_lshlrev_b32_e32 v10, 1, v10
	v_and_b32_e32 v10, 0xffffff80, v10
	v_lshlrev_b32_e32 v9, 1, v9
	v_add3_u32 v8, v10, v9, v8
	v_sub_u32_e32 v119, v119, v8
	v_cmp_lt_i32_e32 vcc, 1, v119
	s_and_b64 exec, exec, vcc
	s_cbranch_execz .LBB2_824
; %bb.816:                              ;   in Loop: Header=BB2_47 Depth=1
	s_trap 2
	ds_read_b64 v[40:41], v0
	v_add_u32_e32 v14, v8, v118
	s_and_b32 s56, s89, 1
	v_ashrrev_i32_e32 v15, 31, v14
	s_cmp_eq_u64 s[56:57], 0
	v_lshl_add_u64 v[8:9], v[14:15], 0, v[114:115]
	v_lshl_add_u64 v[10:11], v[14:15], 0, v[116:117]
	v_lshl_add_u64 v[12:13], v[14:15], 0, v[112:113]
	s_waitcnt lgkmcnt(0)
	v_lshl_add_u64 v[14:15], v[40:41], 0, v[14:15]
	s_mov_b64 s[94:95], 0
	s_cselect_b64 s[26:27], -1, 0
.LBB2_817:                              ;   Parent Loop BB2_47 Depth=1
                                        ; =>  This Loop Header: Depth=2
                                        ;       Child Loop BB2_822 Depth 3
	flat_load_ushort v116, v[14:15] nt
	flat_load_ushort v117, v[12:13] nt
	s_waitcnt vmcnt(0) lgkmcnt(0)
	v_lshlrev_b32_e32 v116, 16, v116
	v_lshlrev_b32_e32 v117, 16, v117
	v_max_f32_e32 v116, v116, v116
	v_max_f32_e32 v117, v117, v117
	v_min_f32_e32 v118, v117, v116
	v_max_f32_e32 v116, v117, v116
	v_cndmask_b32_e64 v116, v116, v118, s[26:27]
	v_and_b32_e32 v117, 0x7f800000, v116
	v_cmp_ne_u32_e32 vcc, s65, v117
                                        ; implicit-def: $vgpr117
	s_and_saveexec_b64 s[28:29], vcc
	s_xor_b64 s[28:29], exec, s[28:29]
; %bb.818:                              ;   in Loop: Header=BB2_817 Depth=2
	v_bfe_u32 v117, v116, 16, 1
	v_add3_u32 v117, v116, v117, s66
                                        ; implicit-def: $vgpr116
; %bb.819:                              ;   in Loop: Header=BB2_817 Depth=2
	s_andn2_saveexec_b64 s[28:29], s[28:29]
; %bb.820:                              ;   in Loop: Header=BB2_817 Depth=2
	v_or_b32_e32 v117, 0x10000, v116
	v_cmp_eq_u32_sdwa vcc, v116, v3 src0_sel:WORD_0 src1_sel:DWORD
	s_nop 1
	v_cndmask_b32_e32 v117, v117, v116, vcc
; %bb.821:                              ;   in Loop: Header=BB2_817 Depth=2
	s_or_b64 exec, exec, s[28:29]
	v_lshrrev_b32_e32 v116, 16, v117
	s_mov_b64 s[34:35], 0
	s_mov_b64 s[30:31], -1
.LBB2_822:                              ;   Parent Loop BB2_47 Depth=1
                                        ;     Parent Loop BB2_817 Depth=2
                                        ; =>    This Inner Loop Header: Depth=3
	s_cmp_eq_u32 s34, 1
	s_cselect_b64 vcc, -1, 0
	v_cndmask_b32_e32 v41, v9, v11, vcc
	s_cmp_eq_u32 s34, 0
	v_cndmask_b32_e32 v40, v8, v10, vcc
	flat_store_short v[40:41], v116 nt
	v_lshl_add_u64 v[40:41], v[40:41], 0, s[72:73]
	s_cselect_b64 s[28:29], -1, 0
	s_and_b64 s[40:41], exec, s[30:31]
	s_mov_b64 s[34:35], 1
	s_mov_b64 s[30:31], 0
	v_cndmask_b32_e32 v11, v11, v41, vcc
	v_cndmask_b32_e32 v10, v10, v40, vcc
	v_cndmask_b32_e64 v9, v9, v41, s[28:29]
	v_cndmask_b32_e64 v8, v8, v40, s[28:29]
	s_mov_b64 vcc, s[40:41]
	s_cbranch_vccnz .LBB2_822
; %bb.823:                              ;   in Loop: Header=BB2_817 Depth=2
	v_sub_u32_e32 v119, v119, v66
	v_cmp_gt_i32_e32 vcc, 2, v119
	v_lshl_add_u64 v[12:13], v[12:13], 0, v[84:85]
	v_lshl_add_u64 v[14:15], v[14:15], 0, v[84:85]
	;; [unrolled: 1-line block ×3, first 2 shown]
	s_or_b64 s[94:95], vcc, s[94:95]
	v_lshl_add_u64 v[10:11], v[10:11], 0, v[80:81]
	s_andn2_b64 exec, exec, s[94:95]
	s_cbranch_execnz .LBB2_817
.LBB2_824:                              ;   in Loop: Header=BB2_47 Depth=1
	s_or_b64 exec, exec, s[42:43]
	s_mov_b64 s[26:27], 0
.LBB2_825:                              ;   in Loop: Header=BB2_47 Depth=1
	s_and_b64 vcc, exec, s[26:27]
	s_cbranch_vccz .LBB2_936
; %bb.826:                              ;   in Loop: Header=BB2_47 Depth=1
	s_mov_b64 s[26:27], -1
	s_and_saveexec_b64 s[28:29], s[20:21]
	s_cbranch_execz .LBB2_828
; %bb.827:                              ;   in Loop: Header=BB2_47 Depth=1
	ds_read_b32 v8, v0 offset:720
	s_waitcnt lgkmcnt(0)
	v_and_b32_e32 v8, 15, v8
	v_cmp_eq_u32_e32 vcc, 0, v8
	s_orn2_b64 s[26:27], vcc, exec
.LBB2_828:                              ;   in Loop: Header=BB2_47 Depth=1
	s_or_b64 exec, exec, s[28:29]
	s_and_saveexec_b64 s[28:29], s[16:17]
	s_cbranch_execz .LBB2_830
; %bb.829:                              ;   in Loop: Header=BB2_47 Depth=1
	ds_read_b32 v8, v0 offset:784
	s_waitcnt lgkmcnt(0)
	v_and_b32_e32 v8, 15, v8
	v_cmp_eq_u32_e32 vcc, 0, v8
	s_and_b64 s[40:41], s[26:27], vcc
	s_andn2_b64 s[26:27], s[26:27], exec
	s_and_b64 s[40:41], s[40:41], exec
	s_or_b64 s[26:27], s[26:27], s[40:41]
.LBB2_830:                              ;   in Loop: Header=BB2_47 Depth=1
	s_or_b64 exec, exec, s[28:29]
	s_xor_b64 s[26:27], s[26:27], -1
	v_cndmask_b32_e64 v8, 0, 1, s[26:27]
	s_mov_b64 s[42:43], -1
	v_mov_b32_e32 v14, 0
	v_cmp_ne_u32_e32 vcc, 0, v8
	s_cbranch_vccz .LBB2_832
; %bb.831:                              ;   in Loop: Header=BB2_47 Depth=1
	v_mov_b32_e32 v15, v0
	s_and_saveexec_b64 s[28:29], s[42:43]
	s_cbranch_execnz .LBB2_907
	s_branch .LBB2_935
.LBB2_832:                              ;   in Loop: Header=BB2_47 Depth=1
	v_ashrrev_i32_e32 v8, 31, v103
	v_lshrrev_b32_e32 v8, 22, v8
	v_add_u32_e32 v8, v103, v8
	v_and_b32_e32 v43, 0xfffffc00, v8
	v_ashrrev_i32_e32 v9, 10, v8
	v_sub_u32_e32 v45, v103, v43
	v_sub_u32_e32 v8, v9, v56
	v_cmp_lt_i32_e32 vcc, 15, v45
	v_sub_u32_e32 v42, v103, v38
	s_nop 0
	v_addc_co_u32_e64 v44, s[26:27], 0, v8, vcc
	v_cmp_lt_i32_e64 s[26:27], 15, v42
	s_and_saveexec_b64 s[40:41], s[26:27]
	s_cbranch_execz .LBB2_868
; %bb.833:                              ;   in Loop: Header=BB2_47 Depth=1
	s_trap 2
	ds_read_b64 v[8:9], v0
	s_and_b32 s56, s89, 1
	s_cmp_eq_u64 s[56:57], 0
	v_lshl_add_u64 v[116:117], v[112:113], 0, v[38:39]
	v_lshl_add_u64 v[118:119], v[114:115], 0, v[38:39]
	s_waitcnt lgkmcnt(0)
	v_lshl_add_u64 v[40:41], v[8:9], 0, v[38:39]
	s_mov_b64 s[42:43], 0
	s_cselect_b64 s[26:27], -1, 0
	s_branch .LBB2_835
.LBB2_834:                              ;   in Loop: Header=BB2_835 Depth=2
	s_or_b64 exec, exec, s[94:95]
	v_lshrrev_b32_e32 v12, 16, v12
	v_and_or_b32 v9, v9, s67, v12
	v_lshrrev_b32_e32 v12, 16, v63
	v_and_or_b32 v8, v8, s67, v12
	;; [unrolled: 2-line block ×3, first 2 shown]
	v_lshrrev_b32_e32 v12, 16, v14
	v_sub_u32_e32 v42, v42, v54
	v_and_or_b32 v11, v11, s67, v12
	v_cmp_gt_i32_e64 s[28:29], 16, v42
	global_store_dwordx4 v[118:119], v[8:11], off
	v_lshl_add_u64 v[116:117], v[116:117], 0, v[54:55]
	v_lshl_add_u64 v[40:41], v[40:41], 0, v[54:55]
	;; [unrolled: 1-line block ×3, first 2 shown]
	s_or_b64 s[42:43], s[28:29], s[42:43]
	v_sub_u32_e32 v44, v44, v36
	s_andn2_b64 exec, exec, s[42:43]
	s_cbranch_execz .LBB2_867
.LBB2_835:                              ;   Parent Loop BB2_47 Depth=1
                                        ; =>  This Inner Loop Header: Depth=2
	global_load_dwordx4 v[8:11], v[40:41], off nt
	global_load_dwordx4 v[12:15], v[116:117], off nt
	s_waitcnt vmcnt(0)
	v_lshlrev_b32_e32 v63, 16, v8
	v_lshlrev_b32_e32 v72, 16, v12
	v_max_f32_e32 v63, v63, v63
	v_max_f32_e32 v72, v72, v72
	v_min_f32_e32 v73, v72, v63
	v_max_f32_e32 v63, v72, v63
	v_cndmask_b32_e64 v72, v63, v73, s[26:27]
	v_and_b32_e32 v63, 0x7f800000, v72
	v_cmp_ne_u32_e64 s[28:29], s65, v63
                                        ; implicit-def: $vgpr63
	s_and_saveexec_b64 s[94:95], s[28:29]
	s_xor_b64 s[28:29], exec, s[94:95]
; %bb.836:                              ;   in Loop: Header=BB2_835 Depth=2
	v_bfe_u32 v63, v72, 16, 1
	v_add3_u32 v63, v72, v63, s66
                                        ; implicit-def: $vgpr72
; %bb.837:                              ;   in Loop: Header=BB2_835 Depth=2
	s_andn2_saveexec_b64 s[94:95], s[28:29]
; %bb.838:                              ;   in Loop: Header=BB2_835 Depth=2
	v_or_b32_e32 v63, 0x10000, v72
	v_cmp_eq_u32_sdwa s[28:29], v72, v3 src0_sel:WORD_0 src1_sel:DWORD
	s_nop 1
	v_cndmask_b32_e64 v63, v63, v72, s[28:29]
; %bb.839:                              ;   in Loop: Header=BB2_835 Depth=2
	s_or_b64 exec, exec, s[94:95]
	v_and_b32_e32 v8, 0xffff0000, v8
	v_and_b32_e32 v12, 0xffff0000, v12
	v_max_f32_e32 v8, v8, v8
	v_max_f32_e32 v12, v12, v12
	v_min_f32_e32 v72, v12, v8
	v_max_f32_e32 v8, v12, v8
	v_cndmask_b32_e64 v12, v8, v72, s[26:27]
	v_and_b32_e32 v8, 0x7f800000, v12
	v_cmp_ne_u32_e64 s[28:29], s65, v8
                                        ; implicit-def: $vgpr8
	s_and_saveexec_b64 s[94:95], s[28:29]
	s_xor_b64 s[28:29], exec, s[94:95]
; %bb.840:                              ;   in Loop: Header=BB2_835 Depth=2
	v_bfe_u32 v8, v12, 16, 1
	v_add3_u32 v8, v12, v8, s66
                                        ; implicit-def: $vgpr12
; %bb.841:                              ;   in Loop: Header=BB2_835 Depth=2
	s_andn2_saveexec_b64 s[94:95], s[28:29]
; %bb.842:                              ;   in Loop: Header=BB2_835 Depth=2
	v_or_b32_e32 v8, 0x10000, v12
	v_cmp_eq_u32_sdwa s[28:29], v12, v3 src0_sel:WORD_0 src1_sel:DWORD
	s_nop 1
	v_cndmask_b32_e64 v8, v8, v12, s[28:29]
; %bb.843:                              ;   in Loop: Header=BB2_835 Depth=2
	s_or_b64 exec, exec, s[94:95]
	v_lshlrev_b32_e32 v12, 16, v9
	v_lshlrev_b32_e32 v72, 16, v13
	v_max_f32_e32 v12, v12, v12
	v_max_f32_e32 v72, v72, v72
	v_min_f32_e32 v73, v72, v12
	v_max_f32_e32 v12, v72, v12
	v_cndmask_b32_e64 v72, v12, v73, s[26:27]
	v_and_b32_e32 v12, 0x7f800000, v72
	v_cmp_ne_u32_e64 s[28:29], s65, v12
                                        ; implicit-def: $vgpr12
	s_and_saveexec_b64 s[94:95], s[28:29]
	s_xor_b64 s[28:29], exec, s[94:95]
; %bb.844:                              ;   in Loop: Header=BB2_835 Depth=2
	v_bfe_u32 v12, v72, 16, 1
	v_add3_u32 v12, v72, v12, s66
                                        ; implicit-def: $vgpr72
; %bb.845:                              ;   in Loop: Header=BB2_835 Depth=2
	s_andn2_saveexec_b64 s[94:95], s[28:29]
; %bb.846:                              ;   in Loop: Header=BB2_835 Depth=2
	v_or_b32_e32 v12, 0x10000, v72
	v_cmp_eq_u32_sdwa s[28:29], v72, v3 src0_sel:WORD_0 src1_sel:DWORD
	s_nop 1
	v_cndmask_b32_e64 v12, v12, v72, s[28:29]
; %bb.847:                              ;   in Loop: Header=BB2_835 Depth=2
	s_or_b64 exec, exec, s[94:95]
	v_and_b32_e32 v13, 0xffff0000, v13
	v_and_b32_e32 v9, 0xffff0000, v9
	v_max_f32_e32 v9, v9, v9
	v_max_f32_e32 v13, v13, v13
	v_min_f32_e32 v72, v13, v9
	v_max_f32_e32 v9, v13, v9
	v_cndmask_b32_e64 v13, v9, v72, s[26:27]
	v_and_b32_e32 v9, 0x7f800000, v13
	v_cmp_ne_u32_e64 s[28:29], s65, v9
                                        ; implicit-def: $vgpr9
	s_and_saveexec_b64 s[94:95], s[28:29]
	s_xor_b64 s[28:29], exec, s[94:95]
; %bb.848:                              ;   in Loop: Header=BB2_835 Depth=2
	v_bfe_u32 v9, v13, 16, 1
	v_add3_u32 v9, v13, v9, s66
                                        ; implicit-def: $vgpr13
; %bb.849:                              ;   in Loop: Header=BB2_835 Depth=2
	s_andn2_saveexec_b64 s[94:95], s[28:29]
; %bb.850:                              ;   in Loop: Header=BB2_835 Depth=2
	v_or_b32_e32 v9, 0x10000, v13
	v_cmp_eq_u32_sdwa s[28:29], v13, v3 src0_sel:WORD_0 src1_sel:DWORD
	s_nop 1
	v_cndmask_b32_e64 v9, v9, v13, s[28:29]
; %bb.851:                              ;   in Loop: Header=BB2_835 Depth=2
	s_or_b64 exec, exec, s[94:95]
	v_lshlrev_b32_e32 v13, 16, v10
	v_lshlrev_b32_e32 v72, 16, v14
	v_max_f32_e32 v13, v13, v13
	v_max_f32_e32 v72, v72, v72
	v_min_f32_e32 v73, v72, v13
	v_max_f32_e32 v13, v72, v13
	v_cndmask_b32_e64 v72, v13, v73, s[26:27]
	v_and_b32_e32 v13, 0x7f800000, v72
	v_cmp_ne_u32_e64 s[28:29], s65, v13
                                        ; implicit-def: $vgpr13
	s_and_saveexec_b64 s[94:95], s[28:29]
	s_xor_b64 s[28:29], exec, s[94:95]
; %bb.852:                              ;   in Loop: Header=BB2_835 Depth=2
	v_bfe_u32 v13, v72, 16, 1
	v_add3_u32 v13, v72, v13, s66
                                        ; implicit-def: $vgpr72
; %bb.853:                              ;   in Loop: Header=BB2_835 Depth=2
	s_andn2_saveexec_b64 s[94:95], s[28:29]
; %bb.854:                              ;   in Loop: Header=BB2_835 Depth=2
	v_or_b32_e32 v13, 0x10000, v72
	v_cmp_eq_u32_sdwa s[28:29], v72, v3 src0_sel:WORD_0 src1_sel:DWORD
	s_nop 1
	v_cndmask_b32_e64 v13, v13, v72, s[28:29]
; %bb.855:                              ;   in Loop: Header=BB2_835 Depth=2
	s_or_b64 exec, exec, s[94:95]
	v_and_b32_e32 v14, 0xffff0000, v14
	v_and_b32_e32 v10, 0xffff0000, v10
	v_max_f32_e32 v10, v10, v10
	v_max_f32_e32 v14, v14, v14
	v_min_f32_e32 v72, v14, v10
	v_max_f32_e32 v10, v14, v10
	v_cndmask_b32_e64 v14, v10, v72, s[26:27]
	v_and_b32_e32 v10, 0x7f800000, v14
	v_cmp_ne_u32_e64 s[28:29], s65, v10
                                        ; implicit-def: $vgpr10
	s_and_saveexec_b64 s[94:95], s[28:29]
	s_xor_b64 s[28:29], exec, s[94:95]
; %bb.856:                              ;   in Loop: Header=BB2_835 Depth=2
	v_bfe_u32 v10, v14, 16, 1
	v_add3_u32 v10, v14, v10, s66
                                        ; implicit-def: $vgpr14
; %bb.857:                              ;   in Loop: Header=BB2_835 Depth=2
	s_andn2_saveexec_b64 s[94:95], s[28:29]
; %bb.858:                              ;   in Loop: Header=BB2_835 Depth=2
	v_or_b32_e32 v10, 0x10000, v14
	v_cmp_eq_u32_sdwa s[28:29], v14, v3 src0_sel:WORD_0 src1_sel:DWORD
	s_nop 1
	v_cndmask_b32_e64 v10, v10, v14, s[28:29]
; %bb.859:                              ;   in Loop: Header=BB2_835 Depth=2
	s_or_b64 exec, exec, s[94:95]
	v_lshlrev_b32_e32 v14, 16, v11
	v_lshlrev_b32_e32 v72, 16, v15
	v_max_f32_e32 v14, v14, v14
	v_max_f32_e32 v72, v72, v72
	v_min_f32_e32 v73, v72, v14
	v_max_f32_e32 v14, v72, v14
	v_cndmask_b32_e64 v72, v14, v73, s[26:27]
	v_and_b32_e32 v14, 0x7f800000, v72
	v_cmp_ne_u32_e64 s[28:29], s65, v14
                                        ; implicit-def: $vgpr14
	s_and_saveexec_b64 s[94:95], s[28:29]
	s_xor_b64 s[28:29], exec, s[94:95]
; %bb.860:                              ;   in Loop: Header=BB2_835 Depth=2
	v_bfe_u32 v14, v72, 16, 1
	v_add3_u32 v14, v72, v14, s66
                                        ; implicit-def: $vgpr72
; %bb.861:                              ;   in Loop: Header=BB2_835 Depth=2
	s_andn2_saveexec_b64 s[94:95], s[28:29]
; %bb.862:                              ;   in Loop: Header=BB2_835 Depth=2
	v_or_b32_e32 v14, 0x10000, v72
	v_cmp_eq_u32_sdwa s[28:29], v72, v3 src0_sel:WORD_0 src1_sel:DWORD
	s_nop 1
	v_cndmask_b32_e64 v14, v14, v72, s[28:29]
; %bb.863:                              ;   in Loop: Header=BB2_835 Depth=2
	s_or_b64 exec, exec, s[94:95]
	v_and_b32_e32 v15, 0xffff0000, v15
	v_and_b32_e32 v11, 0xffff0000, v11
	v_max_f32_e32 v11, v11, v11
	v_max_f32_e32 v15, v15, v15
	v_min_f32_e32 v72, v15, v11
	v_max_f32_e32 v11, v15, v11
	v_cndmask_b32_e64 v15, v11, v72, s[26:27]
	v_and_b32_e32 v11, 0x7f800000, v15
	v_cmp_ne_u32_e64 s[28:29], s65, v11
                                        ; implicit-def: $vgpr11
	s_and_saveexec_b64 s[94:95], s[28:29]
	s_xor_b64 s[28:29], exec, s[94:95]
; %bb.864:                              ;   in Loop: Header=BB2_835 Depth=2
	v_bfe_u32 v11, v15, 16, 1
	v_add3_u32 v11, v15, v11, s66
                                        ; implicit-def: $vgpr15
; %bb.865:                              ;   in Loop: Header=BB2_835 Depth=2
	s_andn2_saveexec_b64 s[94:95], s[28:29]
	s_cbranch_execz .LBB2_834
; %bb.866:                              ;   in Loop: Header=BB2_835 Depth=2
	v_or_b32_e32 v11, 0x10000, v15
	v_cmp_eq_u32_sdwa s[28:29], v15, v3 src0_sel:WORD_0 src1_sel:DWORD
	s_nop 1
	v_cndmask_b32_e64 v11, v11, v15, s[28:29]
	s_branch .LBB2_834
.LBB2_867:                              ;   in Loop: Header=BB2_47 Depth=1
	s_or_b64 exec, exec, s[42:43]
.LBB2_868:                              ;   in Loop: Header=BB2_47 Depth=1
	s_or_b64 exec, exec, s[40:41]
	v_and_b32_e32 v8, 14, v103
	v_cndmask_b32_e32 v42, v45, v8, vcc
	v_mov_b32_e32 v14, 0
	v_cmp_ne_u32_e64 s[26:27], 0, v42
	s_mov_b64 s[42:43], 0
                                        ; implicit-def: $vgpr103
                                        ; implicit-def: $vgpr15
	s_and_saveexec_b64 s[40:41], s[26:27]
	s_cbranch_execz .LBB2_906
; %bb.869:                              ;   in Loop: Header=BB2_47 Depth=1
	v_sub_u32_e32 v8, v45, v8
	v_cndmask_b32_e32 v8, 0, v8, vcc
	v_cmp_lt_i32_e32 vcc, 0, v44
	v_add_u32_e32 v103, v8, v43
	s_nop 0
	v_cndmask_b32_e32 v8, 0, v36, vcc
	v_sub_u32_e32 v8, v8, v44
	v_lshl_or_b32 v8, v8, 6, v47
	v_ashrrev_i32_e32 v9, 31, v8
	v_lshrrev_b32_e32 v9, 26, v9
	v_add_u32_e32 v9, v8, v9
	v_ashrrev_i32_e32 v10, 6, v9
	v_and_b32_e32 v9, 0xffffffc0, v9
	v_sub_u32_e32 v43, v8, v9
	v_ashrrev_i32_e32 v9, 31, v42
	v_lshrrev_b32_e32 v9, 22, v9
	v_add_u32_e32 v9, v42, v9
	v_and_b32_e32 v44, 0xfffffc00, v9
	v_lshlrev_b32_e32 v8, 4, v43
	v_sub_u32_e32 v45, v42, v44
	v_lshl_add_u32 v8, v10, 10, v8
	v_ashrrev_i32_e32 v11, 10, v9
	v_cmp_lt_i32_e32 vcc, 15, v45
	v_sub_u32_e32 v72, v42, v8
	s_nop 0
	v_addc_co_u32_e64 v9, s[26:27], 0, v11, vcc
	v_sub_u32_e32 v63, v9, v10
	v_cmp_lt_i32_e64 s[26:27], 15, v72
	s_and_saveexec_b64 s[42:43], s[26:27]
	s_cbranch_execz .LBB2_905
; %bb.870:                              ;   in Loop: Header=BB2_47 Depth=1
	s_trap 2
	ds_read_b64 v[10:11], v0
	v_add_u32_e32 v8, v8, v103
	s_and_b32 s56, s89, 1
	v_ashrrev_i32_e32 v9, 31, v8
	s_cmp_eq_u64 s[56:57], 0
	v_lshl_add_u64 v[116:117], v[8:9], 0, v[112:113]
	s_waitcnt lgkmcnt(0)
	v_lshl_add_u64 v[118:119], v[10:11], 0, v[8:9]
	v_lshl_add_u64 v[40:41], v[8:9], 0, v[114:115]
	s_mov_b64 s[94:95], 0
	s_cselect_b64 s[26:27], -1, 0
	s_branch .LBB2_872
.LBB2_871:                              ;   in Loop: Header=BB2_872 Depth=2
	s_or_b64 exec, exec, s[30:31]
	v_lshrrev_b32_e32 v12, 16, v12
	v_and_or_b32 v9, v9, s67, v12
	v_lshrrev_b32_e32 v12, 16, v73
	v_and_or_b32 v8, v8, s67, v12
	;; [unrolled: 2-line block ×3, first 2 shown]
	v_lshrrev_b32_e32 v12, 16, v14
	v_sub_u32_e32 v72, v72, v54
	v_and_or_b32 v11, v11, s67, v12
	v_cmp_gt_i32_e64 s[28:29], 16, v72
	global_store_dwordx4 v[40:41], v[8:11], off
	v_lshl_add_u64 v[116:117], v[116:117], 0, v[54:55]
	v_lshl_add_u64 v[118:119], v[118:119], 0, v[54:55]
	;; [unrolled: 1-line block ×3, first 2 shown]
	s_or_b64 s[94:95], s[28:29], s[94:95]
	v_sub_u32_e32 v63, v63, v36
	s_andn2_b64 exec, exec, s[94:95]
	s_cbranch_execz .LBB2_904
.LBB2_872:                              ;   Parent Loop BB2_47 Depth=1
                                        ; =>  This Inner Loop Header: Depth=2
	global_load_dwordx4 v[8:11], v[118:119], off nt
	global_load_dwordx4 v[12:15], v[116:117], off nt
	s_waitcnt vmcnt(0)
	v_lshlrev_b32_e32 v73, 16, v8
	v_lshlrev_b32_e32 v74, 16, v12
	v_max_f32_e32 v73, v73, v73
	v_max_f32_e32 v74, v74, v74
	v_min_f32_e32 v75, v74, v73
	v_max_f32_e32 v73, v74, v73
	v_cndmask_b32_e64 v74, v73, v75, s[26:27]
	v_and_b32_e32 v73, 0x7f800000, v74
	v_cmp_ne_u32_e64 s[28:29], s65, v73
                                        ; implicit-def: $vgpr73
	s_and_saveexec_b64 s[30:31], s[28:29]
	s_xor_b64 s[28:29], exec, s[30:31]
; %bb.873:                              ;   in Loop: Header=BB2_872 Depth=2
	v_bfe_u32 v73, v74, 16, 1
	v_add3_u32 v73, v74, v73, s66
                                        ; implicit-def: $vgpr74
; %bb.874:                              ;   in Loop: Header=BB2_872 Depth=2
	s_andn2_saveexec_b64 s[30:31], s[28:29]
; %bb.875:                              ;   in Loop: Header=BB2_872 Depth=2
	v_or_b32_e32 v73, 0x10000, v74
	v_cmp_eq_u32_sdwa s[28:29], v74, v3 src0_sel:WORD_0 src1_sel:DWORD
	s_nop 1
	v_cndmask_b32_e64 v73, v73, v74, s[28:29]
; %bb.876:                              ;   in Loop: Header=BB2_872 Depth=2
	s_or_b64 exec, exec, s[30:31]
	v_and_b32_e32 v8, 0xffff0000, v8
	v_and_b32_e32 v12, 0xffff0000, v12
	v_max_f32_e32 v8, v8, v8
	v_max_f32_e32 v12, v12, v12
	v_min_f32_e32 v74, v12, v8
	v_max_f32_e32 v8, v12, v8
	v_cndmask_b32_e64 v12, v8, v74, s[26:27]
	v_and_b32_e32 v8, 0x7f800000, v12
	v_cmp_ne_u32_e64 s[28:29], s65, v8
                                        ; implicit-def: $vgpr8
	s_and_saveexec_b64 s[30:31], s[28:29]
	s_xor_b64 s[28:29], exec, s[30:31]
; %bb.877:                              ;   in Loop: Header=BB2_872 Depth=2
	v_bfe_u32 v8, v12, 16, 1
	v_add3_u32 v8, v12, v8, s66
                                        ; implicit-def: $vgpr12
; %bb.878:                              ;   in Loop: Header=BB2_872 Depth=2
	s_andn2_saveexec_b64 s[30:31], s[28:29]
; %bb.879:                              ;   in Loop: Header=BB2_872 Depth=2
	v_or_b32_e32 v8, 0x10000, v12
	v_cmp_eq_u32_sdwa s[28:29], v12, v3 src0_sel:WORD_0 src1_sel:DWORD
	s_nop 1
	v_cndmask_b32_e64 v8, v8, v12, s[28:29]
; %bb.880:                              ;   in Loop: Header=BB2_872 Depth=2
	s_or_b64 exec, exec, s[30:31]
	v_lshlrev_b32_e32 v12, 16, v9
	v_lshlrev_b32_e32 v74, 16, v13
	v_max_f32_e32 v12, v12, v12
	v_max_f32_e32 v74, v74, v74
	v_min_f32_e32 v75, v74, v12
	v_max_f32_e32 v12, v74, v12
	v_cndmask_b32_e64 v74, v12, v75, s[26:27]
	v_and_b32_e32 v12, 0x7f800000, v74
	v_cmp_ne_u32_e64 s[28:29], s65, v12
                                        ; implicit-def: $vgpr12
	s_and_saveexec_b64 s[30:31], s[28:29]
	s_xor_b64 s[28:29], exec, s[30:31]
; %bb.881:                              ;   in Loop: Header=BB2_872 Depth=2
	v_bfe_u32 v12, v74, 16, 1
	v_add3_u32 v12, v74, v12, s66
                                        ; implicit-def: $vgpr74
; %bb.882:                              ;   in Loop: Header=BB2_872 Depth=2
	s_andn2_saveexec_b64 s[30:31], s[28:29]
; %bb.883:                              ;   in Loop: Header=BB2_872 Depth=2
	v_or_b32_e32 v12, 0x10000, v74
	v_cmp_eq_u32_sdwa s[28:29], v74, v3 src0_sel:WORD_0 src1_sel:DWORD
	s_nop 1
	v_cndmask_b32_e64 v12, v12, v74, s[28:29]
; %bb.884:                              ;   in Loop: Header=BB2_872 Depth=2
	s_or_b64 exec, exec, s[30:31]
	v_and_b32_e32 v13, 0xffff0000, v13
	v_and_b32_e32 v9, 0xffff0000, v9
	v_max_f32_e32 v9, v9, v9
	v_max_f32_e32 v13, v13, v13
	v_min_f32_e32 v74, v13, v9
	v_max_f32_e32 v9, v13, v9
	v_cndmask_b32_e64 v13, v9, v74, s[26:27]
	v_and_b32_e32 v9, 0x7f800000, v13
	v_cmp_ne_u32_e64 s[28:29], s65, v9
                                        ; implicit-def: $vgpr9
	s_and_saveexec_b64 s[30:31], s[28:29]
	s_xor_b64 s[28:29], exec, s[30:31]
; %bb.885:                              ;   in Loop: Header=BB2_872 Depth=2
	v_bfe_u32 v9, v13, 16, 1
	v_add3_u32 v9, v13, v9, s66
                                        ; implicit-def: $vgpr13
; %bb.886:                              ;   in Loop: Header=BB2_872 Depth=2
	s_andn2_saveexec_b64 s[30:31], s[28:29]
; %bb.887:                              ;   in Loop: Header=BB2_872 Depth=2
	v_or_b32_e32 v9, 0x10000, v13
	v_cmp_eq_u32_sdwa s[28:29], v13, v3 src0_sel:WORD_0 src1_sel:DWORD
	s_nop 1
	v_cndmask_b32_e64 v9, v9, v13, s[28:29]
; %bb.888:                              ;   in Loop: Header=BB2_872 Depth=2
	s_or_b64 exec, exec, s[30:31]
	v_lshlrev_b32_e32 v13, 16, v10
	v_lshlrev_b32_e32 v74, 16, v14
	v_max_f32_e32 v13, v13, v13
	v_max_f32_e32 v74, v74, v74
	v_min_f32_e32 v75, v74, v13
	v_max_f32_e32 v13, v74, v13
	v_cndmask_b32_e64 v74, v13, v75, s[26:27]
	v_and_b32_e32 v13, 0x7f800000, v74
	v_cmp_ne_u32_e64 s[28:29], s65, v13
                                        ; implicit-def: $vgpr13
	s_and_saveexec_b64 s[30:31], s[28:29]
	s_xor_b64 s[28:29], exec, s[30:31]
; %bb.889:                              ;   in Loop: Header=BB2_872 Depth=2
	v_bfe_u32 v13, v74, 16, 1
	v_add3_u32 v13, v74, v13, s66
                                        ; implicit-def: $vgpr74
; %bb.890:                              ;   in Loop: Header=BB2_872 Depth=2
	s_andn2_saveexec_b64 s[30:31], s[28:29]
; %bb.891:                              ;   in Loop: Header=BB2_872 Depth=2
	v_or_b32_e32 v13, 0x10000, v74
	v_cmp_eq_u32_sdwa s[28:29], v74, v3 src0_sel:WORD_0 src1_sel:DWORD
	s_nop 1
	v_cndmask_b32_e64 v13, v13, v74, s[28:29]
; %bb.892:                              ;   in Loop: Header=BB2_872 Depth=2
	s_or_b64 exec, exec, s[30:31]
	v_and_b32_e32 v14, 0xffff0000, v14
	v_and_b32_e32 v10, 0xffff0000, v10
	v_max_f32_e32 v10, v10, v10
	v_max_f32_e32 v14, v14, v14
	v_min_f32_e32 v74, v14, v10
	v_max_f32_e32 v10, v14, v10
	v_cndmask_b32_e64 v14, v10, v74, s[26:27]
	v_and_b32_e32 v10, 0x7f800000, v14
	v_cmp_ne_u32_e64 s[28:29], s65, v10
                                        ; implicit-def: $vgpr10
	s_and_saveexec_b64 s[30:31], s[28:29]
	s_xor_b64 s[28:29], exec, s[30:31]
; %bb.893:                              ;   in Loop: Header=BB2_872 Depth=2
	v_bfe_u32 v10, v14, 16, 1
	v_add3_u32 v10, v14, v10, s66
                                        ; implicit-def: $vgpr14
; %bb.894:                              ;   in Loop: Header=BB2_872 Depth=2
	s_andn2_saveexec_b64 s[30:31], s[28:29]
; %bb.895:                              ;   in Loop: Header=BB2_872 Depth=2
	v_or_b32_e32 v10, 0x10000, v14
	v_cmp_eq_u32_sdwa s[28:29], v14, v3 src0_sel:WORD_0 src1_sel:DWORD
	s_nop 1
	v_cndmask_b32_e64 v10, v10, v14, s[28:29]
; %bb.896:                              ;   in Loop: Header=BB2_872 Depth=2
	s_or_b64 exec, exec, s[30:31]
	v_lshlrev_b32_e32 v14, 16, v11
	v_lshlrev_b32_e32 v74, 16, v15
	v_max_f32_e32 v14, v14, v14
	v_max_f32_e32 v74, v74, v74
	v_min_f32_e32 v75, v74, v14
	v_max_f32_e32 v14, v74, v14
	v_cndmask_b32_e64 v74, v14, v75, s[26:27]
	v_and_b32_e32 v14, 0x7f800000, v74
	v_cmp_ne_u32_e64 s[28:29], s65, v14
                                        ; implicit-def: $vgpr14
	s_and_saveexec_b64 s[30:31], s[28:29]
	s_xor_b64 s[28:29], exec, s[30:31]
; %bb.897:                              ;   in Loop: Header=BB2_872 Depth=2
	v_bfe_u32 v14, v74, 16, 1
	v_add3_u32 v14, v74, v14, s66
                                        ; implicit-def: $vgpr74
; %bb.898:                              ;   in Loop: Header=BB2_872 Depth=2
	s_andn2_saveexec_b64 s[30:31], s[28:29]
; %bb.899:                              ;   in Loop: Header=BB2_872 Depth=2
	v_or_b32_e32 v14, 0x10000, v74
	v_cmp_eq_u32_sdwa s[28:29], v74, v3 src0_sel:WORD_0 src1_sel:DWORD
	s_nop 1
	v_cndmask_b32_e64 v14, v14, v74, s[28:29]
; %bb.900:                              ;   in Loop: Header=BB2_872 Depth=2
	s_or_b64 exec, exec, s[30:31]
	v_and_b32_e32 v15, 0xffff0000, v15
	v_and_b32_e32 v11, 0xffff0000, v11
	v_max_f32_e32 v11, v11, v11
	v_max_f32_e32 v15, v15, v15
	v_min_f32_e32 v74, v15, v11
	v_max_f32_e32 v11, v15, v11
	v_cndmask_b32_e64 v15, v11, v74, s[26:27]
	v_and_b32_e32 v11, 0x7f800000, v15
	v_cmp_ne_u32_e64 s[28:29], s65, v11
                                        ; implicit-def: $vgpr11
	s_and_saveexec_b64 s[30:31], s[28:29]
	s_xor_b64 s[28:29], exec, s[30:31]
; %bb.901:                              ;   in Loop: Header=BB2_872 Depth=2
	v_bfe_u32 v11, v15, 16, 1
	v_add3_u32 v11, v15, v11, s66
                                        ; implicit-def: $vgpr15
; %bb.902:                              ;   in Loop: Header=BB2_872 Depth=2
	s_andn2_saveexec_b64 s[30:31], s[28:29]
	s_cbranch_execz .LBB2_871
; %bb.903:                              ;   in Loop: Header=BB2_872 Depth=2
	v_or_b32_e32 v11, 0x10000, v15
	v_cmp_eq_u32_sdwa s[28:29], v15, v3 src0_sel:WORD_0 src1_sel:DWORD
	s_nop 1
	v_cndmask_b32_e64 v11, v11, v15, s[28:29]
	s_branch .LBB2_871
.LBB2_904:                              ;   in Loop: Header=BB2_47 Depth=1
	s_or_b64 exec, exec, s[94:95]
.LBB2_905:                              ;   in Loop: Header=BB2_47 Depth=1
	s_or_b64 exec, exec, s[42:43]
	v_and_b32_e32 v8, 14, v42
	v_sub_u32_e32 v9, v45, v8
	v_cndmask_b32_e32 v9, 0, v9, vcc
	v_add3_u32 v14, v44, v103, v9
	v_cndmask_b32_e32 v103, v45, v8, vcc
	v_cmp_lt_i32_e32 vcc, 0, v63
	s_nop 1
	v_cndmask_b32_e32 v8, 0, v36, vcc
	v_sub_u32_e32 v8, v8, v63
	v_cmp_ne_u32_e32 vcc, 0, v103
	v_lshl_add_u32 v15, v8, 6, v43
	s_and_b64 s[42:43], vcc, exec
.LBB2_906:                              ;   in Loop: Header=BB2_47 Depth=1
	s_or_b64 exec, exec, s[40:41]
	s_and_saveexec_b64 s[28:29], s[42:43]
	s_cbranch_execz .LBB2_935
.LBB2_907:                              ;   in Loop: Header=BB2_47 Depth=1
	v_ashrrev_i32_e32 v8, 31, v15
	v_ashrrev_i32_e32 v9, 31, v103
	v_lshrrev_b32_e32 v8, 26, v8
	v_lshrrev_b32_e32 v9, 23, v9
	v_add_u32_e32 v8, v15, v8
	v_add_u32_e32 v9, v103, v9
	v_ashrrev_i32_e32 v116, 6, v8
	v_ashrrev_i32_e32 v118, 9, v9
	v_sub_u32_e32 v117, v118, v116
	v_cmp_lt_i32_e32 vcc, 0, v117
	s_and_saveexec_b64 s[40:41], vcc
	s_cbranch_execz .LBB2_927
; %bb.908:                              ;   in Loop: Header=BB2_47 Depth=1
	v_and_b32_e32 v8, 0x7fffffc0, v8
	s_trap 2
	ds_read_b64 v[10:11], v0
	v_sub_u32_e32 v8, v15, v8
	v_lshlrev_b32_e32 v8, 1, v8
	v_lshlrev_b32_e32 v9, 9, v116
	v_add3_u32 v12, v8, v14, v9
	s_and_b32 s56, s89, 1
	v_ashrrev_i32_e32 v13, 31, v12
	s_cmp_eq_u64 s[56:57], 0
	v_lshl_add_u64 v[8:9], v[12:13], 0, v[112:113]
	s_waitcnt lgkmcnt(0)
	v_lshl_add_u64 v[10:11], v[10:11], 0, v[12:13]
	v_lshl_add_u64 v[12:13], v[12:13], 0, v[114:115]
	s_mov_b64 s[42:43], 0
	s_cselect_b64 vcc, -1, 0
	s_branch .LBB2_910
.LBB2_909:                              ;   in Loop: Header=BB2_910 Depth=2
	s_or_b64 exec, exec, s[94:95]
	v_sub_u32_e32 v117, v117, v36
	v_cmp_gt_i32_e64 s[26:27], 1, v117
	flat_store_short_d16_hi v[12:13], v119 nt
	flat_store_short_d16_hi v[12:13], v42 offset:128 nt
	flat_store_short_d16_hi v[12:13], v43 offset:256 nt
	;; [unrolled: 1-line block ×3, first 2 shown]
	v_lshl_add_u64 v[8:9], v[8:9], 0, v[64:65]
	v_lshl_add_u64 v[10:11], v[10:11], 0, v[64:65]
	s_or_b64 s[42:43], s[26:27], s[42:43]
	v_lshl_add_u64 v[12:13], v[12:13], 0, v[64:65]
	s_andn2_b64 exec, exec, s[42:43]
	s_cbranch_execz .LBB2_926
.LBB2_910:                              ;   Parent Loop BB2_47 Depth=1
                                        ; =>  This Inner Loop Header: Depth=2
	flat_load_ushort v43, v[8:9] offset:256 nt
	flat_load_ushort v40, v[8:9] offset:384 nt
	flat_load_ushort v119, v[8:9] nt
	flat_load_ushort v44, v[10:11] offset:256 nt
	flat_load_ushort v41, v[10:11] offset:384 nt
	flat_load_ushort v63, v[10:11] nt
	flat_load_ushort v42, v[8:9] offset:128 nt
	flat_load_ushort v45, v[10:11] offset:128 nt
	s_waitcnt vmcnt(0) lgkmcnt(0)
	v_lshlrev_b32_e32 v119, 16, v119
	v_max_f32_e32 v119, v119, v119
	v_lshlrev_b32_e32 v63, 16, v63
	v_max_f32_e32 v63, v63, v63
	v_min_f32_e32 v72, v119, v63
	v_max_f32_e32 v119, v119, v63
	v_cndmask_b32_e32 v63, v119, v72, vcc
	v_and_b32_e32 v119, 0x7f800000, v63
	v_cmp_ne_u32_e64 s[26:27], s65, v119
                                        ; implicit-def: $vgpr119
	s_and_saveexec_b64 s[94:95], s[26:27]
	s_xor_b64 s[26:27], exec, s[94:95]
; %bb.911:                              ;   in Loop: Header=BB2_910 Depth=2
	v_bfe_u32 v119, v63, 16, 1
	v_add3_u32 v119, v63, v119, s66
                                        ; implicit-def: $vgpr63
; %bb.912:                              ;   in Loop: Header=BB2_910 Depth=2
	s_andn2_saveexec_b64 s[94:95], s[26:27]
; %bb.913:                              ;   in Loop: Header=BB2_910 Depth=2
	v_or_b32_e32 v119, 0x10000, v63
	v_cmp_eq_u32_sdwa s[26:27], v63, v3 src0_sel:WORD_0 src1_sel:DWORD
	s_nop 1
	v_cndmask_b32_e64 v119, v119, v63, s[26:27]
; %bb.914:                              ;   in Loop: Header=BB2_910 Depth=2
	s_or_b64 exec, exec, s[94:95]
	v_lshlrev_b32_e32 v42, 16, v42
	v_lshlrev_b32_e32 v45, 16, v45
	v_max_f32_e32 v45, v45, v45
	v_max_f32_e32 v42, v42, v42
	v_min_f32_e32 v63, v42, v45
	v_max_f32_e32 v42, v42, v45
	v_cndmask_b32_e32 v45, v42, v63, vcc
	v_and_b32_e32 v42, 0x7f800000, v45
	v_cmp_ne_u32_e64 s[26:27], s65, v42
                                        ; implicit-def: $vgpr42
	s_and_saveexec_b64 s[94:95], s[26:27]
	s_xor_b64 s[26:27], exec, s[94:95]
; %bb.915:                              ;   in Loop: Header=BB2_910 Depth=2
	v_bfe_u32 v42, v45, 16, 1
	v_add3_u32 v42, v45, v42, s66
                                        ; implicit-def: $vgpr45
; %bb.916:                              ;   in Loop: Header=BB2_910 Depth=2
	s_andn2_saveexec_b64 s[94:95], s[26:27]
; %bb.917:                              ;   in Loop: Header=BB2_910 Depth=2
	v_or_b32_e32 v42, 0x10000, v45
	v_cmp_eq_u32_sdwa s[26:27], v45, v3 src0_sel:WORD_0 src1_sel:DWORD
	s_nop 1
	v_cndmask_b32_e64 v42, v42, v45, s[26:27]
; %bb.918:                              ;   in Loop: Header=BB2_910 Depth=2
	s_or_b64 exec, exec, s[94:95]
	v_lshlrev_b32_e32 v43, 16, v43
	v_lshlrev_b32_e32 v44, 16, v44
	v_max_f32_e32 v44, v44, v44
	v_max_f32_e32 v43, v43, v43
	v_min_f32_e32 v45, v43, v44
	v_max_f32_e32 v43, v43, v44
	v_cndmask_b32_e32 v44, v43, v45, vcc
	v_and_b32_e32 v43, 0x7f800000, v44
	v_cmp_ne_u32_e64 s[26:27], s65, v43
                                        ; implicit-def: $vgpr43
	s_and_saveexec_b64 s[94:95], s[26:27]
	s_xor_b64 s[26:27], exec, s[94:95]
; %bb.919:                              ;   in Loop: Header=BB2_910 Depth=2
	v_bfe_u32 v43, v44, 16, 1
	v_add3_u32 v43, v44, v43, s66
                                        ; implicit-def: $vgpr44
; %bb.920:                              ;   in Loop: Header=BB2_910 Depth=2
	s_andn2_saveexec_b64 s[94:95], s[26:27]
; %bb.921:                              ;   in Loop: Header=BB2_910 Depth=2
	v_or_b32_e32 v43, 0x10000, v44
	v_cmp_eq_u32_sdwa s[26:27], v44, v3 src0_sel:WORD_0 src1_sel:DWORD
	s_nop 1
	v_cndmask_b32_e64 v43, v43, v44, s[26:27]
; %bb.922:                              ;   in Loop: Header=BB2_910 Depth=2
	s_or_b64 exec, exec, s[94:95]
	v_lshlrev_b32_e32 v40, 16, v40
	v_lshlrev_b32_e32 v41, 16, v41
	v_max_f32_e32 v41, v41, v41
	v_max_f32_e32 v40, v40, v40
	v_min_f32_e32 v44, v40, v41
	v_max_f32_e32 v40, v40, v41
	v_cndmask_b32_e32 v41, v40, v44, vcc
	v_and_b32_e32 v40, 0x7f800000, v41
	v_cmp_ne_u32_e64 s[26:27], s65, v40
                                        ; implicit-def: $vgpr40
	s_and_saveexec_b64 s[94:95], s[26:27]
	s_xor_b64 s[26:27], exec, s[94:95]
; %bb.923:                              ;   in Loop: Header=BB2_910 Depth=2
	v_bfe_u32 v40, v41, 16, 1
	v_add3_u32 v40, v41, v40, s66
                                        ; implicit-def: $vgpr41
; %bb.924:                              ;   in Loop: Header=BB2_910 Depth=2
	s_andn2_saveexec_b64 s[94:95], s[26:27]
	s_cbranch_execz .LBB2_909
; %bb.925:                              ;   in Loop: Header=BB2_910 Depth=2
	v_or_b32_e32 v40, 0x10000, v41
	v_cmp_eq_u32_sdwa s[26:27], v41, v3 src0_sel:WORD_0 src1_sel:DWORD
	s_nop 1
	v_cndmask_b32_e64 v40, v40, v41, s[26:27]
	s_branch .LBB2_909
.LBB2_926:                              ;   in Loop: Header=BB2_47 Depth=1
	s_or_b64 exec, exec, s[42:43]
.LBB2_927:                              ;   in Loop: Header=BB2_47 Depth=1
	s_or_b64 exec, exec, s[40:41]
	v_lshlrev_b32_e32 v8, 9, v118
	v_cmp_ne_u32_e32 vcc, v103, v8
	s_and_b64 exec, exec, vcc
	s_cbranch_execz .LBB2_935
; %bb.928:                              ;   in Loop: Header=BB2_47 Depth=1
	v_lshlrev_b32_e32 v9, 6, v116
	v_sub_u32_e32 v9, v15, v9
	v_lshlrev_b32_e32 v10, 6, v117
	v_sub_u32_e32 v9, v9, v10
	v_ashrrev_i32_e32 v10, 31, v9
	v_lshrrev_b32_e32 v10, 26, v10
	v_add_u32_e32 v10, v9, v10
	v_and_b32_e32 v11, 0x7fffffc0, v10
	v_sub_u32_e32 v9, v9, v11
	v_lshlrev_b32_e32 v10, 1, v10
	v_and_b32_e32 v10, 0xffffff80, v10
	v_lshlrev_b32_e32 v9, 1, v9
	v_add3_u32 v8, v10, v9, v8
	v_sub_u32_e32 v15, v103, v8
	v_cmp_lt_i32_e32 vcc, 1, v15
	s_and_b64 exec, exec, vcc
	s_cbranch_execz .LBB2_935
; %bb.929:                              ;   in Loop: Header=BB2_47 Depth=1
	s_trap 2
	ds_read_b64 v[10:11], v0
	v_add_u32_e32 v12, v8, v14
	s_and_b32 s56, s89, 1
	v_ashrrev_i32_e32 v13, 31, v12
	s_cmp_eq_u64 s[56:57], 0
	v_lshl_add_u64 v[8:9], v[12:13], 0, v[112:113]
	s_waitcnt lgkmcnt(0)
	v_lshl_add_u64 v[10:11], v[10:11], 0, v[12:13]
	v_lshl_add_u64 v[12:13], v[12:13], 0, v[114:115]
	s_mov_b64 s[40:41], 0
	s_cselect_b64 vcc, -1, 0
	s_branch .LBB2_931
.LBB2_930:                              ;   in Loop: Header=BB2_931 Depth=2
	s_or_b64 exec, exec, s[42:43]
	v_sub_u32_e32 v15, v15, v66
	v_cmp_gt_i32_e64 s[26:27], 2, v15
	flat_store_short_d16_hi v[12:13], v103 nt
	v_lshl_add_u64 v[8:9], v[8:9], 0, v[66:67]
	v_lshl_add_u64 v[10:11], v[10:11], 0, v[66:67]
	s_or_b64 s[40:41], s[26:27], s[40:41]
	v_lshl_add_u64 v[12:13], v[12:13], 0, v[66:67]
	s_andn2_b64 exec, exec, s[40:41]
	s_cbranch_execz .LBB2_935
.LBB2_931:                              ;   Parent Loop BB2_47 Depth=1
                                        ; =>  This Inner Loop Header: Depth=2
	flat_load_ushort v14, v[10:11] nt
	flat_load_ushort v103, v[8:9] nt
	s_waitcnt vmcnt(0) lgkmcnt(0)
	v_lshlrev_b32_e32 v14, 16, v14
	v_lshlrev_b32_e32 v103, 16, v103
	v_max_f32_e32 v14, v14, v14
	v_max_f32_e32 v103, v103, v103
	v_min_f32_e32 v112, v103, v14
	v_max_f32_e32 v14, v103, v14
	v_cndmask_b32_e32 v14, v14, v112, vcc
	v_and_b32_e32 v103, 0x7f800000, v14
	v_cmp_ne_u32_e64 s[26:27], s65, v103
                                        ; implicit-def: $vgpr103
	s_and_saveexec_b64 s[42:43], s[26:27]
	s_xor_b64 s[26:27], exec, s[42:43]
; %bb.932:                              ;   in Loop: Header=BB2_931 Depth=2
	v_bfe_u32 v103, v14, 16, 1
	v_add3_u32 v103, v14, v103, s66
                                        ; implicit-def: $vgpr14
; %bb.933:                              ;   in Loop: Header=BB2_931 Depth=2
	s_andn2_saveexec_b64 s[42:43], s[26:27]
	s_cbranch_execz .LBB2_930
; %bb.934:                              ;   in Loop: Header=BB2_931 Depth=2
	v_or_b32_e32 v103, 0x10000, v14
	v_cmp_eq_u32_sdwa s[26:27], v14, v3 src0_sel:WORD_0 src1_sel:DWORD
	s_nop 1
	v_cndmask_b32_e64 v103, v103, v14, s[26:27]
	s_branch .LBB2_930
.LBB2_935:                              ;   in Loop: Header=BB2_47 Depth=1
	s_or_b64 exec, exec, s[28:29]
.LBB2_936:                              ;   in Loop: Header=BB2_47 Depth=1
	v_cmp_lt_i32_e64 s[26:27], 0, v2
	s_and_saveexec_b64 s[28:29], s[6:7]
	s_cbranch_execz .LBB2_955
.LBB2_937:                              ;   in Loop: Header=BB2_47 Depth=1
	s_and_saveexec_b64 s[40:41], s[58:59]
	s_xor_b64 s[40:41], exec, s[40:41]
	s_cbranch_execz .LBB2_952
; %bb.938:                              ;   in Loop: Header=BB2_47 Depth=1
	s_and_saveexec_b64 s[42:43], s[14:15]
	s_cbranch_execz .LBB2_951
; %bb.939:                              ;   in Loop: Header=BB2_47 Depth=1
	s_mov_b64 s[30:31], exec
	v_mbcnt_lo_u32_b32 v2, s30, 0
	v_mbcnt_hi_u32_b32 v2, s31, v2
	v_cmp_eq_u32_e32 vcc, 0, v2
	s_waitcnt lgkmcnt(0)
	s_and_saveexec_b64 s[94:95], vcc
	s_cbranch_execz .LBB2_941
; %bb.940:                              ;   in Loop: Header=BB2_47 Depth=1
	s_bcnt1_i32_b64 s56, s[30:31]
	v_mov_b32_e32 v2, s56
	ds_add_u64 v0, v[2:3]
	s_trap 2
.LBB2_941:                              ;   in Loop: Header=BB2_47 Depth=1
	s_or_b64 exec, exec, s[94:95]
	s_trap 2
	ds_read_b64 v[8:9], v0
	s_waitcnt lgkmcnt(0)
	v_lshl_add_u64 v[32:33], v[32:33], 0, v[36:37]
	v_cmp_lt_u64_e32 vcc, v[8:9], v[32:33]
	s_and_saveexec_b64 s[94:95], vcc
	s_cbranch_execz .LBB2_950
; %bb.942:                              ;   in Loop: Header=BB2_47 Depth=1
	s_mov_b32 s56, 0
	s_mov_b64 s[30:31], 0
                                        ; implicit-def: $sgpr34_sgpr35
                                        ; implicit-def: $sgpr36_sgpr37
	s_branch .LBB2_944
.LBB2_943:                              ;   in Loop: Header=BB2_944 Depth=2
	s_or_b64 exec, exec, s[48:49]
	s_and_b64 vcc, exec, vcc
	s_or_b64 s[30:31], vcc, s[30:31]
	s_andn2_b64 vcc, s[34:35], exec
	s_and_b64 s[34:35], s[36:37], exec
	s_or_b64 s[34:35], vcc, s[34:35]
	s_andn2_b64 exec, exec, s[30:31]
	s_cbranch_execz .LBB2_948
.LBB2_944:                              ;   Parent Loop BB2_47 Depth=1
                                        ; =>  This Inner Loop Header: Depth=2
	s_add_i32 s56, s56, 1
	s_cmpk_lg_i32 s56, 0x2710
	s_cselect_b64 s[38:39], -1, 0
	s_and_b64 vcc, exec, s[38:39]
	s_cbranch_vccz .LBB2_946
; %bb.945:                              ;   in Loop: Header=BB2_944 Depth=2
	s_mov_b64 vcc, -1
	s_or_b64 s[36:37], s[36:37], exec
	s_and_saveexec_b64 s[48:49], s[38:39]
	s_cbranch_execz .LBB2_943
	s_branch .LBB2_947
.LBB2_946:                              ;   in Loop: Header=BB2_944 Depth=2
	s_trap 2
	ds_read_b64 v[8:9], v0
	s_andn2_b64 s[38:39], s[38:39], exec
	s_mov_b32 s56, 0
	s_waitcnt vmcnt(0) lgkmcnt(0)
	flat_load_dword v2, v[8:9] sc0 sc1
	s_waitcnt vmcnt(0) lgkmcnt(0)
	buffer_inv sc0 sc1
	v_cmp_eq_u32_e32 vcc, 0, v2
	s_and_b64 vcc, vcc, exec
	s_or_b64 s[38:39], s[38:39], vcc
	s_mov_b64 vcc, -1
	s_or_b64 s[36:37], s[36:37], exec
	s_and_saveexec_b64 s[48:49], s[38:39]
	s_cbranch_execz .LBB2_943
.LBB2_947:                              ;   in Loop: Header=BB2_944 Depth=2
	s_sleep 1
	s_trap 2
	ds_read_b64 v[8:9], v0
	s_waitcnt lgkmcnt(0)
	s_andn2_b64 s[36:37], s[36:37], exec
	v_cmp_ge_u64_e32 vcc, v[8:9], v[32:33]
	s_orn2_b64 vcc, vcc, exec
	s_branch .LBB2_943
.LBB2_948:                              ;   in Loop: Header=BB2_47 Depth=1
	s_or_b64 exec, exec, s[30:31]
	s_and_saveexec_b64 vcc, s[34:35]
	s_xor_b64 vcc, exec, vcc
	s_cbranch_execz .LBB2_950
; %bb.949:                              ;   in Loop: Header=BB2_47 Depth=1
	ds_write_b32 v0, v57
	s_trap 2
.LBB2_950:                              ;   in Loop: Header=BB2_47 Depth=1
	s_or_b64 exec, exec, s[94:95]
	;;#ASMSTART
	s_wakeup
	;;#ASMEND
.LBB2_951:                              ;   in Loop: Header=BB2_47 Depth=1
	s_or_b64 exec, exec, s[42:43]
.LBB2_952:                              ;   in Loop: Header=BB2_47 Depth=1
	s_andn2_saveexec_b64 s[40:41], s[40:41]
	s_cbranch_execz .LBB2_954
; %bb.953:                              ;   in Loop: Header=BB2_47 Depth=1
	s_waitcnt lgkmcnt(0)
	s_barrier
.LBB2_954:                              ;   in Loop: Header=BB2_47 Depth=1
	s_or_b64 exec, exec, s[40:41]
.LBB2_955:                              ;   in Loop: Header=BB2_47 Depth=1
	s_or_b64 exec, exec, s[28:29]
	v_and_b32_e32 v8, 16, v46
	s_and_saveexec_b64 s[28:29], s[22:23]
	s_xor_b64 s[28:29], exec, s[28:29]
	s_cbranch_execz .LBB2_959
; %bb.956:                              ;   in Loop: Header=BB2_47 Depth=1
	v_and_b32_e32 v2, 16, v46
	v_cmp_ne_u32_e32 vcc, 0, v2
	v_and_b32_e32 v8, 16, v46
	s_and_b64 s[40:41], vcc, s[26:27]
	s_and_saveexec_b64 s[26:27], s[40:41]
	s_cbranch_execz .LBB2_958
; %bb.957:                              ;   in Loop: Header=BB2_47 Depth=1
	v_mov_b32_e32 v8, 1
	buffer_wbl2 sc1
	s_waitcnt vmcnt(0) lgkmcnt(0)
	buffer_inv sc1
.LBB2_958:                              ;   in Loop: Header=BB2_47 Depth=1
	s_or_b64 exec, exec, s[26:27]
.LBB2_959:                              ;   in Loop: Header=BB2_47 Depth=1
	s_andn2_saveexec_b64 s[26:27], s[28:29]
	s_cbranch_execz .LBB2_978
; %bb.960:                              ;   in Loop: Header=BB2_47 Depth=1
	s_and_saveexec_b64 s[28:29], s[58:59]
	s_xor_b64 s[28:29], exec, s[28:29]
	s_cbranch_execz .LBB2_975
; %bb.961:                              ;   in Loop: Header=BB2_47 Depth=1
	s_and_saveexec_b64 s[40:41], s[14:15]
	s_cbranch_execz .LBB2_974
; %bb.962:                              ;   in Loop: Header=BB2_47 Depth=1
	s_mov_b64 s[94:95], exec
	v_mbcnt_lo_u32_b32 v2, s94, 0
	v_mbcnt_hi_u32_b32 v2, s95, v2
	v_cmp_eq_u32_e32 vcc, 0, v2
	;;#ASMSTART
	s_waitcnt lgkmcnt(0) vmcnt(0)
	;;#ASMEND
	s_and_saveexec_b64 s[42:43], vcc
	s_cbranch_execz .LBB2_964
; %bb.963:                              ;   in Loop: Header=BB2_47 Depth=1
	s_bcnt1_i32_b64 s56, s[94:95]
	v_mov_b32_e32 v2, s56
	s_waitcnt lgkmcnt(0)
	ds_add_u64 v0, v[2:3]
	s_trap 2
.LBB2_964:                              ;   in Loop: Header=BB2_47 Depth=1
	s_or_b64 exec, exec, s[42:43]
	s_trap 2
	ds_read_b64 v[10:11], v0
	s_waitcnt lgkmcnt(0)
	v_lshl_add_u64 v[32:33], v[32:33], 0, v[36:37]
	v_cmp_lt_u64_e32 vcc, v[10:11], v[32:33]
	s_and_saveexec_b64 s[42:43], vcc
	s_cbranch_execz .LBB2_973
; %bb.965:                              ;   in Loop: Header=BB2_47 Depth=1
	s_mov_b32 s56, 0
	s_mov_b64 s[94:95], 0
                                        ; implicit-def: $sgpr30_sgpr31
                                        ; implicit-def: $sgpr34_sgpr35
	s_branch .LBB2_967
.LBB2_966:                              ;   in Loop: Header=BB2_967 Depth=2
	s_or_b64 exec, exec, s[38:39]
	s_and_b64 vcc, exec, vcc
	s_or_b64 s[94:95], vcc, s[94:95]
	s_andn2_b64 vcc, s[30:31], exec
	s_and_b64 s[30:31], s[34:35], exec
	s_or_b64 s[30:31], vcc, s[30:31]
	s_andn2_b64 exec, exec, s[94:95]
	s_cbranch_execz .LBB2_971
.LBB2_967:                              ;   Parent Loop BB2_47 Depth=1
                                        ; =>  This Inner Loop Header: Depth=2
	s_add_i32 s56, s56, 1
	s_cmpk_lg_i32 s56, 0x2710
	s_cselect_b64 s[36:37], -1, 0
	s_and_b64 vcc, exec, s[36:37]
	s_cbranch_vccz .LBB2_969
; %bb.968:                              ;   in Loop: Header=BB2_967 Depth=2
	s_mov_b64 vcc, -1
	s_or_b64 s[34:35], s[34:35], exec
	s_and_saveexec_b64 s[38:39], s[36:37]
	s_cbranch_execz .LBB2_966
	s_branch .LBB2_970
.LBB2_969:                              ;   in Loop: Header=BB2_967 Depth=2
	s_trap 2
	ds_read_b64 v[10:11], v0
	s_andn2_b64 s[36:37], s[36:37], exec
	s_mov_b32 s56, 0
	s_waitcnt vmcnt(0) lgkmcnt(0)
	flat_load_dword v2, v[10:11] sc0 sc1
	s_waitcnt vmcnt(0) lgkmcnt(0)
	buffer_inv sc0 sc1
	v_cmp_eq_u32_e32 vcc, 0, v2
	s_and_b64 vcc, vcc, exec
	s_or_b64 s[36:37], s[36:37], vcc
	s_mov_b64 vcc, -1
	s_or_b64 s[34:35], s[34:35], exec
	s_and_saveexec_b64 s[38:39], s[36:37]
	s_cbranch_execz .LBB2_966
.LBB2_970:                              ;   in Loop: Header=BB2_967 Depth=2
	s_sleep 1
	s_trap 2
	ds_read_b64 v[10:11], v0
	s_waitcnt lgkmcnt(0)
	s_andn2_b64 s[34:35], s[34:35], exec
	v_cmp_ge_u64_e32 vcc, v[10:11], v[32:33]
	s_orn2_b64 vcc, vcc, exec
	s_branch .LBB2_966
.LBB2_971:                              ;   in Loop: Header=BB2_47 Depth=1
	s_or_b64 exec, exec, s[94:95]
	s_and_saveexec_b64 s[94:95], s[30:31]
	s_xor_b64 s[94:95], exec, s[94:95]
	s_cbranch_execz .LBB2_973
; %bb.972:                              ;   in Loop: Header=BB2_47 Depth=1
	ds_write_b32 v0, v57
	s_trap 2
.LBB2_973:                              ;   in Loop: Header=BB2_47 Depth=1
	s_or_b64 exec, exec, s[42:43]
	;;#ASMSTART
	s_wakeup
	;;#ASMEND
.LBB2_974:                              ;   in Loop: Header=BB2_47 Depth=1
	s_or_b64 exec, exec, s[40:41]
.LBB2_975:                              ;   in Loop: Header=BB2_47 Depth=1
	s_andn2_saveexec_b64 s[28:29], s[28:29]
	s_cbranch_execz .LBB2_977
; %bb.976:                              ;   in Loop: Header=BB2_47 Depth=1
	;;#ASMSTART
	s_waitcnt lgkmcnt(0) vmcnt(0)
	;;#ASMEND
	s_barrier
.LBB2_977:                              ;   in Loop: Header=BB2_47 Depth=1
	s_or_b64 exec, exec, s[28:29]
.LBB2_978:                              ;   in Loop: Header=BB2_47 Depth=1
	s_or_b64 exec, exec, s[26:27]
	v_cmp_ne_u32_e32 vcc, 0, v8
	s_xor_b64 s[26:27], s[10:11], -1
	s_and_b64 s[28:29], vcc, s[26:27]
	s_and_saveexec_b64 s[26:27], s[28:29]
	s_cbranch_execz .LBB2_980
; %bb.979:                              ;   in Loop: Header=BB2_47 Depth=1
	flat_store_dword v[28:29], v57 sc0 sc1
.LBB2_980:                              ;   in Loop: Header=BB2_47 Depth=1
	s_or_b64 exec, exec, s[26:27]
	v_and_b32_e32 v2, 48, v46
	v_cmp_ne_u32_e32 vcc, 0, v2
	s_and_saveexec_b64 s[26:27], vcc
	s_cbranch_execz .LBB2_982
; %bb.981:                              ;   in Loop: Header=BB2_47 Depth=1
	v_lshl_add_u64 v[96:97], v[96:97], 0, 4
	flat_store_dwordx2 v[22:23], v[96:97] sc0 sc1
.LBB2_982:                              ;   in Loop: Header=BB2_47 Depth=1
	s_or_b64 exec, exec, s[26:27]
	v_mov_b32_e32 v2, v102
	s_or_b64 exec, exec, s[92:93]
	s_and_saveexec_b64 s[28:29], s[90:91]
	s_cbranch_execnz .LBB2_571
.LBB2_983:                              ;   in Loop: Header=BB2_47 Depth=1
	s_or_b64 exec, exec, s[28:29]
	s_and_b64 vcc, exec, s[24:25]
	s_cbranch_vccnz .LBB2_1238
.LBB2_984:                              ;   in Loop: Header=BB2_47 Depth=1
	s_mov_b32 s56, 1
.LBB2_985:                              ;   Parent Loop BB2_47 Depth=1
                                        ; =>  This Loop Header: Depth=2
                                        ;       Child Loop BB2_998 Depth 3
                                        ;       Child Loop BB2_1033 Depth 3
	;; [unrolled: 1-line block ×4, first 2 shown]
                                        ;         Child Loop BB2_1127 Depth 4
                                        ;       Child Loop BB2_1133 Depth 3
                                        ;         Child Loop BB2_1134 Depth 4
                                        ;       Child Loop BB2_1141 Depth 3
                                        ;       Child Loop BB2_1146 Depth 3
                                        ;         Child Loop BB2_1147 Depth 4
                                        ;       Child Loop BB2_1159 Depth 3
                                        ;       Child Loop BB2_1164 Depth 3
	;; [unrolled: 1-line block ×9, first 2 shown]
	s_sub_i32 s24, s68, s56
	s_cmp_ge_i32 s24, s54
	s_cselect_b32 s25, s54, 0
	s_sub_i32 s24, s24, s25
	s_ashr_i32 s25, s24, 31
	v_mul_lo_u32 v2, v86, s25
	v_mul_lo_u32 v10, v87, s24
	v_mad_u64_u32 v[8:9], s[24:25], v86, s24, 0
	v_add3_u32 v9, v9, v2, v10
	v_sub_co_u32_e32 v10, vcc, v98, v8
	s_nop 1
	v_subb_co_u32_e32 v11, vcc, v99, v9, vcc
	v_cmp_lt_i64_e32 vcc, v[86:87], v[10:11]
	s_nop 1
	v_cndmask_b32_e32 v2, v10, v86, vcc
	v_max_i32_e32 v40, 0, v2
	v_add_u32_e32 v10, 15, v40
	v_ashrrev_i32_e32 v11, 31, v10
	v_lshrrev_b32_e32 v11, 28, v11
	v_add_u32_e32 v10, v10, v11
	v_cmp_gt_i32_e32 vcc, 1, v2
	v_and_b32_e32 v10, -16, v10
	s_or_b64 s[40:41], s[2:3], vcc
	v_max_i32_e32 v12, s71, v10
	s_xor_b64 s[24:25], s[40:41], -1
	v_mov_b32_e32 v2, 0
	s_and_saveexec_b64 s[42:43], s[24:25]
	s_cbranch_execz .LBB2_991
; %bb.986:                              ;   in Loop: Header=BB2_985 Depth=2
	s_and_saveexec_b64 s[24:25], s[0:1]
	s_cbranch_execz .LBB2_988
; %bb.987:                              ;   in Loop: Header=BB2_985 Depth=2
	s_trap 2
	ds_read_b128 v[112:115], v0
	v_lshl_add_u64 v[8:9], v[8:9], 0, v[100:101]
	v_lshlrev_b64 v[8:9], 1, v[8:9]
	s_waitcnt lgkmcnt(0)
	v_lshl_add_u64 v[10:11], v[112:113], 0, v[8:9]
	v_lshl_add_u64 v[8:9], v[114:115], 0, v[8:9]
	v_cmp_ne_u64_e32 vcc, 0, v[114:115]
	ds_write_b64 v0, v[10:11]
	s_nop 0
	v_cndmask_b32_e32 v9, 0, v9, vcc
	v_cndmask_b32_e32 v8, 0, v8, vcc
	ds_write_b64 v0, v[8:9]
.LBB2_988:                              ;   in Loop: Header=BB2_985 Depth=2
	s_or_b64 exec, exec, s[24:25]
	v_and_b32_e32 v2, 12, v46
	v_min_i32_e32 v12, v12, v40
	v_cmp_ne_u32_e32 vcc, 0, v2
	s_and_saveexec_b64 s[26:27], vcc
	s_cbranch_execz .LBB2_1025
; %bb.989:                              ;   in Loop: Header=BB2_985 Depth=2
	v_and_b32_e32 v2, 8, v46
	s_waitcnt vmcnt(0) lgkmcnt(0)
	v_lshl_add_u64 v[10:11], v[34:35], 0, v[2:3]
	v_lshl_add_u64 v[8:9], v[96:97], 0, 4
	v_cmp_lt_u64_e32 vcc, v[10:11], v[8:9]
	s_and_saveexec_b64 s[28:29], vcc
	s_cbranch_execz .LBB2_1012
; %bb.990:                              ;   in Loop: Header=BB2_985 Depth=2
	v_and_b32_e32 v10, 64, v46
	s_mov_b32 s89, 0
	v_cmp_eq_u32_e32 vcc, 0, v10
	s_mov_b64 s[90:91], 0
                                        ; implicit-def: $sgpr92_sgpr93
                                        ; implicit-def: $sgpr94_sgpr95
                                        ; implicit-def: $sgpr30_sgpr31
	s_branch .LBB2_998
.LBB2_991:                              ;   in Loop: Header=BB2_985 Depth=2
	s_or_b64 exec, exec, s[42:43]
	s_and_saveexec_b64 s[26:27], s[40:41]
	s_cbranch_execz .LBB2_1236
.LBB2_992:                              ;   in Loop: Header=BB2_985 Depth=2
	v_sub_u32_e32 v2, v40, v2
	v_min_i32_e32 v8, v12, v2
	v_and_b32_e32 v2, 12, v46
	v_cmp_ne_u32_e32 vcc, 0, v2
	s_and_saveexec_b64 s[28:29], vcc
	s_cbranch_execz .LBB2_1053
; %bb.993:                              ;   in Loop: Header=BB2_985 Depth=2
	v_and_b32_e32 v2, 8, v46
	s_waitcnt vmcnt(0) lgkmcnt(0)
	v_lshl_add_u64 v[12:13], v[34:35], 0, v[2:3]
	v_lshl_add_u64 v[10:11], v[96:97], 0, 4
	v_cmp_lt_u64_e32 vcc, v[12:13], v[10:11]
	s_and_saveexec_b64 s[40:41], vcc
	s_cbranch_execz .LBB2_1040
; %bb.994:                              ;   in Loop: Header=BB2_985 Depth=2
	v_and_b32_e32 v9, 64, v46
	s_mov_b32 s89, 0
	v_cmp_eq_u32_e32 vcc, 0, v9
	s_mov_b64 s[42:43], 0
                                        ; implicit-def: $sgpr90_sgpr91
                                        ; implicit-def: $sgpr92_sgpr93
                                        ; implicit-def: $sgpr94_sgpr95
	s_branch .LBB2_1005
.LBB2_995:                              ;   in Loop: Header=BB2_998 Depth=3
	s_waitcnt vmcnt(0) lgkmcnt(0)
	v_lshl_add_u64 v[14:15], v[34:35], 0, v[2:3]
	v_cmp_ge_u64_e64 s[24:25], v[14:15], v[8:9]
	s_or_b64 s[38:39], s[38:39], exec
	s_orn2_b64 s[36:37], s[24:25], exec
.LBB2_996:                              ;   in Loop: Header=BB2_998 Depth=3
	s_or_b64 exec, exec, s[50:51]
	s_andn2_b64 s[24:25], s[30:31], exec
	s_and_b64 s[30:31], s[38:39], exec
	s_or_b64 s[30:31], s[24:25], s[30:31]
	s_andn2_b64 s[24:25], s[94:95], exec
	s_and_b64 s[94:95], s[36:37], exec
	s_or_b64 s[94:95], s[24:25], s[94:95]
.LBB2_997:                              ;   in Loop: Header=BB2_998 Depth=3
	s_or_b64 exec, exec, s[34:35]
	s_and_b64 s[24:25], exec, s[94:95]
	s_or_b64 s[90:91], s[24:25], s[90:91]
	s_andn2_b64 s[24:25], s[92:93], exec
	s_and_b64 s[92:93], s[30:31], exec
	s_or_b64 s[92:93], s[24:25], s[92:93]
	s_andn2_b64 exec, exec, s[90:91]
	s_cbranch_execz .LBB2_1009
.LBB2_998:                              ;   Parent Loop BB2_47 Depth=1
                                        ;     Parent Loop BB2_985 Depth=2
                                        ; =>    This Inner Loop Header: Depth=3
	s_sleep 1
	s_waitcnt vmcnt(0) lgkmcnt(0)
	flat_load_dwordx2 v[34:35], v[22:23] sc0 sc1
	s_or_b64 s[30:31], s[30:31], exec
	s_or_b64 s[94:95], s[94:95], exec
                                        ; implicit-def: $vgpr10
	s_and_saveexec_b64 s[34:35], vcc
	s_cbranch_execz .LBB2_997
; %bb.999:                              ;   in Loop: Header=BB2_998 Depth=3
	s_cmpk_lt_i32 s89, 0x270f
	s_cselect_b64 s[48:49], -1, 0
	s_cmpk_gt_i32 s89, 0x270e
	s_mov_b64 s[36:37], -1
	s_cbranch_scc0 .LBB2_1001
; %bb.1000:                             ;   in Loop: Header=BB2_998 Depth=3
	s_trap 2
	ds_read_b64 v[10:11], v0
	s_andn2_b64 s[48:49], s[48:49], exec
	s_mov_b32 s89, 0
	s_mov_b64 s[38:39], 0
	s_waitcnt vmcnt(0) lgkmcnt(0)
	flat_load_dword v10, v[10:11] sc0 sc1
	s_waitcnt vmcnt(0) lgkmcnt(0)
	buffer_inv sc0 sc1
	v_cmp_eq_u32_e64 s[24:25], 0, v10
	s_and_b64 s[24:25], s[24:25], exec
	s_or_b64 s[48:49], s[48:49], s[24:25]
	s_and_saveexec_b64 s[50:51], s[48:49]
	s_cbranch_execz .LBB2_996
	s_branch .LBB2_995
.LBB2_1001:                             ;   in Loop: Header=BB2_998 Depth=3
	s_add_i32 s89, s89, 1
	s_mov_b64 s[38:39], -1
                                        ; implicit-def: $vgpr10
	s_and_saveexec_b64 s[50:51], s[48:49]
	s_cbranch_execz .LBB2_996
	s_branch .LBB2_995
.LBB2_1002:                             ;   in Loop: Header=BB2_1005 Depth=3
	s_waitcnt vmcnt(0) lgkmcnt(0)
	v_lshl_add_u64 v[12:13], v[34:35], 0, v[2:3]
	v_cmp_ge_u64_e64 s[24:25], v[12:13], v[10:11]
	s_or_b64 s[36:37], s[36:37], exec
	s_orn2_b64 s[34:35], s[24:25], exec
.LBB2_1003:                             ;   in Loop: Header=BB2_1005 Depth=3
	s_or_b64 exec, exec, s[48:49]
	s_andn2_b64 s[24:25], s[94:95], exec
	s_and_b64 s[94:95], s[36:37], exec
	s_or_b64 s[94:95], s[24:25], s[94:95]
	s_andn2_b64 s[24:25], s[92:93], exec
	s_and_b64 s[92:93], s[34:35], exec
	s_or_b64 s[92:93], s[24:25], s[92:93]
.LBB2_1004:                             ;   in Loop: Header=BB2_1005 Depth=3
	s_or_b64 exec, exec, s[30:31]
	s_and_b64 s[24:25], exec, s[92:93]
	s_or_b64 s[42:43], s[24:25], s[42:43]
	s_andn2_b64 s[24:25], s[90:91], exec
	s_and_b64 s[90:91], s[94:95], exec
	s_or_b64 s[90:91], s[24:25], s[90:91]
	s_andn2_b64 exec, exec, s[42:43]
	s_cbranch_execz .LBB2_1037
.LBB2_1005:                             ;   Parent Loop BB2_47 Depth=1
                                        ;     Parent Loop BB2_985 Depth=2
                                        ; =>    This Inner Loop Header: Depth=3
	s_sleep 1
	s_waitcnt vmcnt(0) lgkmcnt(0)
	flat_load_dwordx2 v[34:35], v[22:23] sc0 sc1
	s_or_b64 s[94:95], s[94:95], exec
	s_or_b64 s[92:93], s[92:93], exec
                                        ; implicit-def: $vgpr9
	s_and_saveexec_b64 s[30:31], vcc
	s_cbranch_execz .LBB2_1004
; %bb.1006:                             ;   in Loop: Header=BB2_1005 Depth=3
	s_cmpk_lt_i32 s89, 0x270f
	s_cselect_b64 s[38:39], -1, 0
	s_cmpk_gt_i32 s89, 0x270e
	s_mov_b64 s[34:35], -1
	s_cbranch_scc0 .LBB2_1008
; %bb.1007:                             ;   in Loop: Header=BB2_1005 Depth=3
	s_trap 2
	ds_read_b64 v[12:13], v0
	s_andn2_b64 s[38:39], s[38:39], exec
	s_mov_b32 s89, 0
	s_mov_b64 s[36:37], 0
	s_waitcnt vmcnt(0) lgkmcnt(0)
	flat_load_dword v9, v[12:13] sc0 sc1
	s_waitcnt vmcnt(0) lgkmcnt(0)
	buffer_inv sc0 sc1
	v_cmp_eq_u32_e64 s[24:25], 0, v9
	s_and_b64 s[24:25], s[24:25], exec
	s_or_b64 s[38:39], s[38:39], s[24:25]
	s_and_saveexec_b64 s[48:49], s[38:39]
	s_cbranch_execz .LBB2_1003
	s_branch .LBB2_1002
.LBB2_1008:                             ;   in Loop: Header=BB2_1005 Depth=3
	s_add_i32 s89, s89, 1
	s_mov_b64 s[36:37], -1
                                        ; implicit-def: $vgpr9
	s_and_saveexec_b64 s[48:49], s[38:39]
	s_cbranch_execz .LBB2_1003
	s_branch .LBB2_1002
.LBB2_1009:                             ;   in Loop: Header=BB2_985 Depth=2
	s_or_b64 exec, exec, s[90:91]
	s_xor_b64 s[24:25], s[92:93], -1
	s_and_saveexec_b64 s[90:91], s[24:25]
	s_xor_b64 s[24:25], exec, s[90:91]
	s_cbranch_execz .LBB2_1011
; %bb.1010:                             ;   in Loop: Header=BB2_985 Depth=2
	v_or_b32_e32 v46, 64, v46
	s_waitcnt lgkmcnt(0)
	ds_write_b32 v0, v10
	s_trap 2
.LBB2_1011:                             ;   in Loop: Header=BB2_985 Depth=2
	s_or_b64 exec, exec, s[24:25]
.LBB2_1012:                             ;   in Loop: Header=BB2_985 Depth=2
	s_or_b64 exec, exec, s[28:29]
	v_and_b32_e32 v10, 0x108, v46
	v_cmp_ne_u32_e32 vcc, s64, v10
	;;#ASMSTART
	s_wakeup
	;;#ASMEND
                                        ; implicit-def: $vgpr10_vgpr11
	s_and_saveexec_b64 s[24:25], vcc
	s_xor_b64 s[24:25], exec, s[24:25]
; %bb.1013:                             ;   in Loop: Header=BB2_985 Depth=2
	v_and_b32_e32 v10, 7, v96
	v_mov_b32_e32 v11, v3
                                        ; implicit-def: $vgpr96_vgpr97
; %bb.1014:                             ;   in Loop: Header=BB2_985 Depth=2
	s_andn2_saveexec_b64 s[24:25], s[24:25]
	s_cbranch_execz .LBB2_1016
; %bb.1015:                             ;   in Loop: Header=BB2_985 Depth=2
	v_and_b32_e32 v10, 7, v96
	v_ashrrev_i32_e32 v13, 31, v12
	v_mov_b32_e32 v11, v3
	v_mad_u64_u32 v[14:15], s[28:29], v10, 24, v[6:7]
	v_lshlrev_b64 v[96:97], 1, v[12:13]
	flat_store_dwordx2 v[14:15], v[96:97] offset:8
.LBB2_1016:                             ;   in Loop: Header=BB2_985 Depth=2
	s_or_b64 exec, exec, s[24:25]
	v_and_b32_e32 v13, 0x100, v46
	v_cmp_ne_u32_e32 vcc, 0, v13
	s_mov_b64 s[24:25], -1
                                        ; implicit-def: $vgpr14_vgpr15
	s_and_saveexec_b64 s[28:29], vcc
	s_cbranch_execz .LBB2_1020
; %bb.1017:                             ;   in Loop: Header=BB2_985 Depth=2
	v_mad_u64_u32 v[96:97], s[24:25], v10, 24, v[6:7]
	v_mov_b32_e32 v14, v97
	v_mad_u64_u32 v[14:15], s[24:25], v11, 24, v[14:15]
	v_mov_b32_e32 v97, v14
	flat_load_dword v13, v[96:97]
                                        ; implicit-def: $vgpr14_vgpr15
	s_waitcnt vmcnt(0) lgkmcnt(0)
	v_cmp_ne_u32_e32 vcc, 1, v13
	v_cmp_eq_u32_e64 s[24:25], 1, v13
	s_and_saveexec_b64 s[90:91], s[24:25]
	s_cbranch_execz .LBB2_1019
; %bb.1018:                             ;   in Loop: Header=BB2_985 Depth=2
	flat_load_dword v14, v[96:97] offset:4 sc0 sc1
	s_waitcnt vmcnt(0) lgkmcnt(0)
	v_ashrrev_i32_e32 v15, 31, v14
	v_lshrrev_b64 v[14:15], 1, v[14:15]
.LBB2_1019:                             ;   in Loop: Header=BB2_985 Depth=2
	s_or_b64 exec, exec, s[90:91]
	s_orn2_b64 s[24:25], vcc, exec
.LBB2_1020:                             ;   in Loop: Header=BB2_985 Depth=2
	s_or_b64 exec, exec, s[28:29]
	s_and_saveexec_b64 s[28:29], s[24:25]
; %bb.1021:                             ;   in Loop: Header=BB2_985 Depth=2
	v_mul_lo_u32 v11, v11, v24
	v_mul_lo_u32 v13, v10, v25
	v_mad_u64_u32 v[14:15], s[24:25], v10, v24, 0
	v_add3_u32 v15, v15, v13, v11
; %bb.1022:                             ;   in Loop: Header=BB2_985 Depth=2
	s_or_b64 exec, exec, s[28:29]
	v_cmp_eq_u32_e32 vcc, 0, v2
	v_lshl_add_u64 v[10:11], v[14:15], 1, v[26:27]
	s_nop 0
	v_cndmask_b32_e32 v2, v60, v61, vcc
	v_add_u32_e32 v2, v0, v2
	ds_write_b64 v2, v[10:11] offset:584
	v_and_b32_e32 v2, 0x2000, v46
	v_cmp_ne_u32_e32 vcc, 0, v2
	s_and_saveexec_b64 s[24:25], vcc
	s_cbranch_execz .LBB2_1024
; %bb.1023:                             ;   in Loop: Header=BB2_985 Depth=2
	ds_read_b64 v[10:11], v0 offset:872
	s_waitcnt lgkmcnt(0)
	v_lshl_add_u64 v[10:11], v[10:11], 0, 1
	ds_write_b64 v0, v[10:11] offset:872
.LBB2_1024:                             ;   in Loop: Header=BB2_985 Depth=2
	s_or_b64 exec, exec, s[24:25]
	v_mov_b64_e32 v[96:97], v[8:9]
.LBB2_1025:                             ;   in Loop: Header=BB2_985 Depth=2
	s_or_b64 exec, exec, s[26:27]
	s_and_saveexec_b64 s[24:25], s[6:7]
	s_cbranch_execz .LBB2_1072
; %bb.1026:                             ;   in Loop: Header=BB2_985 Depth=2
	s_and_saveexec_b64 s[26:27], s[58:59]
	s_xor_b64 s[26:27], exec, s[26:27]
	s_cbranch_execz .LBB2_1069
; %bb.1027:                             ;   in Loop: Header=BB2_985 Depth=2
	s_and_saveexec_b64 s[28:29], s[14:15]
	s_cbranch_execz .LBB2_1068
; %bb.1028:                             ;   in Loop: Header=BB2_985 Depth=2
	s_mov_b64 s[92:93], exec
	v_mbcnt_lo_u32_b32 v2, s92, 0
	v_mbcnt_hi_u32_b32 v2, s93, v2
	v_cmp_eq_u32_e32 vcc, 0, v2
	s_waitcnt lgkmcnt(0)
	s_and_saveexec_b64 s[90:91], vcc
	s_cbranch_execz .LBB2_1030
; %bb.1029:                             ;   in Loop: Header=BB2_985 Depth=2
	s_bcnt1_i32_b64 s89, s[92:93]
	v_mov_b32_e32 v2, s89
	ds_add_u64 v0, v[2:3]
	s_trap 2
.LBB2_1030:                             ;   in Loop: Header=BB2_985 Depth=2
	s_or_b64 exec, exec, s[90:91]
	s_trap 2
	ds_read_b64 v[8:9], v0
	s_waitcnt lgkmcnt(0)
	v_lshl_add_u64 v[32:33], v[32:33], 0, v[36:37]
	v_cmp_lt_u64_e32 vcc, v[8:9], v[32:33]
	s_and_saveexec_b64 s[90:91], vcc
	s_cbranch_execz .LBB2_1067
; %bb.1031:                             ;   in Loop: Header=BB2_985 Depth=2
	s_mov_b32 s89, 0
	s_mov_b64 s[92:93], 0
                                        ; implicit-def: $sgpr94_sgpr95
                                        ; implicit-def: $sgpr30_sgpr31
	s_branch .LBB2_1033
.LBB2_1032:                             ;   in Loop: Header=BB2_1033 Depth=3
	s_or_b64 exec, exec, s[36:37]
	s_and_b64 vcc, exec, vcc
	s_or_b64 s[92:93], vcc, s[92:93]
	s_andn2_b64 s[94:95], s[94:95], exec
	s_and_b64 vcc, s[30:31], exec
	s_or_b64 s[94:95], s[94:95], vcc
	s_andn2_b64 exec, exec, s[92:93]
	s_cbranch_execz .LBB2_1065
.LBB2_1033:                             ;   Parent Loop BB2_47 Depth=1
                                        ;     Parent Loop BB2_985 Depth=2
                                        ; =>    This Inner Loop Header: Depth=3
	s_add_i32 s89, s89, 1
	s_cmpk_lg_i32 s89, 0x2710
	s_cselect_b64 s[34:35], -1, 0
	s_and_b64 vcc, exec, s[34:35]
	s_cbranch_vccz .LBB2_1035
; %bb.1034:                             ;   in Loop: Header=BB2_1033 Depth=3
	s_mov_b64 vcc, -1
	s_or_b64 s[30:31], s[30:31], exec
	s_and_saveexec_b64 s[36:37], s[34:35]
	s_cbranch_execz .LBB2_1032
	s_branch .LBB2_1036
.LBB2_1035:                             ;   in Loop: Header=BB2_1033 Depth=3
	s_trap 2
	ds_read_b64 v[8:9], v0
	s_andn2_b64 s[34:35], s[34:35], exec
	s_mov_b32 s89, 0
	s_waitcnt vmcnt(0) lgkmcnt(0)
	flat_load_dword v2, v[8:9] sc0 sc1
	s_waitcnt vmcnt(0) lgkmcnt(0)
	buffer_inv sc0 sc1
	v_cmp_eq_u32_e32 vcc, 0, v2
	s_and_b64 vcc, vcc, exec
	s_or_b64 s[34:35], s[34:35], vcc
	s_mov_b64 vcc, -1
	s_or_b64 s[30:31], s[30:31], exec
	s_and_saveexec_b64 s[36:37], s[34:35]
	s_cbranch_execz .LBB2_1032
.LBB2_1036:                             ;   in Loop: Header=BB2_1033 Depth=3
	s_sleep 1
	s_trap 2
	ds_read_b64 v[8:9], v0
	s_waitcnt lgkmcnt(0)
	s_andn2_b64 s[30:31], s[30:31], exec
	v_cmp_ge_u64_e32 vcc, v[8:9], v[32:33]
	s_orn2_b64 vcc, vcc, exec
	s_branch .LBB2_1032
.LBB2_1037:                             ;   in Loop: Header=BB2_985 Depth=2
	s_or_b64 exec, exec, s[42:43]
	s_xor_b64 s[24:25], s[90:91], -1
	s_and_saveexec_b64 s[42:43], s[24:25]
	s_xor_b64 s[24:25], exec, s[42:43]
	s_cbranch_execz .LBB2_1039
; %bb.1038:                             ;   in Loop: Header=BB2_985 Depth=2
	v_or_b32_e32 v46, 64, v46
	s_waitcnt lgkmcnt(0)
	ds_write_b32 v0, v9
	s_trap 2
.LBB2_1039:                             ;   in Loop: Header=BB2_985 Depth=2
	s_or_b64 exec, exec, s[24:25]
.LBB2_1040:                             ;   in Loop: Header=BB2_985 Depth=2
	s_or_b64 exec, exec, s[40:41]
	v_and_b32_e32 v9, 0x108, v46
	v_cmp_ne_u32_e32 vcc, s64, v9
	;;#ASMSTART
	s_wakeup
	;;#ASMEND
                                        ; implicit-def: $vgpr12_vgpr13
	s_and_saveexec_b64 s[24:25], vcc
	s_xor_b64 s[24:25], exec, s[24:25]
; %bb.1041:                             ;   in Loop: Header=BB2_985 Depth=2
	v_and_b32_e32 v12, 7, v96
	v_mov_b32_e32 v13, v3
                                        ; implicit-def: $vgpr96_vgpr97
; %bb.1042:                             ;   in Loop: Header=BB2_985 Depth=2
	s_andn2_saveexec_b64 s[24:25], s[24:25]
	s_cbranch_execz .LBB2_1044
; %bb.1043:                             ;   in Loop: Header=BB2_985 Depth=2
	v_and_b32_e32 v12, 7, v96
	v_ashrrev_i32_e32 v9, 31, v8
	v_mov_b32_e32 v13, v3
	v_mad_u64_u32 v[14:15], s[40:41], v12, 24, v[6:7]
	v_lshlrev_b64 v[96:97], 1, v[8:9]
	flat_store_dwordx2 v[14:15], v[96:97] offset:8
.LBB2_1044:                             ;   in Loop: Header=BB2_985 Depth=2
	s_or_b64 exec, exec, s[24:25]
	v_and_b32_e32 v9, 0x100, v46
	v_cmp_ne_u32_e32 vcc, 0, v9
	s_mov_b64 s[24:25], -1
                                        ; implicit-def: $vgpr14_vgpr15
	s_and_saveexec_b64 s[40:41], vcc
	s_cbranch_execz .LBB2_1048
; %bb.1045:                             ;   in Loop: Header=BB2_985 Depth=2
	v_mad_u64_u32 v[96:97], s[24:25], v12, 24, v[6:7]
	v_mov_b32_e32 v14, v97
	v_mad_u64_u32 v[14:15], s[24:25], v13, 24, v[14:15]
	v_mov_b32_e32 v97, v14
	flat_load_dword v9, v[96:97]
                                        ; implicit-def: $vgpr14_vgpr15
	s_waitcnt vmcnt(0) lgkmcnt(0)
	v_cmp_ne_u32_e32 vcc, 1, v9
	v_cmp_eq_u32_e64 s[24:25], 1, v9
	s_and_saveexec_b64 s[42:43], s[24:25]
	s_cbranch_execz .LBB2_1047
; %bb.1046:                             ;   in Loop: Header=BB2_985 Depth=2
	flat_load_dword v14, v[96:97] offset:4 sc0 sc1
	s_waitcnt vmcnt(0) lgkmcnt(0)
	v_ashrrev_i32_e32 v15, 31, v14
	v_lshrrev_b64 v[14:15], 1, v[14:15]
.LBB2_1047:                             ;   in Loop: Header=BB2_985 Depth=2
	s_or_b64 exec, exec, s[42:43]
	s_orn2_b64 s[24:25], vcc, exec
.LBB2_1048:                             ;   in Loop: Header=BB2_985 Depth=2
	s_or_b64 exec, exec, s[40:41]
	s_and_saveexec_b64 s[40:41], s[24:25]
; %bb.1049:                             ;   in Loop: Header=BB2_985 Depth=2
	v_mul_lo_u32 v9, v13, v24
	v_mul_lo_u32 v13, v12, v25
	v_mad_u64_u32 v[14:15], s[24:25], v12, v24, 0
	v_add3_u32 v15, v15, v13, v9
; %bb.1050:                             ;   in Loop: Header=BB2_985 Depth=2
	s_or_b64 exec, exec, s[40:41]
	v_cmp_eq_u32_e32 vcc, 0, v2
	v_lshl_add_u64 v[12:13], v[14:15], 1, v[26:27]
	s_nop 0
	v_cndmask_b32_e32 v2, v60, v61, vcc
	v_add_u32_e32 v2, v0, v2
	ds_write_b64 v2, v[12:13] offset:584
	v_and_b32_e32 v2, 0x2000, v46
	v_cmp_ne_u32_e32 vcc, 0, v2
	s_and_saveexec_b64 s[24:25], vcc
	s_cbranch_execz .LBB2_1052
; %bb.1051:                             ;   in Loop: Header=BB2_985 Depth=2
	ds_read_b64 v[12:13], v0 offset:872
	s_waitcnt lgkmcnt(0)
	v_lshl_add_u64 v[12:13], v[12:13], 0, 1
	ds_write_b64 v0, v[12:13] offset:872
.LBB2_1052:                             ;   in Loop: Header=BB2_985 Depth=2
	s_or_b64 exec, exec, s[24:25]
	v_mov_b64_e32 v[96:97], v[10:11]
.LBB2_1053:                             ;   in Loop: Header=BB2_985 Depth=2
	s_or_b64 exec, exec, s[28:29]
	s_and_saveexec_b64 s[24:25], s[6:7]
	s_cbranch_execz .LBB2_1091
; %bb.1054:                             ;   in Loop: Header=BB2_985 Depth=2
	s_and_saveexec_b64 s[28:29], s[58:59]
	s_xor_b64 s[28:29], exec, s[28:29]
	s_cbranch_execz .LBB2_1088
; %bb.1055:                             ;   in Loop: Header=BB2_985 Depth=2
	s_and_saveexec_b64 s[40:41], s[14:15]
	s_cbranch_execz .LBB2_1087
; %bb.1056:                             ;   in Loop: Header=BB2_985 Depth=2
	s_mov_b64 s[90:91], exec
	v_mbcnt_lo_u32_b32 v2, s90, 0
	v_mbcnt_hi_u32_b32 v2, s91, v2
	v_cmp_eq_u32_e32 vcc, 0, v2
	s_waitcnt lgkmcnt(0)
	s_and_saveexec_b64 s[42:43], vcc
	s_cbranch_execz .LBB2_1058
; %bb.1057:                             ;   in Loop: Header=BB2_985 Depth=2
	s_bcnt1_i32_b64 s89, s[90:91]
	v_mov_b32_e32 v2, s89
	ds_add_u64 v0, v[2:3]
	s_trap 2
.LBB2_1058:                             ;   in Loop: Header=BB2_985 Depth=2
	s_or_b64 exec, exec, s[42:43]
	s_trap 2
	ds_read_b64 v[10:11], v0
	s_waitcnt lgkmcnt(0)
	v_lshl_add_u64 v[32:33], v[32:33], 0, v[36:37]
	v_cmp_lt_u64_e32 vcc, v[10:11], v[32:33]
	s_and_saveexec_b64 s[42:43], vcc
	s_cbranch_execz .LBB2_1086
; %bb.1059:                             ;   in Loop: Header=BB2_985 Depth=2
	s_mov_b32 s89, 0
	s_mov_b64 s[90:91], 0
                                        ; implicit-def: $sgpr92_sgpr93
                                        ; implicit-def: $sgpr94_sgpr95
	s_branch .LBB2_1061
.LBB2_1060:                             ;   in Loop: Header=BB2_1061 Depth=3
	s_or_b64 exec, exec, s[34:35]
	s_and_b64 vcc, exec, vcc
	s_or_b64 s[90:91], vcc, s[90:91]
	s_andn2_b64 s[92:93], s[92:93], exec
	s_and_b64 vcc, s[94:95], exec
	s_or_b64 s[92:93], s[92:93], vcc
	s_andn2_b64 exec, exec, s[90:91]
	s_cbranch_execz .LBB2_1084
.LBB2_1061:                             ;   Parent Loop BB2_47 Depth=1
                                        ;     Parent Loop BB2_985 Depth=2
                                        ; =>    This Inner Loop Header: Depth=3
	s_add_i32 s89, s89, 1
	s_cmpk_lg_i32 s89, 0x2710
	s_cselect_b64 s[30:31], -1, 0
	s_and_b64 vcc, exec, s[30:31]
	s_cbranch_vccz .LBB2_1063
; %bb.1062:                             ;   in Loop: Header=BB2_1061 Depth=3
	s_mov_b64 vcc, -1
	s_or_b64 s[94:95], s[94:95], exec
	s_and_saveexec_b64 s[34:35], s[30:31]
	s_cbranch_execz .LBB2_1060
	s_branch .LBB2_1064
.LBB2_1063:                             ;   in Loop: Header=BB2_1061 Depth=3
	s_trap 2
	ds_read_b64 v[10:11], v0
	s_andn2_b64 s[30:31], s[30:31], exec
	s_mov_b32 s89, 0
	s_waitcnt vmcnt(0) lgkmcnt(0)
	flat_load_dword v2, v[10:11] sc0 sc1
	s_waitcnt vmcnt(0) lgkmcnt(0)
	buffer_inv sc0 sc1
	v_cmp_eq_u32_e32 vcc, 0, v2
	s_and_b64 vcc, vcc, exec
	s_or_b64 s[30:31], s[30:31], vcc
	s_mov_b64 vcc, -1
	s_or_b64 s[94:95], s[94:95], exec
	s_and_saveexec_b64 s[34:35], s[30:31]
	s_cbranch_execz .LBB2_1060
.LBB2_1064:                             ;   in Loop: Header=BB2_1061 Depth=3
	s_sleep 1
	s_trap 2
	ds_read_b64 v[10:11], v0
	s_waitcnt lgkmcnt(0)
	s_andn2_b64 s[94:95], s[94:95], exec
	v_cmp_ge_u64_e32 vcc, v[10:11], v[32:33]
	s_orn2_b64 vcc, vcc, exec
	s_branch .LBB2_1060
.LBB2_1065:                             ;   in Loop: Header=BB2_985 Depth=2
	s_or_b64 exec, exec, s[92:93]
	s_and_saveexec_b64 s[92:93], s[94:95]
	s_xor_b64 s[92:93], exec, s[92:93]
	s_cbranch_execz .LBB2_1067
; %bb.1066:                             ;   in Loop: Header=BB2_985 Depth=2
	ds_write_b32 v0, v57
	s_trap 2
.LBB2_1067:                             ;   in Loop: Header=BB2_985 Depth=2
	s_or_b64 exec, exec, s[90:91]
	;;#ASMSTART
	s_wakeup
	;;#ASMEND
.LBB2_1068:                             ;   in Loop: Header=BB2_985 Depth=2
	s_or_b64 exec, exec, s[28:29]
.LBB2_1069:                             ;   in Loop: Header=BB2_985 Depth=2
	s_andn2_saveexec_b64 s[26:27], s[26:27]
	s_cbranch_execz .LBB2_1071
; %bb.1070:                             ;   in Loop: Header=BB2_985 Depth=2
	s_waitcnt lgkmcnt(0)
	s_barrier
.LBB2_1071:                             ;   in Loop: Header=BB2_985 Depth=2
	s_or_b64 exec, exec, s[26:27]
.LBB2_1072:                             ;   in Loop: Header=BB2_985 Depth=2
	s_or_b64 exec, exec, s[24:25]
	s_trap 2
	ds_read_b32 v8, v0
	v_and_b32_e32 v2, 0x4000, v46
	v_cmp_ne_u32_e32 vcc, 0, v2
	s_xor_b64 s[24:25], s[4:5], -1
	s_and_b64 s[26:27], s[24:25], vcc
	s_and_saveexec_b64 s[24:25], s[26:27]
	s_cbranch_execz .LBB2_1114
; %bb.1073:                             ;   in Loop: Header=BB2_985 Depth=2
	s_and_saveexec_b64 s[26:27], s[58:59]
	s_xor_b64 s[26:27], exec, s[26:27]
	s_cbranch_execz .LBB2_1111
; %bb.1074:                             ;   in Loop: Header=BB2_985 Depth=2
	s_and_saveexec_b64 s[28:29], s[14:15]
	s_cbranch_execz .LBB2_1110
; %bb.1075:                             ;   in Loop: Header=BB2_985 Depth=2
	s_mov_b64 s[92:93], exec
	v_mbcnt_lo_u32_b32 v2, s92, 0
	v_mbcnt_hi_u32_b32 v2, s93, v2
	v_cmp_eq_u32_e32 vcc, 0, v2
	s_waitcnt lgkmcnt(0)
	s_and_saveexec_b64 s[90:91], vcc
	s_cbranch_execz .LBB2_1077
; %bb.1076:                             ;   in Loop: Header=BB2_985 Depth=2
	s_bcnt1_i32_b64 s89, s[92:93]
	v_mov_b32_e32 v2, s89
	ds_add_u64 v0, v[2:3]
	s_trap 2
.LBB2_1077:                             ;   in Loop: Header=BB2_985 Depth=2
	s_or_b64 exec, exec, s[90:91]
	s_trap 2
	ds_read_b64 v[10:11], v0
	s_waitcnt lgkmcnt(0)
	v_lshl_add_u64 v[32:33], v[32:33], 0, v[36:37]
	v_cmp_lt_u64_e32 vcc, v[10:11], v[32:33]
	s_and_saveexec_b64 s[90:91], vcc
	s_cbranch_execz .LBB2_1109
; %bb.1078:                             ;   in Loop: Header=BB2_985 Depth=2
	s_mov_b32 s89, 0
	s_mov_b64 s[92:93], 0
                                        ; implicit-def: $sgpr94_sgpr95
                                        ; implicit-def: $sgpr30_sgpr31
	s_branch .LBB2_1080
.LBB2_1079:                             ;   in Loop: Header=BB2_1080 Depth=3
	s_or_b64 exec, exec, s[36:37]
	s_and_b64 vcc, exec, vcc
	s_or_b64 s[92:93], vcc, s[92:93]
	s_andn2_b64 s[94:95], s[94:95], exec
	s_and_b64 vcc, s[30:31], exec
	s_or_b64 s[94:95], s[94:95], vcc
	s_andn2_b64 exec, exec, s[92:93]
	s_cbranch_execz .LBB2_1107
.LBB2_1080:                             ;   Parent Loop BB2_47 Depth=1
                                        ;     Parent Loop BB2_985 Depth=2
                                        ; =>    This Inner Loop Header: Depth=3
	s_add_i32 s89, s89, 1
	s_cmpk_lg_i32 s89, 0x2710
	s_cselect_b64 s[34:35], -1, 0
	s_and_b64 vcc, exec, s[34:35]
	s_cbranch_vccz .LBB2_1082
; %bb.1081:                             ;   in Loop: Header=BB2_1080 Depth=3
	s_mov_b64 vcc, -1
	s_or_b64 s[30:31], s[30:31], exec
	s_and_saveexec_b64 s[36:37], s[34:35]
	s_cbranch_execz .LBB2_1079
	s_branch .LBB2_1083
.LBB2_1082:                             ;   in Loop: Header=BB2_1080 Depth=3
	s_trap 2
	ds_read_b64 v[10:11], v0
	s_andn2_b64 s[34:35], s[34:35], exec
	s_mov_b32 s89, 0
	s_waitcnt vmcnt(0) lgkmcnt(0)
	flat_load_dword v2, v[10:11] sc0 sc1
	s_waitcnt vmcnt(0) lgkmcnt(0)
	buffer_inv sc0 sc1
	v_cmp_eq_u32_e32 vcc, 0, v2
	s_and_b64 vcc, vcc, exec
	s_or_b64 s[34:35], s[34:35], vcc
	s_mov_b64 vcc, -1
	s_or_b64 s[30:31], s[30:31], exec
	s_and_saveexec_b64 s[36:37], s[34:35]
	s_cbranch_execz .LBB2_1079
.LBB2_1083:                             ;   in Loop: Header=BB2_1080 Depth=3
	s_sleep 1
	s_trap 2
	ds_read_b64 v[10:11], v0
	s_waitcnt lgkmcnt(0)
	s_andn2_b64 s[30:31], s[30:31], exec
	v_cmp_ge_u64_e32 vcc, v[10:11], v[32:33]
	s_orn2_b64 vcc, vcc, exec
	s_branch .LBB2_1079
.LBB2_1084:                             ;   in Loop: Header=BB2_985 Depth=2
	s_or_b64 exec, exec, s[90:91]
	s_and_saveexec_b64 s[90:91], s[92:93]
	s_xor_b64 s[90:91], exec, s[90:91]
	s_cbranch_execz .LBB2_1086
; %bb.1085:                             ;   in Loop: Header=BB2_985 Depth=2
	ds_write_b32 v0, v57
	s_trap 2
.LBB2_1086:                             ;   in Loop: Header=BB2_985 Depth=2
	s_or_b64 exec, exec, s[42:43]
	;;#ASMSTART
	s_wakeup
	;;#ASMEND
.LBB2_1087:                             ;   in Loop: Header=BB2_985 Depth=2
	s_or_b64 exec, exec, s[40:41]
.LBB2_1088:                             ;   in Loop: Header=BB2_985 Depth=2
	s_andn2_saveexec_b64 s[28:29], s[28:29]
	s_cbranch_execz .LBB2_1090
; %bb.1089:                             ;   in Loop: Header=BB2_985 Depth=2
	s_waitcnt lgkmcnt(0)
	s_barrier
.LBB2_1090:                             ;   in Loop: Header=BB2_985 Depth=2
	s_or_b64 exec, exec, s[28:29]
.LBB2_1091:                             ;   in Loop: Header=BB2_985 Depth=2
	s_or_b64 exec, exec, s[24:25]
	v_and_b32_e32 v9, 16, v46
	s_and_saveexec_b64 s[24:25], s[22:23]
	s_xor_b64 s[24:25], exec, s[24:25]
	s_cbranch_execz .LBB2_1095
; %bb.1092:                             ;   in Loop: Header=BB2_985 Depth=2
	s_trap 2
	ds_read_b32 v2, v0
	v_cmp_lt_i32_e32 vcc, 0, v8
	v_and_b32_e32 v8, 16, v46
	v_and_b32_e32 v9, 16, v46
	s_waitcnt lgkmcnt(0)
	v_readfirstlane_b32 s28, v2
	s_cmp_eq_u32 s28, 0
	s_cselect_b64 s[28:29], -1, 0
	s_and_b64 s[28:29], vcc, s[28:29]
	v_cmp_ne_u32_e32 vcc, 0, v8
	s_and_b64 s[40:41], vcc, s[28:29]
	s_and_saveexec_b64 s[28:29], s[40:41]
	s_cbranch_execz .LBB2_1094
; %bb.1093:                             ;   in Loop: Header=BB2_985 Depth=2
	v_mov_b32_e32 v9, 1
	buffer_wbl2 sc1
	s_waitcnt vmcnt(0)
	buffer_inv sc1
.LBB2_1094:                             ;   in Loop: Header=BB2_985 Depth=2
	s_or_b64 exec, exec, s[28:29]
.LBB2_1095:                             ;   in Loop: Header=BB2_985 Depth=2
	s_andn2_saveexec_b64 s[24:25], s[24:25]
	s_cbranch_execz .LBB2_1196
; %bb.1096:                             ;   in Loop: Header=BB2_985 Depth=2
	s_and_saveexec_b64 s[28:29], s[58:59]
	s_xor_b64 s[28:29], exec, s[28:29]
	s_cbranch_execz .LBB2_1193
; %bb.1097:                             ;   in Loop: Header=BB2_985 Depth=2
	s_and_saveexec_b64 s[40:41], s[14:15]
	s_cbranch_execz .LBB2_1192
; %bb.1098:                             ;   in Loop: Header=BB2_985 Depth=2
	s_mov_b64 s[90:91], exec
	v_mbcnt_lo_u32_b32 v2, s90, 0
	v_mbcnt_hi_u32_b32 v2, s91, v2
	v_cmp_eq_u32_e32 vcc, 0, v2
	;;#ASMSTART
	s_waitcnt lgkmcnt(0) vmcnt(0)
	;;#ASMEND
	s_and_saveexec_b64 s[42:43], vcc
	s_cbranch_execz .LBB2_1100
; %bb.1099:                             ;   in Loop: Header=BB2_985 Depth=2
	s_bcnt1_i32_b64 s89, s[90:91]
	v_mov_b32_e32 v2, s89
	s_waitcnt lgkmcnt(0)
	ds_add_u64 v0, v[2:3]
	s_trap 2
.LBB2_1100:                             ;   in Loop: Header=BB2_985 Depth=2
	s_or_b64 exec, exec, s[42:43]
	s_trap 2
	ds_read_b64 v[10:11], v0
	s_waitcnt lgkmcnt(0)
	v_lshl_add_u64 v[32:33], v[32:33], 0, v[36:37]
	v_cmp_lt_u64_e32 vcc, v[10:11], v[32:33]
	s_and_saveexec_b64 s[42:43], vcc
	s_cbranch_execz .LBB2_1191
; %bb.1101:                             ;   in Loop: Header=BB2_985 Depth=2
	s_mov_b32 s89, 0
	s_mov_b64 s[90:91], 0
                                        ; implicit-def: $sgpr92_sgpr93
                                        ; implicit-def: $sgpr94_sgpr95
	s_branch .LBB2_1103
.LBB2_1102:                             ;   in Loop: Header=BB2_1103 Depth=3
	s_or_b64 exec, exec, s[34:35]
	s_and_b64 vcc, exec, vcc
	s_or_b64 s[90:91], vcc, s[90:91]
	s_andn2_b64 s[92:93], s[92:93], exec
	s_and_b64 vcc, s[94:95], exec
	s_or_b64 s[92:93], s[92:93], vcc
	s_andn2_b64 exec, exec, s[90:91]
	s_cbranch_execz .LBB2_1189
.LBB2_1103:                             ;   Parent Loop BB2_47 Depth=1
                                        ;     Parent Loop BB2_985 Depth=2
                                        ; =>    This Inner Loop Header: Depth=3
	s_add_i32 s89, s89, 1
	s_cmpk_lg_i32 s89, 0x2710
	s_cselect_b64 s[30:31], -1, 0
	s_and_b64 vcc, exec, s[30:31]
	s_cbranch_vccz .LBB2_1105
; %bb.1104:                             ;   in Loop: Header=BB2_1103 Depth=3
	s_mov_b64 vcc, -1
	s_or_b64 s[94:95], s[94:95], exec
	s_and_saveexec_b64 s[34:35], s[30:31]
	s_cbranch_execz .LBB2_1102
	s_branch .LBB2_1106
.LBB2_1105:                             ;   in Loop: Header=BB2_1103 Depth=3
	s_trap 2
	ds_read_b64 v[10:11], v0
	s_andn2_b64 s[30:31], s[30:31], exec
	s_mov_b32 s89, 0
	s_waitcnt vmcnt(0) lgkmcnt(0)
	flat_load_dword v2, v[10:11] sc0 sc1
	s_waitcnt vmcnt(0) lgkmcnt(0)
	buffer_inv sc0 sc1
	v_cmp_eq_u32_e32 vcc, 0, v2
	s_and_b64 vcc, vcc, exec
	s_or_b64 s[30:31], s[30:31], vcc
	s_mov_b64 vcc, -1
	s_or_b64 s[94:95], s[94:95], exec
	s_and_saveexec_b64 s[34:35], s[30:31]
	s_cbranch_execz .LBB2_1102
.LBB2_1106:                             ;   in Loop: Header=BB2_1103 Depth=3
	s_sleep 1
	s_trap 2
	ds_read_b64 v[10:11], v0
	s_waitcnt lgkmcnt(0)
	s_andn2_b64 s[94:95], s[94:95], exec
	v_cmp_ge_u64_e32 vcc, v[10:11], v[32:33]
	s_orn2_b64 vcc, vcc, exec
	s_branch .LBB2_1102
.LBB2_1107:                             ;   in Loop: Header=BB2_985 Depth=2
	s_or_b64 exec, exec, s[92:93]
	s_and_saveexec_b64 s[92:93], s[94:95]
	s_xor_b64 s[92:93], exec, s[92:93]
	s_cbranch_execz .LBB2_1109
; %bb.1108:                             ;   in Loop: Header=BB2_985 Depth=2
	ds_write_b32 v0, v57
	s_trap 2
.LBB2_1109:                             ;   in Loop: Header=BB2_985 Depth=2
	s_or_b64 exec, exec, s[90:91]
	;;#ASMSTART
	s_wakeup
	;;#ASMEND
.LBB2_1110:                             ;   in Loop: Header=BB2_985 Depth=2
	s_or_b64 exec, exec, s[28:29]
.LBB2_1111:                             ;   in Loop: Header=BB2_985 Depth=2
	s_andn2_saveexec_b64 s[26:27], s[26:27]
	s_cbranch_execz .LBB2_1113
; %bb.1112:                             ;   in Loop: Header=BB2_985 Depth=2
	s_waitcnt lgkmcnt(0)
	s_barrier
.LBB2_1113:                             ;   in Loop: Header=BB2_985 Depth=2
	s_or_b64 exec, exec, s[26:27]
.LBB2_1114:                             ;   in Loop: Header=BB2_985 Depth=2
	s_or_b64 exec, exec, s[24:25]
	s_trap 2
	ds_read_b64 v[14:15], v0
	s_waitcnt lgkmcnt(0)
	v_cmp_eq_u64_e32 vcc, 0, v[14:15]
	s_cbranch_vccnz .LBB2_1123
; %bb.1115:                             ;   in Loop: Header=BB2_985 Depth=2
	s_trap 2
	ds_read_b64 v[102:103], v0
	s_waitcnt lgkmcnt(0)
	v_cmp_eq_u64_e32 vcc, 0, v[102:103]
	s_cbranch_vccnz .LBB2_1123
; %bb.1116:                             ;   in Loop: Header=BB2_985 Depth=2
	s_trap 2
	ds_read_b64 v[112:113], v0
	v_cmp_eq_u32_e32 vcc, 0, v8
	s_mov_b64 s[24:25], -1
	s_nop 0
	v_cndmask_b32_e32 v2, 0, v12, vcc
	s_waitcnt lgkmcnt(0)
	v_cmp_ne_u64_e32 vcc, 0, v[112:113]
	v_lshlrev_b32_e32 v13, 1, v2
	s_cbranch_vccz .LBB2_1150
; %bb.1117:                             ;   in Loop: Header=BB2_985 Depth=2
	s_and_saveexec_b64 s[26:27], s[18:19]
	s_cbranch_execz .LBB2_1119
; %bb.1118:                             ;   in Loop: Header=BB2_985 Depth=2
	ds_read_b32 v8, v0 offset:720
	s_waitcnt lgkmcnt(0)
	v_and_b32_e32 v8, 15, v8
	v_cmp_eq_u32_e32 vcc, 0, v8
	s_orn2_b64 s[24:25], vcc, exec
.LBB2_1119:                             ;   in Loop: Header=BB2_985 Depth=2
	s_or_b64 exec, exec, s[26:27]
	s_and_saveexec_b64 s[26:27], s[20:21]
	s_cbranch_execz .LBB2_1121
; %bb.1120:                             ;   in Loop: Header=BB2_985 Depth=2
	ds_read_b32 v8, v0 offset:784
	s_waitcnt lgkmcnt(0)
	v_and_b32_e32 v8, 15, v8
	v_cmp_eq_u32_e32 vcc, 0, v8
	s_and_b64 s[28:29], s[24:25], vcc
	s_andn2_b64 s[24:25], s[24:25], exec
	s_and_b64 s[28:29], s[28:29], exec
	s_or_b64 s[24:25], s[24:25], s[28:29]
.LBB2_1121:                             ;   in Loop: Header=BB2_985 Depth=2
	s_or_b64 exec, exec, s[26:27]
	s_xor_b64 s[24:25], s[24:25], -1
	v_cndmask_b32_e64 v8, 0, 1, s[24:25]
	s_mov_b64 s[26:27], -1
	v_mov_b32_e32 v116, 0
	v_cmp_ne_u32_e32 vcc, 0, v8
	v_mov_b32_e32 v117, v13
	v_mov_b32_e32 v118, v0
	s_cbranch_vccz .LBB2_1124
; %bb.1122:                             ;   in Loop: Header=BB2_985 Depth=2
	s_and_saveexec_b64 s[28:29], s[26:27]
	s_cbranch_execnz .LBB2_1139
	s_branch .LBB2_1149
.LBB2_1123:                             ;   in Loop: Header=BB2_985 Depth=2
	s_mov_b64 s[24:25], 0
	s_and_saveexec_b64 s[26:27], s[6:7]
	s_cbranch_execnz .LBB2_1178
	s_branch .LBB2_1208
.LBB2_1124:                             ;   in Loop: Header=BB2_985 Depth=2
	v_ashrrev_i32_e32 v8, 31, v13
	v_lshrrev_b32_e32 v8, 22, v8
	v_add_u32_e32 v8, v13, v8
	v_and_b32_e32 v42, 0xfffffc00, v8
	v_ashrrev_i32_e32 v9, 10, v8
	v_sub_u32_e32 v44, v13, v42
	v_sub_u32_e32 v8, v9, v56
	v_cmp_lt_i32_e64 s[24:25], 15, v44
	v_sub_u32_e32 v41, v13, v38
	s_nop 0
	v_addc_co_u32_e64 v43, vcc, 0, v8, s[24:25]
	v_cmp_lt_i32_e32 vcc, 15, v41
	s_and_saveexec_b64 s[90:91], vcc
	s_cbranch_execz .LBB2_1130
; %bb.1125:                             ;   in Loop: Header=BB2_985 Depth=2
	v_lshl_add_u64 v[114:115], v[14:15], 0, v[38:39]
	v_lshl_add_u64 v[116:117], v[102:103], 0, v[38:39]
	;; [unrolled: 1-line block ×3, first 2 shown]
	s_mov_b64 s[92:93], 0
.LBB2_1126:                             ;   Parent Loop BB2_47 Depth=1
                                        ;     Parent Loop BB2_985 Depth=2
                                        ; =>    This Loop Header: Depth=3
                                        ;         Child Loop BB2_1127 Depth 4
	global_load_dwordx4 v[8:11], v[114:115], off nt
	s_mov_b64 s[94:95], -1
	s_mov_b64 s[30:31], 0
	s_waitcnt vmcnt(0)
.LBB2_1127:                             ;   Parent Loop BB2_47 Depth=1
                                        ;     Parent Loop BB2_985 Depth=2
                                        ;       Parent Loop BB2_1126 Depth=3
                                        ; =>      This Inner Loop Header: Depth=4
	s_cmp_eq_u32 s30, 1
	s_cselect_b64 vcc, -1, 0
	v_cndmask_b32_e32 v63, v117, v119, vcc
	s_cmp_eq_u32 s30, 0
	v_cndmask_b32_e32 v62, v116, v118, vcc
	global_store_dwordx4 v[62:63], v[8:11], off
	v_lshl_add_u64 v[62:63], v[62:63], 0, s[62:63]
	s_cselect_b64 s[26:27], -1, 0
	s_and_b64 s[28:29], exec, s[94:95]
	s_mov_b64 s[30:31], 1
	s_mov_b64 s[94:95], 0
	v_cndmask_b32_e32 v119, v119, v63, vcc
	v_cndmask_b32_e32 v118, v118, v62, vcc
	v_cndmask_b32_e64 v117, v117, v63, s[26:27]
	v_cndmask_b32_e64 v116, v116, v62, s[26:27]
	s_mov_b64 vcc, s[28:29]
	s_cbranch_vccnz .LBB2_1127
; %bb.1128:                             ;   in Loop: Header=BB2_1126 Depth=3
	v_sub_u32_e32 v41, v41, v54
	v_cmp_gt_i32_e32 vcc, 16, v41
	v_lshl_add_u64 v[116:117], v[116:117], 0, v[70:71]
	v_lshl_add_u64 v[118:119], v[118:119], 0, v[70:71]
	;; [unrolled: 1-line block ×3, first 2 shown]
	s_or_b64 s[92:93], vcc, s[92:93]
	v_sub_u32_e32 v43, v43, v36
	s_andn2_b64 exec, exec, s[92:93]
	s_cbranch_execnz .LBB2_1126
; %bb.1129:                             ;   in Loop: Header=BB2_985 Depth=2
	s_or_b64 exec, exec, s[92:93]
.LBB2_1130:                             ;   in Loop: Header=BB2_985 Depth=2
	s_or_b64 exec, exec, s[90:91]
	v_and_b32_e32 v8, 14, v13
	v_cndmask_b32_e64 v41, v44, v8, s[24:25]
	v_mov_b32_e32 v116, 0
	v_cmp_ne_u32_e32 vcc, 0, v41
	s_mov_b64 s[26:27], 0
                                        ; implicit-def: $vgpr117
                                        ; implicit-def: $vgpr118
	s_and_saveexec_b64 s[90:91], vcc
	s_cbranch_execz .LBB2_1138
; %bb.1131:                             ;   in Loop: Header=BB2_985 Depth=2
	v_sub_u32_e32 v8, v44, v8
	v_cndmask_b32_e64 v8, 0, v8, s[24:25]
	v_cmp_lt_i32_e32 vcc, 0, v43
	v_add_u32_e32 v42, v8, v42
	s_nop 0
	v_cndmask_b32_e32 v8, 0, v36, vcc
	v_sub_u32_e32 v8, v8, v43
	v_lshl_or_b32 v8, v8, 6, v47
	v_ashrrev_i32_e32 v9, 31, v8
	v_lshrrev_b32_e32 v9, 26, v9
	v_add_u32_e32 v9, v8, v9
	v_ashrrev_i32_e32 v10, 6, v9
	v_and_b32_e32 v9, 0xffffffc0, v9
	v_sub_u32_e32 v43, v8, v9
	v_ashrrev_i32_e32 v9, 31, v41
	v_lshrrev_b32_e32 v9, 22, v9
	v_add_u32_e32 v9, v41, v9
	v_and_b32_e32 v44, 0xfffffc00, v9
	v_lshlrev_b32_e32 v8, 4, v43
	v_sub_u32_e32 v45, v41, v44
	v_lshl_add_u32 v8, v10, 10, v8
	v_ashrrev_i32_e32 v11, 10, v9
	v_cmp_lt_i32_e64 s[24:25], 15, v45
	v_sub_u32_e32 v63, v41, v8
	s_nop 0
	v_addc_co_u32_e64 v9, vcc, 0, v11, s[24:25]
	v_sub_u32_e32 v62, v9, v10
	v_cmp_lt_i32_e32 vcc, 15, v63
	s_and_saveexec_b64 s[92:93], vcc
	s_cbranch_execz .LBB2_1137
; %bb.1132:                             ;   in Loop: Header=BB2_985 Depth=2
	v_add_u32_e32 v8, v8, v42
	v_ashrrev_i32_e32 v9, 31, v8
	v_lshl_add_u64 v[114:115], v[8:9], 0, v[14:15]
	v_lshl_add_u64 v[116:117], v[8:9], 0, v[102:103]
	;; [unrolled: 1-line block ×3, first 2 shown]
	s_mov_b64 s[94:95], 0
.LBB2_1133:                             ;   Parent Loop BB2_47 Depth=1
                                        ;     Parent Loop BB2_985 Depth=2
                                        ; =>    This Loop Header: Depth=3
                                        ;         Child Loop BB2_1134 Depth 4
	global_load_dwordx4 v[8:11], v[114:115], off nt
	s_mov_b64 s[30:31], -1
	s_mov_b64 s[34:35], 0
	s_waitcnt vmcnt(0)
.LBB2_1134:                             ;   Parent Loop BB2_47 Depth=1
                                        ;     Parent Loop BB2_985 Depth=2
                                        ;       Parent Loop BB2_1133 Depth=3
                                        ; =>      This Inner Loop Header: Depth=4
	s_cmp_eq_u32 s34, 1
	s_cselect_b64 vcc, -1, 0
	v_cndmask_b32_e32 v73, v117, v119, vcc
	s_cmp_eq_u32 s34, 0
	v_cndmask_b32_e32 v72, v116, v118, vcc
	global_store_dwordx4 v[72:73], v[8:11], off
	v_lshl_add_u64 v[72:73], v[72:73], 0, s[62:63]
	s_cselect_b64 s[26:27], -1, 0
	s_and_b64 s[28:29], exec, s[30:31]
	s_mov_b64 s[34:35], 1
	s_mov_b64 s[30:31], 0
	v_cndmask_b32_e32 v119, v119, v73, vcc
	v_cndmask_b32_e32 v118, v118, v72, vcc
	v_cndmask_b32_e64 v117, v117, v73, s[26:27]
	v_cndmask_b32_e64 v116, v116, v72, s[26:27]
	s_mov_b64 vcc, s[28:29]
	s_cbranch_vccnz .LBB2_1134
; %bb.1135:                             ;   in Loop: Header=BB2_1133 Depth=3
	v_sub_u32_e32 v63, v63, v54
	v_cmp_gt_i32_e32 vcc, 16, v63
	v_lshl_add_u64 v[116:117], v[116:117], 0, v[70:71]
	v_lshl_add_u64 v[118:119], v[118:119], 0, v[70:71]
	;; [unrolled: 1-line block ×3, first 2 shown]
	s_or_b64 s[94:95], vcc, s[94:95]
	v_sub_u32_e32 v62, v62, v36
	s_andn2_b64 exec, exec, s[94:95]
	s_cbranch_execnz .LBB2_1133
; %bb.1136:                             ;   in Loop: Header=BB2_985 Depth=2
	s_or_b64 exec, exec, s[94:95]
.LBB2_1137:                             ;   in Loop: Header=BB2_985 Depth=2
	s_or_b64 exec, exec, s[92:93]
	v_and_b32_e32 v8, 14, v41
	v_cmp_lt_i32_e32 vcc, 0, v62
	v_sub_u32_e32 v9, v45, v8
	v_cndmask_b32_e64 v117, v45, v8, s[24:25]
	v_cndmask_b32_e32 v8, 0, v36, vcc
	v_cndmask_b32_e64 v9, 0, v9, s[24:25]
	v_sub_u32_e32 v8, v8, v62
	v_cmp_ne_u32_e32 vcc, 0, v117
	v_add3_u32 v116, v44, v42, v9
	v_lshl_add_u32 v118, v8, 6, v43
	s_and_b64 s[26:27], vcc, exec
.LBB2_1138:                             ;   in Loop: Header=BB2_985 Depth=2
	s_or_b64 exec, exec, s[90:91]
	s_and_saveexec_b64 s[28:29], s[26:27]
	s_cbranch_execz .LBB2_1149
.LBB2_1139:                             ;   in Loop: Header=BB2_985 Depth=2
	v_ashrrev_i32_e32 v8, 31, v118
	v_ashrrev_i32_e32 v9, 31, v117
	v_lshrrev_b32_e32 v8, 26, v8
	v_lshrrev_b32_e32 v9, 23, v9
	v_add_u32_e32 v8, v118, v8
	v_add_u32_e32 v9, v117, v9
	v_ashrrev_i32_e32 v119, 6, v8
	v_ashrrev_i32_e32 v42, 9, v9
	v_sub_u32_e32 v41, v42, v119
	v_cmp_lt_i32_e32 vcc, 0, v41
	s_and_saveexec_b64 s[24:25], vcc
	s_cbranch_execz .LBB2_1143
; %bb.1140:                             ;   in Loop: Header=BB2_985 Depth=2
	v_and_b32_e32 v8, 0x7fffffc0, v8
	v_sub_u32_e32 v8, v118, v8
	v_lshlrev_b32_e32 v8, 1, v8
	v_lshlrev_b32_e32 v9, 9, v119
	v_add3_u32 v114, v8, v116, v9
	v_ashrrev_i32_e32 v115, 31, v114
	v_lshl_add_u64 v[8:9], v[114:115], 0, v[14:15]
	v_lshl_add_u64 v[10:11], v[114:115], 0, v[102:103]
	;; [unrolled: 1-line block ×3, first 2 shown]
	s_mov_b64 s[26:27], 0
.LBB2_1141:                             ;   Parent Loop BB2_47 Depth=1
                                        ;     Parent Loop BB2_985 Depth=2
                                        ; =>    This Inner Loop Header: Depth=3
	flat_load_ushort v43, v[8:9] nt
	flat_load_ushort v44, v[8:9] offset:128 nt
	flat_load_ushort v45, v[8:9] offset:256 nt
	;; [unrolled: 1-line block ×3, first 2 shown]
	v_sub_u32_e32 v41, v41, v36
	v_cmp_gt_i32_e32 vcc, 1, v41
	v_lshl_add_u64 v[8:9], v[8:9], 0, v[64:65]
	s_or_b64 s[26:27], vcc, s[26:27]
	s_waitcnt vmcnt(0) lgkmcnt(0)
	flat_store_short v[10:11], v43 nt
	flat_store_short v[10:11], v44 offset:128 nt
	flat_store_short v[10:11], v45 offset:256 nt
	;; [unrolled: 1-line block ×3, first 2 shown]
	flat_store_short v[114:115], v43 nt
	flat_store_short v[114:115], v44 offset:128 nt
	flat_store_short v[114:115], v45 offset:256 nt
	;; [unrolled: 1-line block ×3, first 2 shown]
	v_lshl_add_u64 v[10:11], v[10:11], 0, v[64:65]
	v_lshl_add_u64 v[114:115], v[114:115], 0, v[64:65]
	s_andn2_b64 exec, exec, s[26:27]
	s_cbranch_execnz .LBB2_1141
; %bb.1142:                             ;   in Loop: Header=BB2_985 Depth=2
	s_or_b64 exec, exec, s[26:27]
.LBB2_1143:                             ;   in Loop: Header=BB2_985 Depth=2
	s_or_b64 exec, exec, s[24:25]
	v_lshlrev_b32_e32 v8, 9, v42
	v_cmp_ne_u32_e32 vcc, v117, v8
	s_and_b64 exec, exec, vcc
	s_cbranch_execz .LBB2_1149
; %bb.1144:                             ;   in Loop: Header=BB2_985 Depth=2
	v_lshlrev_b32_e32 v9, 6, v119
	v_sub_u32_e32 v9, v118, v9
	v_lshlrev_b32_e32 v10, 6, v41
	v_sub_u32_e32 v9, v9, v10
	v_ashrrev_i32_e32 v10, 31, v9
	v_lshrrev_b32_e32 v10, 26, v10
	v_add_u32_e32 v10, v9, v10
	v_and_b32_e32 v11, 0x7fffffc0, v10
	v_sub_u32_e32 v9, v9, v11
	v_lshlrev_b32_e32 v10, 1, v10
	v_and_b32_e32 v10, 0xffffff80, v10
	v_lshlrev_b32_e32 v9, 1, v9
	v_add3_u32 v8, v10, v9, v8
	v_sub_u32_e32 v114, v117, v8
	v_cmp_lt_i32_e32 vcc, 1, v114
	s_and_b64 exec, exec, vcc
	s_cbranch_execz .LBB2_1149
; %bb.1145:                             ;   in Loop: Header=BB2_985 Depth=2
	v_add_u32_e32 v116, v8, v116
	v_ashrrev_i32_e32 v117, 31, v116
	v_lshl_add_u64 v[8:9], v[116:117], 0, v[14:15]
	v_lshl_add_u64 v[10:11], v[116:117], 0, v[102:103]
	;; [unrolled: 1-line block ×3, first 2 shown]
	s_mov_b64 s[90:91], 0
.LBB2_1146:                             ;   Parent Loop BB2_47 Depth=1
                                        ;     Parent Loop BB2_985 Depth=2
                                        ; =>    This Loop Header: Depth=3
                                        ;         Child Loop BB2_1147 Depth 4
	flat_load_ushort v115, v[8:9] nt
	s_mov_b64 s[92:93], -1
	s_mov_b64 s[94:95], 0
	s_waitcnt vmcnt(0)
.LBB2_1147:                             ;   Parent Loop BB2_47 Depth=1
                                        ;     Parent Loop BB2_985 Depth=2
                                        ;       Parent Loop BB2_1146 Depth=3
                                        ; =>      This Inner Loop Header: Depth=4
	s_cmp_eq_u32 s94, 1
	s_cselect_b64 vcc, -1, 0
	v_cndmask_b32_e32 v117, v11, v113, vcc
	s_cmp_eq_u32 s94, 0
	v_cndmask_b32_e32 v116, v10, v112, vcc
	s_waitcnt lgkmcnt(0)
	flat_store_short v[116:117], v115 nt
	v_lshl_add_u64 v[116:117], v[116:117], 0, s[72:73]
	s_cselect_b64 s[24:25], -1, 0
	s_and_b64 s[26:27], exec, s[92:93]
	s_mov_b64 s[94:95], 1
	s_mov_b64 s[92:93], 0
	v_cndmask_b32_e32 v113, v113, v117, vcc
	v_cndmask_b32_e32 v112, v112, v116, vcc
	v_cndmask_b32_e64 v11, v11, v117, s[24:25]
	v_cndmask_b32_e64 v10, v10, v116, s[24:25]
	s_mov_b64 vcc, s[26:27]
	s_cbranch_vccnz .LBB2_1147
; %bb.1148:                             ;   in Loop: Header=BB2_1146 Depth=3
	v_sub_u32_e32 v114, v114, v66
	v_cmp_gt_i32_e32 vcc, 2, v114
	v_lshl_add_u64 v[10:11], v[10:11], 0, v[80:81]
	v_lshl_add_u64 v[112:113], v[112:113], 0, v[80:81]
	s_or_b64 s[90:91], vcc, s[90:91]
	v_lshl_add_u64 v[8:9], v[84:85], 0, v[8:9]
	s_andn2_b64 exec, exec, s[90:91]
	s_cbranch_execnz .LBB2_1146
.LBB2_1149:                             ;   in Loop: Header=BB2_985 Depth=2
	s_or_b64 exec, exec, s[28:29]
	s_mov_b64 s[24:25], 0
.LBB2_1150:                             ;   in Loop: Header=BB2_985 Depth=2
	s_and_b64 vcc, exec, s[24:25]
	s_cbranch_vccz .LBB2_1177
; %bb.1151:                             ;   in Loop: Header=BB2_985 Depth=2
	s_mov_b64 s[24:25], -1
	s_and_saveexec_b64 s[26:27], s[18:19]
	s_cbranch_execz .LBB2_1153
; %bb.1152:                             ;   in Loop: Header=BB2_985 Depth=2
	ds_read_b32 v8, v0 offset:720
	s_waitcnt lgkmcnt(0)
	v_and_b32_e32 v8, 15, v8
	v_cmp_eq_u32_e32 vcc, 0, v8
	s_orn2_b64 s[24:25], vcc, exec
.LBB2_1153:                             ;   in Loop: Header=BB2_985 Depth=2
	s_or_b64 exec, exec, s[26:27]
	s_and_saveexec_b64 s[26:27], s[16:17]
	s_cbranch_execz .LBB2_1155
; %bb.1154:                             ;   in Loop: Header=BB2_985 Depth=2
	ds_read_b32 v8, v0 offset:784
	s_waitcnt lgkmcnt(0)
	v_and_b32_e32 v8, 15, v8
	v_cmp_eq_u32_e32 vcc, 0, v8
	s_and_b64 s[28:29], s[24:25], vcc
	s_andn2_b64 s[24:25], s[24:25], exec
	s_and_b64 s[28:29], s[28:29], exec
	s_or_b64 s[24:25], s[24:25], s[28:29]
.LBB2_1155:                             ;   in Loop: Header=BB2_985 Depth=2
	s_or_b64 exec, exec, s[26:27]
	s_xor_b64 s[24:25], s[24:25], -1
	v_cndmask_b32_e64 v8, 0, 1, s[24:25]
	s_mov_b64 s[28:29], -1
	v_mov_b32_e32 v114, 0
	v_cmp_ne_u32_e32 vcc, 0, v8
	s_cbranch_vccz .LBB2_1157
; %bb.1156:                             ;   in Loop: Header=BB2_985 Depth=2
	v_mov_b32_e32 v115, v0
	s_and_saveexec_b64 s[24:25], s[28:29]
	s_cbranch_execnz .LBB2_1168
	s_branch .LBB2_1176
.LBB2_1157:                             ;   in Loop: Header=BB2_985 Depth=2
	v_ashrrev_i32_e32 v8, 31, v13
	v_lshrrev_b32_e32 v8, 21, v8
	v_add_u32_e32 v8, v13, v8
	v_ashrrev_i32_e32 v10, 11, v8
	v_sub_u32_e32 v11, v10, v56
	v_cmp_lt_i32_e32 vcc, 0, v11
	s_and_saveexec_b64 s[24:25], vcc
	s_cbranch_execz .LBB2_1161
; %bb.1158:                             ;   in Loop: Header=BB2_985 Depth=2
	s_mov_b64 s[26:27], 0
	v_mov_b64_e32 v[8:9], v[68:69]
.LBB2_1159:                             ;   Parent Loop BB2_47 Depth=1
                                        ;     Parent Loop BB2_985 Depth=2
                                        ; =>    This Inner Loop Header: Depth=3
	v_lshl_add_u64 v[116:117], v[14:15], 0, v[8:9]
	global_load_dwordx4 v[112:115], v[116:117], off nt
	s_nop 0
	global_load_dwordx4 v[116:119], v[116:117], off offset:1024 nt
	v_sub_u32_e32 v11, v11, v36
	v_cmp_gt_i32_e32 vcc, 1, v11
	v_lshl_add_u64 v[42:43], v[102:103], 0, v[8:9]
	v_lshl_add_u64 v[8:9], v[8:9], 0, v[52:53]
	s_or_b64 s[26:27], vcc, s[26:27]
	s_waitcnt vmcnt(0)
	global_store_dwordx4 v[42:43], v[112:115], off
	global_store_dwordx4 v[42:43], v[116:119], off offset:1024
	s_andn2_b64 exec, exec, s[26:27]
	s_cbranch_execnz .LBB2_1159
; %bb.1160:                             ;   in Loop: Header=BB2_985 Depth=2
	s_or_b64 exec, exec, s[26:27]
.LBB2_1161:                             ;   in Loop: Header=BB2_985 Depth=2
	s_or_b64 exec, exec, s[24:25]
	v_lshlrev_b32_e32 v10, 11, v10
	v_cmp_ne_u32_e32 vcc, v13, v10
	s_mov_b64 s[28:29], 0
	v_mov_b32_e32 v114, 0
                                        ; implicit-def: $vgpr115
	s_and_saveexec_b64 s[26:27], vcc
	s_cbranch_execz .LBB2_1167
; %bb.1162:                             ;   in Loop: Header=BB2_985 Depth=2
	v_lshlrev_b32_e32 v8, 6, v11
	v_sub_u32_e32 v8, v47, v8
	v_sub_u32_e32 v9, v13, v10
	v_ashrrev_i32_e32 v11, 31, v8
	v_lshrrev_b32_e32 v11, 26, v11
	v_ashrrev_i32_e32 v112, 31, v9
	v_add_u32_e32 v11, v8, v11
	v_lshrrev_b32_e32 v112, 22, v112
	v_ashrrev_i32_e32 v115, 6, v11
	v_and_b32_e32 v11, 0xffffffc0, v11
	v_add_u32_e32 v112, v9, v112
	v_sub_u32_e32 v11, v8, v11
	v_ashrrev_i32_e32 v116, 10, v112
	v_and_b32_e32 v112, 0xfffffc00, v112
	v_lshlrev_b32_e32 v8, 4, v11
	v_sub_u32_e32 v113, v9, v112
	v_lshl_add_u32 v8, v115, 10, v8
	v_cmp_lt_i32_e32 vcc, 15, v113
	v_sub_u32_e32 v114, v9, v8
	s_nop 0
	v_addc_co_u32_e64 v9, s[24:25], 0, v116, vcc
	v_sub_u32_e32 v115, v9, v115
	v_cmp_lt_i32_e64 s[24:25], 15, v114
	s_and_saveexec_b64 s[28:29], s[24:25]
	s_cbranch_execz .LBB2_1166
; %bb.1163:                             ;   in Loop: Header=BB2_985 Depth=2
	v_add_u32_e32 v8, v8, v10
	v_ashrrev_i32_e32 v9, 31, v8
	s_mov_b64 s[90:91], 0
.LBB2_1164:                             ;   Parent Loop BB2_47 Depth=1
                                        ;     Parent Loop BB2_985 Depth=2
                                        ; =>    This Inner Loop Header: Depth=3
	v_lshl_add_u64 v[116:117], v[14:15], 0, v[8:9]
	global_load_dwordx4 v[116:119], v[116:117], off nt
	v_sub_u32_e32 v114, v114, v54
	v_cmp_gt_i32_e64 s[24:25], 16, v114
	v_lshl_add_u64 v[42:43], v[102:103], 0, v[8:9]
	v_sub_u32_e32 v115, v115, v36
	v_lshl_add_u64 v[8:9], v[8:9], 0, v[54:55]
	s_or_b64 s[90:91], s[24:25], s[90:91]
	s_waitcnt vmcnt(0)
	global_store_dwordx4 v[42:43], v[116:119], off
	s_andn2_b64 exec, exec, s[90:91]
	s_cbranch_execnz .LBB2_1164
; %bb.1165:                             ;   in Loop: Header=BB2_985 Depth=2
	s_or_b64 exec, exec, s[90:91]
.LBB2_1166:                             ;   in Loop: Header=BB2_985 Depth=2
	s_or_b64 exec, exec, s[28:29]
	v_and_b32_e32 v8, 14, v13
	v_sub_u32_e32 v9, v113, v8
	v_cndmask_b32_e32 v9, 0, v9, vcc
	v_cndmask_b32_e32 v13, v113, v8, vcc
	v_cmp_lt_i32_e32 vcc, 0, v115
	v_add3_u32 v114, v112, v10, v9
	s_nop 0
	v_cndmask_b32_e32 v8, 0, v36, vcc
	v_sub_u32_e32 v8, v8, v115
	v_cmp_ne_u32_e32 vcc, 0, v13
	v_lshl_add_u32 v115, v8, 6, v11
	s_and_b64 s[28:29], vcc, exec
.LBB2_1167:                             ;   in Loop: Header=BB2_985 Depth=2
	s_or_b64 exec, exec, s[26:27]
	s_and_saveexec_b64 s[24:25], s[28:29]
	s_cbranch_execz .LBB2_1176
.LBB2_1168:                             ;   in Loop: Header=BB2_985 Depth=2
	v_ashrrev_i32_e32 v8, 31, v115
	v_ashrrev_i32_e32 v9, 31, v13
	v_lshrrev_b32_e32 v8, 26, v8
	v_lshrrev_b32_e32 v9, 23, v9
	v_add_u32_e32 v8, v115, v8
	v_add_u32_e32 v9, v13, v9
	v_ashrrev_i32_e32 v116, 6, v8
	v_ashrrev_i32_e32 v118, 9, v9
	v_sub_u32_e32 v117, v118, v116
	v_cmp_lt_i32_e32 vcc, 0, v117
	s_and_saveexec_b64 s[26:27], vcc
	s_cbranch_execz .LBB2_1172
; %bb.1169:                             ;   in Loop: Header=BB2_985 Depth=2
	v_and_b32_e32 v8, 0x7fffffc0, v8
	v_sub_u32_e32 v8, v115, v8
	v_lshlrev_b32_e32 v8, 1, v8
	v_lshlrev_b32_e32 v9, 9, v116
	v_add3_u32 v8, v8, v114, v9
	v_ashrrev_i32_e32 v9, 31, v8
	s_mov_b64 s[28:29], 0
	v_mov_b64_e32 v[10:11], v[102:103]
	v_mov_b64_e32 v[112:113], v[14:15]
.LBB2_1170:                             ;   Parent Loop BB2_47 Depth=1
                                        ;     Parent Loop BB2_985 Depth=2
                                        ; =>    This Inner Loop Header: Depth=3
	v_lshl_add_u64 v[42:43], v[8:9], 0, v[112:113]
	flat_load_ushort v119, v[42:43] nt
	flat_load_ushort v41, v[42:43] offset:128 nt
	flat_load_ushort v44, v[42:43] offset:256 nt
	;; [unrolled: 1-line block ×3, first 2 shown]
	v_sub_u32_e32 v117, v117, v36
	v_cmp_gt_i32_e32 vcc, 1, v117
	v_lshl_add_u64 v[42:43], v[8:9], 0, v[10:11]
	v_lshl_add_u64 v[112:113], v[112:113], 0, v[64:65]
	;; [unrolled: 1-line block ×3, first 2 shown]
	s_or_b64 s[28:29], vcc, s[28:29]
	s_waitcnt vmcnt(0) lgkmcnt(0)
	flat_store_short v[42:43], v119 nt
	flat_store_short v[42:43], v41 offset:128 nt
	flat_store_short v[42:43], v44 offset:256 nt
	;; [unrolled: 1-line block ×3, first 2 shown]
	s_andn2_b64 exec, exec, s[28:29]
	s_cbranch_execnz .LBB2_1170
; %bb.1171:                             ;   in Loop: Header=BB2_985 Depth=2
	s_or_b64 exec, exec, s[28:29]
.LBB2_1172:                             ;   in Loop: Header=BB2_985 Depth=2
	s_or_b64 exec, exec, s[26:27]
	v_lshlrev_b32_e32 v8, 9, v118
	v_cmp_ne_u32_e32 vcc, v13, v8
	s_and_b64 exec, exec, vcc
	s_cbranch_execz .LBB2_1176
; %bb.1173:                             ;   in Loop: Header=BB2_985 Depth=2
	v_lshlrev_b32_e32 v9, 6, v116
	v_sub_u32_e32 v9, v115, v9
	v_lshlrev_b32_e32 v10, 6, v117
	v_sub_u32_e32 v9, v9, v10
	v_ashrrev_i32_e32 v10, 31, v9
	v_lshrrev_b32_e32 v10, 26, v10
	v_add_u32_e32 v10, v9, v10
	v_and_b32_e32 v11, 0x7fffffc0, v10
	v_sub_u32_e32 v9, v9, v11
	v_lshlrev_b32_e32 v10, 1, v10
	v_and_b32_e32 v10, 0xffffff80, v10
	v_lshlrev_b32_e32 v9, 1, v9
	v_add3_u32 v8, v10, v9, v8
	v_sub_u32_e32 v10, v13, v8
	v_cmp_lt_i32_e32 vcc, 1, v10
	s_and_b64 exec, exec, vcc
	s_cbranch_execz .LBB2_1176
; %bb.1174:                             ;   in Loop: Header=BB2_985 Depth=2
	v_add_u32_e32 v8, v8, v114
	v_ashrrev_i32_e32 v9, 31, v8
	s_mov_b64 s[26:27], 0
.LBB2_1175:                             ;   Parent Loop BB2_47 Depth=1
                                        ;     Parent Loop BB2_985 Depth=2
                                        ; =>    This Inner Loop Header: Depth=3
	v_lshl_add_u64 v[112:113], v[14:15], 0, v[8:9]
	flat_load_ushort v11, v[112:113] nt
	v_sub_u32_e32 v10, v10, v66
	v_cmp_gt_i32_e32 vcc, 2, v10
	v_lshl_add_u64 v[112:113], v[102:103], 0, v[8:9]
	v_lshl_add_u64 v[8:9], v[8:9], 0, v[66:67]
	s_or_b64 s[26:27], vcc, s[26:27]
	s_waitcnt vmcnt(0) lgkmcnt(0)
	flat_store_short v[112:113], v11 nt
	s_andn2_b64 exec, exec, s[26:27]
	s_cbranch_execnz .LBB2_1175
.LBB2_1176:                             ;   in Loop: Header=BB2_985 Depth=2
	s_or_b64 exec, exec, s[24:25]
.LBB2_1177:                             ;   in Loop: Header=BB2_985 Depth=2
	v_cmp_lt_i32_e64 s[24:25], 0, v2
	s_and_saveexec_b64 s[26:27], s[6:7]
	s_cbranch_execz .LBB2_1208
.LBB2_1178:                             ;   in Loop: Header=BB2_985 Depth=2
	s_and_saveexec_b64 s[28:29], s[58:59]
	s_xor_b64 s[28:29], exec, s[28:29]
	s_cbranch_execz .LBB2_1205
; %bb.1179:                             ;   in Loop: Header=BB2_985 Depth=2
	s_and_saveexec_b64 s[90:91], s[14:15]
	s_cbranch_execz .LBB2_1204
; %bb.1180:                             ;   in Loop: Header=BB2_985 Depth=2
	s_mov_b64 s[94:95], exec
	v_mbcnt_lo_u32_b32 v2, s94, 0
	v_mbcnt_hi_u32_b32 v2, s95, v2
	v_cmp_eq_u32_e32 vcc, 0, v2
	s_waitcnt lgkmcnt(0)
	s_and_saveexec_b64 s[92:93], vcc
	s_cbranch_execz .LBB2_1182
; %bb.1181:                             ;   in Loop: Header=BB2_985 Depth=2
	s_bcnt1_i32_b64 s89, s[94:95]
	v_mov_b32_e32 v2, s89
	ds_add_u64 v0, v[2:3]
	s_trap 2
.LBB2_1182:                             ;   in Loop: Header=BB2_985 Depth=2
	s_or_b64 exec, exec, s[92:93]
	s_trap 2
	ds_read_b64 v[8:9], v0
	s_waitcnt lgkmcnt(0)
	v_lshl_add_u64 v[32:33], v[32:33], 0, v[36:37]
	v_cmp_lt_u64_e32 vcc, v[8:9], v[32:33]
	s_and_saveexec_b64 s[92:93], vcc
	s_cbranch_execz .LBB2_1203
; %bb.1183:                             ;   in Loop: Header=BB2_985 Depth=2
	s_mov_b32 s89, 0
	s_mov_b64 s[94:95], 0
                                        ; implicit-def: $sgpr30_sgpr31
                                        ; implicit-def: $sgpr34_sgpr35
	s_branch .LBB2_1185
.LBB2_1184:                             ;   in Loop: Header=BB2_1185 Depth=3
	s_or_b64 exec, exec, s[38:39]
	s_and_b64 vcc, exec, vcc
	s_or_b64 s[94:95], vcc, s[94:95]
	s_andn2_b64 vcc, s[30:31], exec
	s_and_b64 s[30:31], s[34:35], exec
	s_or_b64 s[30:31], vcc, s[30:31]
	s_andn2_b64 exec, exec, s[94:95]
	s_cbranch_execz .LBB2_1201
.LBB2_1185:                             ;   Parent Loop BB2_47 Depth=1
                                        ;     Parent Loop BB2_985 Depth=2
                                        ; =>    This Inner Loop Header: Depth=3
	s_add_i32 s89, s89, 1
	s_cmpk_lg_i32 s89, 0x2710
	s_cselect_b64 s[36:37], -1, 0
	s_and_b64 vcc, exec, s[36:37]
	s_cbranch_vccz .LBB2_1187
; %bb.1186:                             ;   in Loop: Header=BB2_1185 Depth=3
	s_mov_b64 vcc, -1
	s_or_b64 s[34:35], s[34:35], exec
	s_and_saveexec_b64 s[38:39], s[36:37]
	s_cbranch_execz .LBB2_1184
	s_branch .LBB2_1188
.LBB2_1187:                             ;   in Loop: Header=BB2_1185 Depth=3
	s_trap 2
	ds_read_b64 v[8:9], v0
	s_andn2_b64 s[36:37], s[36:37], exec
	s_mov_b32 s89, 0
	s_waitcnt vmcnt(0) lgkmcnt(0)
	flat_load_dword v2, v[8:9] sc0 sc1
	s_waitcnt vmcnt(0) lgkmcnt(0)
	buffer_inv sc0 sc1
	v_cmp_eq_u32_e32 vcc, 0, v2
	s_and_b64 vcc, vcc, exec
	s_or_b64 s[36:37], s[36:37], vcc
	s_mov_b64 vcc, -1
	s_or_b64 s[34:35], s[34:35], exec
	s_and_saveexec_b64 s[38:39], s[36:37]
	s_cbranch_execz .LBB2_1184
.LBB2_1188:                             ;   in Loop: Header=BB2_1185 Depth=3
	s_sleep 1
	s_trap 2
	ds_read_b64 v[8:9], v0
	s_waitcnt lgkmcnt(0)
	s_andn2_b64 s[34:35], s[34:35], exec
	v_cmp_ge_u64_e32 vcc, v[8:9], v[32:33]
	s_orn2_b64 vcc, vcc, exec
	s_branch .LBB2_1184
.LBB2_1189:                             ;   in Loop: Header=BB2_985 Depth=2
	s_or_b64 exec, exec, s[90:91]
	s_and_saveexec_b64 s[90:91], s[92:93]
	s_xor_b64 s[90:91], exec, s[90:91]
	s_cbranch_execz .LBB2_1191
; %bb.1190:                             ;   in Loop: Header=BB2_985 Depth=2
	ds_write_b32 v0, v57
	s_trap 2
.LBB2_1191:                             ;   in Loop: Header=BB2_985 Depth=2
	s_or_b64 exec, exec, s[42:43]
	;;#ASMSTART
	s_wakeup
	;;#ASMEND
.LBB2_1192:                             ;   in Loop: Header=BB2_985 Depth=2
	s_or_b64 exec, exec, s[40:41]
.LBB2_1193:                             ;   in Loop: Header=BB2_985 Depth=2
	s_andn2_saveexec_b64 s[28:29], s[28:29]
	s_cbranch_execz .LBB2_1195
; %bb.1194:                             ;   in Loop: Header=BB2_985 Depth=2
	;;#ASMSTART
	s_waitcnt lgkmcnt(0) vmcnt(0)
	;;#ASMEND
	s_barrier
.LBB2_1195:                             ;   in Loop: Header=BB2_985 Depth=2
	s_or_b64 exec, exec, s[28:29]
.LBB2_1196:                             ;   in Loop: Header=BB2_985 Depth=2
	s_or_b64 exec, exec, s[24:25]
	v_cmp_ne_u32_e32 vcc, 0, v9
	s_xor_b64 s[24:25], s[10:11], -1
	s_and_b64 s[28:29], vcc, s[24:25]
	s_and_saveexec_b64 s[24:25], s[28:29]
	s_cbranch_execz .LBB2_1198
; %bb.1197:                             ;   in Loop: Header=BB2_985 Depth=2
	flat_store_dword v[28:29], v57 sc0 sc1
.LBB2_1198:                             ;   in Loop: Header=BB2_985 Depth=2
	s_or_b64 exec, exec, s[24:25]
	v_and_b32_e32 v2, 48, v46
	v_cmp_ne_u32_e32 vcc, 0, v2
	s_and_saveexec_b64 s[24:25], vcc
	s_cbranch_execz .LBB2_1200
; %bb.1199:                             ;   in Loop: Header=BB2_985 Depth=2
	v_lshl_add_u64 v[96:97], v[96:97], 0, 4
	flat_store_dwordx2 v[22:23], v[96:97] sc0 sc1
.LBB2_1200:                             ;   in Loop: Header=BB2_985 Depth=2
	s_or_b64 exec, exec, s[24:25]
	s_or_b64 exec, exec, s[26:27]
	s_add_i32 s24, s56, 1
	s_cmp_eq_u32 s56, s80
	s_cbranch_scc0 .LBB2_1237
	s_branch .LBB2_1238
.LBB2_1201:                             ;   in Loop: Header=BB2_985 Depth=2
	s_or_b64 exec, exec, s[94:95]
	s_and_saveexec_b64 s[94:95], s[30:31]
	s_xor_b64 s[94:95], exec, s[94:95]
	s_cbranch_execz .LBB2_1203
; %bb.1202:                             ;   in Loop: Header=BB2_985 Depth=2
	ds_write_b32 v0, v57
	s_trap 2
.LBB2_1203:                             ;   in Loop: Header=BB2_985 Depth=2
	s_or_b64 exec, exec, s[92:93]
	;;#ASMSTART
	s_wakeup
	;;#ASMEND
.LBB2_1204:                             ;   in Loop: Header=BB2_985 Depth=2
	s_or_b64 exec, exec, s[90:91]
.LBB2_1205:                             ;   in Loop: Header=BB2_985 Depth=2
	s_andn2_saveexec_b64 s[28:29], s[28:29]
	s_cbranch_execz .LBB2_1207
; %bb.1206:                             ;   in Loop: Header=BB2_985 Depth=2
	s_waitcnt lgkmcnt(0)
	s_barrier
.LBB2_1207:                             ;   in Loop: Header=BB2_985 Depth=2
	s_or_b64 exec, exec, s[28:29]
.LBB2_1208:                             ;   in Loop: Header=BB2_985 Depth=2
	s_or_b64 exec, exec, s[26:27]
	v_and_b32_e32 v8, 16, v46
	s_and_saveexec_b64 s[26:27], s[22:23]
	s_xor_b64 s[26:27], exec, s[26:27]
	s_cbranch_execz .LBB2_1212
; %bb.1209:                             ;   in Loop: Header=BB2_985 Depth=2
	v_and_b32_e32 v2, 16, v46
	v_cmp_ne_u32_e32 vcc, 0, v2
	v_and_b32_e32 v8, 16, v46
	s_and_b64 s[28:29], vcc, s[24:25]
	s_and_saveexec_b64 s[24:25], s[28:29]
	s_cbranch_execz .LBB2_1211
; %bb.1210:                             ;   in Loop: Header=BB2_985 Depth=2
	v_mov_b32_e32 v8, 1
	buffer_wbl2 sc1
	s_waitcnt vmcnt(0) lgkmcnt(0)
	buffer_inv sc1
.LBB2_1211:                             ;   in Loop: Header=BB2_985 Depth=2
	s_or_b64 exec, exec, s[24:25]
.LBB2_1212:                             ;   in Loop: Header=BB2_985 Depth=2
	s_andn2_saveexec_b64 s[24:25], s[26:27]
	s_cbranch_execz .LBB2_1231
; %bb.1213:                             ;   in Loop: Header=BB2_985 Depth=2
	s_and_saveexec_b64 s[26:27], s[58:59]
	s_xor_b64 s[26:27], exec, s[26:27]
	s_cbranch_execz .LBB2_1228
; %bb.1214:                             ;   in Loop: Header=BB2_985 Depth=2
	s_and_saveexec_b64 s[28:29], s[14:15]
	s_cbranch_execz .LBB2_1227
; %bb.1215:                             ;   in Loop: Header=BB2_985 Depth=2
	s_mov_b64 s[92:93], exec
	v_mbcnt_lo_u32_b32 v2, s92, 0
	v_mbcnt_hi_u32_b32 v2, s93, v2
	v_cmp_eq_u32_e32 vcc, 0, v2
	;;#ASMSTART
	s_waitcnt lgkmcnt(0) vmcnt(0)
	;;#ASMEND
	s_and_saveexec_b64 s[90:91], vcc
	s_cbranch_execz .LBB2_1217
; %bb.1216:                             ;   in Loop: Header=BB2_985 Depth=2
	s_bcnt1_i32_b64 s89, s[92:93]
	v_mov_b32_e32 v2, s89
	s_waitcnt lgkmcnt(0)
	ds_add_u64 v0, v[2:3]
	s_trap 2
.LBB2_1217:                             ;   in Loop: Header=BB2_985 Depth=2
	s_or_b64 exec, exec, s[90:91]
	s_trap 2
	ds_read_b64 v[10:11], v0
	s_waitcnt lgkmcnt(0)
	v_lshl_add_u64 v[32:33], v[32:33], 0, v[36:37]
	v_cmp_lt_u64_e32 vcc, v[10:11], v[32:33]
	s_and_saveexec_b64 s[90:91], vcc
	s_cbranch_execz .LBB2_1226
; %bb.1218:                             ;   in Loop: Header=BB2_985 Depth=2
	s_mov_b32 s89, 0
	s_mov_b64 s[92:93], 0
                                        ; implicit-def: $sgpr94_sgpr95
                                        ; implicit-def: $sgpr30_sgpr31
	s_branch .LBB2_1220
.LBB2_1219:                             ;   in Loop: Header=BB2_1220 Depth=3
	s_or_b64 exec, exec, s[36:37]
	s_and_b64 vcc, exec, vcc
	s_or_b64 s[92:93], vcc, s[92:93]
	s_andn2_b64 s[94:95], s[94:95], exec
	s_and_b64 vcc, s[30:31], exec
	s_or_b64 s[94:95], s[94:95], vcc
	s_andn2_b64 exec, exec, s[92:93]
	s_cbranch_execz .LBB2_1224
.LBB2_1220:                             ;   Parent Loop BB2_47 Depth=1
                                        ;     Parent Loop BB2_985 Depth=2
                                        ; =>    This Inner Loop Header: Depth=3
	s_add_i32 s89, s89, 1
	s_cmpk_lg_i32 s89, 0x2710
	s_cselect_b64 s[34:35], -1, 0
	s_and_b64 vcc, exec, s[34:35]
	s_cbranch_vccz .LBB2_1222
; %bb.1221:                             ;   in Loop: Header=BB2_1220 Depth=3
	s_mov_b64 vcc, -1
	s_or_b64 s[30:31], s[30:31], exec
	s_and_saveexec_b64 s[36:37], s[34:35]
	s_cbranch_execz .LBB2_1219
	s_branch .LBB2_1223
.LBB2_1222:                             ;   in Loop: Header=BB2_1220 Depth=3
	s_trap 2
	ds_read_b64 v[10:11], v0
	s_andn2_b64 s[34:35], s[34:35], exec
	s_mov_b32 s89, 0
	s_waitcnt vmcnt(0) lgkmcnt(0)
	flat_load_dword v2, v[10:11] sc0 sc1
	s_waitcnt vmcnt(0) lgkmcnt(0)
	buffer_inv sc0 sc1
	v_cmp_eq_u32_e32 vcc, 0, v2
	s_and_b64 vcc, vcc, exec
	s_or_b64 s[34:35], s[34:35], vcc
	s_mov_b64 vcc, -1
	s_or_b64 s[30:31], s[30:31], exec
	s_and_saveexec_b64 s[36:37], s[34:35]
	s_cbranch_execz .LBB2_1219
.LBB2_1223:                             ;   in Loop: Header=BB2_1220 Depth=3
	s_sleep 1
	s_trap 2
	ds_read_b64 v[10:11], v0
	s_waitcnt lgkmcnt(0)
	s_andn2_b64 s[30:31], s[30:31], exec
	v_cmp_ge_u64_e32 vcc, v[10:11], v[32:33]
	s_orn2_b64 vcc, vcc, exec
	s_branch .LBB2_1219
.LBB2_1224:                             ;   in Loop: Header=BB2_985 Depth=2
	s_or_b64 exec, exec, s[92:93]
	s_and_saveexec_b64 s[92:93], s[94:95]
	s_xor_b64 s[92:93], exec, s[92:93]
	s_cbranch_execz .LBB2_1226
; %bb.1225:                             ;   in Loop: Header=BB2_985 Depth=2
	ds_write_b32 v0, v57
	s_trap 2
.LBB2_1226:                             ;   in Loop: Header=BB2_985 Depth=2
	s_or_b64 exec, exec, s[90:91]
	;;#ASMSTART
	s_wakeup
	;;#ASMEND
.LBB2_1227:                             ;   in Loop: Header=BB2_985 Depth=2
	s_or_b64 exec, exec, s[28:29]
.LBB2_1228:                             ;   in Loop: Header=BB2_985 Depth=2
	s_andn2_saveexec_b64 s[26:27], s[26:27]
	s_cbranch_execz .LBB2_1230
; %bb.1229:                             ;   in Loop: Header=BB2_985 Depth=2
	;;#ASMSTART
	s_waitcnt lgkmcnt(0) vmcnt(0)
	;;#ASMEND
	s_barrier
.LBB2_1230:                             ;   in Loop: Header=BB2_985 Depth=2
	s_or_b64 exec, exec, s[26:27]
.LBB2_1231:                             ;   in Loop: Header=BB2_985 Depth=2
	s_or_b64 exec, exec, s[24:25]
	v_cmp_ne_u32_e32 vcc, 0, v8
	s_xor_b64 s[24:25], s[10:11], -1
	s_and_b64 s[26:27], vcc, s[24:25]
	s_and_saveexec_b64 s[24:25], s[26:27]
	s_cbranch_execz .LBB2_1233
; %bb.1232:                             ;   in Loop: Header=BB2_985 Depth=2
	flat_store_dword v[28:29], v57 sc0 sc1
.LBB2_1233:                             ;   in Loop: Header=BB2_985 Depth=2
	s_or_b64 exec, exec, s[24:25]
	v_and_b32_e32 v2, 48, v46
	v_cmp_ne_u32_e32 vcc, 0, v2
	s_and_saveexec_b64 s[24:25], vcc
	s_cbranch_execz .LBB2_1235
; %bb.1234:                             ;   in Loop: Header=BB2_985 Depth=2
	v_lshl_add_u64 v[96:97], v[96:97], 0, 4
	flat_store_dwordx2 v[22:23], v[96:97] sc0 sc1
.LBB2_1235:                             ;   in Loop: Header=BB2_985 Depth=2
	s_or_b64 exec, exec, s[24:25]
	v_mov_b32_e32 v2, v12
	s_or_b64 exec, exec, s[42:43]
	s_and_saveexec_b64 s[26:27], s[40:41]
	s_cbranch_execnz .LBB2_992
.LBB2_1236:                             ;   in Loop: Header=BB2_985 Depth=2
	s_or_b64 exec, exec, s[26:27]
	s_add_i32 s24, s56, 1
	s_cmp_eq_u32 s56, s80
	s_cbranch_scc1 .LBB2_1238
.LBB2_1237:                             ;   in Loop: Header=BB2_985 Depth=2
	s_mov_b32 s56, s24
	s_branch .LBB2_985
.LBB2_1238:                             ;   in Loop: Header=BB2_47 Depth=1
	v_mul_lo_u32 v2, v87, s81
	v_mul_lo_u32 v10, v86, s82
	v_mad_u64_u32 v[8:9], s[24:25], v86, s81, 0
	v_add3_u32 v9, v9, v10, v2
	v_sub_co_u32_e32 v10, vcc, v98, v8
	v_mov_b32_e32 v14, 0
	s_nop 0
	v_subb_co_u32_e32 v11, vcc, v99, v9, vcc
	v_cmp_lt_i64_e32 vcc, v[86:87], v[10:11]
	s_nop 1
	v_cndmask_b32_e32 v2, v10, v86, vcc
	v_max_i32_e32 v102, 0, v2
	v_add_u32_e32 v10, 15, v102
	v_ashrrev_i32_e32 v11, 31, v10
	v_lshrrev_b32_e32 v11, 28, v11
	v_add_u32_e32 v10, v10, v11
	v_cmp_gt_i32_e32 vcc, 1, v2
	v_and_b32_e32 v10, -16, v10
	s_or_b64 s[26:27], s[2:3], vcc
	v_max_i32_e32 v103, s71, v10
	s_xor_b64 s[24:25], s[26:27], -1
	s_and_saveexec_b64 s[28:29], s[24:25]
	s_cbranch_execz .LBB2_1374
; %bb.1239:                             ;   in Loop: Header=BB2_47 Depth=1
	s_and_saveexec_b64 s[24:25], s[0:1]
	s_cbranch_execz .LBB2_1241
; %bb.1240:                             ;   in Loop: Header=BB2_47 Depth=1
	s_trap 2
	ds_read_b128 v[10:13], v0
	v_lshl_add_u64 v[8:9], v[8:9], 0, v[100:101]
	v_lshlrev_b64 v[8:9], 1, v[8:9]
	s_waitcnt lgkmcnt(0)
	v_lshl_add_u64 v[10:11], v[10:11], 0, v[8:9]
	v_lshl_add_u64 v[8:9], v[12:13], 0, v[8:9]
	v_cmp_ne_u64_e32 vcc, 0, v[12:13]
	ds_write_b64 v0, v[10:11]
	s_nop 0
	v_cndmask_b32_e32 v9, 0, v9, vcc
	v_cndmask_b32_e32 v8, 0, v8, vcc
	ds_write_b64 v0, v[8:9]
.LBB2_1241:                             ;   in Loop: Header=BB2_47 Depth=1
	s_or_b64 exec, exec, s[24:25]
	v_and_b32_e32 v2, 4, v46
	v_cmp_ne_u32_e32 vcc, 0, v2
	s_and_saveexec_b64 s[40:41], vcc
	s_cbranch_execz .LBB2_1263
; %bb.1242:                             ;   in Loop: Header=BB2_47 Depth=1
	v_lshl_add_u64 v[8:9], v[96:97], 0, 4
	s_waitcnt vmcnt(0) lgkmcnt(0)
	v_cmp_lt_u64_e32 vcc, v[34:35], v[8:9]
	s_and_saveexec_b64 s[42:43], vcc
	s_cbranch_execz .LBB2_1254
; %bb.1243:                             ;   in Loop: Header=BB2_47 Depth=1
	v_and_b32_e32 v2, 64, v46
	s_mov_b32 s56, 0
	v_cmp_eq_u32_e32 vcc, 0, v2
	s_mov_b64 s[90:91], 0
                                        ; implicit-def: $sgpr92_sgpr93
                                        ; implicit-def: $sgpr94_sgpr95
                                        ; implicit-def: $sgpr30_sgpr31
	s_branch .LBB2_1247
.LBB2_1244:                             ;   in Loop: Header=BB2_1247 Depth=2
	s_waitcnt vmcnt(0) lgkmcnt(0)
	v_cmp_ge_u64_e64 s[24:25], v[34:35], v[8:9]
	s_or_b64 s[38:39], s[38:39], exec
	s_orn2_b64 s[36:37], s[24:25], exec
.LBB2_1245:                             ;   in Loop: Header=BB2_1247 Depth=2
	s_or_b64 exec, exec, s[50:51]
	s_andn2_b64 s[24:25], s[30:31], exec
	s_and_b64 s[30:31], s[38:39], exec
	s_or_b64 s[30:31], s[24:25], s[30:31]
	s_andn2_b64 s[24:25], s[94:95], exec
	s_and_b64 s[94:95], s[36:37], exec
	s_or_b64 s[94:95], s[24:25], s[94:95]
.LBB2_1246:                             ;   in Loop: Header=BB2_1247 Depth=2
	s_or_b64 exec, exec, s[34:35]
	s_and_b64 s[24:25], exec, s[94:95]
	s_or_b64 s[90:91], s[24:25], s[90:91]
	s_andn2_b64 s[24:25], s[92:93], exec
	s_and_b64 s[92:93], s[30:31], exec
	s_or_b64 s[92:93], s[24:25], s[92:93]
	s_andn2_b64 exec, exec, s[90:91]
	s_cbranch_execz .LBB2_1251
.LBB2_1247:                             ;   Parent Loop BB2_47 Depth=1
                                        ; =>  This Inner Loop Header: Depth=2
	s_sleep 1
	s_waitcnt vmcnt(0) lgkmcnt(0)
	flat_load_dwordx2 v[34:35], v[22:23] sc0 sc1
	s_or_b64 s[30:31], s[30:31], exec
	s_or_b64 s[94:95], s[94:95], exec
                                        ; implicit-def: $vgpr2
	s_and_saveexec_b64 s[34:35], vcc
	s_cbranch_execz .LBB2_1246
; %bb.1248:                             ;   in Loop: Header=BB2_1247 Depth=2
	s_cmpk_lt_i32 s56, 0x270f
	s_cselect_b64 s[48:49], -1, 0
	s_cmpk_gt_i32 s56, 0x270e
	s_mov_b64 s[36:37], -1
	s_cbranch_scc0 .LBB2_1250
; %bb.1249:                             ;   in Loop: Header=BB2_1247 Depth=2
	s_trap 2
	ds_read_b64 v[10:11], v0
	s_andn2_b64 s[48:49], s[48:49], exec
	s_mov_b32 s56, 0
	s_mov_b64 s[38:39], 0
	s_waitcnt vmcnt(0) lgkmcnt(0)
	flat_load_dword v2, v[10:11] sc0 sc1
	s_waitcnt vmcnt(0) lgkmcnt(0)
	buffer_inv sc0 sc1
	v_cmp_eq_u32_e64 s[24:25], 0, v2
	s_and_b64 s[24:25], s[24:25], exec
	s_or_b64 s[48:49], s[48:49], s[24:25]
	s_and_saveexec_b64 s[50:51], s[48:49]
	s_cbranch_execz .LBB2_1245
	s_branch .LBB2_1244
.LBB2_1250:                             ;   in Loop: Header=BB2_1247 Depth=2
	s_add_i32 s56, s56, 1
	s_mov_b64 s[38:39], -1
                                        ; implicit-def: $vgpr2
	s_and_saveexec_b64 s[50:51], s[48:49]
	s_cbranch_execz .LBB2_1245
	s_branch .LBB2_1244
.LBB2_1251:                             ;   in Loop: Header=BB2_47 Depth=1
	s_or_b64 exec, exec, s[90:91]
	s_xor_b64 s[24:25], s[92:93], -1
	s_and_saveexec_b64 s[90:91], s[24:25]
	s_xor_b64 s[24:25], exec, s[90:91]
	s_cbranch_execz .LBB2_1253
; %bb.1252:                             ;   in Loop: Header=BB2_47 Depth=1
	v_or_b32_e32 v46, 64, v46
	s_waitcnt lgkmcnt(0)
	ds_write_b32 v0, v2
	s_trap 2
.LBB2_1253:                             ;   in Loop: Header=BB2_47 Depth=1
	s_or_b64 exec, exec, s[24:25]
.LBB2_1254:                             ;   in Loop: Header=BB2_47 Depth=1
	s_or_b64 exec, exec, s[42:43]
	v_and_b32_e32 v2, 0x100, v46
	v_cmp_ne_u32_e32 vcc, 0, v2
	v_and_b32_e32 v2, 7, v96
	s_mov_b64 s[24:25], -1
	;;#ASMSTART
	s_wakeup
	;;#ASMEND
                                        ; implicit-def: $vgpr10_vgpr11
	s_and_saveexec_b64 s[42:43], vcc
	s_cbranch_execz .LBB2_1258
; %bb.1255:                             ;   in Loop: Header=BB2_47 Depth=1
	v_mad_u64_u32 v[12:13], s[24:25], v2, 24, v[6:7]
	flat_load_dword v10, v[12:13]
	s_waitcnt vmcnt(0) lgkmcnt(0)
	v_cmp_ne_u32_e32 vcc, 1, v10
	v_cmp_eq_u32_e64 s[24:25], 1, v10
                                        ; implicit-def: $vgpr10_vgpr11
	s_and_saveexec_b64 s[90:91], s[24:25]
	s_cbranch_execz .LBB2_1257
; %bb.1256:                             ;   in Loop: Header=BB2_47 Depth=1
	flat_load_dword v10, v[12:13] offset:4 sc0 sc1
	s_waitcnt vmcnt(0) lgkmcnt(0)
	v_ashrrev_i32_e32 v11, 31, v10
	v_lshrrev_b64 v[10:11], 1, v[10:11]
.LBB2_1257:                             ;   in Loop: Header=BB2_47 Depth=1
	s_or_b64 exec, exec, s[90:91]
	s_orn2_b64 s[24:25], vcc, exec
.LBB2_1258:                             ;   in Loop: Header=BB2_47 Depth=1
	s_or_b64 exec, exec, s[42:43]
	s_and_saveexec_b64 s[42:43], s[24:25]
; %bb.1259:                             ;   in Loop: Header=BB2_47 Depth=1
	v_mad_i64_i32 v[10:11], s[24:25], v2, v24, 0
; %bb.1260:                             ;   in Loop: Header=BB2_47 Depth=1
	s_or_b64 exec, exec, s[42:43]
	v_and_b32_e32 v2, 0x2000, v46
	v_lshl_add_u64 v[10:11], v[10:11], 1, v[26:27]
	v_cmp_ne_u32_e32 vcc, 0, v2
	ds_write_b64 v0, v[10:11] offset:720
	s_and_saveexec_b64 s[24:25], vcc
	s_cbranch_execz .LBB2_1262
; %bb.1261:                             ;   in Loop: Header=BB2_47 Depth=1
	ds_read_b64 v[10:11], v0 offset:872
	s_waitcnt lgkmcnt(0)
	v_lshl_add_u64 v[10:11], v[10:11], 0, 1
	ds_write_b64 v0, v[10:11] offset:872
.LBB2_1262:                             ;   in Loop: Header=BB2_47 Depth=1
	s_or_b64 exec, exec, s[24:25]
	v_mov_b64_e32 v[96:97], v[8:9]
.LBB2_1263:                             ;   in Loop: Header=BB2_47 Depth=1
	s_or_b64 exec, exec, s[40:41]
	s_and_saveexec_b64 s[24:25], s[6:7]
	s_cbranch_execz .LBB2_1282
; %bb.1264:                             ;   in Loop: Header=BB2_47 Depth=1
	s_and_saveexec_b64 s[40:41], s[58:59]
	s_xor_b64 s[40:41], exec, s[40:41]
	s_cbranch_execz .LBB2_1279
; %bb.1265:                             ;   in Loop: Header=BB2_47 Depth=1
	s_and_saveexec_b64 s[42:43], s[14:15]
	s_cbranch_execz .LBB2_1278
; %bb.1266:                             ;   in Loop: Header=BB2_47 Depth=1
	s_mov_b64 s[92:93], exec
	v_mbcnt_lo_u32_b32 v2, s92, 0
	v_mbcnt_hi_u32_b32 v2, s93, v2
	v_cmp_eq_u32_e32 vcc, 0, v2
	s_waitcnt lgkmcnt(0)
	s_and_saveexec_b64 s[90:91], vcc
	s_cbranch_execz .LBB2_1268
; %bb.1267:                             ;   in Loop: Header=BB2_47 Depth=1
	s_bcnt1_i32_b64 s56, s[92:93]
	v_mov_b32_e32 v2, s56
	ds_add_u64 v0, v[2:3]
	s_trap 2
.LBB2_1268:                             ;   in Loop: Header=BB2_47 Depth=1
	s_or_b64 exec, exec, s[90:91]
	s_trap 2
	ds_read_b64 v[8:9], v0
	s_waitcnt lgkmcnt(0)
	v_lshl_add_u64 v[32:33], v[32:33], 0, v[36:37]
	v_cmp_lt_u64_e32 vcc, v[8:9], v[32:33]
	s_and_saveexec_b64 s[90:91], vcc
	s_cbranch_execz .LBB2_1277
; %bb.1269:                             ;   in Loop: Header=BB2_47 Depth=1
	s_mov_b32 s56, 0
	s_mov_b64 s[92:93], 0
                                        ; implicit-def: $sgpr94_sgpr95
                                        ; implicit-def: $sgpr30_sgpr31
	s_branch .LBB2_1271
.LBB2_1270:                             ;   in Loop: Header=BB2_1271 Depth=2
	s_or_b64 exec, exec, s[36:37]
	s_and_b64 vcc, exec, vcc
	s_or_b64 s[92:93], vcc, s[92:93]
	s_andn2_b64 s[94:95], s[94:95], exec
	s_and_b64 vcc, s[30:31], exec
	s_or_b64 s[94:95], s[94:95], vcc
	s_andn2_b64 exec, exec, s[92:93]
	s_cbranch_execz .LBB2_1275
.LBB2_1271:                             ;   Parent Loop BB2_47 Depth=1
                                        ; =>  This Inner Loop Header: Depth=2
	s_add_i32 s56, s56, 1
	s_cmpk_lg_i32 s56, 0x2710
	s_cselect_b64 s[34:35], -1, 0
	s_and_b64 vcc, exec, s[34:35]
	s_cbranch_vccz .LBB2_1273
; %bb.1272:                             ;   in Loop: Header=BB2_1271 Depth=2
	s_mov_b64 vcc, -1
	s_or_b64 s[30:31], s[30:31], exec
	s_and_saveexec_b64 s[36:37], s[34:35]
	s_cbranch_execz .LBB2_1270
	s_branch .LBB2_1274
.LBB2_1273:                             ;   in Loop: Header=BB2_1271 Depth=2
	s_trap 2
	ds_read_b64 v[8:9], v0
	s_andn2_b64 s[34:35], s[34:35], exec
	s_mov_b32 s56, 0
	s_waitcnt vmcnt(0) lgkmcnt(0)
	flat_load_dword v2, v[8:9] sc0 sc1
	s_waitcnt vmcnt(0) lgkmcnt(0)
	buffer_inv sc0 sc1
	v_cmp_eq_u32_e32 vcc, 0, v2
	s_and_b64 vcc, vcc, exec
	s_or_b64 s[34:35], s[34:35], vcc
	s_mov_b64 vcc, -1
	s_or_b64 s[30:31], s[30:31], exec
	s_and_saveexec_b64 s[36:37], s[34:35]
	s_cbranch_execz .LBB2_1270
.LBB2_1274:                             ;   in Loop: Header=BB2_1271 Depth=2
	s_sleep 1
	s_trap 2
	ds_read_b64 v[8:9], v0
	s_waitcnt lgkmcnt(0)
	s_andn2_b64 s[30:31], s[30:31], exec
	v_cmp_ge_u64_e32 vcc, v[8:9], v[32:33]
	s_orn2_b64 vcc, vcc, exec
	s_branch .LBB2_1270
.LBB2_1275:                             ;   in Loop: Header=BB2_47 Depth=1
	s_or_b64 exec, exec, s[92:93]
	s_and_saveexec_b64 s[92:93], s[94:95]
	s_xor_b64 s[92:93], exec, s[92:93]
	s_cbranch_execz .LBB2_1277
; %bb.1276:                             ;   in Loop: Header=BB2_47 Depth=1
	ds_write_b32 v0, v57
	s_trap 2
.LBB2_1277:                             ;   in Loop: Header=BB2_47 Depth=1
	s_or_b64 exec, exec, s[90:91]
	;;#ASMSTART
	s_wakeup
	;;#ASMEND
.LBB2_1278:                             ;   in Loop: Header=BB2_47 Depth=1
	s_or_b64 exec, exec, s[42:43]
.LBB2_1279:                             ;   in Loop: Header=BB2_47 Depth=1
	s_andn2_saveexec_b64 s[40:41], s[40:41]
	s_cbranch_execz .LBB2_1281
; %bb.1280:                             ;   in Loop: Header=BB2_47 Depth=1
	s_waitcnt lgkmcnt(0)
	s_barrier
.LBB2_1281:                             ;   in Loop: Header=BB2_47 Depth=1
	s_or_b64 exec, exec, s[40:41]
.LBB2_1282:                             ;   in Loop: Header=BB2_47 Depth=1
	s_or_b64 exec, exec, s[24:25]
	s_trap 2
	ds_read_b32 v12, v0
	v_and_b32_e32 v2, 0x4000, v46
	v_cmp_ne_u32_e32 vcc, 0, v2
	s_xor_b64 s[24:25], s[4:5], -1
	s_and_b64 s[40:41], s[24:25], vcc
	s_and_saveexec_b64 s[24:25], s[40:41]
	s_cbranch_execz .LBB2_1301
; %bb.1283:                             ;   in Loop: Header=BB2_47 Depth=1
	s_and_saveexec_b64 s[40:41], s[58:59]
	s_xor_b64 s[40:41], exec, s[40:41]
	s_cbranch_execz .LBB2_1298
; %bb.1284:                             ;   in Loop: Header=BB2_47 Depth=1
	s_and_saveexec_b64 s[42:43], s[14:15]
	s_cbranch_execz .LBB2_1297
; %bb.1285:                             ;   in Loop: Header=BB2_47 Depth=1
	s_mov_b64 s[92:93], exec
	v_mbcnt_lo_u32_b32 v2, s92, 0
	v_mbcnt_hi_u32_b32 v2, s93, v2
	v_cmp_eq_u32_e32 vcc, 0, v2
	s_waitcnt lgkmcnt(0)
	s_and_saveexec_b64 s[90:91], vcc
	s_cbranch_execz .LBB2_1287
; %bb.1286:                             ;   in Loop: Header=BB2_47 Depth=1
	s_bcnt1_i32_b64 s56, s[92:93]
	v_mov_b32_e32 v2, s56
	ds_add_u64 v0, v[2:3]
	s_trap 2
.LBB2_1287:                             ;   in Loop: Header=BB2_47 Depth=1
	s_or_b64 exec, exec, s[90:91]
	s_trap 2
	ds_read_b64 v[8:9], v0
	s_waitcnt lgkmcnt(0)
	v_lshl_add_u64 v[32:33], v[32:33], 0, v[36:37]
	v_cmp_lt_u64_e32 vcc, v[8:9], v[32:33]
	s_and_saveexec_b64 s[90:91], vcc
	s_cbranch_execz .LBB2_1296
; %bb.1288:                             ;   in Loop: Header=BB2_47 Depth=1
	s_mov_b32 s56, 0
	s_mov_b64 s[92:93], 0
                                        ; implicit-def: $sgpr94_sgpr95
                                        ; implicit-def: $sgpr30_sgpr31
	s_branch .LBB2_1290
.LBB2_1289:                             ;   in Loop: Header=BB2_1290 Depth=2
	s_or_b64 exec, exec, s[36:37]
	s_and_b64 vcc, exec, vcc
	s_or_b64 s[92:93], vcc, s[92:93]
	s_andn2_b64 s[94:95], s[94:95], exec
	s_and_b64 vcc, s[30:31], exec
	s_or_b64 s[94:95], s[94:95], vcc
	s_andn2_b64 exec, exec, s[92:93]
	s_cbranch_execz .LBB2_1294
.LBB2_1290:                             ;   Parent Loop BB2_47 Depth=1
                                        ; =>  This Inner Loop Header: Depth=2
	s_add_i32 s56, s56, 1
	s_cmpk_lg_i32 s56, 0x2710
	s_cselect_b64 s[34:35], -1, 0
	s_and_b64 vcc, exec, s[34:35]
	s_cbranch_vccz .LBB2_1292
; %bb.1291:                             ;   in Loop: Header=BB2_1290 Depth=2
	s_mov_b64 vcc, -1
	s_or_b64 s[30:31], s[30:31], exec
	s_and_saveexec_b64 s[36:37], s[34:35]
	s_cbranch_execz .LBB2_1289
	s_branch .LBB2_1293
.LBB2_1292:                             ;   in Loop: Header=BB2_1290 Depth=2
	s_trap 2
	ds_read_b64 v[8:9], v0
	s_andn2_b64 s[34:35], s[34:35], exec
	s_mov_b32 s56, 0
	s_waitcnt vmcnt(0) lgkmcnt(0)
	flat_load_dword v2, v[8:9] sc0 sc1
	s_waitcnt vmcnt(0) lgkmcnt(0)
	buffer_inv sc0 sc1
	v_cmp_eq_u32_e32 vcc, 0, v2
	s_and_b64 vcc, vcc, exec
	s_or_b64 s[34:35], s[34:35], vcc
	s_mov_b64 vcc, -1
	s_or_b64 s[30:31], s[30:31], exec
	s_and_saveexec_b64 s[36:37], s[34:35]
	s_cbranch_execz .LBB2_1289
.LBB2_1293:                             ;   in Loop: Header=BB2_1290 Depth=2
	s_sleep 1
	s_trap 2
	ds_read_b64 v[8:9], v0
	s_waitcnt lgkmcnt(0)
	s_andn2_b64 s[30:31], s[30:31], exec
	v_cmp_ge_u64_e32 vcc, v[8:9], v[32:33]
	s_orn2_b64 vcc, vcc, exec
	s_branch .LBB2_1289
.LBB2_1294:                             ;   in Loop: Header=BB2_47 Depth=1
	s_or_b64 exec, exec, s[92:93]
	s_and_saveexec_b64 s[92:93], s[94:95]
	s_xor_b64 s[92:93], exec, s[92:93]
	s_cbranch_execz .LBB2_1296
; %bb.1295:                             ;   in Loop: Header=BB2_47 Depth=1
	ds_write_b32 v0, v57
	s_trap 2
.LBB2_1296:                             ;   in Loop: Header=BB2_47 Depth=1
	s_or_b64 exec, exec, s[90:91]
	;;#ASMSTART
	s_wakeup
	;;#ASMEND
.LBB2_1297:                             ;   in Loop: Header=BB2_47 Depth=1
	s_or_b64 exec, exec, s[42:43]
.LBB2_1298:                             ;   in Loop: Header=BB2_47 Depth=1
	s_andn2_saveexec_b64 s[40:41], s[40:41]
	s_cbranch_execz .LBB2_1300
; %bb.1299:                             ;   in Loop: Header=BB2_47 Depth=1
	s_waitcnt lgkmcnt(0)
	s_barrier
.LBB2_1300:                             ;   in Loop: Header=BB2_47 Depth=1
	s_or_b64 exec, exec, s[40:41]
.LBB2_1301:                             ;   in Loop: Header=BB2_47 Depth=1
	s_or_b64 exec, exec, s[24:25]
	s_trap 2
	ds_read_b64 v[8:9], v0
	v_min_i32_e32 v103, v103, v102
	s_waitcnt lgkmcnt(0)
	v_cmp_eq_u64_e32 vcc, 0, v[8:9]
	s_cbranch_vccnz .LBB2_1309
; %bb.1302:                             ;   in Loop: Header=BB2_47 Depth=1
	s_trap 2
	ds_read_b64 v[10:11], v0
	s_waitcnt lgkmcnt(0)
	v_cmp_eq_u64_e32 vcc, 0, v[10:11]
	s_cbranch_vccnz .LBB2_1309
; %bb.1303:                             ;   in Loop: Header=BB2_47 Depth=1
	s_mov_b64 s[24:25], -1
	s_and_saveexec_b64 s[40:41], s[18:19]
	s_cbranch_execz .LBB2_1305
; %bb.1304:                             ;   in Loop: Header=BB2_47 Depth=1
	ds_read_b32 v2, v0 offset:720
	s_waitcnt lgkmcnt(0)
	v_and_b32_e32 v2, 15, v2
	v_cmp_eq_u32_e32 vcc, 0, v2
	s_orn2_b64 s[24:25], vcc, exec
.LBB2_1305:                             ;   in Loop: Header=BB2_47 Depth=1
	s_or_b64 exec, exec, s[40:41]
	s_and_saveexec_b64 s[40:41], s[16:17]
	s_cbranch_execz .LBB2_1307
; %bb.1306:                             ;   in Loop: Header=BB2_47 Depth=1
	ds_read_b32 v2, v0 offset:784
	s_waitcnt lgkmcnt(0)
	v_and_b32_e32 v2, 15, v2
	v_cmp_eq_u32_e32 vcc, 0, v2
	s_and_b64 s[42:43], s[24:25], vcc
	s_andn2_b64 s[24:25], s[24:25], exec
	s_and_b64 s[42:43], s[42:43], exec
	s_or_b64 s[24:25], s[24:25], s[42:43]
.LBB2_1307:                             ;   in Loop: Header=BB2_47 Depth=1
	s_or_b64 exec, exec, s[40:41]
	v_cmp_eq_u32_e32 vcc, 0, v12
	s_xor_b64 s[24:25], s[24:25], -1
	v_cndmask_b32_e64 v12, 0, 1, s[24:25]
	v_cndmask_b32_e32 v2, 0, v103, vcc
	v_lshlrev_b32_e32 v100, 1, v2
	s_mov_b64 s[42:43], -1
	v_cmp_ne_u32_e32 vcc, 0, v12
	v_mov_b32_e32 v101, 0
	s_cbranch_vccz .LBB2_1314
; %bb.1308:                             ;   in Loop: Header=BB2_47 Depth=1
	v_mov_b32_e32 v112, v0
	s_and_saveexec_b64 s[24:25], s[42:43]
	s_cbranch_execnz .LBB2_1325
	s_branch .LBB2_1333
.LBB2_1309:                             ;   in Loop: Header=BB2_47 Depth=1
	s_mov_b64 s[24:25], 0
	s_and_saveexec_b64 s[40:41], s[6:7]
	s_cbranch_execnz .LBB2_1334
.LBB2_1310:                             ;   in Loop: Header=BB2_47 Depth=1
	s_or_b64 exec, exec, s[40:41]
	s_and_saveexec_b64 s[40:41], s[22:23]
	s_xor_b64 s[40:41], exec, s[40:41]
	s_cbranch_execz .LBB2_1352
.LBB2_1311:                             ;   in Loop: Header=BB2_47 Depth=1
	v_and_b32_e32 v2, 16, v46
	v_cmp_ne_u32_e32 vcc, 0, v2
	s_and_b64 s[42:43], vcc, s[24:25]
	s_and_saveexec_b64 s[24:25], s[42:43]
	s_cbranch_execz .LBB2_1313
; %bb.1312:                             ;   in Loop: Header=BB2_47 Depth=1
	buffer_wbl2 sc1
	s_waitcnt vmcnt(0) lgkmcnt(0)
	buffer_inv sc1
.LBB2_1313:                             ;   in Loop: Header=BB2_47 Depth=1
	s_or_b64 exec, exec, s[24:25]
	s_andn2_saveexec_b64 s[24:25], s[40:41]
	s_cbranch_execz .LBB2_1371
	s_branch .LBB2_1353
.LBB2_1314:                             ;   in Loop: Header=BB2_47 Depth=1
	v_ashrrev_i32_e32 v12, 31, v100
	v_lshrrev_b32_e32 v12, 21, v12
	v_add_u32_e32 v12, v100, v12
	v_ashrrev_i32_e32 v14, 11, v12
	v_sub_u32_e32 v15, v14, v56
	v_cmp_lt_i32_e32 vcc, 0, v15
	s_and_saveexec_b64 s[24:25], vcc
	s_cbranch_execz .LBB2_1318
; %bb.1315:                             ;   in Loop: Header=BB2_47 Depth=1
	s_mov_b64 s[40:41], 0
	v_mov_b64_e32 v[12:13], v[68:69]
.LBB2_1316:                             ;   Parent Loop BB2_47 Depth=1
                                        ; =>  This Inner Loop Header: Depth=2
	v_lshl_add_u64 v[98:99], v[8:9], 0, v[12:13]
	global_load_dwordx4 v[112:115], v[98:99], off nt
	global_load_dwordx4 v[116:119], v[98:99], off offset:1024 nt
	v_sub_u32_e32 v15, v15, v36
	v_cmp_gt_i32_e32 vcc, 1, v15
	v_lshl_add_u64 v[98:99], v[10:11], 0, v[12:13]
	v_lshl_add_u64 v[12:13], v[12:13], 0, v[52:53]
	s_or_b64 s[40:41], vcc, s[40:41]
	s_waitcnt vmcnt(0)
	global_store_dwordx4 v[98:99], v[112:115], off
	global_store_dwordx4 v[98:99], v[116:119], off offset:1024
	s_andn2_b64 exec, exec, s[40:41]
	s_cbranch_execnz .LBB2_1316
; %bb.1317:                             ;   in Loop: Header=BB2_47 Depth=1
	s_or_b64 exec, exec, s[40:41]
.LBB2_1318:                             ;   in Loop: Header=BB2_47 Depth=1
	s_or_b64 exec, exec, s[24:25]
	v_lshlrev_b32_e32 v14, 11, v14
	v_cmp_ne_u32_e32 vcc, v100, v14
	s_mov_b64 s[42:43], 0
	v_mov_b32_e32 v101, 0
                                        ; implicit-def: $vgpr112
	s_and_saveexec_b64 s[40:41], vcc
	s_cbranch_execz .LBB2_1324
; %bb.1319:                             ;   in Loop: Header=BB2_47 Depth=1
	v_lshlrev_b32_e32 v12, 6, v15
	v_sub_u32_e32 v12, v47, v12
	v_sub_u32_e32 v13, v100, v14
	v_ashrrev_i32_e32 v15, 31, v12
	v_lshrrev_b32_e32 v15, 26, v15
	v_ashrrev_i32_e32 v98, 31, v13
	v_add_u32_e32 v15, v12, v15
	v_lshrrev_b32_e32 v98, 22, v98
	v_ashrrev_i32_e32 v112, 6, v15
	v_and_b32_e32 v15, 0xffffffc0, v15
	v_add_u32_e32 v98, v13, v98
	v_sub_u32_e32 v15, v12, v15
	v_ashrrev_i32_e32 v113, 10, v98
	v_and_b32_e32 v98, 0xfffffc00, v98
	v_lshlrev_b32_e32 v12, 4, v15
	v_sub_u32_e32 v99, v13, v98
	v_lshl_add_u32 v12, v112, 10, v12
	v_cmp_lt_i32_e32 vcc, 15, v99
	v_sub_u32_e32 v101, v13, v12
	s_nop 0
	v_addc_co_u32_e64 v13, s[24:25], 0, v113, vcc
	v_sub_u32_e32 v112, v13, v112
	v_cmp_lt_i32_e64 s[24:25], 15, v101
	s_and_saveexec_b64 s[42:43], s[24:25]
	s_cbranch_execz .LBB2_1323
; %bb.1320:                             ;   in Loop: Header=BB2_47 Depth=1
	v_add_u32_e32 v12, v12, v14
	v_ashrrev_i32_e32 v13, 31, v12
	s_mov_b64 s[90:91], 0
.LBB2_1321:                             ;   Parent Loop BB2_47 Depth=1
                                        ; =>  This Inner Loop Header: Depth=2
	v_lshl_add_u64 v[114:115], v[8:9], 0, v[12:13]
	global_load_dwordx4 v[114:117], v[114:115], off nt
	v_sub_u32_e32 v101, v101, v54
	v_cmp_gt_i32_e64 s[24:25], 16, v101
	v_lshl_add_u64 v[118:119], v[10:11], 0, v[12:13]
	v_sub_u32_e32 v112, v112, v36
	v_lshl_add_u64 v[12:13], v[12:13], 0, v[54:55]
	s_or_b64 s[90:91], s[24:25], s[90:91]
	s_waitcnt vmcnt(0)
	global_store_dwordx4 v[118:119], v[114:117], off
	s_andn2_b64 exec, exec, s[90:91]
	s_cbranch_execnz .LBB2_1321
; %bb.1322:                             ;   in Loop: Header=BB2_47 Depth=1
	s_or_b64 exec, exec, s[90:91]
.LBB2_1323:                             ;   in Loop: Header=BB2_47 Depth=1
	s_or_b64 exec, exec, s[42:43]
	v_and_b32_e32 v12, 14, v100
	v_sub_u32_e32 v13, v99, v12
	v_cndmask_b32_e32 v13, 0, v13, vcc
	v_cndmask_b32_e32 v100, v99, v12, vcc
	v_cmp_lt_i32_e32 vcc, 0, v112
	v_add3_u32 v101, v98, v14, v13
	s_nop 0
	v_cndmask_b32_e32 v12, 0, v36, vcc
	v_sub_u32_e32 v12, v12, v112
	v_cmp_ne_u32_e32 vcc, 0, v100
	v_lshl_add_u32 v112, v12, 6, v15
	s_and_b64 s[42:43], vcc, exec
.LBB2_1324:                             ;   in Loop: Header=BB2_47 Depth=1
	s_or_b64 exec, exec, s[40:41]
	s_and_saveexec_b64 s[24:25], s[42:43]
	s_cbranch_execz .LBB2_1333
.LBB2_1325:                             ;   in Loop: Header=BB2_47 Depth=1
	v_ashrrev_i32_e32 v12, 31, v112
	v_ashrrev_i32_e32 v13, 31, v100
	v_lshrrev_b32_e32 v12, 26, v12
	v_lshrrev_b32_e32 v13, 23, v13
	v_add_u32_e32 v12, v112, v12
	v_add_u32_e32 v13, v100, v13
	v_ashrrev_i32_e32 v113, 6, v12
	v_ashrrev_i32_e32 v115, 9, v13
	v_sub_u32_e32 v114, v115, v113
	v_cmp_lt_i32_e32 vcc, 0, v114
	s_and_saveexec_b64 s[40:41], vcc
	s_cbranch_execz .LBB2_1329
; %bb.1326:                             ;   in Loop: Header=BB2_47 Depth=1
	v_and_b32_e32 v12, 0x7fffffc0, v12
	v_sub_u32_e32 v12, v112, v12
	v_lshlrev_b32_e32 v12, 1, v12
	v_lshlrev_b32_e32 v13, 9, v113
	v_add3_u32 v12, v12, v101, v13
	v_ashrrev_i32_e32 v13, 31, v12
	s_mov_b64 s[42:43], 0
	v_mov_b64_e32 v[14:15], v[10:11]
	v_mov_b64_e32 v[98:99], v[8:9]
.LBB2_1327:                             ;   Parent Loop BB2_47 Depth=1
                                        ; =>  This Inner Loop Header: Depth=2
	v_lshl_add_u64 v[116:117], v[12:13], 0, v[98:99]
	flat_load_ushort v118, v[116:117] nt
	flat_load_ushort v119, v[116:117] offset:128 nt
	flat_load_ushort v40, v[116:117] offset:256 nt
	;; [unrolled: 1-line block ×3, first 2 shown]
	v_sub_u32_e32 v114, v114, v36
	v_cmp_gt_i32_e32 vcc, 1, v114
	v_lshl_add_u64 v[116:117], v[12:13], 0, v[14:15]
	v_lshl_add_u64 v[98:99], v[98:99], 0, v[64:65]
	;; [unrolled: 1-line block ×3, first 2 shown]
	s_or_b64 s[42:43], vcc, s[42:43]
	s_waitcnt vmcnt(0) lgkmcnt(0)
	flat_store_short v[116:117], v118 nt
	flat_store_short v[116:117], v119 offset:128 nt
	flat_store_short v[116:117], v40 offset:256 nt
	;; [unrolled: 1-line block ×3, first 2 shown]
	s_andn2_b64 exec, exec, s[42:43]
	s_cbranch_execnz .LBB2_1327
; %bb.1328:                             ;   in Loop: Header=BB2_47 Depth=1
	s_or_b64 exec, exec, s[42:43]
.LBB2_1329:                             ;   in Loop: Header=BB2_47 Depth=1
	s_or_b64 exec, exec, s[40:41]
	v_lshlrev_b32_e32 v12, 9, v115
	v_cmp_ne_u32_e32 vcc, v100, v12
	s_and_b64 exec, exec, vcc
	s_cbranch_execz .LBB2_1333
; %bb.1330:                             ;   in Loop: Header=BB2_47 Depth=1
	v_lshlrev_b32_e32 v13, 6, v113
	v_sub_u32_e32 v13, v112, v13
	v_lshlrev_b32_e32 v14, 6, v114
	v_sub_u32_e32 v13, v13, v14
	v_ashrrev_i32_e32 v14, 31, v13
	v_lshrrev_b32_e32 v14, 26, v14
	v_add_u32_e32 v14, v13, v14
	v_and_b32_e32 v15, 0x7fffffc0, v14
	v_sub_u32_e32 v13, v13, v15
	v_lshlrev_b32_e32 v14, 1, v14
	v_and_b32_e32 v14, 0xffffff80, v14
	v_lshlrev_b32_e32 v13, 1, v13
	v_add3_u32 v12, v14, v13, v12
	v_sub_u32_e32 v14, v100, v12
	v_cmp_lt_i32_e32 vcc, 1, v14
	s_and_b64 exec, exec, vcc
	s_cbranch_execz .LBB2_1333
; %bb.1331:                             ;   in Loop: Header=BB2_47 Depth=1
	v_add_u32_e32 v12, v12, v101
	v_ashrrev_i32_e32 v13, 31, v12
	s_mov_b64 s[40:41], 0
.LBB2_1332:                             ;   Parent Loop BB2_47 Depth=1
                                        ; =>  This Inner Loop Header: Depth=2
	v_lshl_add_u64 v[98:99], v[8:9], 0, v[12:13]
	flat_load_ushort v15, v[98:99] nt
	v_sub_u32_e32 v14, v14, v66
	v_cmp_gt_i32_e32 vcc, 2, v14
	v_lshl_add_u64 v[98:99], v[10:11], 0, v[12:13]
	v_lshl_add_u64 v[12:13], v[12:13], 0, v[66:67]
	s_or_b64 s[40:41], vcc, s[40:41]
	s_waitcnt vmcnt(0) lgkmcnt(0)
	flat_store_short v[98:99], v15 nt
	s_andn2_b64 exec, exec, s[40:41]
	s_cbranch_execnz .LBB2_1332
.LBB2_1333:                             ;   in Loop: Header=BB2_47 Depth=1
	s_or_b64 exec, exec, s[24:25]
	v_cmp_lt_i32_e64 s[24:25], 0, v2
	s_and_saveexec_b64 s[40:41], s[6:7]
	s_cbranch_execz .LBB2_1310
.LBB2_1334:                             ;   in Loop: Header=BB2_47 Depth=1
	s_and_saveexec_b64 s[42:43], s[58:59]
	s_xor_b64 s[42:43], exec, s[42:43]
	s_cbranch_execz .LBB2_1349
; %bb.1335:                             ;   in Loop: Header=BB2_47 Depth=1
	s_and_saveexec_b64 s[90:91], s[14:15]
	s_cbranch_execz .LBB2_1348
; %bb.1336:                             ;   in Loop: Header=BB2_47 Depth=1
	s_mov_b64 s[94:95], exec
	v_mbcnt_lo_u32_b32 v2, s94, 0
	v_mbcnt_hi_u32_b32 v2, s95, v2
	v_cmp_eq_u32_e32 vcc, 0, v2
	s_waitcnt lgkmcnt(0)
	s_and_saveexec_b64 s[92:93], vcc
	s_cbranch_execz .LBB2_1338
; %bb.1337:                             ;   in Loop: Header=BB2_47 Depth=1
	s_bcnt1_i32_b64 s56, s[94:95]
	v_mov_b32_e32 v2, s56
	ds_add_u64 v0, v[2:3]
	s_trap 2
.LBB2_1338:                             ;   in Loop: Header=BB2_47 Depth=1
	s_or_b64 exec, exec, s[92:93]
	s_trap 2
	ds_read_b64 v[8:9], v0
	s_waitcnt lgkmcnt(0)
	v_lshl_add_u64 v[32:33], v[32:33], 0, v[36:37]
	v_cmp_lt_u64_e32 vcc, v[8:9], v[32:33]
	s_and_saveexec_b64 s[92:93], vcc
	s_cbranch_execz .LBB2_1347
; %bb.1339:                             ;   in Loop: Header=BB2_47 Depth=1
	s_mov_b32 s56, 0
	s_mov_b64 s[94:95], 0
                                        ; implicit-def: $sgpr30_sgpr31
                                        ; implicit-def: $sgpr34_sgpr35
	s_branch .LBB2_1341
.LBB2_1340:                             ;   in Loop: Header=BB2_1341 Depth=2
	s_or_b64 exec, exec, s[38:39]
	s_and_b64 vcc, exec, vcc
	s_or_b64 s[94:95], vcc, s[94:95]
	s_andn2_b64 vcc, s[30:31], exec
	s_and_b64 s[30:31], s[34:35], exec
	s_or_b64 s[30:31], vcc, s[30:31]
	s_andn2_b64 exec, exec, s[94:95]
	s_cbranch_execz .LBB2_1345
.LBB2_1341:                             ;   Parent Loop BB2_47 Depth=1
                                        ; =>  This Inner Loop Header: Depth=2
	s_add_i32 s56, s56, 1
	s_cmpk_lg_i32 s56, 0x2710
	s_cselect_b64 s[36:37], -1, 0
	s_and_b64 vcc, exec, s[36:37]
	s_cbranch_vccz .LBB2_1343
; %bb.1342:                             ;   in Loop: Header=BB2_1341 Depth=2
	s_mov_b64 vcc, -1
	s_or_b64 s[34:35], s[34:35], exec
	s_and_saveexec_b64 s[38:39], s[36:37]
	s_cbranch_execz .LBB2_1340
	s_branch .LBB2_1344
.LBB2_1343:                             ;   in Loop: Header=BB2_1341 Depth=2
	s_trap 2
	ds_read_b64 v[8:9], v0
	s_andn2_b64 s[36:37], s[36:37], exec
	s_mov_b32 s56, 0
	s_waitcnt vmcnt(0) lgkmcnt(0)
	flat_load_dword v2, v[8:9] sc0 sc1
	s_waitcnt vmcnt(0) lgkmcnt(0)
	buffer_inv sc0 sc1
	v_cmp_eq_u32_e32 vcc, 0, v2
	s_and_b64 vcc, vcc, exec
	s_or_b64 s[36:37], s[36:37], vcc
	s_mov_b64 vcc, -1
	s_or_b64 s[34:35], s[34:35], exec
	s_and_saveexec_b64 s[38:39], s[36:37]
	s_cbranch_execz .LBB2_1340
.LBB2_1344:                             ;   in Loop: Header=BB2_1341 Depth=2
	s_sleep 1
	s_trap 2
	ds_read_b64 v[8:9], v0
	s_waitcnt lgkmcnt(0)
	s_andn2_b64 s[34:35], s[34:35], exec
	v_cmp_ge_u64_e32 vcc, v[8:9], v[32:33]
	s_orn2_b64 vcc, vcc, exec
	s_branch .LBB2_1340
.LBB2_1345:                             ;   in Loop: Header=BB2_47 Depth=1
	s_or_b64 exec, exec, s[94:95]
	s_and_saveexec_b64 s[94:95], s[30:31]
	s_xor_b64 s[94:95], exec, s[94:95]
	s_cbranch_execz .LBB2_1347
; %bb.1346:                             ;   in Loop: Header=BB2_47 Depth=1
	ds_write_b32 v0, v57
	s_trap 2
.LBB2_1347:                             ;   in Loop: Header=BB2_47 Depth=1
	s_or_b64 exec, exec, s[92:93]
	;;#ASMSTART
	s_wakeup
	;;#ASMEND
.LBB2_1348:                             ;   in Loop: Header=BB2_47 Depth=1
	s_or_b64 exec, exec, s[90:91]
.LBB2_1349:                             ;   in Loop: Header=BB2_47 Depth=1
	s_andn2_saveexec_b64 s[42:43], s[42:43]
	s_cbranch_execz .LBB2_1351
; %bb.1350:                             ;   in Loop: Header=BB2_47 Depth=1
	s_waitcnt lgkmcnt(0)
	s_barrier
.LBB2_1351:                             ;   in Loop: Header=BB2_47 Depth=1
	s_or_b64 exec, exec, s[42:43]
	s_or_b64 exec, exec, s[40:41]
	s_and_saveexec_b64 s[40:41], s[22:23]
	s_xor_b64 s[40:41], exec, s[40:41]
	s_cbranch_execnz .LBB2_1311
.LBB2_1352:                             ;   in Loop: Header=BB2_47 Depth=1
	s_andn2_saveexec_b64 s[24:25], s[40:41]
	s_cbranch_execz .LBB2_1371
.LBB2_1353:                             ;   in Loop: Header=BB2_47 Depth=1
	s_and_saveexec_b64 s[40:41], s[58:59]
	s_xor_b64 s[40:41], exec, s[40:41]
	s_cbranch_execz .LBB2_1368
; %bb.1354:                             ;   in Loop: Header=BB2_47 Depth=1
	s_and_saveexec_b64 s[42:43], s[14:15]
	s_cbranch_execz .LBB2_1367
; %bb.1355:                             ;   in Loop: Header=BB2_47 Depth=1
	s_mov_b64 s[92:93], exec
	v_mbcnt_lo_u32_b32 v2, s92, 0
	v_mbcnt_hi_u32_b32 v2, s93, v2
	v_cmp_eq_u32_e32 vcc, 0, v2
	;;#ASMSTART
	s_waitcnt lgkmcnt(0) vmcnt(0)
	;;#ASMEND
	s_and_saveexec_b64 s[90:91], vcc
	s_cbranch_execz .LBB2_1357
; %bb.1356:                             ;   in Loop: Header=BB2_47 Depth=1
	s_bcnt1_i32_b64 s56, s[92:93]
	v_mov_b32_e32 v2, s56
	s_waitcnt lgkmcnt(0)
	ds_add_u64 v0, v[2:3]
	s_trap 2
.LBB2_1357:                             ;   in Loop: Header=BB2_47 Depth=1
	s_or_b64 exec, exec, s[90:91]
	s_trap 2
	ds_read_b64 v[8:9], v0
	s_waitcnt lgkmcnt(0)
	v_lshl_add_u64 v[32:33], v[32:33], 0, v[36:37]
	v_cmp_lt_u64_e32 vcc, v[8:9], v[32:33]
	s_and_saveexec_b64 s[90:91], vcc
	s_cbranch_execz .LBB2_1366
; %bb.1358:                             ;   in Loop: Header=BB2_47 Depth=1
	s_mov_b32 s56, 0
	s_mov_b64 s[92:93], 0
                                        ; implicit-def: $sgpr94_sgpr95
                                        ; implicit-def: $sgpr30_sgpr31
	s_branch .LBB2_1360
.LBB2_1359:                             ;   in Loop: Header=BB2_1360 Depth=2
	s_or_b64 exec, exec, s[36:37]
	s_and_b64 vcc, exec, vcc
	s_or_b64 s[92:93], vcc, s[92:93]
	s_andn2_b64 s[94:95], s[94:95], exec
	s_and_b64 vcc, s[30:31], exec
	s_or_b64 s[94:95], s[94:95], vcc
	s_andn2_b64 exec, exec, s[92:93]
	s_cbranch_execz .LBB2_1364
.LBB2_1360:                             ;   Parent Loop BB2_47 Depth=1
                                        ; =>  This Inner Loop Header: Depth=2
	s_add_i32 s56, s56, 1
	s_cmpk_lg_i32 s56, 0x2710
	s_cselect_b64 s[34:35], -1, 0
	s_and_b64 vcc, exec, s[34:35]
	s_cbranch_vccz .LBB2_1362
; %bb.1361:                             ;   in Loop: Header=BB2_1360 Depth=2
	s_mov_b64 vcc, -1
	s_or_b64 s[30:31], s[30:31], exec
	s_and_saveexec_b64 s[36:37], s[34:35]
	s_cbranch_execz .LBB2_1359
	s_branch .LBB2_1363
.LBB2_1362:                             ;   in Loop: Header=BB2_1360 Depth=2
	s_trap 2
	ds_read_b64 v[8:9], v0
	s_andn2_b64 s[34:35], s[34:35], exec
	s_mov_b32 s56, 0
	s_waitcnt vmcnt(0) lgkmcnt(0)
	flat_load_dword v2, v[8:9] sc0 sc1
	s_waitcnt vmcnt(0) lgkmcnt(0)
	buffer_inv sc0 sc1
	v_cmp_eq_u32_e32 vcc, 0, v2
	s_and_b64 vcc, vcc, exec
	s_or_b64 s[34:35], s[34:35], vcc
	s_mov_b64 vcc, -1
	s_or_b64 s[30:31], s[30:31], exec
	s_and_saveexec_b64 s[36:37], s[34:35]
	s_cbranch_execz .LBB2_1359
.LBB2_1363:                             ;   in Loop: Header=BB2_1360 Depth=2
	s_sleep 1
	s_trap 2
	ds_read_b64 v[8:9], v0
	s_waitcnt lgkmcnt(0)
	s_andn2_b64 s[30:31], s[30:31], exec
	v_cmp_ge_u64_e32 vcc, v[8:9], v[32:33]
	s_orn2_b64 vcc, vcc, exec
	s_branch .LBB2_1359
.LBB2_1364:                             ;   in Loop: Header=BB2_47 Depth=1
	s_or_b64 exec, exec, s[92:93]
	s_and_saveexec_b64 s[92:93], s[94:95]
	s_xor_b64 s[92:93], exec, s[92:93]
	s_cbranch_execz .LBB2_1366
; %bb.1365:                             ;   in Loop: Header=BB2_47 Depth=1
	ds_write_b32 v0, v57
	s_trap 2
.LBB2_1366:                             ;   in Loop: Header=BB2_47 Depth=1
	s_or_b64 exec, exec, s[90:91]
	;;#ASMSTART
	s_wakeup
	;;#ASMEND
.LBB2_1367:                             ;   in Loop: Header=BB2_47 Depth=1
	s_or_b64 exec, exec, s[42:43]
.LBB2_1368:                             ;   in Loop: Header=BB2_47 Depth=1
	s_andn2_saveexec_b64 s[40:41], s[40:41]
	s_cbranch_execz .LBB2_1370
; %bb.1369:                             ;   in Loop: Header=BB2_47 Depth=1
	;;#ASMSTART
	s_waitcnt lgkmcnt(0) vmcnt(0)
	;;#ASMEND
	s_barrier
.LBB2_1370:                             ;   in Loop: Header=BB2_47 Depth=1
	s_or_b64 exec, exec, s[40:41]
.LBB2_1371:                             ;   in Loop: Header=BB2_47 Depth=1
	s_or_b64 exec, exec, s[24:25]
	v_and_b32_e32 v2, 32, v46
	v_cmp_ne_u32_e32 vcc, 0, v2
	s_and_saveexec_b64 s[24:25], vcc
	s_cbranch_execz .LBB2_1373
; %bb.1372:                             ;   in Loop: Header=BB2_47 Depth=1
	v_lshl_add_u64 v[96:97], v[96:97], 0, 4
	flat_store_dwordx2 v[22:23], v[96:97] sc0 sc1
.LBB2_1373:                             ;   in Loop: Header=BB2_47 Depth=1
	s_or_b64 exec, exec, s[24:25]
	v_mov_b32_e32 v14, v103
.LBB2_1374:                             ;   in Loop: Header=BB2_47 Depth=1
	s_or_b64 exec, exec, s[28:29]
	s_and_saveexec_b64 s[28:29], s[26:27]
	s_cbranch_execz .LBB2_46
; %bb.1375:                             ;   in Loop: Header=BB2_47 Depth=1
	v_and_b32_e32 v2, 4, v46
	v_cmp_ne_u32_e32 vcc, 0, v2
	s_and_saveexec_b64 s[26:27], vcc
	s_cbranch_execz .LBB2_1385
; %bb.1376:                             ;   in Loop: Header=BB2_47 Depth=1
	v_lshl_add_u64 v[8:9], v[96:97], 0, 4
	s_waitcnt vmcnt(0) lgkmcnt(0)
	v_cmp_lt_u64_e32 vcc, v[34:35], v[8:9]
	s_and_saveexec_b64 s[40:41], vcc
	s_cbranch_execz .LBB2_1400
; %bb.1377:                             ;   in Loop: Header=BB2_47 Depth=1
	v_and_b32_e32 v2, 64, v46
	s_mov_b32 s56, 0
	v_cmp_eq_u32_e32 vcc, 0, v2
	s_mov_b64 s[42:43], 0
                                        ; implicit-def: $sgpr90_sgpr91
                                        ; implicit-def: $sgpr92_sgpr93
                                        ; implicit-def: $sgpr94_sgpr95
	s_branch .LBB2_1381
.LBB2_1378:                             ;   in Loop: Header=BB2_1381 Depth=2
	s_waitcnt vmcnt(0) lgkmcnt(0)
	v_cmp_ge_u64_e64 s[24:25], v[34:35], v[8:9]
	s_or_b64 s[36:37], s[36:37], exec
	s_orn2_b64 s[34:35], s[24:25], exec
.LBB2_1379:                             ;   in Loop: Header=BB2_1381 Depth=2
	s_or_b64 exec, exec, s[48:49]
	s_andn2_b64 s[24:25], s[94:95], exec
	s_and_b64 s[94:95], s[36:37], exec
	s_or_b64 s[94:95], s[24:25], s[94:95]
	s_andn2_b64 s[24:25], s[92:93], exec
	s_and_b64 s[92:93], s[34:35], exec
	s_or_b64 s[92:93], s[24:25], s[92:93]
.LBB2_1380:                             ;   in Loop: Header=BB2_1381 Depth=2
	s_or_b64 exec, exec, s[30:31]
	s_and_b64 s[24:25], exec, s[92:93]
	s_or_b64 s[42:43], s[24:25], s[42:43]
	s_andn2_b64 s[24:25], s[90:91], exec
	s_and_b64 s[90:91], s[94:95], exec
	s_or_b64 s[90:91], s[24:25], s[90:91]
	s_andn2_b64 exec, exec, s[42:43]
	s_cbranch_execz .LBB2_1397
.LBB2_1381:                             ;   Parent Loop BB2_47 Depth=1
                                        ; =>  This Inner Loop Header: Depth=2
	s_sleep 1
	s_waitcnt vmcnt(0) lgkmcnt(0)
	flat_load_dwordx2 v[34:35], v[22:23] sc0 sc1
	s_or_b64 s[94:95], s[94:95], exec
	s_or_b64 s[92:93], s[92:93], exec
                                        ; implicit-def: $vgpr2
	s_and_saveexec_b64 s[30:31], vcc
	s_cbranch_execz .LBB2_1380
; %bb.1382:                             ;   in Loop: Header=BB2_1381 Depth=2
	s_cmpk_lt_i32 s56, 0x270f
	s_cselect_b64 s[38:39], -1, 0
	s_cmpk_gt_i32 s56, 0x270e
	s_mov_b64 s[34:35], -1
	s_cbranch_scc0 .LBB2_1384
; %bb.1383:                             ;   in Loop: Header=BB2_1381 Depth=2
	s_trap 2
	ds_read_b64 v[10:11], v0
	s_andn2_b64 s[38:39], s[38:39], exec
	s_mov_b32 s56, 0
	s_mov_b64 s[36:37], 0
	s_waitcnt vmcnt(0) lgkmcnt(0)
	flat_load_dword v2, v[10:11] sc0 sc1
	s_waitcnt vmcnt(0) lgkmcnt(0)
	buffer_inv sc0 sc1
	v_cmp_eq_u32_e64 s[24:25], 0, v2
	s_and_b64 s[24:25], s[24:25], exec
	s_or_b64 s[38:39], s[38:39], s[24:25]
	s_and_saveexec_b64 s[48:49], s[38:39]
	s_cbranch_execz .LBB2_1379
	s_branch .LBB2_1378
.LBB2_1384:                             ;   in Loop: Header=BB2_1381 Depth=2
	s_add_i32 s56, s56, 1
	s_mov_b64 s[36:37], -1
                                        ; implicit-def: $vgpr2
	s_and_saveexec_b64 s[48:49], s[38:39]
	s_cbranch_execz .LBB2_1379
	s_branch .LBB2_1378
.LBB2_1385:                             ;   in Loop: Header=BB2_47 Depth=1
	s_or_b64 exec, exec, s[26:27]
	s_and_saveexec_b64 s[24:25], s[6:7]
	s_cbranch_execz .LBB2_1409
.LBB2_1386:                             ;   in Loop: Header=BB2_47 Depth=1
	s_and_saveexec_b64 s[26:27], s[58:59]
	s_xor_b64 s[26:27], exec, s[26:27]
	s_cbranch_execz .LBB2_1417
; %bb.1387:                             ;   in Loop: Header=BB2_47 Depth=1
	s_and_saveexec_b64 s[40:41], s[14:15]
	s_cbranch_execz .LBB2_1416
; %bb.1388:                             ;   in Loop: Header=BB2_47 Depth=1
	s_mov_b64 s[90:91], exec
	v_mbcnt_lo_u32_b32 v2, s90, 0
	v_mbcnt_hi_u32_b32 v2, s91, v2
	v_cmp_eq_u32_e32 vcc, 0, v2
	s_waitcnt lgkmcnt(0)
	s_and_saveexec_b64 s[42:43], vcc
	s_cbranch_execz .LBB2_1390
; %bb.1389:                             ;   in Loop: Header=BB2_47 Depth=1
	s_bcnt1_i32_b64 s56, s[90:91]
	v_mov_b32_e32 v2, s56
	ds_add_u64 v0, v[2:3]
	s_trap 2
.LBB2_1390:                             ;   in Loop: Header=BB2_47 Depth=1
	s_or_b64 exec, exec, s[42:43]
	s_trap 2
	ds_read_b64 v[8:9], v0
	s_waitcnt lgkmcnt(0)
	v_lshl_add_u64 v[32:33], v[32:33], 0, v[36:37]
	v_cmp_lt_u64_e32 vcc, v[8:9], v[32:33]
	s_and_saveexec_b64 s[42:43], vcc
	s_cbranch_execz .LBB2_1415
; %bb.1391:                             ;   in Loop: Header=BB2_47 Depth=1
	s_mov_b32 s56, 0
	s_mov_b64 s[90:91], 0
                                        ; implicit-def: $sgpr92_sgpr93
                                        ; implicit-def: $sgpr94_sgpr95
	s_branch .LBB2_1393
.LBB2_1392:                             ;   in Loop: Header=BB2_1393 Depth=2
	s_or_b64 exec, exec, s[34:35]
	s_and_b64 vcc, exec, vcc
	s_or_b64 s[90:91], vcc, s[90:91]
	s_andn2_b64 s[92:93], s[92:93], exec
	s_and_b64 vcc, s[94:95], exec
	s_or_b64 s[92:93], s[92:93], vcc
	s_andn2_b64 exec, exec, s[90:91]
	s_cbranch_execz .LBB2_1413
.LBB2_1393:                             ;   Parent Loop BB2_47 Depth=1
                                        ; =>  This Inner Loop Header: Depth=2
	s_add_i32 s56, s56, 1
	s_cmpk_lg_i32 s56, 0x2710
	s_cselect_b64 s[30:31], -1, 0
	s_and_b64 vcc, exec, s[30:31]
	s_cbranch_vccz .LBB2_1395
; %bb.1394:                             ;   in Loop: Header=BB2_1393 Depth=2
	s_mov_b64 vcc, -1
	s_or_b64 s[94:95], s[94:95], exec
	s_and_saveexec_b64 s[34:35], s[30:31]
	s_cbranch_execz .LBB2_1392
	s_branch .LBB2_1396
.LBB2_1395:                             ;   in Loop: Header=BB2_1393 Depth=2
	s_trap 2
	ds_read_b64 v[8:9], v0
	s_andn2_b64 s[30:31], s[30:31], exec
	s_mov_b32 s56, 0
	s_waitcnt vmcnt(0) lgkmcnt(0)
	flat_load_dword v2, v[8:9] sc0 sc1
	s_waitcnt vmcnt(0) lgkmcnt(0)
	buffer_inv sc0 sc1
	v_cmp_eq_u32_e32 vcc, 0, v2
	s_and_b64 vcc, vcc, exec
	s_or_b64 s[30:31], s[30:31], vcc
	s_mov_b64 vcc, -1
	s_or_b64 s[94:95], s[94:95], exec
	s_and_saveexec_b64 s[34:35], s[30:31]
	s_cbranch_execz .LBB2_1392
.LBB2_1396:                             ;   in Loop: Header=BB2_1393 Depth=2
	s_sleep 1
	s_trap 2
	ds_read_b64 v[8:9], v0
	s_waitcnt lgkmcnt(0)
	s_andn2_b64 s[94:95], s[94:95], exec
	v_cmp_ge_u64_e32 vcc, v[8:9], v[32:33]
	s_orn2_b64 vcc, vcc, exec
	s_branch .LBB2_1392
.LBB2_1397:                             ;   in Loop: Header=BB2_47 Depth=1
	s_or_b64 exec, exec, s[42:43]
	s_xor_b64 s[24:25], s[90:91], -1
	s_and_saveexec_b64 s[42:43], s[24:25]
	s_xor_b64 s[24:25], exec, s[42:43]
	s_cbranch_execz .LBB2_1399
; %bb.1398:                             ;   in Loop: Header=BB2_47 Depth=1
	v_or_b32_e32 v46, 64, v46
	s_waitcnt lgkmcnt(0)
	ds_write_b32 v0, v2
	s_trap 2
.LBB2_1399:                             ;   in Loop: Header=BB2_47 Depth=1
	s_or_b64 exec, exec, s[24:25]
.LBB2_1400:                             ;   in Loop: Header=BB2_47 Depth=1
	s_or_b64 exec, exec, s[40:41]
	v_and_b32_e32 v2, 0x100, v46
	v_cmp_ne_u32_e32 vcc, 0, v2
	v_and_b32_e32 v2, 7, v96
	s_mov_b64 s[24:25], -1
	;;#ASMSTART
	s_wakeup
	;;#ASMEND
                                        ; implicit-def: $vgpr10_vgpr11
	s_and_saveexec_b64 s[40:41], vcc
	s_cbranch_execz .LBB2_1404
; %bb.1401:                             ;   in Loop: Header=BB2_47 Depth=1
	v_mad_u64_u32 v[12:13], s[24:25], v2, 24, v[6:7]
	flat_load_dword v10, v[12:13]
	s_waitcnt vmcnt(0) lgkmcnt(0)
	v_cmp_ne_u32_e32 vcc, 1, v10
	v_cmp_eq_u32_e64 s[24:25], 1, v10
                                        ; implicit-def: $vgpr10_vgpr11
	s_and_saveexec_b64 s[42:43], s[24:25]
	s_cbranch_execz .LBB2_1403
; %bb.1402:                             ;   in Loop: Header=BB2_47 Depth=1
	flat_load_dword v10, v[12:13] offset:4 sc0 sc1
	s_waitcnt vmcnt(0) lgkmcnt(0)
	v_ashrrev_i32_e32 v11, 31, v10
	v_lshrrev_b64 v[10:11], 1, v[10:11]
.LBB2_1403:                             ;   in Loop: Header=BB2_47 Depth=1
	s_or_b64 exec, exec, s[42:43]
	s_orn2_b64 s[24:25], vcc, exec
.LBB2_1404:                             ;   in Loop: Header=BB2_47 Depth=1
	s_or_b64 exec, exec, s[40:41]
	s_and_saveexec_b64 s[40:41], s[24:25]
; %bb.1405:                             ;   in Loop: Header=BB2_47 Depth=1
	v_mad_i64_i32 v[10:11], s[24:25], v2, v24, 0
; %bb.1406:                             ;   in Loop: Header=BB2_47 Depth=1
	s_or_b64 exec, exec, s[40:41]
	v_and_b32_e32 v2, 0x2000, v46
	v_lshl_add_u64 v[10:11], v[10:11], 1, v[26:27]
	v_cmp_ne_u32_e32 vcc, 0, v2
	ds_write_b64 v0, v[10:11] offset:720
	s_and_saveexec_b64 s[24:25], vcc
	s_cbranch_execz .LBB2_1408
; %bb.1407:                             ;   in Loop: Header=BB2_47 Depth=1
	ds_read_b64 v[10:11], v0 offset:872
	s_waitcnt lgkmcnt(0)
	v_lshl_add_u64 v[10:11], v[10:11], 0, 1
	ds_write_b64 v0, v[10:11] offset:872
.LBB2_1408:                             ;   in Loop: Header=BB2_47 Depth=1
	s_or_b64 exec, exec, s[24:25]
	v_mov_b64_e32 v[96:97], v[8:9]
	s_or_b64 exec, exec, s[26:27]
	s_and_saveexec_b64 s[24:25], s[6:7]
	s_cbranch_execnz .LBB2_1386
.LBB2_1409:                             ;   in Loop: Header=BB2_47 Depth=1
	s_or_b64 exec, exec, s[24:25]
	s_and_saveexec_b64 s[24:25], s[22:23]
	s_xor_b64 s[24:25], exec, s[24:25]
	s_cbranch_execz .LBB2_1420
.LBB2_1410:                             ;   in Loop: Header=BB2_47 Depth=1
	s_trap 2
	ds_read_b32 v2, v0
	v_sub_u32_e32 v8, v102, v14
	v_min_i32_e32 v8, v103, v8
	v_cmp_lt_i32_e32 vcc, 0, v8
	s_waitcnt lgkmcnt(0)
	v_readfirstlane_b32 s26, v2
	s_cmp_eq_u32 s26, 0
	s_cselect_b64 s[26:27], -1, 0
	v_and_b32_e32 v2, 16, v46
	s_and_b64 s[26:27], vcc, s[26:27]
	v_cmp_ne_u32_e32 vcc, 0, v2
	s_and_b64 s[40:41], vcc, s[26:27]
	s_and_saveexec_b64 s[26:27], s[40:41]
	s_cbranch_execz .LBB2_1412
; %bb.1411:                             ;   in Loop: Header=BB2_47 Depth=1
	buffer_wbl2 sc1
	s_waitcnt vmcnt(0)
	buffer_inv sc1
.LBB2_1412:                             ;   in Loop: Header=BB2_47 Depth=1
	s_or_b64 exec, exec, s[26:27]
	s_andn2_saveexec_b64 s[24:25], s[24:25]
	s_cbranch_execz .LBB2_1439
	s_branch .LBB2_1421
.LBB2_1413:                             ;   in Loop: Header=BB2_47 Depth=1
	s_or_b64 exec, exec, s[90:91]
	s_and_saveexec_b64 s[90:91], s[92:93]
	s_xor_b64 s[90:91], exec, s[90:91]
	s_cbranch_execz .LBB2_1415
; %bb.1414:                             ;   in Loop: Header=BB2_47 Depth=1
	ds_write_b32 v0, v57
	s_trap 2
.LBB2_1415:                             ;   in Loop: Header=BB2_47 Depth=1
	s_or_b64 exec, exec, s[42:43]
	;;#ASMSTART
	s_wakeup
	;;#ASMEND
.LBB2_1416:                             ;   in Loop: Header=BB2_47 Depth=1
	s_or_b64 exec, exec, s[40:41]
.LBB2_1417:                             ;   in Loop: Header=BB2_47 Depth=1
	s_andn2_saveexec_b64 s[26:27], s[26:27]
	s_cbranch_execz .LBB2_1419
; %bb.1418:                             ;   in Loop: Header=BB2_47 Depth=1
	s_waitcnt lgkmcnt(0)
	s_barrier
.LBB2_1419:                             ;   in Loop: Header=BB2_47 Depth=1
	s_or_b64 exec, exec, s[26:27]
	s_or_b64 exec, exec, s[24:25]
	s_and_saveexec_b64 s[24:25], s[22:23]
	s_xor_b64 s[24:25], exec, s[24:25]
	s_cbranch_execnz .LBB2_1410
.LBB2_1420:                             ;   in Loop: Header=BB2_47 Depth=1
	s_andn2_saveexec_b64 s[24:25], s[24:25]
	s_cbranch_execz .LBB2_1439
.LBB2_1421:                             ;   in Loop: Header=BB2_47 Depth=1
	s_and_saveexec_b64 s[26:27], s[58:59]
	s_xor_b64 s[26:27], exec, s[26:27]
	s_cbranch_execz .LBB2_1436
; %bb.1422:                             ;   in Loop: Header=BB2_47 Depth=1
	s_and_saveexec_b64 s[40:41], s[14:15]
	s_cbranch_execz .LBB2_1435
; %bb.1423:                             ;   in Loop: Header=BB2_47 Depth=1
	s_mov_b64 s[90:91], exec
	v_mbcnt_lo_u32_b32 v2, s90, 0
	v_mbcnt_hi_u32_b32 v2, s91, v2
	v_cmp_eq_u32_e32 vcc, 0, v2
	;;#ASMSTART
	s_waitcnt lgkmcnt(0) vmcnt(0)
	;;#ASMEND
	s_and_saveexec_b64 s[42:43], vcc
	s_cbranch_execz .LBB2_1425
; %bb.1424:                             ;   in Loop: Header=BB2_47 Depth=1
	s_bcnt1_i32_b64 s56, s[90:91]
	v_mov_b32_e32 v2, s56
	s_waitcnt lgkmcnt(0)
	ds_add_u64 v0, v[2:3]
	s_trap 2
.LBB2_1425:                             ;   in Loop: Header=BB2_47 Depth=1
	s_or_b64 exec, exec, s[42:43]
	s_trap 2
	ds_read_b64 v[8:9], v0
	s_waitcnt lgkmcnt(0)
	v_lshl_add_u64 v[32:33], v[32:33], 0, v[36:37]
	v_cmp_lt_u64_e32 vcc, v[8:9], v[32:33]
	s_and_saveexec_b64 s[42:43], vcc
	s_cbranch_execz .LBB2_1434
; %bb.1426:                             ;   in Loop: Header=BB2_47 Depth=1
	s_mov_b32 s56, 0
	s_mov_b64 s[90:91], 0
                                        ; implicit-def: $sgpr92_sgpr93
                                        ; implicit-def: $sgpr94_sgpr95
	s_branch .LBB2_1428
.LBB2_1427:                             ;   in Loop: Header=BB2_1428 Depth=2
	s_or_b64 exec, exec, s[34:35]
	s_and_b64 vcc, exec, vcc
	s_or_b64 s[90:91], vcc, s[90:91]
	s_andn2_b64 s[92:93], s[92:93], exec
	s_and_b64 vcc, s[94:95], exec
	s_or_b64 s[92:93], s[92:93], vcc
	s_andn2_b64 exec, exec, s[90:91]
	s_cbranch_execz .LBB2_1432
.LBB2_1428:                             ;   Parent Loop BB2_47 Depth=1
                                        ; =>  This Inner Loop Header: Depth=2
	s_add_i32 s56, s56, 1
	s_cmpk_lg_i32 s56, 0x2710
	s_cselect_b64 s[30:31], -1, 0
	s_and_b64 vcc, exec, s[30:31]
	s_cbranch_vccz .LBB2_1430
; %bb.1429:                             ;   in Loop: Header=BB2_1428 Depth=2
	s_mov_b64 vcc, -1
	s_or_b64 s[94:95], s[94:95], exec
	s_and_saveexec_b64 s[34:35], s[30:31]
	s_cbranch_execz .LBB2_1427
	s_branch .LBB2_1431
.LBB2_1430:                             ;   in Loop: Header=BB2_1428 Depth=2
	s_trap 2
	ds_read_b64 v[8:9], v0
	s_andn2_b64 s[30:31], s[30:31], exec
	s_mov_b32 s56, 0
	s_waitcnt vmcnt(0) lgkmcnt(0)
	flat_load_dword v2, v[8:9] sc0 sc1
	s_waitcnt vmcnt(0) lgkmcnt(0)
	buffer_inv sc0 sc1
	v_cmp_eq_u32_e32 vcc, 0, v2
	s_and_b64 vcc, vcc, exec
	s_or_b64 s[30:31], s[30:31], vcc
	s_mov_b64 vcc, -1
	s_or_b64 s[94:95], s[94:95], exec
	s_and_saveexec_b64 s[34:35], s[30:31]
	s_cbranch_execz .LBB2_1427
.LBB2_1431:                             ;   in Loop: Header=BB2_1428 Depth=2
	s_sleep 1
	s_trap 2
	ds_read_b64 v[8:9], v0
	s_waitcnt lgkmcnt(0)
	s_andn2_b64 s[94:95], s[94:95], exec
	v_cmp_ge_u64_e32 vcc, v[8:9], v[32:33]
	s_orn2_b64 vcc, vcc, exec
	s_branch .LBB2_1427
.LBB2_1432:                             ;   in Loop: Header=BB2_47 Depth=1
	s_or_b64 exec, exec, s[90:91]
	s_and_saveexec_b64 s[90:91], s[92:93]
	s_xor_b64 s[90:91], exec, s[90:91]
	s_cbranch_execz .LBB2_1434
; %bb.1433:                             ;   in Loop: Header=BB2_47 Depth=1
	ds_write_b32 v0, v57
	s_trap 2
.LBB2_1434:                             ;   in Loop: Header=BB2_47 Depth=1
	s_or_b64 exec, exec, s[42:43]
	;;#ASMSTART
	s_wakeup
	;;#ASMEND
.LBB2_1435:                             ;   in Loop: Header=BB2_47 Depth=1
	s_or_b64 exec, exec, s[40:41]
.LBB2_1436:                             ;   in Loop: Header=BB2_47 Depth=1
	s_andn2_saveexec_b64 s[26:27], s[26:27]
	s_cbranch_execz .LBB2_1438
; %bb.1437:                             ;   in Loop: Header=BB2_47 Depth=1
	;;#ASMSTART
	s_waitcnt lgkmcnt(0) vmcnt(0)
	;;#ASMEND
	s_barrier
.LBB2_1438:                             ;   in Loop: Header=BB2_47 Depth=1
	s_or_b64 exec, exec, s[26:27]
.LBB2_1439:                             ;   in Loop: Header=BB2_47 Depth=1
	s_or_b64 exec, exec, s[24:25]
	v_and_b32_e32 v2, 32, v46
	v_cmp_ne_u32_e32 vcc, 0, v2
	s_and_saveexec_b64 s[24:25], vcc
	s_cbranch_execz .LBB2_45
; %bb.1440:                             ;   in Loop: Header=BB2_47 Depth=1
	v_lshl_add_u64 v[96:97], v[96:97], 0, 4
	flat_store_dwordx2 v[22:23], v[96:97] sc0 sc1
	s_branch .LBB2_45
.LBB2_1441:
	s_or_b64 exec, exec, s[60:61]
.LBB2_1442:
	s_or_b64 exec, exec, s[46:47]
	v_and_b32_e32 v0, 0x800, v46
	v_cmp_eq_u32_e32 vcc, 0, v0
	s_and_saveexec_b64 s[2:3], vcc
	s_cbranch_execz .LBB2_1475
; %bb.1443:
	v_and_b32_e32 v0, 48, v46
	v_cmp_ne_u32_e32 vcc, 0, v0
	s_and_saveexec_b64 s[0:1], vcc
	s_cbranch_execz .LBB2_1445
; %bb.1444:
	flat_store_dwordx2 v[20:21], v[96:97] offset:104
.LBB2_1445:
	s_or_b64 exec, exec, s[0:1]
	s_movk_i32 s0, 0x88
	v_and_b32_e32 v0, 0x88, v46
	v_cmp_eq_u32_e32 vcc, s0, v0
	s_and_saveexec_b64 s[4:5], vcc
	s_cbranch_execz .LBB2_1455
; %bb.1446:
	v_bitop3_b32 v0, v96, 4, 7 bitop3:0x6c
	v_mad_u64_u32 v[2:3], s[0:1], v0, 24, v[6:7]
	flat_load_dwordx2 v[4:5], v[2:3] offset:8 sc0 sc1
	s_waitcnt vmcnt(0)
	v_and_b32_e32 v0, 64, v46
	v_cmp_eq_u32_e64 s[0:1], 0, v0
	s_mov_b32 s18, 0
	s_waitcnt lgkmcnt(0)
	v_cmp_ne_u64_e32 vcc, -1, v[4:5]
	s_and_b64 s[0:1], vcc, s[0:1]
	s_and_b64 exec, exec, s[0:1]
	s_cbranch_execz .LBB2_1455
; %bb.1447:
	s_mov_b64 s[0:1], 0
                                        ; implicit-def: $sgpr6_sgpr7
                                        ; implicit-def: $sgpr10_sgpr11
	s_branch .LBB2_1450
.LBB2_1448:                             ;   in Loop: Header=BB2_1450 Depth=1
	flat_load_dwordx2 v[4:5], v[2:3] offset:8 sc0 sc1
	s_waitcnt vmcnt(0)
	s_andn2_b64 s[10:11], s[10:11], exec
	s_waitcnt lgkmcnt(0)
	v_cmp_eq_u64_e32 vcc, -1, v[4:5]
	s_orn2_b64 s[14:15], vcc, exec
.LBB2_1449:                             ;   in Loop: Header=BB2_1450 Depth=1
	s_or_b64 exec, exec, s[16:17]
	s_and_b64 s[12:13], exec, s[14:15]
	s_or_b64 s[0:1], s[12:13], s[0:1]
	s_andn2_b64 s[6:7], s[6:7], exec
	s_and_b64 s[12:13], s[10:11], exec
	s_or_b64 s[6:7], s[6:7], s[12:13]
	s_andn2_b64 exec, exec, s[0:1]
	s_cbranch_execz .LBB2_1453
.LBB2_1450:                             ; =>This Inner Loop Header: Depth=1
	s_cmpk_lt_i32 s18, 0x270f
	s_cselect_b64 s[12:13], -1, 0
	s_and_b64 vcc, exec, s[12:13]
	s_cbranch_vccnz .LBB2_1452
; %bb.1451:                             ;   in Loop: Header=BB2_1450 Depth=1
	s_trap 2
	ds_read_b64 v[4:5], v0
	s_andn2_b64 s[12:13], s[12:13], exec
	s_mov_b32 s18, 0
	s_waitcnt lgkmcnt(0)
	flat_load_dword v0, v[4:5] sc0 sc1
	s_waitcnt vmcnt(0) lgkmcnt(0)
	buffer_inv sc0 sc1
	v_cmp_eq_u32_e32 vcc, 0, v0
	s_and_b64 s[14:15], vcc, exec
	s_or_b64 s[12:13], s[12:13], s[14:15]
	s_mov_b64 s[14:15], -1
	s_or_b64 s[10:11], s[10:11], exec
	s_and_saveexec_b64 s[16:17], s[12:13]
	s_cbranch_execz .LBB2_1449
	s_branch .LBB2_1448
.LBB2_1452:                             ;   in Loop: Header=BB2_1450 Depth=1
	s_add_i32 s18, s18, 1
                                        ; implicit-def: $vgpr0
	s_mov_b64 s[14:15], -1
	s_or_b64 s[10:11], s[10:11], exec
	s_and_saveexec_b64 s[16:17], s[12:13]
	s_cbranch_execz .LBB2_1449
	s_branch .LBB2_1448
.LBB2_1453:
	s_or_b64 exec, exec, s[0:1]
	s_and_saveexec_b64 s[0:1], s[6:7]
	s_xor_b64 s[0:1], exec, s[0:1]
	s_cbranch_execz .LBB2_1455
; %bb.1454:
	ds_write_b32 v0, v0
	s_trap 2
.LBB2_1455:
	s_or_b64 exec, exec, s[4:5]
	v_and_b32_e32 v0, 0x2000, v46
	v_cmp_ne_u32_e32 vcc, 0, v0
	s_and_saveexec_b64 s[0:1], vcc
	s_cbranch_execz .LBB2_1457
; %bb.1456:
	ds_read_b64 v[2:3], v0 offset:872
	s_waitcnt lgkmcnt(0)
	flat_store_dwordx2 v[18:19], v[2:3] offset:16
.LBB2_1457:
	s_or_b64 exec, exec, s[0:1]
	v_cmp_ne_u32_e32 vcc, 64, v1
	s_and_b64 exec, exec, vcc
	s_cbranch_execz .LBB2_1475
; %bb.1458:
	v_cmp_ne_u32_sdwa s[0:1], v1, v30 src0_sel:DWORD src1_sel:WORD_0
	s_and_saveexec_b64 s[4:5], s[0:1]
	s_xor_b64 s[0:1], exec, s[4:5]
	s_cbranch_execz .LBB2_1473
; %bb.1459:
	v_and_b32_e32 v0, 63, v31
	v_cmp_eq_u32_e32 vcc, 0, v0
	s_and_saveexec_b64 s[4:5], vcc
	s_cbranch_execz .LBB2_1472
; %bb.1460:
	s_mov_b64 s[10:11], exec
	v_mbcnt_lo_u32_b32 v0, s10, 0
	v_mbcnt_hi_u32_b32 v0, s11, v0
	v_cmp_eq_u32_e32 vcc, 0, v0
	s_waitcnt lgkmcnt(0)
	s_and_saveexec_b64 s[6:7], vcc
	s_cbranch_execz .LBB2_1462
; %bb.1461:
	s_bcnt1_i32_b64 s10, s[10:11]
	v_mov_b32_e32 v2, s10
	v_mov_b32_e32 v3, 0
	ds_add_u64 v0, v[2:3]
	s_trap 2
.LBB2_1462:
	s_or_b64 exec, exec, s[6:7]
	s_trap 2
	ds_read_b64 v[2:3], v0
	s_waitcnt lgkmcnt(0)
	v_lshrrev_b32_e32 v0, 6, v1
	v_mov_b32_e32 v1, 0
	v_lshl_add_u64 v[0:1], v[32:33], 0, v[0:1]
	v_cmp_lt_u64_e32 vcc, v[2:3], v[0:1]
	s_and_saveexec_b64 s[6:7], vcc
	s_cbranch_execz .LBB2_1471
; %bb.1463:
	s_mov_b32 s22, 0
	s_mov_b64 s[10:11], 0
                                        ; implicit-def: $sgpr12_sgpr13
                                        ; implicit-def: $sgpr14_sgpr15
	s_branch .LBB2_1465
.LBB2_1464:                             ;   in Loop: Header=BB2_1465 Depth=1
	s_or_b64 exec, exec, s[18:19]
	s_and_b64 s[16:17], exec, s[20:21]
	s_or_b64 s[10:11], s[16:17], s[10:11]
	s_andn2_b64 s[12:13], s[12:13], exec
	s_and_b64 s[16:17], s[14:15], exec
	s_or_b64 s[12:13], s[12:13], s[16:17]
	s_andn2_b64 exec, exec, s[10:11]
	s_cbranch_execz .LBB2_1469
.LBB2_1465:                             ; =>This Inner Loop Header: Depth=1
	s_add_i32 s22, s22, 1
	s_cmpk_lg_i32 s22, 0x2710
	s_cselect_b64 s[16:17], -1, 0
	s_and_b64 vcc, exec, s[16:17]
	s_cbranch_vccz .LBB2_1467
; %bb.1466:                             ;   in Loop: Header=BB2_1465 Depth=1
	s_mov_b64 s[20:21], -1
	s_or_b64 s[14:15], s[14:15], exec
	s_and_saveexec_b64 s[18:19], s[16:17]
	s_cbranch_execz .LBB2_1464
	s_branch .LBB2_1468
.LBB2_1467:                             ;   in Loop: Header=BB2_1465 Depth=1
	s_trap 2
	ds_read_b64 v[2:3], v0
	s_andn2_b64 s[16:17], s[16:17], exec
	s_mov_b32 s22, 0
	s_waitcnt vmcnt(0) lgkmcnt(0)
	flat_load_dword v2, v[2:3] sc0 sc1
	s_waitcnt vmcnt(0) lgkmcnt(0)
	buffer_inv sc0 sc1
	v_cmp_eq_u32_e32 vcc, 0, v2
	s_and_b64 s[18:19], vcc, exec
	s_or_b64 s[16:17], s[16:17], s[18:19]
	s_mov_b64 s[20:21], -1
	s_or_b64 s[14:15], s[14:15], exec
	s_and_saveexec_b64 s[18:19], s[16:17]
	s_cbranch_execz .LBB2_1464
.LBB2_1468:                             ;   in Loop: Header=BB2_1465 Depth=1
	s_sleep 1
	s_trap 2
	ds_read_b64 v[2:3], v0
	s_waitcnt lgkmcnt(0)
	s_andn2_b64 s[14:15], s[14:15], exec
	v_cmp_ge_u64_e32 vcc, v[2:3], v[0:1]
	s_orn2_b64 s[20:21], vcc, exec
	s_branch .LBB2_1464
.LBB2_1469:
	s_or_b64 exec, exec, s[10:11]
	s_and_saveexec_b64 s[10:11], s[12:13]
	s_xor_b64 s[10:11], exec, s[10:11]
	s_cbranch_execz .LBB2_1471
; %bb.1470:
	v_mov_b32_e32 v0, 1
	ds_write_b32 v0, v0
	s_trap 2
.LBB2_1471:
	s_or_b64 exec, exec, s[6:7]
	;;#ASMSTART
	s_wakeup
	;;#ASMEND
.LBB2_1472:
	s_or_b64 exec, exec, s[4:5]
.LBB2_1473:
	s_andn2_saveexec_b64 s[0:1], s[0:1]
	s_cbranch_execz .LBB2_1475
; %bb.1474:
	s_waitcnt lgkmcnt(0)
	s_barrier
.LBB2_1475:
	s_or_b64 exec, exec, s[2:3]
.LBB2_1476:
	s_andn2_saveexec_b64 s[22:23], s[44:45]
	s_cbranch_execz .LBB2_1478
; %bb.1477:
	s_getpc_b64 s[0:1]
	s_add_u32 s0, s0, __PRETTY_FUNCTION__._ZN10PrimitivesI12hip_bfloat1610FuncMinMaxIS0_E12FanSymmetricILi1EELi0E11ProtoSimpleILi1ELi4ELi0ELi1ELi0ELi0EELi0ELb0ELi0ELi0ELi0EEC2EiiPKiS9_PKvPvmhhhP15ncclDevWorkCollP14ncclDevWorkP2pii@rel32@lo+4
	s_addc_u32 s1, s1, __PRETTY_FUNCTION__._ZN10PrimitivesI12hip_bfloat1610FuncMinMaxIS0_E12FanSymmetricILi1EELi0E11ProtoSimpleILi1ELi4ELi0ELi1ELi0ELi0EELi0ELb0ELi0ELi0ELi0EEC2EiiPKiS9_PKvPvmhhhP15ncclDevWorkCollP14ncclDevWorkP2pii@rel32@hi+12
	s_getpc_b64 s[2:3]
	s_add_u32 s2, s2, __assert_fail@rel32@lo+4
	s_addc_u32 s3, s3, __assert_fail@rel32@hi+12
	v_mov_b32_e32 v0, s0
	v_mov_b32_e32 v1, s1
	s_swappc_b64 s[30:31], s[2:3]
	; divergent unreachable
.LBB2_1478:
	s_or_b64 exec, exec, s[22:23]
	scratch_load_dword v90, off, s33        ; 4-byte Folded Reload
	scratch_load_dword v89, off, s33 offset:4 ; 4-byte Folded Reload
	scratch_load_dword v88, off, s33 offset:8 ; 4-byte Folded Reload
	;; [unrolled: 1-line block ×26, first 2 shown]
	v_readlane_b32 s30, v91, 25
	v_readlane_b32 s31, v91, 26
	;; [unrolled: 1-line block ×27, first 2 shown]
	s_mov_b32 s32, s33
	v_readlane_b32 s0, v91, 27
	s_or_saveexec_b64 s[2:3], -1
	scratch_load_dword v91, off, s33 offset:108 ; 4-byte Folded Reload
	s_mov_b64 exec, s[2:3]
	s_mov_b32 s33, s0
	s_waitcnt vmcnt(0) lgkmcnt(0)
	s_setpc_b64 s[30:31]
.Lfunc_end2:
	.size	_ZN12_GLOBAL__N_17runRingI12hip_bfloat1610FuncMinMaxIS1_E11ProtoSimpleILi1ELi4ELi0ELi1ELi0ELi0EELi0ELi0ELi1ELi0EEEviiP15ncclDevWorkColl, .Lfunc_end2-_ZN12_GLOBAL__N_17runRingI12hip_bfloat1610FuncMinMaxIS1_E11ProtoSimpleILi1ELi4ELi0ELi1ELi0ELi0EELi0ELi0ELi1ELi0EEEviiP15ncclDevWorkColl
                                        ; -- End function
	.set .L_ZN12_GLOBAL__N_17runRingI12hip_bfloat1610FuncMinMaxIS1_E11ProtoSimpleILi1ELi4ELi0ELi1ELi0ELi0EELi0ELi0ELi1ELi0EEEviiP15ncclDevWorkColl.num_vgpr, max(120, .L__assert_fail.num_vgpr)
	.set .L_ZN12_GLOBAL__N_17runRingI12hip_bfloat1610FuncMinMaxIS1_E11ProtoSimpleILi1ELi4ELi0ELi1ELi0ELi0EELi0ELi0ELi1ELi0EEEviiP15ncclDevWorkColl.num_agpr, max(0, .L__assert_fail.num_agpr)
	.set .L_ZN12_GLOBAL__N_17runRingI12hip_bfloat1610FuncMinMaxIS1_E11ProtoSimpleILi1ELi4ELi0ELi1ELi0ELi0EELi0ELi0ELi1ELi0EEEviiP15ncclDevWorkColl.numbered_sgpr, max(96, .L__assert_fail.numbered_sgpr)
	.set .L_ZN12_GLOBAL__N_17runRingI12hip_bfloat1610FuncMinMaxIS1_E11ProtoSimpleILi1ELi4ELi0ELi1ELi0ELi0EELi0ELi0ELi1ELi0EEEviiP15ncclDevWorkColl.num_named_barrier, max(0, .L__assert_fail.num_named_barrier)
	.set .L_ZN12_GLOBAL__N_17runRingI12hip_bfloat1610FuncMinMaxIS1_E11ProtoSimpleILi1ELi4ELi0ELi1ELi0ELi0EELi0ELi0ELi1ELi0EEEviiP15ncclDevWorkColl.private_seg_size, 128+max(.L__assert_fail.private_seg_size)
	.set .L_ZN12_GLOBAL__N_17runRingI12hip_bfloat1610FuncMinMaxIS1_E11ProtoSimpleILi1ELi4ELi0ELi1ELi0ELi0EELi0ELi0ELi1ELi0EEEviiP15ncclDevWorkColl.uses_vcc, or(1, .L__assert_fail.uses_vcc)
	.set .L_ZN12_GLOBAL__N_17runRingI12hip_bfloat1610FuncMinMaxIS1_E11ProtoSimpleILi1ELi4ELi0ELi1ELi0ELi0EELi0ELi0ELi1ELi0EEEviiP15ncclDevWorkColl.uses_flat_scratch, or(0, .L__assert_fail.uses_flat_scratch)
	.set .L_ZN12_GLOBAL__N_17runRingI12hip_bfloat1610FuncMinMaxIS1_E11ProtoSimpleILi1ELi4ELi0ELi1ELi0ELi0EELi0ELi0ELi1ELi0EEEviiP15ncclDevWorkColl.has_dyn_sized_stack, or(0, .L__assert_fail.has_dyn_sized_stack)
	.set .L_ZN12_GLOBAL__N_17runRingI12hip_bfloat1610FuncMinMaxIS1_E11ProtoSimpleILi1ELi4ELi0ELi1ELi0ELi0EELi0ELi0ELi1ELi0EEEviiP15ncclDevWorkColl.has_recursion, or(1, .L__assert_fail.has_recursion)
	.set .L_ZN12_GLOBAL__N_17runRingI12hip_bfloat1610FuncMinMaxIS1_E11ProtoSimpleILi1ELi4ELi0ELi1ELi0ELi0EELi0ELi0ELi1ELi0EEEviiP15ncclDevWorkColl.has_indirect_call, or(0, .L__assert_fail.has_indirect_call)
	.section	.AMDGPU.csdata,"",@progbits
; Function info:
; codeLenInByte = 42276
; TotalNumSgprs: 102
; NumVgprs: 120
; NumAgprs: 0
; TotalNumVgprs: 120
; ScratchSize: 192
; MemoryBound: 1
	.text
	.p2align	2                               ; -- Begin function _ZN12_GLOBAL__N_17runRingI12hip_bfloat1610FuncMinMaxIS1_E11ProtoSimpleILi2ELi2ELi0ELi1ELi0ELi0EELi0ELi0ELi1ELi0EEEviiP15ncclDevWorkColl
	.type	_ZN12_GLOBAL__N_17runRingI12hip_bfloat1610FuncMinMaxIS1_E11ProtoSimpleILi2ELi2ELi0ELi1ELi0ELi0EELi0ELi0ELi1ELi0EEEviiP15ncclDevWorkColl,@function
_ZN12_GLOBAL__N_17runRingI12hip_bfloat1610FuncMinMaxIS1_E11ProtoSimpleILi2ELi2ELi0ELi1ELi0ELi0EELi0ELi0ELi1ELi0EEEviiP15ncclDevWorkColl: ; @_ZN12_GLOBAL__N_17runRingI12hip_bfloat1610FuncMinMaxIS1_E11ProtoSimpleILi2ELi2ELi0ELi1ELi0ELi0EELi0ELi0ELi1ELi0EEEviiP15ncclDevWorkColl
; %bb.0:
	s_waitcnt vmcnt(0) expcnt(0) lgkmcnt(0)
	s_mov_b32 s0, s33
	s_mov_b32 s33, s32
	s_or_saveexec_b64 s[2:3], -1
	scratch_store_dword off, v94, s33 offset:120 ; 4-byte Folded Spill
	s_mov_b64 exec, s[2:3]
	v_writelane_b32 v94, s0, 30
	s_addk_i32 s32, 0x80
	scratch_store_dword off, v40, s33 offset:116 ; 4-byte Folded Spill
	scratch_store_dword off, v41, s33 offset:112 ; 4-byte Folded Spill
	;; [unrolled: 1-line block ×29, first 2 shown]
	scratch_store_dword off, v93, s33       ; 4-byte Folded Spill
	v_writelane_b32 v94, s34, 0
	v_writelane_b32 v94, s35, 1
	;; [unrolled: 1-line block ×29, first 2 shown]
	s_nop 1
	v_writelane_b32 v94, s31, 29
	s_trap 2
	flat_load_dword v9, v[2:3]
	ds_read_b32 v6, v0
                                        ; implicit-def: $vgpr14_vgpr15
                                        ; implicit-def: $vgpr16_vgpr17
                                        ; implicit-def: $vgpr4_vgpr5
	s_waitcnt lgkmcnt(0)
	v_readfirstlane_b32 s64, v6
	s_waitcnt vmcnt(0)
	v_cmp_ne_u32_sdwa s[0:1], v6, v9 src0_sel:DWORD src1_sel:BYTE_0
	s_and_saveexec_b64 s[2:3], s[0:1]
	s_xor_b64 s[0:1], exec, s[2:3]
	s_cbranch_execz .LBB3_6
; %bb.1:
	v_not_b32_sdwa v8, v9 dst_sel:DWORD dst_unused:UNUSED_PAD src0_sel:BYTE_0
	v_cmp_ne_u32_sdwa s[2:3], v6, v9 src0_sel:DWORD src1_sel:BYTE_1
                                        ; implicit-def: $vgpr14_vgpr15
                                        ; implicit-def: $vgpr16_vgpr17
                                        ; implicit-def: $vgpr4_vgpr5
	s_and_saveexec_b64 s[4:5], s[2:3]
	s_xor_b64 s[2:3], exec, s[4:5]
	s_cbranch_execz .LBB3_3
; %bb.2:
	flat_load_dwordx4 v[10:13], v[2:3] offset:72
	flat_load_dwordx2 v[4:5], v[2:3] offset:96
	v_add_u32_e32 v6, v6, v8
	v_ashrrev_i32_e32 v7, 31, v6
                                        ; implicit-def: $vgpr9
                                        ; implicit-def: $vgpr8
	s_waitcnt vmcnt(0) lgkmcnt(0)
	v_mul_lo_u32 v7, v12, v7
	v_mad_u64_u32 v[16:17], s[4:5], v12, v6, v[10:11]
	v_mul_lo_u32 v6, v13, v6
	v_lshrrev_b64 v[14:15], 13, v[4:5]
	v_add3_u32 v17, v6, v17, v7
	v_mov_b64_e32 v[4:5], v[12:13]
.LBB3_3:
	s_andn2_saveexec_b64 s[2:3], s[2:3]
	s_cbranch_execz .LBB3_5
; %bb.4:
	flat_load_dwordx4 v[10:13], v[2:3] offset:72
	flat_load_dwordx4 v[4:7], v[2:3] offset:88
	s_waitcnt vmcnt(0) lgkmcnt(0)
	v_add_u32_sdwa v6, v9, v8 dst_sel:DWORD dst_unused:UNUSED_PAD src0_sel:BYTE_1 src1_sel:DWORD
	v_ashrrev_i32_e32 v8, 31, v6
	v_mul_lo_u32 v8, v12, v8
	v_mad_u64_u32 v[16:17], s[4:5], v12, v6, v[10:11]
	v_mul_lo_u32 v6, v13, v6
	v_add3_u32 v17, v6, v17, v8
	v_lshrrev_b32_e32 v14, 2, v7
.LBB3_5:
	s_or_b64 exec, exec, s[2:3]
.LBB3_6:
	s_andn2_saveexec_b64 s[0:1], s[0:1]
	s_cbranch_execz .LBB3_8
; %bb.7:
	flat_load_dwordx2 v[6:7], v[2:3] offset:96
	flat_load_dwordx2 v[4:5], v[2:3] offset:72
	v_mov_b64_e32 v[16:17], 0
	s_waitcnt vmcnt(0) lgkmcnt(0)
	v_lshlrev_b64 v[14:15], 8, v[6:7]
.LBB3_8:
	s_or_b64 exec, exec, s[0:1]
	s_trap 2
	ds_read_b64 v[6:7], v0
	s_waitcnt lgkmcnt(0)
	v_cmp_ne_u32_e32 vcc, -1, v6
	s_nop 1
	v_cndmask_b32_e64 v15, 0, 1, vcc
	v_cmp_ne_u32_e32 vcc, -1, v7
	s_nop 1
	v_addc_co_u32_e64 v8, s[0:1], 0, v15, vcc
	v_lshlrev_b32_e32 v6, 1, v8
	v_cmp_le_u32_e64 s[0:1], v6, v1
	s_and_saveexec_b64 s[2:3], s[0:1]
	s_xor_b64 s[42:43], exec, s[2:3]
	s_cbranch_execz .LBB3_1496
; %bb.9:
	flat_load_dwordx4 v[10:13], v[2:3] offset:16
	flat_load_dwordx2 v[32:33], v[2:3] offset:104
	flat_load_ushort v7, v[2:3] offset:8
	flat_load_dword v6, v[2:3] offset:4
	s_trap 2
	s_load_dword s0, s[8:9], 0x0
	v_mov_b32_e32 v9, 0
	v_mov_b32_e32 v58, 4
	s_waitcnt lgkmcnt(0)
	s_cmp_lt_u32 s12, s0
	s_cselect_b32 s0, 12, 18
	s_add_u32 s0, s8, s0
	s_addc_u32 s1, s9, 0
	global_load_ushort v30, v9, s[0:1]
	ds_read_b32 v9, v0
	v_cmp_ge_u32_e64 s[0:1], v0, v15
	s_waitcnt lgkmcnt(0)
	v_readfirstlane_b32 s20, v9
	s_and_saveexec_b64 s[2:3], s[0:1]
	s_cbranch_execz .LBB3_19
; %bb.10:
	v_cmp_ge_u32_e64 s[0:1], v0, v8
                                        ; implicit-def: $vgpr58
	s_and_saveexec_b64 s[4:5], s[0:1]
	s_xor_b64 s[0:1], exec, s[4:5]
	s_cbranch_execz .LBB3_16
; %bb.11:
	v_cndmask_b32_e64 v9, 0, 1, vcc
	v_sub_u32_e32 v9, v1, v9
	v_cmp_ge_u32_e32 vcc, v0, v9
	s_and_saveexec_b64 s[4:5], vcc
	s_xor_b64 s[4:5], exec, s[4:5]
; %bb.12:
                                        ; implicit-def: $vgpr8
; %bb.13:
	s_or_saveexec_b64 s[4:5], s[4:5]
	v_mov_b32_e32 v58, 16
	s_xor_b64 exec, exec, s[4:5]
; %bb.14:
	v_sub_u32_e32 v8, v1, v8
	v_cmp_lt_i32_e32 vcc, v0, v8
	s_nop 1
	v_cndmask_b32_e64 v58, 32, 0, vcc
; %bb.15:
	s_or_b64 exec, exec, s[4:5]
.LBB3_16:
	s_andn2_saveexec_b64 s[0:1], s[0:1]
; %bb.17:
	v_mov_b32_e32 v58, 8
; %bb.18:
	s_or_b64 exec, exec, s[0:1]
.LBB3_19:
	s_or_b64 exec, exec, s[2:3]
	v_and_b32_e32 v8, 36, v58
	v_cmp_ne_u32_e32 vcc, 0, v8
	v_mov_b32_e32 v8, -1
	s_and_saveexec_b64 s[0:1], vcc
	s_cbranch_execz .LBB3_21
; %bb.20:
	s_trap 2
	ds_read_b32 v8, v0
.LBB3_21:
	s_or_b64 exec, exec, s[0:1]
	v_and_b32_e32 v9, 24, v58
	v_cmp_ne_u32_e64 s[0:1], 0, v9
	s_and_saveexec_b64 s[2:3], s[0:1]
	s_cbranch_execz .LBB3_23
; %bb.22:
	s_trap 2
	s_waitcnt lgkmcnt(0)
	ds_read_b32 v8, v0
.LBB3_23:
	s_or_b64 exec, exec, s[2:3]
	s_waitcnt vmcnt(0)
	v_lshrrev_b64 v[6:7], 31, v[6:7]
	v_and_b32_e32 v25, 3, v6
	v_mov_b64_e32 v[20:21], 0
	s_waitcnt lgkmcnt(0)
	v_ashrrev_i32_e32 v9, 31, v8
	v_mov_b64_e32 v[6:7], 0
                                        ; implicit-def: $vgpr18_vgpr19
                                        ; implicit-def: $vgpr24
                                        ; implicit-def: $vgpr96_vgpr97
                                        ; implicit-def: $vgpr26_vgpr27
                                        ; implicit-def: $vgpr34_vgpr35
                                        ; implicit-def: $vgpr22_vgpr23
	s_and_saveexec_b64 s[0:1], vcc
	s_cbranch_execz .LBB3_33
; %bb.24:
	s_trap 2
	ds_read_b64 v[6:7], v0
	v_and_b32_e32 v18, 0xffff, v25
	s_movk_i32 s2, 0xa8
	s_waitcnt lgkmcnt(0)
	v_lshl_add_u64 v[6:7], v[8:9], 3, v[6:7]
	flat_load_dwordx2 v[6:7], v[6:7]
	s_waitcnt vmcnt(0) lgkmcnt(0)
	v_mad_u64_u32 v[28:29], s[2:3], v18, s2, v[6:7]
	flat_load_dword v6, v[28:29] offset:640
                                        ; implicit-def: $vgpr18_vgpr19
	s_waitcnt vmcnt(0) lgkmcnt(0)
	v_cmp_eq_u32_e32 vcc, 1, v6
	s_and_saveexec_b64 s[2:3], vcc
	s_cbranch_execz .LBB3_26
; %bb.25:
	flat_load_dwordx2 v[18:19], v[28:29] offset:648
	v_or_b32_e32 v58, 0x2000, v58
	s_waitcnt vmcnt(0) lgkmcnt(0)
	flat_load_dwordx2 v[6:7], v[18:19]
	s_trap 2
	s_waitcnt vmcnt(0) lgkmcnt(0)
	ds_write_b64 v0, v[6:7]
	flat_load_dwordx2 v[6:7], v[18:19] offset:8
	s_waitcnt vmcnt(0) lgkmcnt(0)
	ds_write_b64 v0, v[6:7]
	flat_load_dwordx2 v[6:7], v[18:19] offset:16
	s_waitcnt vmcnt(0) lgkmcnt(0)
	ds_write_b64 v0, v[6:7]
.LBB3_26:
	s_or_b64 exec, exec, s[2:3]
	flat_load_dwordx2 v[6:7], v[28:29] offset:608
	v_and_b32_e32 v20, 32, v58
	v_cmp_ne_u32_e32 vcc, 0, v20
                                        ; implicit-def: $vgpr22_vgpr23
	s_waitcnt vmcnt(0) lgkmcnt(0)
	v_lshl_add_u64 v[96:97], v[6:7], 0, 3
	v_and_b32_e32 v96, -4, v96
	s_and_saveexec_b64 s[2:3], vcc
	s_cbranch_execz .LBB3_28
; %bb.27:
	flat_load_dwordx2 v[22:23], v[28:29] offset:560
	s_waitcnt vmcnt(0) lgkmcnt(0)
	flat_store_dwordx2 v[22:23], v[96:97] sc0 sc1
.LBB3_28:
	s_or_b64 exec, exec, s[2:3]
	s_mov_b64 s[2:3], 0x1f8
	v_and_b32_e32 v6, 4, v58
	v_lshl_add_u64 v[20:21], v[28:29], 0, s[2:3]
	v_cmp_ne_u32_e32 vcc, 0, v6
	v_mov_b64_e32 v[6:7], 0
                                        ; implicit-def: $vgpr24
                                        ; implicit-def: $vgpr26_vgpr27
                                        ; implicit-def: $vgpr34_vgpr35
	s_and_saveexec_b64 s[2:3], vcc
	s_cbranch_execz .LBB3_32
; %bb.29:
	v_and_b32_e32 v6, 0x800, v58
	v_cmp_eq_u32_e32 vcc, 0, v6
	s_and_saveexec_b64 s[4:5], vcc
	s_cbranch_execz .LBB3_31
; %bb.30:
	s_trap 2
	ds_write_b64 v0, v[20:21]
.LBB3_31:
	s_or_b64 exec, exec, s[4:5]
	flat_load_dwordx2 v[22:23], v[28:29] offset:552
	s_waitcnt vmcnt(0) lgkmcnt(0)
	flat_load_dwordx2 v[34:35], v[22:23] sc0 sc1
	flat_load_dword v24, v[28:29] offset:576
	flat_load_dwordx2 v[6:7], v[28:29] offset:600
	flat_load_dwordx2 v[26:27], v[28:29] offset:520
	v_or_b32_e32 v28, 0x100, v58
	s_waitcnt vmcnt(0) lgkmcnt(0)
	v_ashrrev_i32_e32 v24, 1, v24
	v_cmp_eq_u64_e32 vcc, 0, v[6:7]
	s_nop 1
	v_cndmask_b32_e32 v58, v28, v58, vcc
.LBB3_32:
	s_or_b64 exec, exec, s[2:3]
.LBB3_33:
	s_or_b64 exec, exec, s[0:1]
	v_and_b32_e32 v28, 24, v58
	v_cmp_ne_u32_e32 vcc, 0, v28
                                        ; implicit-def: $vgpr28_vgpr29
	s_and_saveexec_b64 s[0:1], vcc
	s_cbranch_execz .LBB3_41
; %bb.34:
	s_trap 2
	ds_read_b64 v[6:7], v0
	s_movk_i32 s2, 0xa8
                                        ; implicit-def: $vgpr28_vgpr29
	s_waitcnt lgkmcnt(0)
	v_lshl_add_u64 v[6:7], v[8:9], 3, v[6:7]
	flat_load_dwordx2 v[6:7], v[6:7]
	v_and_b32_e32 v8, 0xffff, v25
	v_or_b32_e32 v25, 0x100, v58
	s_waitcnt vmcnt(0) lgkmcnt(0)
	v_mad_u64_u32 v[20:21], s[2:3], v8, s2, v[6:7]
	flat_load_dwordx4 v[6:9], v[20:21] offset:96
	s_waitcnt vmcnt(0) lgkmcnt(0)
	v_cmp_eq_u64_e32 vcc, 0, v[6:7]
	s_nop 1
	v_cndmask_b32_e32 v58, v25, v58, vcc
	v_and_b32_e32 v25, 16, v58
	v_cmp_ne_u32_e32 vcc, 0, v25
	s_and_saveexec_b64 s[2:3], vcc
	s_cbranch_execz .LBB3_36
; %bb.35:
	flat_load_dwordx2 v[22:23], v[20:21] offset:48
	flat_load_dwordx2 v[28:29], v[20:21] offset:120
	;; [unrolled: 1-line block ×3, first 2 shown]
.LBB3_36:
	s_or_b64 exec, exec, s[2:3]
	v_lshl_add_u64 v[96:97], v[8:9], 0, 3
	v_and_b32_e32 v8, 8, v58
	v_and_b32_e32 v96, -4, v96
	v_cmp_ne_u32_e32 vcc, 0, v8
	s_and_saveexec_b64 s[2:3], vcc
	s_cbranch_execz .LBB3_40
; %bb.37:
	v_and_b32_e32 v8, 0x800, v58
	v_cmp_eq_u32_e32 vcc, 0, v8
	s_and_saveexec_b64 s[4:5], vcc
	s_cbranch_execz .LBB3_39
; %bb.38:
	s_trap 2
	ds_write_b64 v0, v[20:21]
.LBB3_39:
	s_or_b64 exec, exec, s[4:5]
	s_waitcnt vmcnt(0) lgkmcnt(0)
	flat_load_dwordx2 v[22:23], v[20:21] offset:56
	s_waitcnt vmcnt(0) lgkmcnt(0)
	flat_load_dwordx2 v[34:35], v[22:23] sc0 sc1
	flat_load_dword v8, v[20:21] offset:72
	flat_load_dwordx2 v[26:27], v[20:21] offset:16
	s_waitcnt vmcnt(0) lgkmcnt(0)
	v_ashrrev_i32_e32 v24, 1, v8
.LBB3_40:
	s_or_b64 exec, exec, s[2:3]
.LBB3_41:
	s_or_b64 exec, exec, s[0:1]
	v_cmp_eq_u32_e64 s[0:1], 0, v0
	s_and_saveexec_b64 s[2:3], s[0:1]
	s_cbranch_execz .LBB3_43
; %bb.42:
	flat_load_dwordx2 v[8:9], v[2:3] offset:32
	ds_write2_b64 v0, v[12:13], v[10:11] offset1:1
	s_trap 2
	s_waitcnt vmcnt(0) lgkmcnt(0)
	ds_write_b64 v0, v[8:9]
	ds_write_b64 v0, v[32:33]
.LBB3_43:
	s_or_b64 exec, exec, s[2:3]
	v_mov_b64_e32 v[32:33], 0
	v_cmp_lt_i64_e32 vcc, 0, v[4:5]
	s_and_saveexec_b64 s[44:45], vcc
	s_cbranch_execz .LBB3_1462
; %bb.44:
	flat_load_dword v8, v[2:3] offset:4
	s_ashr_i32 s14, s20, 31
	s_lshr_b32 s21, s14, 29
	s_add_i32 s20, s20, s21
	s_ashr_i32 s65, s64, 31
	s_ashr_i32 s21, s20, 4
	s_add_u32 s72, s64, -1
	s_addc_u32 s73, s65, -1
	s_add_i32 s70, s64, s64
	s_not_b32 s22, s64
	s_cmp_gt_i32 s64, 0
	s_cselect_b32 s22, s22, -1
	s_ashr_i32 s20, s20, 31
	s_lshr_b32 s20, s20, 28
	s_add_i32 s71, s22, s70
	s_add_i32 s21, s21, s20
	s_ashr_i32 s80, s71, 31
	s_ashr_i32 s81, s21, 4
	s_cmp_gt_i32 s64, 2
	v_lshrrev_b32_e32 v36, 6, v1
	v_lshlrev_b32_e32 v10, 1, v1
	s_cselect_b64 s[74:75], -1, 0
	s_add_i32 s22, s64, 1
	v_and_b32_e32 v2, 0x1fffff00, v14
	v_lshlrev_b32_e32 v54, 10, v36
	v_and_b32_e32 v66, 0x7f80, v10
	v_and_b32_e32 v9, 63, v31
	;; [unrolled: 1-line block ×3, first 2 shown]
	v_mad_i64_i32 v[50:51], s[12:13], v2, s64, 0
	v_add_u32_e32 v70, 0xfffffc00, v54
	v_add_u32_e32 v80, 0xffffff80, v66
	v_mov_b32_e32 v3, 0
	v_cmp_ge_u32_e32 vcc, v0, v1
	v_lshrrev_b32_e32 v60, 6, v0
	s_mov_b64 s[60:61], 0x400
	s_mov_b64 s[62:63], 0x80
	v_cmp_eq_u32_e64 s[12:13], 0, v9
	v_lshlrev_b32_e32 v9, 4, v59
	v_ashrrev_i32_e32 v71, 31, v70
	v_ashrrev_i32_e32 v81, 31, v80
	s_mov_b32 s47, 0
	v_ashrrev_i32_e32 v25, 31, v24
	v_cmp_eq_u32_e64 s[2:3], 64, v1
	v_cmp_ne_u32_e64 s[4:5], 64, v1
	v_cmp_ne_u32_sdwa s[56:57], v1, v30 src0_sel:DWORD src1_sel:WORD_0
	s_mov_b64 s[58:59], 0
	s_waitcnt vmcnt(0) lgkmcnt(0)
	v_cmp_eq_u64_e64 s[6:7], 0, v[28:29]
	v_cmp_ne_u64_e64 s[10:11], 0, v[28:29]
	v_lshlrev_b32_e32 v38, 4, v0
	v_mov_b64_e32 v[48:49], 0
	v_mov_b64_e32 v[32:33], 0
	v_mov_b32_e32 v61, 1
	s_movk_i32 s66, 0x108
	s_mov_b32 s67, 0x7f800000
	s_movk_i32 s68, 0x7fff
	s_mov_b32 s69, 0xffff0000
	v_mov_b32_e32 v37, v3
	v_cmp_eq_u32_e64 s[14:15], 0, v59
	v_cmp_lt_u32_e64 s[16:17], v59, v15
	v_lshlrev_b32_e32 v52, 11, v36
	v_mov_b32_e32 v53, v3
	v_mov_b32_e32 v55, v3
	v_lshlrev_b32_e32 v64, 9, v36
	v_mov_b32_e32 v65, v3
	v_mov_b32_e32 v67, v3
	v_cmp_le_u32_e64 s[18:19], v59, v15
	v_mov_b32_e32 v39, v3
	v_mov_b32_e32 v69, v3
	v_mov_b32_e32 v92, v3
	v_mov_b32_e32 v93, v3
	v_lshl_or_b32 v68, v60, 11, v9
	v_lshl_add_u64 v[82:83], v[70:71], 0, s[60:61]
	v_lshl_add_u64 v[84:85], v[80:81], 0, s[62:63]
	v_mov_b32_e32 v62, 0xc8
	v_mov_b32_e32 v63, 0x90
	;; [unrolled: 1-line block ×4, first 2 shown]
	v_mov_b64_e32 v[86:87], v[2:3]
	s_trap 2
	v_and_b32_e32 v8, 1, v8
	v_cmp_eq_u32_e64 s[20:21], 1, v8
	s_xor_b64 s[76:77], s[20:21], -1
	s_cmp_ge_i32 s22, s64
	s_cselect_b32 s23, s64, 0
	s_sub_i32 s83, s22, s23
	s_add_i32 s82, s64, -2
	s_xor_b64 s[78:79], vcc, -1
	s_ashr_i32 s88, s65, 31
	s_ashr_i32 s84, s83, 31
	s_branch .LBB3_47
.LBB3_45:                               ;   in Loop: Header=BB3_47 Depth=1
	s_or_b64 exec, exec, s[26:27]
.LBB3_46:                               ;   in Loop: Header=BB3_47 Depth=1
	s_or_b64 exec, exec, s[24:25]
	v_lshl_add_u64 v[48:49], v[48:49], 0, v[50:51]
	v_cmp_ge_i64_e32 vcc, v[48:49], v[4:5]
	s_or_b64 s[58:59], vcc, s[58:59]
	s_andn2_b64 exec, exec, s[58:59]
	s_cbranch_execz .LBB3_1461
.LBB3_47:                               ; =>This Loop Header: Depth=1
                                        ;     Child Loop BB3_57 Depth 2
                                        ;       Child Loop BB3_65 Depth 3
                                        ;       Child Loop BB3_89 Depth 3
	;; [unrolled: 1-line block ×9, first 2 shown]
                                        ;     Child Loop BB3_197 Depth 2
                                        ;       Child Loop BB3_203 Depth 3
                                        ;       Child Loop BB3_227 Depth 3
	;; [unrolled: 1-line block ×3, first 2 shown]
                                        ;     Child Loop BB3_269 Depth 2
                                        ;       Child Loop BB3_272 Depth 3
                                        ;         Child Loop BB3_280 Depth 4
                                        ;         Child Loop BB3_308 Depth 4
	;; [unrolled: 1-line block ×9, first 2 shown]
                                        ;       Child Loop BB3_500 Depth 3
                                        ;         Child Loop BB3_506 Depth 4
                                        ;         Child Loop BB3_534 Depth 4
	;; [unrolled: 1-line block ×3, first 2 shown]
                                        ;     Child Loop BB3_575 Depth 2
                                        ;       Child Loop BB3_583 Depth 3
                                        ;       Child Loop BB3_611 Depth 3
	;; [unrolled: 1-line block ×4, first 2 shown]
                                        ;         Child Loop BB3_686 Depth 4
                                        ;       Child Loop BB3_692 Depth 3
                                        ;         Child Loop BB3_725 Depth 4
                                        ;       Child Loop BB3_733 Depth 3
                                        ;       Child Loop BB3_753 Depth 3
                                        ;         Child Loop BB3_758 Depth 4
                                        ;       Child Loop BB3_771 Depth 3
                                        ;       Child Loop BB3_808 Depth 3
                                        ;       Child Loop BB3_846 Depth 3
                                        ;       Child Loop BB3_867 Depth 3
                                        ;       Child Loop BB3_880 Depth 3
                                        ;       Child Loop BB3_903 Depth 3
                                        ;     Child Loop BB3_921 Depth 2
                                        ;       Child Loop BB3_927 Depth 3
                                        ;       Child Loop BB3_955 Depth 3
	;; [unrolled: 1-line block ×3, first 2 shown]
                                        ;     Child Loop BB3_997 Depth 2
                                        ;       Child Loop BB3_1000 Depth 3
                                        ;         Child Loop BB3_1008 Depth 4
                                        ;         Child Loop BB3_1036 Depth 4
                                        ;         Child Loop BB3_1055 Depth 4
                                        ;         Child Loop BB3_1078 Depth 4
                                        ;           Child Loop BB3_1079 Depth 5
                                        ;         Child Loop BB3_1085 Depth 4
                                        ;           Child Loop BB3_1086 Depth 5
                                        ;         Child Loop BB3_1093 Depth 4
                                        ;         Child Loop BB3_1098 Depth 4
                                        ;           Child Loop BB3_1099 Depth 5
                                        ;         Child Loop BB3_1111 Depth 4
                                        ;         Child Loop BB3_1116 Depth 4
	;; [unrolled: 1-line block ×6, first 2 shown]
                                        ;       Child Loop BB3_1178 Depth 3
                                        ;         Child Loop BB3_1184 Depth 4
                                        ;         Child Loop BB3_1212 Depth 4
	;; [unrolled: 1-line block ×3, first 2 shown]
                                        ;     Child Loop BB3_1257 Depth 2
                                        ;       Child Loop BB3_1265 Depth 3
                                        ;       Child Loop BB3_1289 Depth 3
	;; [unrolled: 1-line block ×9, first 2 shown]
                                        ;     Child Loop BB3_1395 Depth 2
                                        ;       Child Loop BB3_1401 Depth 3
                                        ;       Child Loop BB3_1425 Depth 3
	;; [unrolled: 1-line block ×3, first 2 shown]
	v_sub_co_u32_e32 v98, vcc, v4, v48
	s_nop 1
	v_subb_co_u32_e32 v99, vcc, v5, v49, vcc
	v_cmp_lt_i64_e32 vcc, v[98:99], v[50:51]
	s_and_saveexec_b64 s[24:25], vcc
	s_cbranch_execz .LBB3_53
; %bb.48:                               ;   in Loop: Header=BB3_47 Depth=1
	v_lshl_add_u64 v[8:9], s[72:73], 0, v[98:99]
	v_or_b32_e32 v11, s65, v9
	v_mov_b32_e32 v10, v3
	v_cmp_ne_u64_e32 vcc, 0, v[10:11]
                                        ; implicit-def: $vgpr10_vgpr11
	s_and_saveexec_b64 s[22:23], vcc
	s_xor_b64 s[26:27], exec, s[22:23]
	s_cbranch_execz .LBB3_50
; %bb.49:                               ;   in Loop: Header=BB3_47 Depth=1
	s_add_u32 s22, s64, s88
	s_mov_b32 s89, s88
	s_addc_u32 s23, s65, s88
	s_xor_b64 s[28:29], s[22:23], s[88:89]
	v_cvt_f32_u32_e32 v2, s28
	v_cvt_f32_u32_e32 v10, s29
	s_sub_u32 s40, 0, s28
	s_subb_u32 s41, 0, s29
	v_fmac_f32_e32 v2, 0x4f800000, v10
	v_rcp_f32_e32 v2, v2
	s_nop 0
	v_mul_f32_e32 v2, 0x5f7ffffc, v2
	v_mul_f32_e32 v10, 0x2f800000, v2
	v_trunc_f32_e32 v10, v10
	v_fmac_f32_e32 v2, 0xcf800000, v10
	v_cvt_u32_f32_e32 v10, v10
	v_cvt_u32_f32_e32 v2, v2
	v_readfirstlane_b32 s46, v10
	v_readfirstlane_b32 s22, v2
	s_mul_i32 s23, s40, s46
	s_mul_hi_u32 s90, s40, s22
	s_mul_i32 s89, s41, s22
	s_add_i32 s23, s90, s23
	s_add_i32 s23, s23, s89
	s_mul_i32 s91, s40, s22
	s_mul_i32 s90, s22, s23
	s_mul_hi_u32 s92, s22, s91
	s_mul_hi_u32 s89, s22, s23
	s_add_u32 s90, s92, s90
	s_addc_u32 s89, 0, s89
	s_mul_hi_u32 s93, s46, s91
	s_mul_i32 s91, s46, s91
	s_add_u32 s90, s90, s91
	s_mul_hi_u32 s92, s46, s23
	s_addc_u32 s89, s89, s93
	s_addc_u32 s90, s92, 0
	s_mul_i32 s23, s46, s23
	s_add_u32 s23, s89, s23
	s_addc_u32 s89, 0, s90
	s_add_u32 s90, s22, s23
	s_cselect_b64 s[22:23], -1, 0
	s_cmp_lg_u64 s[22:23], 0
	s_addc_u32 s46, s46, s89
	s_mul_i32 s22, s40, s46
	s_mul_hi_u32 s23, s40, s90
	s_add_i32 s22, s23, s22
	s_mul_i32 s41, s41, s90
	s_add_i32 s22, s22, s41
	s_mul_i32 s40, s40, s90
	s_mul_hi_u32 s41, s46, s40
	s_mul_i32 s89, s46, s40
	s_mul_i32 s92, s90, s22
	s_mul_hi_u32 s40, s90, s40
	s_mul_hi_u32 s91, s90, s22
	s_add_u32 s40, s40, s92
	s_addc_u32 s91, 0, s91
	s_add_u32 s40, s40, s89
	s_mul_hi_u32 s23, s46, s22
	s_addc_u32 s40, s91, s41
	s_addc_u32 s23, s23, 0
	s_mul_i32 s22, s46, s22
	s_add_u32 s22, s40, s22
	s_addc_u32 s40, 0, s23
	s_add_u32 s41, s90, s22
	v_ashrrev_i32_e32 v10, 31, v9
	s_cselect_b64 s[22:23], -1, 0
	v_mov_b32_e32 v11, v10
	s_cmp_lg_u64 s[22:23], 0
	v_lshl_add_u64 v[8:9], v[8:9], 0, v[10:11]
	s_addc_u32 s40, s46, s40
	v_xor_b32_e32 v86, v8, v10
	v_xor_b32_e32 v11, v9, v10
	v_mad_u64_u32 v[8:9], s[22:23], v86, s40, 0
	v_mul_hi_u32 v2, v86, s41
	v_lshl_add_u64 v[8:9], v[2:3], 0, v[8:9]
	v_mad_u64_u32 v[14:15], s[22:23], v11, s41, 0
	v_add_co_u32_e32 v2, vcc, v8, v14
	v_mad_u64_u32 v[12:13], s[22:23], v11, s40, 0
	s_nop 0
	v_addc_co_u32_e32 v2, vcc, v9, v15, vcc
	s_nop 1
	v_addc_co_u32_e32 v13, vcc, 0, v13, vcc
	v_lshl_add_u64 v[8:9], v[2:3], 0, v[12:13]
	v_mul_lo_u32 v2, s29, v8
	v_mul_lo_u32 v14, s28, v9
	v_mad_u64_u32 v[12:13], s[22:23], s28, v8, 0
	v_add3_u32 v2, v13, v14, v2
	v_sub_u32_e32 v13, v11, v2
	v_mov_b32_e32 v14, s29
	v_sub_co_u32_e32 v86, vcc, v86, v12
	s_nop 1
	v_subb_co_u32_e64 v12, s[22:23], v13, v14, vcc
	v_subrev_co_u32_e64 v13, s[22:23], s28, v86
	v_subb_co_u32_e32 v2, vcc, v11, v2, vcc
	s_nop 0
	v_subbrev_co_u32_e64 v12, s[22:23], 0, v12, s[22:23]
	v_cmp_le_u32_e64 s[22:23], s29, v12
	v_cmp_le_u32_e32 vcc, s29, v2
	s_nop 0
	v_cndmask_b32_e64 v14, 0, -1, s[22:23]
	v_cmp_le_u32_e64 s[22:23], s28, v13
	v_cndmask_b32_e64 v11, 0, -1, vcc
	v_cmp_le_u32_e32 vcc, s28, v86
	v_cndmask_b32_e64 v13, 0, -1, s[22:23]
	v_cmp_eq_u32_e64 s[22:23], s29, v12
	s_nop 1
	v_cndmask_b32_e64 v87, v14, v13, s[22:23]
	v_lshl_add_u64 v[12:13], v[8:9], 0, 2
	v_lshl_add_u64 v[14:15], v[8:9], 0, 1
	v_cmp_ne_u32_e64 s[22:23], 0, v87
	s_nop 1
	v_cndmask_b32_e64 v13, v15, v13, s[22:23]
	v_cndmask_b32_e64 v15, 0, -1, vcc
	v_cmp_eq_u32_e32 vcc, s29, v2
	s_nop 1
	v_cndmask_b32_e32 v2, v11, v15, vcc
	v_cmp_ne_u32_e32 vcc, 0, v2
	s_nop 1
	v_cndmask_b32_e32 v2, v9, v13, vcc
	v_cndmask_b32_e64 v9, v14, v12, s[22:23]
	v_cndmask_b32_e32 v8, v8, v9, vcc
	v_xor_b32_e32 v9, s88, v10
	v_xor_b32_e32 v8, v8, v9
	;; [unrolled: 1-line block ×3, first 2 shown]
	v_sub_co_u32_e32 v10, vcc, v8, v9
	s_nop 1
	v_subb_co_u32_e32 v11, vcc, v2, v9, vcc
                                        ; implicit-def: $vgpr8_vgpr9
.LBB3_50:                               ;   in Loop: Header=BB3_47 Depth=1
	s_andn2_saveexec_b64 s[22:23], s[26:27]
	s_cbranch_execz .LBB3_52
; %bb.51:                               ;   in Loop: Header=BB3_47 Depth=1
	v_cvt_f32_u32_e32 v2, s64
	s_sub_i32 s26, 0, s64
	v_rcp_iflag_f32_e32 v2, v2
	s_nop 0
	v_mul_f32_e32 v2, 0x4f7ffffe, v2
	v_cvt_u32_f32_e32 v2, v2
	v_mul_lo_u32 v9, s26, v2
	v_mul_hi_u32 v9, v2, v9
	v_add_u32_e32 v2, v2, v9
	v_mul_hi_u32 v2, v8, v2
	v_mul_lo_u32 v9, v2, s64
	v_sub_u32_e32 v8, v8, v9
	v_add_u32_e32 v10, 1, v2
	v_subrev_u32_e32 v9, s64, v8
	v_cmp_le_u32_e32 vcc, s64, v8
	s_nop 1
	v_cndmask_b32_e32 v8, v8, v9, vcc
	v_cndmask_b32_e32 v2, v2, v10, vcc
	v_add_u32_e32 v9, 1, v2
	v_cmp_le_u32_e32 vcc, s64, v8
	s_nop 1
	v_cndmask_b32_e32 v2, v2, v9, vcc
	v_mov_b64_e32 v[10:11], v[2:3]
.LBB3_52:                               ;   in Loop: Header=BB3_47 Depth=1
	s_or_b64 exec, exec, s[22:23]
	v_lshl_add_u64 v[86:87], v[10:11], 0, 7
	v_and_b32_e32 v86, -8, v86
.LBB3_53:                               ;   in Loop: Header=BB3_47 Depth=1
	s_or_b64 exec, exec, s[24:25]
	v_mul_lo_u32 v2, v87, s71
	v_mul_lo_u32 v8, v86, s80
	v_mad_u64_u32 v[12:13], s[22:23], v86, s71, 0
	v_add3_u32 v13, v13, v8, v2
	v_sub_co_u32_e32 v8, vcc, v98, v12
	v_lshl_add_u64 v[100:101], v[48:49], 0, v[16:17]
	s_nop 0
	v_subb_co_u32_e32 v9, vcc, v99, v13, vcc
	v_cmp_lt_i64_e32 vcc, v[86:87], v[8:9]
	v_mov_b32_e32 v2, 0
	s_nop 0
	v_cndmask_b32_e32 v9, v8, v86, vcc
	v_max_i32_e32 v118, 0, v9
	v_add_u32_e32 v8, 31, v118
	v_ashrrev_i32_e32 v10, 31, v8
	v_lshrrev_b32_e32 v10, 27, v10
	v_add_u32_e32 v8, v8, v10
	v_ashrrev_i32_e32 v8, 5, v8
	v_lshlrev_b32_e32 v8, 4, v8
	v_cmp_lt_i32_e32 vcc, 0, v9
	v_max_i32_e32 v8, s81, v8
	s_and_b64 s[22:23], s[78:79], vcc
	v_mov_b32_e32 v10, 0
	s_and_saveexec_b64 s[24:25], s[22:23]
	s_cbranch_execz .LBB3_193
; %bb.54:                               ;   in Loop: Header=BB3_47 Depth=1
	s_mov_b32 s46, 1
	s_mov_b64 s[28:29], -1
	v_mov_b32_e32 v10, 0
	s_mov_b64 s[26:27], 0
	s_branch .LBB3_57
.LBB3_55:                               ;   in Loop: Header=BB3_57 Depth=2
	s_or_b64 exec, exec, s[40:41]
	v_lshl_add_u64 v[96:97], v[96:97], 0, 2
	flat_store_dwordx2 v[22:23], v[96:97] sc0 sc1
.LBB3_56:                               ;   in Loop: Header=BB3_57 Depth=2
	s_or_b64 exec, exec, s[22:23]
	v_add_u32_e32 v10, v8, v10
	v_cmp_ge_i32_e32 vcc, v10, v118
	s_xor_b64 s[22:23], s[28:29], -1
	s_or_b64 s[22:23], s[22:23], vcc
	s_and_b64 s[22:23], exec, s[22:23]
	s_or_b64 s[26:27], s[22:23], s[26:27]
	s_mov_b64 s[28:29], 0
	v_mov_b32_e32 v2, s46
	s_mov_b32 s46, 2
	s_andn2_b64 exec, exec, s[26:27]
	s_cbranch_execz .LBB3_192
.LBB3_57:                               ;   Parent Loop BB3_47 Depth=1
                                        ; =>  This Loop Header: Depth=2
                                        ;       Child Loop BB3_65 Depth 3
                                        ;       Child Loop BB3_89 Depth 3
	;; [unrolled: 1-line block ×9, first 2 shown]
	s_and_saveexec_b64 s[22:23], s[0:1]
	s_cbranch_execz .LBB3_59
; %bb.58:                               ;   in Loop: Header=BB3_57 Depth=2
	s_trap 2
	ds_read_b64 v[14:15], v0
	v_ashrrev_i32_e32 v11, 31, v10
	s_waitcnt lgkmcnt(0)
	v_lshl_add_u64 v[14:15], v[100:101], 1, v[14:15]
	v_lshl_add_u64 v[14:15], v[12:13], 1, v[14:15]
	;; [unrolled: 1-line block ×3, first 2 shown]
	ds_write_b64 v0, v[14:15]
	ds_write_b64 v0, v[92:93]
.LBB3_59:                               ;   in Loop: Header=BB3_57 Depth=2
	s_or_b64 exec, exec, s[22:23]
	v_sub_u32_e32 v2, v118, v10
	v_min_i32_e32 v8, v8, v2
	v_and_b32_e32 v2, 8, v58
	v_cmp_ne_u32_e32 vcc, 0, v2
	s_and_saveexec_b64 s[40:41], vcc
	s_cbranch_execz .LBB3_81
; %bb.60:                               ;   in Loop: Header=BB3_57 Depth=2
	s_waitcnt vmcnt(0) lgkmcnt(0)
	v_lshl_add_u64 v[102:103], v[34:35], 0, 8
	v_lshl_add_u64 v[14:15], v[96:97], 0, 2
	v_cmp_lt_u64_e32 vcc, v[102:103], v[14:15]
	s_and_saveexec_b64 s[90:91], vcc
	s_cbranch_execz .LBB3_72
; %bb.61:                               ;   in Loop: Header=BB3_57 Depth=2
	v_and_b32_e32 v2, 64, v58
	s_mov_b32 s89, 0
	v_cmp_eq_u32_e32 vcc, 0, v2
	s_mov_b64 s[92:93], 0
                                        ; implicit-def: $sgpr94_sgpr95
                                        ; implicit-def: $sgpr30_sgpr31
                                        ; implicit-def: $sgpr34_sgpr35
	s_branch .LBB3_65
.LBB3_62:                               ;   in Loop: Header=BB3_65 Depth=3
	s_waitcnt vmcnt(0) lgkmcnt(0)
	v_lshl_add_u64 v[102:103], v[34:35], 0, 8
	v_cmp_ge_u64_e64 s[22:23], v[102:103], v[14:15]
	s_or_b64 s[48:49], s[48:49], exec
	s_orn2_b64 s[38:39], s[22:23], exec
.LBB3_63:                               ;   in Loop: Header=BB3_65 Depth=3
	s_or_b64 exec, exec, s[52:53]
	s_andn2_b64 s[22:23], s[34:35], exec
	s_and_b64 s[34:35], s[48:49], exec
	s_or_b64 s[34:35], s[22:23], s[34:35]
	s_andn2_b64 s[22:23], s[30:31], exec
	s_and_b64 s[30:31], s[38:39], exec
	s_or_b64 s[30:31], s[22:23], s[30:31]
.LBB3_64:                               ;   in Loop: Header=BB3_65 Depth=3
	s_or_b64 exec, exec, s[36:37]
	s_and_b64 s[22:23], exec, s[30:31]
	s_or_b64 s[92:93], s[22:23], s[92:93]
	s_andn2_b64 s[22:23], s[94:95], exec
	s_and_b64 s[94:95], s[34:35], exec
	s_or_b64 s[94:95], s[22:23], s[94:95]
	s_andn2_b64 exec, exec, s[92:93]
	s_cbranch_execz .LBB3_69
.LBB3_65:                               ;   Parent Loop BB3_47 Depth=1
                                        ;     Parent Loop BB3_57 Depth=2
                                        ; =>    This Inner Loop Header: Depth=3
	s_sleep 1
	s_waitcnt vmcnt(0) lgkmcnt(0)
	flat_load_dwordx2 v[34:35], v[22:23] sc0 sc1
	s_or_b64 s[34:35], s[34:35], exec
	s_or_b64 s[30:31], s[30:31], exec
                                        ; implicit-def: $vgpr2
	s_and_saveexec_b64 s[36:37], vcc
	s_cbranch_execz .LBB3_64
; %bb.66:                               ;   in Loop: Header=BB3_65 Depth=3
	s_cmpk_lt_i32 s89, 0x270f
	s_cselect_b64 s[50:51], -1, 0
	s_cmpk_gt_i32 s89, 0x270e
	s_mov_b64 s[38:39], -1
	s_cbranch_scc0 .LBB3_68
; %bb.67:                               ;   in Loop: Header=BB3_65 Depth=3
	s_trap 2
	ds_read_b64 v[102:103], v0
	s_andn2_b64 s[50:51], s[50:51], exec
	s_mov_b32 s89, 0
	s_mov_b64 s[48:49], 0
	s_waitcnt vmcnt(0) lgkmcnt(0)
	flat_load_dword v2, v[102:103] sc0 sc1
	s_waitcnt vmcnt(0) lgkmcnt(0)
	buffer_inv sc0 sc1
	v_cmp_eq_u32_e64 s[22:23], 0, v2
	s_and_b64 s[22:23], s[22:23], exec
	s_or_b64 s[50:51], s[50:51], s[22:23]
	s_and_saveexec_b64 s[52:53], s[50:51]
	s_cbranch_execz .LBB3_63
	s_branch .LBB3_62
.LBB3_68:                               ;   in Loop: Header=BB3_65 Depth=3
	s_add_i32 s89, s89, 1
	s_mov_b64 s[48:49], -1
                                        ; implicit-def: $vgpr2
	s_and_saveexec_b64 s[52:53], s[50:51]
	s_cbranch_execz .LBB3_63
	s_branch .LBB3_62
.LBB3_69:                               ;   in Loop: Header=BB3_57 Depth=2
	s_or_b64 exec, exec, s[92:93]
	s_xor_b64 s[22:23], s[94:95], -1
	s_and_saveexec_b64 s[92:93], s[22:23]
	s_xor_b64 s[22:23], exec, s[92:93]
	s_cbranch_execz .LBB3_71
; %bb.70:                               ;   in Loop: Header=BB3_57 Depth=2
	v_or_b32_e32 v58, 64, v58
	s_waitcnt lgkmcnt(0)
	ds_write_b32 v0, v2
	s_trap 2
.LBB3_71:                               ;   in Loop: Header=BB3_57 Depth=2
	s_or_b64 exec, exec, s[22:23]
.LBB3_72:                               ;   in Loop: Header=BB3_57 Depth=2
	s_or_b64 exec, exec, s[90:91]
	v_and_b32_e32 v2, 0x100, v58
	v_cmp_ne_u32_e32 vcc, 0, v2
	v_and_b32_e32 v2, 7, v96
	s_mov_b64 s[22:23], -1
	;;#ASMSTART
	s_wakeup
	;;#ASMEND
                                        ; implicit-def: $vgpr96_vgpr97
	s_and_saveexec_b64 s[90:91], vcc
	s_cbranch_execz .LBB3_76
; %bb.73:                               ;   in Loop: Header=BB3_57 Depth=2
	v_mad_u64_u32 v[102:103], s[22:23], v2, 24, v[6:7]
	flat_load_dword v11, v[102:103]
	v_ashrrev_i32_e32 v9, 31, v8
	v_lshlrev_b64 v[96:97], 1, v[8:9]
	flat_store_dwordx2 v[102:103], v[96:97] offset:8
                                        ; implicit-def: $vgpr96_vgpr97
	s_waitcnt vmcnt(0) lgkmcnt(0)
	v_cmp_ne_u32_e32 vcc, 1, v11
	v_cmp_eq_u32_e64 s[22:23], 1, v11
	s_and_saveexec_b64 s[92:93], s[22:23]
	s_cbranch_execz .LBB3_75
; %bb.74:                               ;   in Loop: Header=BB3_57 Depth=2
	flat_load_dword v96, v[102:103] offset:4 sc0 sc1
	s_waitcnt vmcnt(0) lgkmcnt(0)
	v_ashrrev_i32_e32 v97, 31, v96
	v_lshrrev_b64 v[96:97], 1, v[96:97]
.LBB3_75:                               ;   in Loop: Header=BB3_57 Depth=2
	s_or_b64 exec, exec, s[92:93]
	s_orn2_b64 s[22:23], vcc, exec
.LBB3_76:                               ;   in Loop: Header=BB3_57 Depth=2
	s_or_b64 exec, exec, s[90:91]
	s_and_saveexec_b64 s[90:91], s[22:23]
; %bb.77:                               ;   in Loop: Header=BB3_57 Depth=2
	v_mad_i64_i32 v[96:97], s[22:23], v2, v24, 0
; %bb.78:                               ;   in Loop: Header=BB3_57 Depth=2
	s_or_b64 exec, exec, s[90:91]
	v_and_b32_e32 v2, 0x2000, v58
	v_lshl_add_u64 v[96:97], v[96:97], 1, v[26:27]
	v_cmp_ne_u32_e32 vcc, 0, v2
	ds_write_b64 v0, v[96:97] offset:784
	s_and_saveexec_b64 s[22:23], vcc
	s_cbranch_execz .LBB3_80
; %bb.79:                               ;   in Loop: Header=BB3_57 Depth=2
	ds_read_b64 v[96:97], v0 offset:872
	s_waitcnt lgkmcnt(0)
	v_lshl_add_u64 v[96:97], v[96:97], 0, 1
	ds_write_b64 v0, v[96:97] offset:872
.LBB3_80:                               ;   in Loop: Header=BB3_57 Depth=2
	s_or_b64 exec, exec, s[22:23]
	v_mov_b64_e32 v[96:97], v[14:15]
.LBB3_81:                               ;   in Loop: Header=BB3_57 Depth=2
	s_or_b64 exec, exec, s[40:41]
	s_and_saveexec_b64 s[22:23], s[4:5]
	s_cbranch_execz .LBB3_100
; %bb.82:                               ;   in Loop: Header=BB3_57 Depth=2
	s_and_saveexec_b64 s[40:41], s[56:57]
	s_xor_b64 s[40:41], exec, s[40:41]
	s_cbranch_execz .LBB3_97
; %bb.83:                               ;   in Loop: Header=BB3_57 Depth=2
	s_and_saveexec_b64 s[90:91], s[12:13]
	s_cbranch_execz .LBB3_96
; %bb.84:                               ;   in Loop: Header=BB3_57 Depth=2
	s_mov_b64 s[94:95], exec
	v_mbcnt_lo_u32_b32 v2, s94, 0
	v_mbcnt_hi_u32_b32 v2, s95, v2
	v_cmp_eq_u32_e32 vcc, 0, v2
	s_waitcnt lgkmcnt(0)
	s_and_saveexec_b64 s[92:93], vcc
	s_cbranch_execz .LBB3_86
; %bb.85:                               ;   in Loop: Header=BB3_57 Depth=2
	s_bcnt1_i32_b64 s89, s[94:95]
	v_mov_b32_e32 v2, s89
	ds_add_u64 v0, v[2:3]
	s_trap 2
.LBB3_86:                               ;   in Loop: Header=BB3_57 Depth=2
	s_or_b64 exec, exec, s[92:93]
	s_trap 2
	ds_read_b64 v[14:15], v0
	s_waitcnt lgkmcnt(0)
	v_lshl_add_u64 v[32:33], v[32:33], 0, v[36:37]
	v_cmp_lt_u64_e32 vcc, v[14:15], v[32:33]
	s_and_saveexec_b64 s[92:93], vcc
	s_cbranch_execz .LBB3_95
; %bb.87:                               ;   in Loop: Header=BB3_57 Depth=2
	s_mov_b32 s89, 0
	s_mov_b64 s[94:95], 0
                                        ; implicit-def: $sgpr30_sgpr31
                                        ; implicit-def: $sgpr34_sgpr35
	s_branch .LBB3_89
.LBB3_88:                               ;   in Loop: Header=BB3_89 Depth=3
	s_or_b64 exec, exec, s[38:39]
	s_and_b64 vcc, exec, vcc
	s_or_b64 s[94:95], vcc, s[94:95]
	s_andn2_b64 vcc, s[30:31], exec
	s_and_b64 s[30:31], s[34:35], exec
	s_or_b64 s[30:31], vcc, s[30:31]
	s_andn2_b64 exec, exec, s[94:95]
	s_cbranch_execz .LBB3_93
.LBB3_89:                               ;   Parent Loop BB3_47 Depth=1
                                        ;     Parent Loop BB3_57 Depth=2
                                        ; =>    This Inner Loop Header: Depth=3
	s_add_i32 s89, s89, 1
	s_cmpk_lg_i32 s89, 0x2710
	s_cselect_b64 s[36:37], -1, 0
	s_and_b64 vcc, exec, s[36:37]
	s_cbranch_vccz .LBB3_91
; %bb.90:                               ;   in Loop: Header=BB3_89 Depth=3
	s_mov_b64 vcc, -1
	s_or_b64 s[34:35], s[34:35], exec
	s_and_saveexec_b64 s[38:39], s[36:37]
	s_cbranch_execz .LBB3_88
	s_branch .LBB3_92
.LBB3_91:                               ;   in Loop: Header=BB3_89 Depth=3
	s_trap 2
	ds_read_b64 v[14:15], v0
	s_andn2_b64 s[36:37], s[36:37], exec
	s_mov_b32 s89, 0
	s_waitcnt vmcnt(0) lgkmcnt(0)
	flat_load_dword v2, v[14:15] sc0 sc1
	s_waitcnt vmcnt(0) lgkmcnt(0)
	buffer_inv sc0 sc1
	v_cmp_eq_u32_e32 vcc, 0, v2
	s_and_b64 vcc, vcc, exec
	s_or_b64 s[36:37], s[36:37], vcc
	s_mov_b64 vcc, -1
	s_or_b64 s[34:35], s[34:35], exec
	s_and_saveexec_b64 s[38:39], s[36:37]
	s_cbranch_execz .LBB3_88
.LBB3_92:                               ;   in Loop: Header=BB3_89 Depth=3
	s_sleep 1
	s_trap 2
	ds_read_b64 v[14:15], v0
	s_waitcnt lgkmcnt(0)
	s_andn2_b64 s[34:35], s[34:35], exec
	v_cmp_ge_u64_e32 vcc, v[14:15], v[32:33]
	s_orn2_b64 vcc, vcc, exec
	s_branch .LBB3_88
.LBB3_93:                               ;   in Loop: Header=BB3_57 Depth=2
	s_or_b64 exec, exec, s[94:95]
	s_and_saveexec_b64 s[94:95], s[30:31]
	s_xor_b64 s[94:95], exec, s[94:95]
	s_cbranch_execz .LBB3_95
; %bb.94:                               ;   in Loop: Header=BB3_57 Depth=2
	ds_write_b32 v0, v61
	s_trap 2
.LBB3_95:                               ;   in Loop: Header=BB3_57 Depth=2
	s_or_b64 exec, exec, s[92:93]
	;;#ASMSTART
	s_wakeup
	;;#ASMEND
.LBB3_96:                               ;   in Loop: Header=BB3_57 Depth=2
	s_or_b64 exec, exec, s[90:91]
.LBB3_97:                               ;   in Loop: Header=BB3_57 Depth=2
	s_andn2_saveexec_b64 s[40:41], s[40:41]
	s_cbranch_execz .LBB3_99
; %bb.98:                               ;   in Loop: Header=BB3_57 Depth=2
	s_waitcnt lgkmcnt(0)
	s_barrier
.LBB3_99:                               ;   in Loop: Header=BB3_57 Depth=2
	s_or_b64 exec, exec, s[40:41]
.LBB3_100:                              ;   in Loop: Header=BB3_57 Depth=2
	s_or_b64 exec, exec, s[22:23]
	s_trap 2
	ds_read_b32 v9, v0
	v_and_b32_e32 v2, 0x4000, v58
	v_cmp_ne_u32_e32 vcc, 0, v2
	s_xor_b64 s[22:23], s[2:3], -1
	s_and_b64 s[40:41], s[22:23], vcc
	s_and_saveexec_b64 s[22:23], s[40:41]
	s_cbranch_execz .LBB3_119
; %bb.101:                              ;   in Loop: Header=BB3_57 Depth=2
	s_and_saveexec_b64 s[40:41], s[56:57]
	s_xor_b64 s[40:41], exec, s[40:41]
	s_cbranch_execz .LBB3_116
; %bb.102:                              ;   in Loop: Header=BB3_57 Depth=2
	s_and_saveexec_b64 s[90:91], s[12:13]
	s_cbranch_execz .LBB3_115
; %bb.103:                              ;   in Loop: Header=BB3_57 Depth=2
	s_mov_b64 s[94:95], exec
	v_mbcnt_lo_u32_b32 v2, s94, 0
	v_mbcnt_hi_u32_b32 v2, s95, v2
	v_cmp_eq_u32_e32 vcc, 0, v2
	s_waitcnt lgkmcnt(0)
	s_and_saveexec_b64 s[92:93], vcc
	s_cbranch_execz .LBB3_105
; %bb.104:                              ;   in Loop: Header=BB3_57 Depth=2
	s_bcnt1_i32_b64 s89, s[94:95]
	v_mov_b32_e32 v2, s89
	ds_add_u64 v0, v[2:3]
	s_trap 2
.LBB3_105:                              ;   in Loop: Header=BB3_57 Depth=2
	s_or_b64 exec, exec, s[92:93]
	s_trap 2
	ds_read_b64 v[14:15], v0
	s_waitcnt lgkmcnt(0)
	v_lshl_add_u64 v[32:33], v[32:33], 0, v[36:37]
	v_cmp_lt_u64_e32 vcc, v[14:15], v[32:33]
	s_and_saveexec_b64 s[92:93], vcc
	s_cbranch_execz .LBB3_114
; %bb.106:                              ;   in Loop: Header=BB3_57 Depth=2
	s_mov_b32 s89, 0
	s_mov_b64 s[94:95], 0
                                        ; implicit-def: $sgpr30_sgpr31
                                        ; implicit-def: $sgpr34_sgpr35
	s_branch .LBB3_108
.LBB3_107:                              ;   in Loop: Header=BB3_108 Depth=3
	s_or_b64 exec, exec, s[38:39]
	s_and_b64 vcc, exec, vcc
	s_or_b64 s[94:95], vcc, s[94:95]
	s_andn2_b64 vcc, s[30:31], exec
	s_and_b64 s[30:31], s[34:35], exec
	s_or_b64 s[30:31], vcc, s[30:31]
	s_andn2_b64 exec, exec, s[94:95]
	s_cbranch_execz .LBB3_112
.LBB3_108:                              ;   Parent Loop BB3_47 Depth=1
                                        ;     Parent Loop BB3_57 Depth=2
                                        ; =>    This Inner Loop Header: Depth=3
	s_add_i32 s89, s89, 1
	s_cmpk_lg_i32 s89, 0x2710
	s_cselect_b64 s[36:37], -1, 0
	s_and_b64 vcc, exec, s[36:37]
	s_cbranch_vccz .LBB3_110
; %bb.109:                              ;   in Loop: Header=BB3_108 Depth=3
	s_mov_b64 vcc, -1
	s_or_b64 s[34:35], s[34:35], exec
	s_and_saveexec_b64 s[38:39], s[36:37]
	s_cbranch_execz .LBB3_107
	s_branch .LBB3_111
.LBB3_110:                              ;   in Loop: Header=BB3_108 Depth=3
	s_trap 2
	ds_read_b64 v[14:15], v0
	s_andn2_b64 s[36:37], s[36:37], exec
	s_mov_b32 s89, 0
	s_waitcnt vmcnt(0) lgkmcnt(0)
	flat_load_dword v2, v[14:15] sc0 sc1
	s_waitcnt vmcnt(0) lgkmcnt(0)
	buffer_inv sc0 sc1
	v_cmp_eq_u32_e32 vcc, 0, v2
	s_and_b64 vcc, vcc, exec
	s_or_b64 s[36:37], s[36:37], vcc
	s_mov_b64 vcc, -1
	s_or_b64 s[34:35], s[34:35], exec
	s_and_saveexec_b64 s[38:39], s[36:37]
	s_cbranch_execz .LBB3_107
.LBB3_111:                              ;   in Loop: Header=BB3_108 Depth=3
	s_sleep 1
	s_trap 2
	ds_read_b64 v[14:15], v0
	s_waitcnt lgkmcnt(0)
	s_andn2_b64 s[34:35], s[34:35], exec
	v_cmp_ge_u64_e32 vcc, v[14:15], v[32:33]
	s_orn2_b64 vcc, vcc, exec
	s_branch .LBB3_107
.LBB3_112:                              ;   in Loop: Header=BB3_57 Depth=2
	s_or_b64 exec, exec, s[94:95]
	s_and_saveexec_b64 s[94:95], s[30:31]
	s_xor_b64 s[94:95], exec, s[94:95]
	s_cbranch_execz .LBB3_114
; %bb.113:                              ;   in Loop: Header=BB3_57 Depth=2
	ds_write_b32 v0, v61
	s_trap 2
.LBB3_114:                              ;   in Loop: Header=BB3_57 Depth=2
	s_or_b64 exec, exec, s[92:93]
	;;#ASMSTART
	s_wakeup
	;;#ASMEND
.LBB3_115:                              ;   in Loop: Header=BB3_57 Depth=2
	s_or_b64 exec, exec, s[90:91]
.LBB3_116:                              ;   in Loop: Header=BB3_57 Depth=2
	s_andn2_saveexec_b64 s[40:41], s[40:41]
	s_cbranch_execz .LBB3_118
; %bb.117:                              ;   in Loop: Header=BB3_57 Depth=2
	s_waitcnt lgkmcnt(0)
	s_barrier
.LBB3_118:                              ;   in Loop: Header=BB3_57 Depth=2
	s_or_b64 exec, exec, s[40:41]
.LBB3_119:                              ;   in Loop: Header=BB3_57 Depth=2
	s_or_b64 exec, exec, s[22:23]
	s_trap 2
	ds_read_b64 v[14:15], v0
	s_waitcnt lgkmcnt(0)
	v_cmp_eq_u64_e32 vcc, 0, v[14:15]
	s_cbranch_vccnz .LBB3_127
; %bb.120:                              ;   in Loop: Header=BB3_57 Depth=2
	s_trap 2
	ds_read_b64 v[102:103], v0
	s_waitcnt lgkmcnt(0)
	v_cmp_eq_u64_e32 vcc, 0, v[102:103]
	s_cbranch_vccnz .LBB3_127
; %bb.121:                              ;   in Loop: Header=BB3_57 Depth=2
	s_mov_b64 s[22:23], -1
	s_and_saveexec_b64 s[40:41], s[14:15]
	s_cbranch_execz .LBB3_123
; %bb.122:                              ;   in Loop: Header=BB3_57 Depth=2
	ds_read_b32 v2, v0 offset:720
	s_waitcnt lgkmcnt(0)
	v_and_b32_e32 v2, 15, v2
	v_cmp_eq_u32_e32 vcc, 0, v2
	s_orn2_b64 s[22:23], vcc, exec
.LBB3_123:                              ;   in Loop: Header=BB3_57 Depth=2
	s_or_b64 exec, exec, s[40:41]
	s_and_saveexec_b64 s[40:41], s[16:17]
	s_cbranch_execz .LBB3_125
; %bb.124:                              ;   in Loop: Header=BB3_57 Depth=2
	ds_read_b32 v2, v0 offset:784
	s_waitcnt lgkmcnt(0)
	v_and_b32_e32 v2, 15, v2
	v_cmp_eq_u32_e32 vcc, 0, v2
	s_and_b64 s[90:91], s[22:23], vcc
	s_andn2_b64 s[22:23], s[22:23], exec
	s_and_b64 s[90:91], s[90:91], exec
	s_or_b64 s[22:23], s[22:23], s[90:91]
.LBB3_125:                              ;   in Loop: Header=BB3_57 Depth=2
	s_or_b64 exec, exec, s[40:41]
	v_cmp_eq_u32_e32 vcc, 0, v9
	s_xor_b64 s[22:23], s[22:23], -1
	v_cndmask_b32_e64 v11, 0, 1, s[22:23]
	v_cndmask_b32_e32 v2, 0, v8, vcc
	v_lshlrev_b32_e32 v9, 1, v2
	s_mov_b64 s[90:91], -1
	v_cmp_ne_u32_e32 vcc, 0, v11
	v_mov_b32_e32 v11, 0
	s_cbranch_vccz .LBB3_128
; %bb.126:                              ;   in Loop: Header=BB3_57 Depth=2
	v_mov_b32_e32 v119, v0
	s_and_saveexec_b64 s[22:23], s[90:91]
	s_cbranch_execnz .LBB3_139
	s_branch .LBB3_147
.LBB3_127:                              ;   in Loop: Header=BB3_57 Depth=2
	s_mov_b64 s[22:23], 0
	s_and_saveexec_b64 s[40:41], s[4:5]
	s_cbranch_execnz .LBB3_148
	s_branch .LBB3_166
.LBB3_128:                              ;   in Loop: Header=BB3_57 Depth=2
	v_ashrrev_i32_e32 v11, 31, v9
	v_lshrrev_b32_e32 v11, 21, v11
	v_add_u32_e32 v11, v9, v11
	v_ashrrev_i32_e32 v11, 11, v11
	v_sub_u32_e32 v115, v11, v60
	v_cmp_lt_i32_e32 vcc, 0, v115
	s_and_saveexec_b64 s[22:23], vcc
	s_cbranch_execz .LBB3_132
; %bb.129:                              ;   in Loop: Header=BB3_57 Depth=2
	s_mov_b64 s[40:41], 0
	v_mov_b64_e32 v[112:113], v[68:69]
.LBB3_130:                              ;   Parent Loop BB3_47 Depth=1
                                        ;     Parent Loop BB3_57 Depth=2
                                        ; =>    This Inner Loop Header: Depth=3
	v_lshl_add_u64 v[116:117], v[14:15], 0, v[112:113]
	global_load_dwordx4 v[40:43], v[116:117], off nt
	global_load_dwordx4 v[44:47], v[116:117], off offset:1024 nt
	v_sub_u32_e32 v115, v115, v36
	v_cmp_gt_i32_e32 vcc, 1, v115
	v_lshl_add_u64 v[116:117], v[102:103], 0, v[112:113]
	v_lshl_add_u64 v[112:113], v[112:113], 0, v[52:53]
	s_or_b64 s[40:41], vcc, s[40:41]
	s_waitcnt vmcnt(0)
	global_store_dwordx4 v[116:117], v[40:43], off
	global_store_dwordx4 v[116:117], v[44:47], off offset:1024
	s_andn2_b64 exec, exec, s[40:41]
	s_cbranch_execnz .LBB3_130
; %bb.131:                              ;   in Loop: Header=BB3_57 Depth=2
	s_or_b64 exec, exec, s[40:41]
.LBB3_132:                              ;   in Loop: Header=BB3_57 Depth=2
	s_or_b64 exec, exec, s[22:23]
	v_lshlrev_b32_e32 v114, 11, v11
	v_cmp_ne_u32_e32 vcc, v9, v114
	s_mov_b64 s[90:91], 0
	v_mov_b32_e32 v11, 0
                                        ; implicit-def: $vgpr119
	s_and_saveexec_b64 s[40:41], vcc
	s_cbranch_execz .LBB3_138
; %bb.133:                              ;   in Loop: Header=BB3_57 Depth=2
	v_lshlrev_b32_e32 v11, 6, v115
	v_sub_u32_e32 v11, v59, v11
	v_ashrrev_i32_e32 v112, 31, v11
	v_lshrrev_b32_e32 v112, 26, v112
	v_add_u32_e32 v112, v11, v112
	v_ashrrev_i32_e32 v117, 6, v112
	v_and_b32_e32 v112, 0xffffffc0, v112
	v_sub_u32_e32 v115, v11, v112
	v_sub_u32_e32 v113, v9, v114
	v_lshlrev_b32_e32 v11, 4, v115
	v_lshl_add_u32 v112, v117, 10, v11
	v_ashrrev_i32_e32 v11, 31, v113
	v_lshrrev_b32_e32 v11, 22, v11
	v_add_u32_e32 v11, v113, v11
	v_ashrrev_i32_e32 v40, 10, v11
	v_and_b32_e32 v11, 0xfffffc00, v11
	v_sub_u32_e32 v116, v113, v11
	v_cmp_lt_i32_e32 vcc, 15, v116
	v_sub_u32_e32 v119, v113, v112
	s_nop 0
	v_addc_co_u32_e64 v113, s[22:23], 0, v40, vcc
	v_sub_u32_e32 v117, v113, v117
	v_cmp_lt_i32_e64 s[22:23], 15, v119
	s_and_saveexec_b64 s[90:91], s[22:23]
	s_cbranch_execz .LBB3_137
; %bb.134:                              ;   in Loop: Header=BB3_57 Depth=2
	v_add_u32_e32 v112, v112, v114
	v_ashrrev_i32_e32 v113, 31, v112
	s_mov_b64 s[92:93], 0
.LBB3_135:                              ;   Parent Loop BB3_47 Depth=1
                                        ;     Parent Loop BB3_57 Depth=2
                                        ; =>    This Inner Loop Header: Depth=3
	v_lshl_add_u64 v[40:41], v[14:15], 0, v[112:113]
	global_load_dwordx4 v[40:43], v[40:41], off nt
	v_sub_u32_e32 v119, v119, v54
	v_cmp_gt_i32_e64 s[22:23], 16, v119
	v_lshl_add_u64 v[44:45], v[102:103], 0, v[112:113]
	v_sub_u32_e32 v117, v117, v36
	v_lshl_add_u64 v[112:113], v[112:113], 0, v[54:55]
	s_or_b64 s[92:93], s[22:23], s[92:93]
	s_waitcnt vmcnt(0)
	global_store_dwordx4 v[44:45], v[40:43], off
	s_andn2_b64 exec, exec, s[92:93]
	s_cbranch_execnz .LBB3_135
; %bb.136:                              ;   in Loop: Header=BB3_57 Depth=2
	s_or_b64 exec, exec, s[92:93]
.LBB3_137:                              ;   in Loop: Header=BB3_57 Depth=2
	s_or_b64 exec, exec, s[90:91]
	v_and_b32_e32 v9, 14, v9
	v_sub_u32_e32 v112, v116, v9
	v_cndmask_b32_e32 v112, 0, v112, vcc
	v_cndmask_b32_e32 v9, v116, v9, vcc
	v_cmp_lt_i32_e32 vcc, 0, v117
	v_add3_u32 v11, v11, v114, v112
	s_nop 0
	v_cndmask_b32_e32 v112, 0, v36, vcc
	v_sub_u32_e32 v112, v112, v117
	v_cmp_ne_u32_e32 vcc, 0, v9
	v_lshl_add_u32 v119, v112, 6, v115
	s_and_b64 s[90:91], vcc, exec
.LBB3_138:                              ;   in Loop: Header=BB3_57 Depth=2
	s_or_b64 exec, exec, s[40:41]
	s_and_saveexec_b64 s[22:23], s[90:91]
	s_cbranch_execz .LBB3_147
.LBB3_139:                              ;   in Loop: Header=BB3_57 Depth=2
	v_ashrrev_i32_e32 v112, 31, v119
	v_ashrrev_i32_e32 v113, 31, v9
	v_lshrrev_b32_e32 v112, 26, v112
	v_lshrrev_b32_e32 v113, 23, v113
	v_add_u32_e32 v112, v119, v112
	v_add_u32_e32 v113, v9, v113
	v_ashrrev_i32_e32 v40, 6, v112
	v_ashrrev_i32_e32 v42, 9, v113
	v_sub_u32_e32 v41, v42, v40
	v_cmp_lt_i32_e32 vcc, 0, v41
	s_and_saveexec_b64 s[40:41], vcc
	s_cbranch_execz .LBB3_143
; %bb.140:                              ;   in Loop: Header=BB3_57 Depth=2
	v_and_b32_e32 v112, 0x7fffffc0, v112
	v_sub_u32_e32 v112, v119, v112
	v_lshlrev_b32_e32 v112, 1, v112
	v_lshlrev_b32_e32 v113, 9, v40
	v_add3_u32 v112, v112, v11, v113
	v_ashrrev_i32_e32 v113, 31, v112
	s_mov_b64 s[90:91], 0
	v_mov_b64_e32 v[114:115], v[102:103]
	v_mov_b64_e32 v[116:117], v[14:15]
.LBB3_141:                              ;   Parent Loop BB3_47 Depth=1
                                        ;     Parent Loop BB3_57 Depth=2
                                        ; =>    This Inner Loop Header: Depth=3
	v_lshl_add_u64 v[44:45], v[112:113], 0, v[116:117]
	flat_load_ushort v43, v[44:45] nt
	flat_load_ushort v46, v[44:45] offset:128 nt
	flat_load_ushort v47, v[44:45] offset:256 nt
	;; [unrolled: 1-line block ×3, first 2 shown]
	v_sub_u32_e32 v41, v41, v36
	v_cmp_gt_i32_e32 vcc, 1, v41
	v_lshl_add_u64 v[44:45], v[112:113], 0, v[114:115]
	v_lshl_add_u64 v[116:117], v[116:117], 0, v[64:65]
	;; [unrolled: 1-line block ×3, first 2 shown]
	s_or_b64 s[90:91], vcc, s[90:91]
	s_waitcnt vmcnt(0) lgkmcnt(0)
	flat_store_short v[44:45], v43 nt
	flat_store_short v[44:45], v46 offset:128 nt
	flat_store_short v[44:45], v47 offset:256 nt
	;; [unrolled: 1-line block ×3, first 2 shown]
	s_andn2_b64 exec, exec, s[90:91]
	s_cbranch_execnz .LBB3_141
; %bb.142:                              ;   in Loop: Header=BB3_57 Depth=2
	s_or_b64 exec, exec, s[90:91]
.LBB3_143:                              ;   in Loop: Header=BB3_57 Depth=2
	s_or_b64 exec, exec, s[40:41]
	v_lshlrev_b32_e32 v112, 9, v42
	v_cmp_ne_u32_e32 vcc, v9, v112
	s_and_b64 exec, exec, vcc
	s_cbranch_execz .LBB3_147
; %bb.144:                              ;   in Loop: Header=BB3_57 Depth=2
	v_lshlrev_b32_e32 v113, 6, v40
	v_sub_u32_e32 v113, v119, v113
	v_lshlrev_b32_e32 v114, 6, v41
	v_sub_u32_e32 v113, v113, v114
	v_ashrrev_i32_e32 v114, 31, v113
	v_lshrrev_b32_e32 v114, 26, v114
	v_add_u32_e32 v114, v113, v114
	v_and_b32_e32 v115, 0x7fffffc0, v114
	v_sub_u32_e32 v113, v113, v115
	v_lshlrev_b32_e32 v114, 1, v114
	v_and_b32_e32 v114, 0xffffff80, v114
	v_lshlrev_b32_e32 v113, 1, v113
	v_add3_u32 v112, v114, v113, v112
	v_sub_u32_e32 v9, v9, v112
	v_cmp_lt_i32_e32 vcc, 1, v9
	s_and_b64 exec, exec, vcc
	s_cbranch_execz .LBB3_147
; %bb.145:                              ;   in Loop: Header=BB3_57 Depth=2
	v_add_u32_e32 v112, v112, v11
	v_ashrrev_i32_e32 v113, 31, v112
	s_mov_b64 s[40:41], 0
.LBB3_146:                              ;   Parent Loop BB3_47 Depth=1
                                        ;     Parent Loop BB3_57 Depth=2
                                        ; =>    This Inner Loop Header: Depth=3
	v_lshl_add_u64 v[114:115], v[14:15], 0, v[112:113]
	flat_load_ushort v11, v[114:115] nt
	v_sub_u32_e32 v9, v9, v66
	v_cmp_gt_i32_e32 vcc, 2, v9
	v_lshl_add_u64 v[114:115], v[102:103], 0, v[112:113]
	v_lshl_add_u64 v[112:113], v[112:113], 0, v[66:67]
	s_or_b64 s[40:41], vcc, s[40:41]
	s_waitcnt vmcnt(0) lgkmcnt(0)
	flat_store_short v[114:115], v11 nt
	s_andn2_b64 exec, exec, s[40:41]
	s_cbranch_execnz .LBB3_146
.LBB3_147:                              ;   in Loop: Header=BB3_57 Depth=2
	s_or_b64 exec, exec, s[22:23]
	v_cmp_lt_i32_e64 s[22:23], 0, v2
	s_and_saveexec_b64 s[40:41], s[4:5]
	s_cbranch_execz .LBB3_166
.LBB3_148:                              ;   in Loop: Header=BB3_57 Depth=2
	s_and_saveexec_b64 s[90:91], s[56:57]
	s_xor_b64 s[90:91], exec, s[90:91]
	s_cbranch_execz .LBB3_163
; %bb.149:                              ;   in Loop: Header=BB3_57 Depth=2
	s_and_saveexec_b64 s[92:93], s[12:13]
	s_cbranch_execz .LBB3_162
; %bb.150:                              ;   in Loop: Header=BB3_57 Depth=2
	s_mov_b64 s[30:31], exec
	v_mbcnt_lo_u32_b32 v2, s30, 0
	v_mbcnt_hi_u32_b32 v2, s31, v2
	v_cmp_eq_u32_e32 vcc, 0, v2
	s_waitcnt lgkmcnt(0)
	s_and_saveexec_b64 s[94:95], vcc
	s_cbranch_execz .LBB3_152
; %bb.151:                              ;   in Loop: Header=BB3_57 Depth=2
	s_bcnt1_i32_b64 s89, s[30:31]
	v_mov_b32_e32 v2, s89
	ds_add_u64 v0, v[2:3]
	s_trap 2
.LBB3_152:                              ;   in Loop: Header=BB3_57 Depth=2
	s_or_b64 exec, exec, s[94:95]
	s_trap 2
	ds_read_b64 v[14:15], v0
	s_waitcnt lgkmcnt(0)
	v_lshl_add_u64 v[32:33], v[32:33], 0, v[36:37]
	v_cmp_lt_u64_e32 vcc, v[14:15], v[32:33]
	s_and_saveexec_b64 s[94:95], vcc
	s_cbranch_execz .LBB3_161
; %bb.153:                              ;   in Loop: Header=BB3_57 Depth=2
	s_mov_b32 s89, 0
	s_mov_b64 s[30:31], 0
                                        ; implicit-def: $sgpr34_sgpr35
                                        ; implicit-def: $sgpr36_sgpr37
	s_branch .LBB3_155
.LBB3_154:                              ;   in Loop: Header=BB3_155 Depth=3
	s_or_b64 exec, exec, s[48:49]
	s_and_b64 vcc, exec, vcc
	s_or_b64 s[30:31], vcc, s[30:31]
	s_andn2_b64 vcc, s[34:35], exec
	s_and_b64 s[34:35], s[36:37], exec
	s_or_b64 s[34:35], vcc, s[34:35]
	s_andn2_b64 exec, exec, s[30:31]
	s_cbranch_execz .LBB3_159
.LBB3_155:                              ;   Parent Loop BB3_47 Depth=1
                                        ;     Parent Loop BB3_57 Depth=2
                                        ; =>    This Inner Loop Header: Depth=3
	s_add_i32 s89, s89, 1
	s_cmpk_lg_i32 s89, 0x2710
	s_cselect_b64 s[38:39], -1, 0
	s_and_b64 vcc, exec, s[38:39]
	s_cbranch_vccz .LBB3_157
; %bb.156:                              ;   in Loop: Header=BB3_155 Depth=3
	s_mov_b64 vcc, -1
	s_or_b64 s[36:37], s[36:37], exec
	s_and_saveexec_b64 s[48:49], s[38:39]
	s_cbranch_execz .LBB3_154
	s_branch .LBB3_158
.LBB3_157:                              ;   in Loop: Header=BB3_155 Depth=3
	s_trap 2
	ds_read_b64 v[14:15], v0
	s_andn2_b64 s[38:39], s[38:39], exec
	s_mov_b32 s89, 0
	s_waitcnt vmcnt(0) lgkmcnt(0)
	flat_load_dword v2, v[14:15] sc0 sc1
	s_waitcnt vmcnt(0) lgkmcnt(0)
	buffer_inv sc0 sc1
	v_cmp_eq_u32_e32 vcc, 0, v2
	s_and_b64 vcc, vcc, exec
	s_or_b64 s[38:39], s[38:39], vcc
	s_mov_b64 vcc, -1
	s_or_b64 s[36:37], s[36:37], exec
	s_and_saveexec_b64 s[48:49], s[38:39]
	s_cbranch_execz .LBB3_154
.LBB3_158:                              ;   in Loop: Header=BB3_155 Depth=3
	s_sleep 1
	s_trap 2
	ds_read_b64 v[14:15], v0
	s_waitcnt lgkmcnt(0)
	s_andn2_b64 s[36:37], s[36:37], exec
	v_cmp_ge_u64_e32 vcc, v[14:15], v[32:33]
	s_orn2_b64 vcc, vcc, exec
	s_branch .LBB3_154
.LBB3_159:                              ;   in Loop: Header=BB3_57 Depth=2
	s_or_b64 exec, exec, s[30:31]
	s_and_saveexec_b64 vcc, s[34:35]
	s_xor_b64 vcc, exec, vcc
	s_cbranch_execz .LBB3_161
; %bb.160:                              ;   in Loop: Header=BB3_57 Depth=2
	ds_write_b32 v0, v61
	s_trap 2
.LBB3_161:                              ;   in Loop: Header=BB3_57 Depth=2
	s_or_b64 exec, exec, s[94:95]
	;;#ASMSTART
	s_wakeup
	;;#ASMEND
.LBB3_162:                              ;   in Loop: Header=BB3_57 Depth=2
	s_or_b64 exec, exec, s[92:93]
.LBB3_163:                              ;   in Loop: Header=BB3_57 Depth=2
	s_andn2_saveexec_b64 s[90:91], s[90:91]
	s_cbranch_execz .LBB3_165
; %bb.164:                              ;   in Loop: Header=BB3_57 Depth=2
	s_waitcnt lgkmcnt(0)
	s_barrier
.LBB3_165:                              ;   in Loop: Header=BB3_57 Depth=2
	s_or_b64 exec, exec, s[90:91]
.LBB3_166:                              ;   in Loop: Header=BB3_57 Depth=2
	s_or_b64 exec, exec, s[40:41]
	v_and_b32_e32 v9, 16, v58
	s_and_saveexec_b64 s[40:41], s[20:21]
	s_xor_b64 s[40:41], exec, s[40:41]
	s_cbranch_execz .LBB3_171
; %bb.167:                              ;   in Loop: Header=BB3_57 Depth=2
	v_and_b32_e32 v2, 16, v58
	v_cmp_ne_u32_e32 vcc, 0, v2
	v_and_b32_e32 v9, 16, v58
	s_and_b64 s[90:91], vcc, s[22:23]
	s_and_saveexec_b64 s[22:23], s[90:91]
	s_cbranch_execz .LBB3_169
; %bb.168:                              ;   in Loop: Header=BB3_57 Depth=2
	v_mov_b32_e32 v9, 1
	buffer_wbl2 sc1
	s_waitcnt vmcnt(0) lgkmcnt(0)
	buffer_inv sc1
.LBB3_169:                              ;   in Loop: Header=BB3_57 Depth=2
	s_or_b64 exec, exec, s[22:23]
	s_andn2_saveexec_b64 s[22:23], s[40:41]
	s_cbranch_execnz .LBB3_172
.LBB3_170:                              ;   in Loop: Header=BB3_57 Depth=2
	s_or_b64 exec, exec, s[22:23]
	v_cmp_ne_u32_e32 vcc, 0, v9
	s_and_saveexec_b64 s[22:23], vcc
	s_cbranch_execz .LBB3_56
	s_branch .LBB3_190
.LBB3_171:                              ;   in Loop: Header=BB3_57 Depth=2
	s_andn2_saveexec_b64 s[22:23], s[40:41]
	s_cbranch_execz .LBB3_170
.LBB3_172:                              ;   in Loop: Header=BB3_57 Depth=2
	s_and_saveexec_b64 s[40:41], s[56:57]
	s_xor_b64 s[40:41], exec, s[40:41]
	s_cbranch_execz .LBB3_187
; %bb.173:                              ;   in Loop: Header=BB3_57 Depth=2
	s_and_saveexec_b64 s[90:91], s[12:13]
	s_cbranch_execz .LBB3_186
; %bb.174:                              ;   in Loop: Header=BB3_57 Depth=2
	s_mov_b64 s[94:95], exec
	v_mbcnt_lo_u32_b32 v2, s94, 0
	v_mbcnt_hi_u32_b32 v2, s95, v2
	v_cmp_eq_u32_e32 vcc, 0, v2
	;;#ASMSTART
	s_waitcnt lgkmcnt(0) vmcnt(0)
	;;#ASMEND
	s_and_saveexec_b64 s[92:93], vcc
	s_cbranch_execz .LBB3_176
; %bb.175:                              ;   in Loop: Header=BB3_57 Depth=2
	s_bcnt1_i32_b64 s89, s[94:95]
	v_mov_b32_e32 v2, s89
	s_waitcnt lgkmcnt(0)
	ds_add_u64 v0, v[2:3]
	s_trap 2
.LBB3_176:                              ;   in Loop: Header=BB3_57 Depth=2
	s_or_b64 exec, exec, s[92:93]
	s_trap 2
	ds_read_b64 v[14:15], v0
	s_waitcnt lgkmcnt(0)
	v_lshl_add_u64 v[32:33], v[32:33], 0, v[36:37]
	v_cmp_lt_u64_e32 vcc, v[14:15], v[32:33]
	s_and_saveexec_b64 s[92:93], vcc
	s_cbranch_execz .LBB3_185
; %bb.177:                              ;   in Loop: Header=BB3_57 Depth=2
	s_mov_b32 s89, 0
	s_mov_b64 s[94:95], 0
                                        ; implicit-def: $sgpr30_sgpr31
                                        ; implicit-def: $sgpr34_sgpr35
	s_branch .LBB3_179
.LBB3_178:                              ;   in Loop: Header=BB3_179 Depth=3
	s_or_b64 exec, exec, s[38:39]
	s_and_b64 vcc, exec, vcc
	s_or_b64 s[94:95], vcc, s[94:95]
	s_andn2_b64 vcc, s[30:31], exec
	s_and_b64 s[30:31], s[34:35], exec
	s_or_b64 s[30:31], vcc, s[30:31]
	s_andn2_b64 exec, exec, s[94:95]
	s_cbranch_execz .LBB3_183
.LBB3_179:                              ;   Parent Loop BB3_47 Depth=1
                                        ;     Parent Loop BB3_57 Depth=2
                                        ; =>    This Inner Loop Header: Depth=3
	s_add_i32 s89, s89, 1
	s_cmpk_lg_i32 s89, 0x2710
	s_cselect_b64 s[36:37], -1, 0
	s_and_b64 vcc, exec, s[36:37]
	s_cbranch_vccz .LBB3_181
; %bb.180:                              ;   in Loop: Header=BB3_179 Depth=3
	s_mov_b64 vcc, -1
	s_or_b64 s[34:35], s[34:35], exec
	s_and_saveexec_b64 s[38:39], s[36:37]
	s_cbranch_execz .LBB3_178
	s_branch .LBB3_182
.LBB3_181:                              ;   in Loop: Header=BB3_179 Depth=3
	s_trap 2
	ds_read_b64 v[14:15], v0
	s_andn2_b64 s[36:37], s[36:37], exec
	s_mov_b32 s89, 0
	s_waitcnt vmcnt(0) lgkmcnt(0)
	flat_load_dword v2, v[14:15] sc0 sc1
	s_waitcnt vmcnt(0) lgkmcnt(0)
	buffer_inv sc0 sc1
	v_cmp_eq_u32_e32 vcc, 0, v2
	s_and_b64 vcc, vcc, exec
	s_or_b64 s[36:37], s[36:37], vcc
	s_mov_b64 vcc, -1
	s_or_b64 s[34:35], s[34:35], exec
	s_and_saveexec_b64 s[38:39], s[36:37]
	s_cbranch_execz .LBB3_178
.LBB3_182:                              ;   in Loop: Header=BB3_179 Depth=3
	s_sleep 1
	s_trap 2
	ds_read_b64 v[14:15], v0
	s_waitcnt lgkmcnt(0)
	s_andn2_b64 s[34:35], s[34:35], exec
	v_cmp_ge_u64_e32 vcc, v[14:15], v[32:33]
	s_orn2_b64 vcc, vcc, exec
	s_branch .LBB3_178
.LBB3_183:                              ;   in Loop: Header=BB3_57 Depth=2
	s_or_b64 exec, exec, s[94:95]
	s_and_saveexec_b64 s[94:95], s[30:31]
	s_xor_b64 s[94:95], exec, s[94:95]
	s_cbranch_execz .LBB3_185
; %bb.184:                              ;   in Loop: Header=BB3_57 Depth=2
	ds_write_b32 v0, v61
	s_trap 2
.LBB3_185:                              ;   in Loop: Header=BB3_57 Depth=2
	s_or_b64 exec, exec, s[92:93]
	;;#ASMSTART
	s_wakeup
	;;#ASMEND
.LBB3_186:                              ;   in Loop: Header=BB3_57 Depth=2
	s_or_b64 exec, exec, s[90:91]
.LBB3_187:                              ;   in Loop: Header=BB3_57 Depth=2
	s_andn2_saveexec_b64 s[40:41], s[40:41]
	s_cbranch_execz .LBB3_189
; %bb.188:                              ;   in Loop: Header=BB3_57 Depth=2
	;;#ASMSTART
	s_waitcnt lgkmcnt(0) vmcnt(0)
	;;#ASMEND
	s_barrier
.LBB3_189:                              ;   in Loop: Header=BB3_57 Depth=2
	s_or_b64 exec, exec, s[40:41]
	s_or_b64 exec, exec, s[22:23]
	v_cmp_ne_u32_e32 vcc, 0, v9
	s_and_saveexec_b64 s[22:23], vcc
	s_cbranch_execz .LBB3_56
.LBB3_190:                              ;   in Loop: Header=BB3_57 Depth=2
	s_and_saveexec_b64 s[40:41], s[10:11]
	s_cbranch_execz .LBB3_55
; %bb.191:                              ;   in Loop: Header=BB3_57 Depth=2
	flat_store_dword v[28:29], v61 sc0 sc1
	s_branch .LBB3_55
.LBB3_192:                              ;   in Loop: Header=BB3_47 Depth=1
	s_or_b64 exec, exec, s[26:27]
.LBB3_193:                              ;   in Loop: Header=BB3_47 Depth=1
	s_or_b64 exec, exec, s[24:25]
	v_cmp_gt_i32_e32 vcc, 2, v2
	s_and_saveexec_b64 s[24:25], vcc
	s_cbranch_execz .LBB3_265
; %bb.194:                              ;   in Loop: Header=BB3_47 Depth=1
	v_cmp_eq_u32_e64 s[28:29], 0, v2
	s_mov_b64 s[26:27], 0
	s_branch .LBB3_197
.LBB3_195:                              ;   in Loop: Header=BB3_197 Depth=2
	s_or_b64 exec, exec, s[28:29]
	v_lshl_add_u64 v[96:97], v[96:97], 0, 2
	flat_store_dwordx2 v[22:23], v[96:97] sc0 sc1
.LBB3_196:                              ;   in Loop: Header=BB3_197 Depth=2
	s_or_b64 exec, exec, s[22:23]
	v_add_u32_e32 v10, v8, v10
	s_mov_b64 s[28:29], 0
	s_andn2_b64 exec, exec, s[26:27]
	s_cbranch_execz .LBB3_264
.LBB3_197:                              ;   Parent Loop BB3_47 Depth=1
                                        ; =>  This Loop Header: Depth=2
                                        ;       Child Loop BB3_203 Depth 3
                                        ;       Child Loop BB3_227 Depth 3
	;; [unrolled: 1-line block ×3, first 2 shown]
	v_sub_u32_e32 v2, v118, v10
	v_min_i32_e32 v8, v8, v2
	v_and_b32_e32 v2, 8, v58
	v_cmp_ne_u32_e32 vcc, 0, v2
	s_and_saveexec_b64 s[40:41], vcc
	s_cbranch_execz .LBB3_219
; %bb.198:                              ;   in Loop: Header=BB3_197 Depth=2
	s_waitcnt vmcnt(0) lgkmcnt(0)
	v_lshl_add_u64 v[14:15], v[34:35], 0, 8
	v_lshl_add_u64 v[12:13], v[96:97], 0, 2
	v_cmp_lt_u64_e32 vcc, v[14:15], v[12:13]
	s_and_saveexec_b64 s[90:91], vcc
	s_cbranch_execz .LBB3_210
; %bb.199:                              ;   in Loop: Header=BB3_197 Depth=2
	v_and_b32_e32 v2, 64, v58
	s_mov_b32 s46, 0
	v_cmp_eq_u32_e32 vcc, 0, v2
	s_mov_b64 s[92:93], 0
                                        ; implicit-def: $sgpr94_sgpr95
                                        ; implicit-def: $sgpr30_sgpr31
                                        ; implicit-def: $sgpr34_sgpr35
	s_branch .LBB3_203
.LBB3_200:                              ;   in Loop: Header=BB3_203 Depth=3
	s_waitcnt vmcnt(0) lgkmcnt(0)
	v_lshl_add_u64 v[14:15], v[34:35], 0, 8
	v_cmp_ge_u64_e64 s[22:23], v[14:15], v[12:13]
	s_or_b64 s[48:49], s[48:49], exec
	s_orn2_b64 s[38:39], s[22:23], exec
.LBB3_201:                              ;   in Loop: Header=BB3_203 Depth=3
	s_or_b64 exec, exec, s[52:53]
	s_andn2_b64 s[22:23], s[34:35], exec
	s_and_b64 s[34:35], s[48:49], exec
	s_or_b64 s[34:35], s[22:23], s[34:35]
	s_andn2_b64 s[22:23], s[30:31], exec
	s_and_b64 s[30:31], s[38:39], exec
	s_or_b64 s[30:31], s[22:23], s[30:31]
.LBB3_202:                              ;   in Loop: Header=BB3_203 Depth=3
	s_or_b64 exec, exec, s[36:37]
	s_and_b64 s[22:23], exec, s[30:31]
	s_or_b64 s[92:93], s[22:23], s[92:93]
	s_andn2_b64 s[22:23], s[94:95], exec
	s_and_b64 s[94:95], s[34:35], exec
	s_or_b64 s[94:95], s[22:23], s[94:95]
	s_andn2_b64 exec, exec, s[92:93]
	s_cbranch_execz .LBB3_207
.LBB3_203:                              ;   Parent Loop BB3_47 Depth=1
                                        ;     Parent Loop BB3_197 Depth=2
                                        ; =>    This Inner Loop Header: Depth=3
	s_sleep 1
	s_waitcnt vmcnt(0) lgkmcnt(0)
	flat_load_dwordx2 v[34:35], v[22:23] sc0 sc1
	s_or_b64 s[34:35], s[34:35], exec
	s_or_b64 s[30:31], s[30:31], exec
                                        ; implicit-def: $vgpr2
	s_and_saveexec_b64 s[36:37], vcc
	s_cbranch_execz .LBB3_202
; %bb.204:                              ;   in Loop: Header=BB3_203 Depth=3
	s_cmpk_lt_i32 s46, 0x270f
	s_cselect_b64 s[50:51], -1, 0
	s_cmpk_gt_i32 s46, 0x270e
	s_mov_b64 s[38:39], -1
	s_cbranch_scc0 .LBB3_206
; %bb.205:                              ;   in Loop: Header=BB3_203 Depth=3
	s_trap 2
	ds_read_b64 v[14:15], v0
	s_andn2_b64 s[50:51], s[50:51], exec
	s_mov_b32 s46, 0
	s_mov_b64 s[48:49], 0
	s_waitcnt vmcnt(0) lgkmcnt(0)
	flat_load_dword v2, v[14:15] sc0 sc1
	s_waitcnt vmcnt(0) lgkmcnt(0)
	buffer_inv sc0 sc1
	v_cmp_eq_u32_e64 s[22:23], 0, v2
	s_and_b64 s[22:23], s[22:23], exec
	s_or_b64 s[50:51], s[50:51], s[22:23]
	s_and_saveexec_b64 s[52:53], s[50:51]
	s_cbranch_execz .LBB3_201
	s_branch .LBB3_200
.LBB3_206:                              ;   in Loop: Header=BB3_203 Depth=3
	s_add_i32 s46, s46, 1
	s_mov_b64 s[48:49], -1
                                        ; implicit-def: $vgpr2
	s_and_saveexec_b64 s[52:53], s[50:51]
	s_cbranch_execz .LBB3_201
	s_branch .LBB3_200
.LBB3_207:                              ;   in Loop: Header=BB3_197 Depth=2
	s_or_b64 exec, exec, s[92:93]
	s_xor_b64 s[22:23], s[94:95], -1
	s_and_saveexec_b64 s[92:93], s[22:23]
	s_xor_b64 s[22:23], exec, s[92:93]
	s_cbranch_execz .LBB3_209
; %bb.208:                              ;   in Loop: Header=BB3_197 Depth=2
	v_or_b32_e32 v58, 64, v58
	s_waitcnt lgkmcnt(0)
	ds_write_b32 v0, v2
	s_trap 2
.LBB3_209:                              ;   in Loop: Header=BB3_197 Depth=2
	s_or_b64 exec, exec, s[22:23]
.LBB3_210:                              ;   in Loop: Header=BB3_197 Depth=2
	s_or_b64 exec, exec, s[90:91]
	v_and_b32_e32 v2, 0x100, v58
	v_cmp_ne_u32_e32 vcc, 0, v2
	v_and_b32_e32 v2, 7, v96
	s_mov_b64 s[22:23], -1
	;;#ASMSTART
	s_wakeup
	;;#ASMEND
                                        ; implicit-def: $vgpr14_vgpr15
	s_and_saveexec_b64 s[90:91], vcc
	s_cbranch_execz .LBB3_214
; %bb.211:                              ;   in Loop: Header=BB3_197 Depth=2
	v_mad_u64_u32 v[96:97], s[22:23], v2, 24, v[6:7]
	flat_load_dword v11, v[96:97]
	v_ashrrev_i32_e32 v9, 31, v8
	v_lshlrev_b64 v[14:15], 1, v[8:9]
	flat_store_dwordx2 v[96:97], v[14:15] offset:8
                                        ; implicit-def: $vgpr14_vgpr15
	s_waitcnt vmcnt(0) lgkmcnt(0)
	v_cmp_ne_u32_e32 vcc, 1, v11
	v_cmp_eq_u32_e64 s[22:23], 1, v11
	s_and_saveexec_b64 s[92:93], s[22:23]
	s_cbranch_execz .LBB3_213
; %bb.212:                              ;   in Loop: Header=BB3_197 Depth=2
	flat_load_dword v14, v[96:97] offset:4 sc0 sc1
	s_waitcnt vmcnt(0) lgkmcnt(0)
	v_ashrrev_i32_e32 v15, 31, v14
	v_lshrrev_b64 v[14:15], 1, v[14:15]
.LBB3_213:                              ;   in Loop: Header=BB3_197 Depth=2
	s_or_b64 exec, exec, s[92:93]
	s_orn2_b64 s[22:23], vcc, exec
.LBB3_214:                              ;   in Loop: Header=BB3_197 Depth=2
	s_or_b64 exec, exec, s[90:91]
	s_and_saveexec_b64 s[90:91], s[22:23]
; %bb.215:                              ;   in Loop: Header=BB3_197 Depth=2
	v_mad_i64_i32 v[14:15], s[22:23], v2, v24, 0
; %bb.216:                              ;   in Loop: Header=BB3_197 Depth=2
	s_or_b64 exec, exec, s[90:91]
	v_and_b32_e32 v2, 0x2000, v58
	v_lshl_add_u64 v[14:15], v[14:15], 1, v[26:27]
	v_cmp_ne_u32_e32 vcc, 0, v2
	ds_write_b64 v0, v[14:15] offset:784
	s_and_saveexec_b64 s[22:23], vcc
	s_cbranch_execz .LBB3_218
; %bb.217:                              ;   in Loop: Header=BB3_197 Depth=2
	ds_read_b64 v[14:15], v0 offset:872
	s_waitcnt lgkmcnt(0)
	v_lshl_add_u64 v[14:15], v[14:15], 0, 1
	ds_write_b64 v0, v[14:15] offset:872
.LBB3_218:                              ;   in Loop: Header=BB3_197 Depth=2
	s_or_b64 exec, exec, s[22:23]
	v_mov_b64_e32 v[96:97], v[12:13]
.LBB3_219:                              ;   in Loop: Header=BB3_197 Depth=2
	s_or_b64 exec, exec, s[40:41]
	s_xor_b64 s[22:23], s[28:29], -1
	s_and_b64 s[22:23], exec, s[22:23]
	s_or_b64 s[26:27], s[22:23], s[26:27]
	s_and_saveexec_b64 s[22:23], s[4:5]
	s_cbranch_execz .LBB3_238
; %bb.220:                              ;   in Loop: Header=BB3_197 Depth=2
	s_and_saveexec_b64 s[28:29], s[56:57]
	s_xor_b64 s[28:29], exec, s[28:29]
	s_cbranch_execz .LBB3_235
; %bb.221:                              ;   in Loop: Header=BB3_197 Depth=2
	s_and_saveexec_b64 s[40:41], s[12:13]
	s_cbranch_execz .LBB3_234
; %bb.222:                              ;   in Loop: Header=BB3_197 Depth=2
	s_mov_b64 s[92:93], exec
	v_mbcnt_lo_u32_b32 v2, s92, 0
	v_mbcnt_hi_u32_b32 v2, s93, v2
	v_cmp_eq_u32_e32 vcc, 0, v2
	s_waitcnt lgkmcnt(0)
	s_and_saveexec_b64 s[90:91], vcc
	s_cbranch_execz .LBB3_224
; %bb.223:                              ;   in Loop: Header=BB3_197 Depth=2
	s_bcnt1_i32_b64 s46, s[92:93]
	v_mov_b32_e32 v2, s46
	ds_add_u64 v0, v[2:3]
	s_trap 2
.LBB3_224:                              ;   in Loop: Header=BB3_197 Depth=2
	s_or_b64 exec, exec, s[90:91]
	s_trap 2
	ds_read_b64 v[12:13], v0
	s_waitcnt lgkmcnt(0)
	v_lshl_add_u64 v[32:33], v[32:33], 0, v[36:37]
	v_cmp_lt_u64_e32 vcc, v[12:13], v[32:33]
	s_and_saveexec_b64 s[90:91], vcc
	s_cbranch_execz .LBB3_233
; %bb.225:                              ;   in Loop: Header=BB3_197 Depth=2
	s_mov_b32 s46, 0
	s_mov_b64 s[92:93], 0
                                        ; implicit-def: $sgpr94_sgpr95
                                        ; implicit-def: $sgpr30_sgpr31
	s_branch .LBB3_227
.LBB3_226:                              ;   in Loop: Header=BB3_227 Depth=3
	s_or_b64 exec, exec, s[36:37]
	s_and_b64 vcc, exec, vcc
	s_or_b64 s[92:93], vcc, s[92:93]
	s_andn2_b64 s[94:95], s[94:95], exec
	s_and_b64 vcc, s[30:31], exec
	s_or_b64 s[94:95], s[94:95], vcc
	s_andn2_b64 exec, exec, s[92:93]
	s_cbranch_execz .LBB3_231
.LBB3_227:                              ;   Parent Loop BB3_47 Depth=1
                                        ;     Parent Loop BB3_197 Depth=2
                                        ; =>    This Inner Loop Header: Depth=3
	s_add_i32 s46, s46, 1
	s_cmpk_lg_i32 s46, 0x2710
	s_cselect_b64 s[34:35], -1, 0
	s_and_b64 vcc, exec, s[34:35]
	s_cbranch_vccz .LBB3_229
; %bb.228:                              ;   in Loop: Header=BB3_227 Depth=3
	s_mov_b64 vcc, -1
	s_or_b64 s[30:31], s[30:31], exec
	s_and_saveexec_b64 s[36:37], s[34:35]
	s_cbranch_execz .LBB3_226
	s_branch .LBB3_230
.LBB3_229:                              ;   in Loop: Header=BB3_227 Depth=3
	s_trap 2
	ds_read_b64 v[12:13], v0
	s_andn2_b64 s[34:35], s[34:35], exec
	s_mov_b32 s46, 0
	s_waitcnt vmcnt(0) lgkmcnt(0)
	flat_load_dword v2, v[12:13] sc0 sc1
	s_waitcnt vmcnt(0) lgkmcnt(0)
	buffer_inv sc0 sc1
	v_cmp_eq_u32_e32 vcc, 0, v2
	s_and_b64 vcc, vcc, exec
	s_or_b64 s[34:35], s[34:35], vcc
	s_mov_b64 vcc, -1
	s_or_b64 s[30:31], s[30:31], exec
	s_and_saveexec_b64 s[36:37], s[34:35]
	s_cbranch_execz .LBB3_226
.LBB3_230:                              ;   in Loop: Header=BB3_227 Depth=3
	s_sleep 1
	s_trap 2
	ds_read_b64 v[12:13], v0
	s_waitcnt lgkmcnt(0)
	s_andn2_b64 s[30:31], s[30:31], exec
	v_cmp_ge_u64_e32 vcc, v[12:13], v[32:33]
	s_orn2_b64 vcc, vcc, exec
	s_branch .LBB3_226
.LBB3_231:                              ;   in Loop: Header=BB3_197 Depth=2
	s_or_b64 exec, exec, s[92:93]
	s_and_saveexec_b64 s[92:93], s[94:95]
	s_xor_b64 s[92:93], exec, s[92:93]
	s_cbranch_execz .LBB3_233
; %bb.232:                              ;   in Loop: Header=BB3_197 Depth=2
	ds_write_b32 v0, v61
	s_trap 2
.LBB3_233:                              ;   in Loop: Header=BB3_197 Depth=2
	s_or_b64 exec, exec, s[90:91]
	;;#ASMSTART
	s_wakeup
	;;#ASMEND
.LBB3_234:                              ;   in Loop: Header=BB3_197 Depth=2
	s_or_b64 exec, exec, s[40:41]
.LBB3_235:                              ;   in Loop: Header=BB3_197 Depth=2
	s_andn2_saveexec_b64 s[28:29], s[28:29]
	s_cbranch_execz .LBB3_237
; %bb.236:                              ;   in Loop: Header=BB3_197 Depth=2
	s_waitcnt lgkmcnt(0)
	s_barrier
.LBB3_237:                              ;   in Loop: Header=BB3_197 Depth=2
	s_or_b64 exec, exec, s[28:29]
.LBB3_238:                              ;   in Loop: Header=BB3_197 Depth=2
	s_or_b64 exec, exec, s[22:23]
	v_and_b32_e32 v9, 16, v58
	s_and_saveexec_b64 s[22:23], s[20:21]
	s_xor_b64 s[22:23], exec, s[22:23]
	s_cbranch_execz .LBB3_243
; %bb.239:                              ;   in Loop: Header=BB3_197 Depth=2
	s_trap 2
	ds_read_b32 v2, v0
	v_cmp_lt_i32_e32 vcc, 0, v8
	v_and_b32_e32 v11, 16, v58
	v_and_b32_e32 v9, 16, v58
	s_waitcnt lgkmcnt(0)
	v_readfirstlane_b32 s28, v2
	s_cmp_eq_u32 s28, 0
	s_cselect_b64 s[28:29], -1, 0
	s_and_b64 s[28:29], vcc, s[28:29]
	v_cmp_ne_u32_e32 vcc, 0, v11
	s_and_b64 s[40:41], vcc, s[28:29]
	s_and_saveexec_b64 s[28:29], s[40:41]
	s_cbranch_execz .LBB3_241
; %bb.240:                              ;   in Loop: Header=BB3_197 Depth=2
	v_mov_b32_e32 v9, 1
	buffer_wbl2 sc1
	s_waitcnt vmcnt(0)
	buffer_inv sc1
.LBB3_241:                              ;   in Loop: Header=BB3_197 Depth=2
	s_or_b64 exec, exec, s[28:29]
	s_andn2_saveexec_b64 s[22:23], s[22:23]
	s_cbranch_execnz .LBB3_244
.LBB3_242:                              ;   in Loop: Header=BB3_197 Depth=2
	s_or_b64 exec, exec, s[22:23]
	v_cmp_ne_u32_e32 vcc, 0, v9
	s_and_saveexec_b64 s[22:23], vcc
	s_cbranch_execz .LBB3_196
	s_branch .LBB3_262
.LBB3_243:                              ;   in Loop: Header=BB3_197 Depth=2
	s_andn2_saveexec_b64 s[22:23], s[22:23]
	s_cbranch_execz .LBB3_242
.LBB3_244:                              ;   in Loop: Header=BB3_197 Depth=2
	s_and_saveexec_b64 s[28:29], s[56:57]
	s_xor_b64 s[28:29], exec, s[28:29]
	s_cbranch_execz .LBB3_259
; %bb.245:                              ;   in Loop: Header=BB3_197 Depth=2
	s_and_saveexec_b64 s[40:41], s[12:13]
	s_cbranch_execz .LBB3_258
; %bb.246:                              ;   in Loop: Header=BB3_197 Depth=2
	s_mov_b64 s[92:93], exec
	v_mbcnt_lo_u32_b32 v2, s92, 0
	v_mbcnt_hi_u32_b32 v2, s93, v2
	v_cmp_eq_u32_e32 vcc, 0, v2
	;;#ASMSTART
	s_waitcnt lgkmcnt(0) vmcnt(0)
	;;#ASMEND
	s_and_saveexec_b64 s[90:91], vcc
	s_cbranch_execz .LBB3_248
; %bb.247:                              ;   in Loop: Header=BB3_197 Depth=2
	s_bcnt1_i32_b64 s46, s[92:93]
	v_mov_b32_e32 v2, s46
	s_waitcnt lgkmcnt(0)
	ds_add_u64 v0, v[2:3]
	s_trap 2
.LBB3_248:                              ;   in Loop: Header=BB3_197 Depth=2
	s_or_b64 exec, exec, s[90:91]
	s_trap 2
	ds_read_b64 v[12:13], v0
	s_waitcnt lgkmcnt(0)
	v_lshl_add_u64 v[32:33], v[32:33], 0, v[36:37]
	v_cmp_lt_u64_e32 vcc, v[12:13], v[32:33]
	s_and_saveexec_b64 s[90:91], vcc
	s_cbranch_execz .LBB3_257
; %bb.249:                              ;   in Loop: Header=BB3_197 Depth=2
	s_mov_b32 s46, 0
	s_mov_b64 s[92:93], 0
                                        ; implicit-def: $sgpr94_sgpr95
                                        ; implicit-def: $sgpr30_sgpr31
	s_branch .LBB3_251
.LBB3_250:                              ;   in Loop: Header=BB3_251 Depth=3
	s_or_b64 exec, exec, s[36:37]
	s_and_b64 vcc, exec, vcc
	s_or_b64 s[92:93], vcc, s[92:93]
	s_andn2_b64 s[94:95], s[94:95], exec
	s_and_b64 vcc, s[30:31], exec
	s_or_b64 s[94:95], s[94:95], vcc
	s_andn2_b64 exec, exec, s[92:93]
	s_cbranch_execz .LBB3_255
.LBB3_251:                              ;   Parent Loop BB3_47 Depth=1
                                        ;     Parent Loop BB3_197 Depth=2
                                        ; =>    This Inner Loop Header: Depth=3
	s_add_i32 s46, s46, 1
	s_cmpk_lg_i32 s46, 0x2710
	s_cselect_b64 s[34:35], -1, 0
	s_and_b64 vcc, exec, s[34:35]
	s_cbranch_vccz .LBB3_253
; %bb.252:                              ;   in Loop: Header=BB3_251 Depth=3
	s_mov_b64 vcc, -1
	s_or_b64 s[30:31], s[30:31], exec
	s_and_saveexec_b64 s[36:37], s[34:35]
	s_cbranch_execz .LBB3_250
	s_branch .LBB3_254
.LBB3_253:                              ;   in Loop: Header=BB3_251 Depth=3
	s_trap 2
	ds_read_b64 v[12:13], v0
	s_andn2_b64 s[34:35], s[34:35], exec
	s_mov_b32 s46, 0
	s_waitcnt vmcnt(0) lgkmcnt(0)
	flat_load_dword v2, v[12:13] sc0 sc1
	s_waitcnt vmcnt(0) lgkmcnt(0)
	buffer_inv sc0 sc1
	v_cmp_eq_u32_e32 vcc, 0, v2
	s_and_b64 vcc, vcc, exec
	s_or_b64 s[34:35], s[34:35], vcc
	s_mov_b64 vcc, -1
	s_or_b64 s[30:31], s[30:31], exec
	s_and_saveexec_b64 s[36:37], s[34:35]
	s_cbranch_execz .LBB3_250
.LBB3_254:                              ;   in Loop: Header=BB3_251 Depth=3
	s_sleep 1
	s_trap 2
	ds_read_b64 v[12:13], v0
	s_waitcnt lgkmcnt(0)
	s_andn2_b64 s[30:31], s[30:31], exec
	v_cmp_ge_u64_e32 vcc, v[12:13], v[32:33]
	s_orn2_b64 vcc, vcc, exec
	s_branch .LBB3_250
.LBB3_255:                              ;   in Loop: Header=BB3_197 Depth=2
	s_or_b64 exec, exec, s[92:93]
	s_and_saveexec_b64 s[92:93], s[94:95]
	s_xor_b64 s[92:93], exec, s[92:93]
	s_cbranch_execz .LBB3_257
; %bb.256:                              ;   in Loop: Header=BB3_197 Depth=2
	ds_write_b32 v0, v61
	s_trap 2
.LBB3_257:                              ;   in Loop: Header=BB3_197 Depth=2
	s_or_b64 exec, exec, s[90:91]
	;;#ASMSTART
	s_wakeup
	;;#ASMEND
.LBB3_258:                              ;   in Loop: Header=BB3_197 Depth=2
	s_or_b64 exec, exec, s[40:41]
.LBB3_259:                              ;   in Loop: Header=BB3_197 Depth=2
	s_andn2_saveexec_b64 s[28:29], s[28:29]
	s_cbranch_execz .LBB3_261
; %bb.260:                              ;   in Loop: Header=BB3_197 Depth=2
	;;#ASMSTART
	s_waitcnt lgkmcnt(0) vmcnt(0)
	;;#ASMEND
	s_barrier
.LBB3_261:                              ;   in Loop: Header=BB3_197 Depth=2
	s_or_b64 exec, exec, s[28:29]
	s_or_b64 exec, exec, s[22:23]
	v_cmp_ne_u32_e32 vcc, 0, v9
	s_and_saveexec_b64 s[22:23], vcc
	s_cbranch_execz .LBB3_196
.LBB3_262:                              ;   in Loop: Header=BB3_197 Depth=2
	s_and_saveexec_b64 s[28:29], s[10:11]
	s_cbranch_execz .LBB3_195
; %bb.263:                              ;   in Loop: Header=BB3_197 Depth=2
	flat_store_dword v[28:29], v61 sc0 sc1
	s_branch .LBB3_195
.LBB3_264:                              ;   in Loop: Header=BB3_47 Depth=1
	s_or_b64 exec, exec, s[26:27]
.LBB3_265:                              ;   in Loop: Header=BB3_47 Depth=1
	s_or_b64 exec, exec, s[24:25]
	v_cndmask_b32_e64 v2, 0, 1, s[74:75]
	v_cmp_ne_u32_e64 s[22:23], 1, v2
	s_andn2_b64 vcc, exec, s[74:75]
	s_cbranch_vccnz .LBB3_572
; %bb.266:                              ;   in Loop: Header=BB3_47 Depth=1
	s_mov_b32 s89, 2
	s_branch .LBB3_269
.LBB3_267:                              ;   in Loop: Header=BB3_269 Depth=2
	s_or_b64 exec, exec, s[28:29]
.LBB3_268:                              ;   in Loop: Header=BB3_269 Depth=2
	s_or_b64 exec, exec, s[26:27]
	s_add_i32 s89, s89, 1
	s_cmp_eq_u32 s89, s64
	s_cbranch_scc1 .LBB3_572
.LBB3_269:                              ;   Parent Loop BB3_47 Depth=1
                                        ; =>  This Loop Header: Depth=2
                                        ;       Child Loop BB3_272 Depth 3
                                        ;         Child Loop BB3_280 Depth 4
                                        ;         Child Loop BB3_308 Depth 4
                                        ;         Child Loop BB3_327 Depth 4
                                        ;         Child Loop BB3_350 Depth 4
                                        ;         Child Loop BB3_387 Depth 4
                                        ;         Child Loop BB3_425 Depth 4
                                        ;         Child Loop BB3_446 Depth 4
                                        ;         Child Loop BB3_458 Depth 4
                                        ;         Child Loop BB3_481 Depth 4
                                        ;       Child Loop BB3_500 Depth 3
                                        ;         Child Loop BB3_506 Depth 4
                                        ;         Child Loop BB3_534 Depth 4
	;; [unrolled: 1-line block ×3, first 2 shown]
	s_sub_i32 s24, s70, s89
	s_cmp_ge_i32 s24, s64
	s_cselect_b32 s25, s64, 0
	s_sub_i32 s24, s24, s25
	s_ashr_i32 s25, s24, 31
	v_mul_lo_u32 v2, v86, s25
	v_mul_lo_u32 v8, v87, s24
	v_mad_u64_u32 v[114:115], s[24:25], v86, s24, 0
	v_add3_u32 v115, v115, v2, v8
	v_sub_co_u32_e32 v8, vcc, v98, v114
	v_mov_b32_e32 v112, 0
	s_nop 0
	v_subb_co_u32_e32 v9, vcc, v99, v115, vcc
	v_cmp_lt_i64_e32 vcc, v[86:87], v[8:9]
	s_nop 1
	v_cndmask_b32_e32 v2, v8, v86, vcc
	v_max_i32_e32 v46, 0, v2
	v_add_u32_e32 v8, 31, v46
	v_ashrrev_i32_e32 v9, 31, v8
	v_lshrrev_b32_e32 v9, 27, v9
	v_add_u32_e32 v8, v8, v9
	v_ashrrev_i32_e32 v8, 5, v8
	v_lshlrev_b32_e32 v8, 4, v8
	v_cmp_lt_i32_e32 vcc, 0, v2
	v_max_i32_e32 v102, s81, v8
	s_and_b64 s[24:25], s[78:79], vcc
	v_mov_b32_e32 v2, 0
	s_and_saveexec_b64 s[28:29], s[24:25]
	s_cbranch_execz .LBB3_497
; %bb.270:                              ;   in Loop: Header=BB3_269 Depth=2
	s_mov_b32 s85, 1
	s_mov_b64 s[90:91], -1
	v_mov_b32_e32 v112, 0
	s_mov_b64 s[40:41], 0
	s_branch .LBB3_272
.LBB3_271:                              ;   in Loop: Header=BB3_272 Depth=3
	s_or_b64 exec, exec, s[24:25]
	v_add_u32_e32 v112, v102, v112
	v_cmp_ge_i32_e32 vcc, v112, v46
	s_xor_b64 s[24:25], s[90:91], -1
	s_or_b64 s[24:25], s[24:25], vcc
	s_and_b64 s[24:25], exec, s[24:25]
	s_or_b64 s[40:41], s[24:25], s[40:41]
	s_mov_b64 s[90:91], 0
	v_mov_b32_e32 v2, s85
	s_mov_b32 s85, 2
	s_andn2_b64 exec, exec, s[40:41]
	s_cbranch_execz .LBB3_496
.LBB3_272:                              ;   Parent Loop BB3_47 Depth=1
                                        ;     Parent Loop BB3_269 Depth=2
                                        ; =>    This Loop Header: Depth=3
                                        ;         Child Loop BB3_280 Depth 4
                                        ;         Child Loop BB3_308 Depth 4
                                        ;         Child Loop BB3_327 Depth 4
                                        ;         Child Loop BB3_350 Depth 4
                                        ;         Child Loop BB3_387 Depth 4
                                        ;         Child Loop BB3_425 Depth 4
                                        ;         Child Loop BB3_446 Depth 4
                                        ;         Child Loop BB3_458 Depth 4
                                        ;         Child Loop BB3_481 Depth 4
	s_and_saveexec_b64 s[24:25], s[0:1]
	s_cbranch_execz .LBB3_274
; %bb.273:                              ;   in Loop: Header=BB3_272 Depth=3
	s_trap 2
	ds_read_b64 v[8:9], v0
	v_ashrrev_i32_e32 v113, 31, v112
	s_waitcnt lgkmcnt(0)
	v_lshl_add_u64 v[8:9], v[100:101], 1, v[8:9]
	v_lshl_add_u64 v[8:9], v[114:115], 1, v[8:9]
	;; [unrolled: 1-line block ×3, first 2 shown]
	ds_write_b64 v0, v[8:9]
	ds_write_b64 v0, v[92:93]
.LBB3_274:                              ;   in Loop: Header=BB3_272 Depth=3
	s_or_b64 exec, exec, s[24:25]
	v_sub_u32_e32 v2, v46, v112
	v_min_i32_e32 v102, v102, v2
	v_and_b32_e32 v2, 12, v58
	v_cmp_ne_u32_e32 vcc, 0, v2
	s_and_saveexec_b64 s[26:27], vcc
	s_cbranch_execz .LBB3_300
; %bb.275:                              ;   in Loop: Header=BB3_272 Depth=3
	v_and_b32_e32 v2, 8, v58
	s_waitcnt vmcnt(0) lgkmcnt(0)
	v_lshl_add_u64 v[10:11], v[34:35], 0, v[2:3]
	v_lshl_add_u64 v[8:9], v[96:97], 0, 2
	v_cmp_lt_u64_e32 vcc, v[10:11], v[8:9]
	s_and_saveexec_b64 s[92:93], vcc
	s_cbranch_execz .LBB3_287
; %bb.276:                              ;   in Loop: Header=BB3_272 Depth=3
	v_and_b32_e32 v10, 64, v58
	s_mov_b32 s46, 0
	v_cmp_eq_u32_e32 vcc, 0, v10
	s_mov_b64 s[94:95], 0
                                        ; implicit-def: $sgpr30_sgpr31
                                        ; implicit-def: $sgpr34_sgpr35
                                        ; implicit-def: $sgpr36_sgpr37
	s_branch .LBB3_280
.LBB3_277:                              ;   in Loop: Header=BB3_280 Depth=4
	s_waitcnt vmcnt(0) lgkmcnt(0)
	v_lshl_add_u64 v[12:13], v[34:35], 0, v[2:3]
	v_cmp_ge_u64_e64 s[24:25], v[12:13], v[8:9]
	s_or_b64 s[50:51], s[50:51], exec
	s_orn2_b64 s[48:49], s[24:25], exec
.LBB3_278:                              ;   in Loop: Header=BB3_280 Depth=4
	s_or_b64 exec, exec, s[54:55]
	s_andn2_b64 s[24:25], s[36:37], exec
	s_and_b64 s[36:37], s[50:51], exec
	s_or_b64 s[36:37], s[24:25], s[36:37]
	s_andn2_b64 s[24:25], s[34:35], exec
	s_and_b64 s[34:35], s[48:49], exec
	s_or_b64 s[34:35], s[24:25], s[34:35]
.LBB3_279:                              ;   in Loop: Header=BB3_280 Depth=4
	s_or_b64 exec, exec, s[38:39]
	s_and_b64 s[24:25], exec, s[34:35]
	s_or_b64 s[94:95], s[24:25], s[94:95]
	s_andn2_b64 s[24:25], s[30:31], exec
	s_and_b64 s[30:31], s[36:37], exec
	s_or_b64 s[30:31], s[24:25], s[30:31]
	s_andn2_b64 exec, exec, s[94:95]
	s_cbranch_execz .LBB3_284
.LBB3_280:                              ;   Parent Loop BB3_47 Depth=1
                                        ;     Parent Loop BB3_269 Depth=2
                                        ;       Parent Loop BB3_272 Depth=3
                                        ; =>      This Inner Loop Header: Depth=4
	s_sleep 1
	s_waitcnt vmcnt(0) lgkmcnt(0)
	flat_load_dwordx2 v[34:35], v[22:23] sc0 sc1
	s_or_b64 s[36:37], s[36:37], exec
	s_or_b64 s[34:35], s[34:35], exec
                                        ; implicit-def: $vgpr10
	s_and_saveexec_b64 s[38:39], vcc
	s_cbranch_execz .LBB3_279
; %bb.281:                              ;   in Loop: Header=BB3_280 Depth=4
	s_cmpk_lt_i32 s46, 0x270f
	s_cselect_b64 s[52:53], -1, 0
	s_cmpk_gt_i32 s46, 0x270e
	s_mov_b64 s[48:49], -1
	s_cbranch_scc0 .LBB3_283
; %bb.282:                              ;   in Loop: Header=BB3_280 Depth=4
	s_trap 2
	ds_read_b64 v[10:11], v0
	s_andn2_b64 s[52:53], s[52:53], exec
	s_mov_b32 s46, 0
	s_mov_b64 s[50:51], 0
	s_waitcnt vmcnt(0) lgkmcnt(0)
	flat_load_dword v10, v[10:11] sc0 sc1
	s_waitcnt vmcnt(0) lgkmcnt(0)
	buffer_inv sc0 sc1
	v_cmp_eq_u32_e64 s[24:25], 0, v10
	s_and_b64 s[24:25], s[24:25], exec
	s_or_b64 s[52:53], s[52:53], s[24:25]
	s_and_saveexec_b64 s[54:55], s[52:53]
	s_cbranch_execz .LBB3_278
	s_branch .LBB3_277
.LBB3_283:                              ;   in Loop: Header=BB3_280 Depth=4
	s_add_i32 s46, s46, 1
	s_mov_b64 s[50:51], -1
                                        ; implicit-def: $vgpr10
	s_and_saveexec_b64 s[54:55], s[52:53]
	s_cbranch_execz .LBB3_278
	s_branch .LBB3_277
.LBB3_284:                              ;   in Loop: Header=BB3_272 Depth=3
	s_or_b64 exec, exec, s[94:95]
	s_xor_b64 s[24:25], s[30:31], -1
	s_and_saveexec_b64 s[94:95], s[24:25]
	s_xor_b64 s[24:25], exec, s[94:95]
	s_cbranch_execz .LBB3_286
; %bb.285:                              ;   in Loop: Header=BB3_272 Depth=3
	v_or_b32_e32 v58, 64, v58
	s_waitcnt lgkmcnt(0)
	ds_write_b32 v0, v10
	s_trap 2
.LBB3_286:                              ;   in Loop: Header=BB3_272 Depth=3
	s_or_b64 exec, exec, s[24:25]
.LBB3_287:                              ;   in Loop: Header=BB3_272 Depth=3
	s_or_b64 exec, exec, s[92:93]
	v_and_b32_e32 v10, 0x108, v58
	v_cmp_ne_u32_e32 vcc, s66, v10
	;;#ASMSTART
	s_wakeup
	;;#ASMEND
                                        ; implicit-def: $vgpr10_vgpr11
	s_and_saveexec_b64 s[24:25], vcc
	s_xor_b64 s[24:25], exec, s[24:25]
; %bb.288:                              ;   in Loop: Header=BB3_272 Depth=3
	v_and_b32_e32 v10, 7, v96
	v_mov_b32_e32 v11, v3
                                        ; implicit-def: $vgpr96_vgpr97
; %bb.289:                              ;   in Loop: Header=BB3_272 Depth=3
	s_andn2_saveexec_b64 s[24:25], s[24:25]
	s_cbranch_execz .LBB3_291
; %bb.290:                              ;   in Loop: Header=BB3_272 Depth=3
	v_and_b32_e32 v10, 7, v96
	v_ashrrev_i32_e32 v103, 31, v102
	v_mov_b32_e32 v11, v3
	v_mad_u64_u32 v[12:13], s[92:93], v10, 24, v[6:7]
	v_lshlrev_b64 v[14:15], 1, v[102:103]
	flat_store_dwordx2 v[12:13], v[14:15] offset:8
.LBB3_291:                              ;   in Loop: Header=BB3_272 Depth=3
	s_or_b64 exec, exec, s[24:25]
	v_and_b32_e32 v12, 0x100, v58
	v_cmp_ne_u32_e32 vcc, 0, v12
	s_mov_b64 s[24:25], -1
                                        ; implicit-def: $vgpr12_vgpr13
	s_and_saveexec_b64 s[92:93], vcc
	s_cbranch_execz .LBB3_295
; %bb.292:                              ;   in Loop: Header=BB3_272 Depth=3
	v_mad_u64_u32 v[14:15], s[24:25], v10, 24, v[6:7]
	v_mov_b32_e32 v12, v15
	v_mad_u64_u32 v[12:13], s[24:25], v11, 24, v[12:13]
	v_mov_b32_e32 v15, v12
	flat_load_dword v12, v[14:15]
	s_waitcnt vmcnt(0) lgkmcnt(0)
	v_cmp_ne_u32_e32 vcc, 1, v12
	v_cmp_eq_u32_e64 s[24:25], 1, v12
                                        ; implicit-def: $vgpr12_vgpr13
	s_and_saveexec_b64 s[94:95], s[24:25]
	s_cbranch_execz .LBB3_294
; %bb.293:                              ;   in Loop: Header=BB3_272 Depth=3
	flat_load_dword v12, v[14:15] offset:4 sc0 sc1
	s_waitcnt vmcnt(0) lgkmcnt(0)
	v_ashrrev_i32_e32 v13, 31, v12
	v_lshrrev_b64 v[12:13], 1, v[12:13]
.LBB3_294:                              ;   in Loop: Header=BB3_272 Depth=3
	s_or_b64 exec, exec, s[94:95]
	s_orn2_b64 s[24:25], vcc, exec
.LBB3_295:                              ;   in Loop: Header=BB3_272 Depth=3
	s_or_b64 exec, exec, s[92:93]
	s_and_saveexec_b64 s[92:93], s[24:25]
; %bb.296:                              ;   in Loop: Header=BB3_272 Depth=3
	v_mul_lo_u32 v11, v11, v24
	v_mul_lo_u32 v14, v10, v25
	v_mad_u64_u32 v[12:13], s[24:25], v10, v24, 0
	v_add3_u32 v13, v13, v14, v11
; %bb.297:                              ;   in Loop: Header=BB3_272 Depth=3
	s_or_b64 exec, exec, s[92:93]
	v_cmp_eq_u32_e32 vcc, 0, v2
	v_lshl_add_u64 v[10:11], v[12:13], 1, v[26:27]
	s_nop 0
	v_cndmask_b32_e32 v2, v62, v63, vcc
	v_add_u32_e32 v2, v0, v2
	ds_write_b64 v2, v[10:11] offset:584
	v_and_b32_e32 v2, 0x2000, v58
	v_cmp_ne_u32_e32 vcc, 0, v2
	s_and_saveexec_b64 s[24:25], vcc
	s_cbranch_execz .LBB3_299
; %bb.298:                              ;   in Loop: Header=BB3_272 Depth=3
	ds_read_b64 v[10:11], v0 offset:872
	s_waitcnt lgkmcnt(0)
	v_lshl_add_u64 v[10:11], v[10:11], 0, 1
	ds_write_b64 v0, v[10:11] offset:872
.LBB3_299:                              ;   in Loop: Header=BB3_272 Depth=3
	s_or_b64 exec, exec, s[24:25]
	v_mov_b64_e32 v[96:97], v[8:9]
.LBB3_300:                              ;   in Loop: Header=BB3_272 Depth=3
	s_or_b64 exec, exec, s[26:27]
	s_and_saveexec_b64 s[24:25], s[4:5]
	s_cbranch_execz .LBB3_319
; %bb.301:                              ;   in Loop: Header=BB3_272 Depth=3
	s_and_saveexec_b64 s[26:27], s[56:57]
	s_xor_b64 s[26:27], exec, s[26:27]
	s_cbranch_execz .LBB3_316
; %bb.302:                              ;   in Loop: Header=BB3_272 Depth=3
	s_and_saveexec_b64 s[92:93], s[12:13]
	s_cbranch_execz .LBB3_315
; %bb.303:                              ;   in Loop: Header=BB3_272 Depth=3
	s_mov_b64 s[30:31], exec
	v_mbcnt_lo_u32_b32 v2, s30, 0
	v_mbcnt_hi_u32_b32 v2, s31, v2
	v_cmp_eq_u32_e32 vcc, 0, v2
	s_waitcnt lgkmcnt(0)
	s_and_saveexec_b64 s[94:95], vcc
	s_cbranch_execz .LBB3_305
; %bb.304:                              ;   in Loop: Header=BB3_272 Depth=3
	s_bcnt1_i32_b64 s46, s[30:31]
	v_mov_b32_e32 v2, s46
	ds_add_u64 v0, v[2:3]
	s_trap 2
.LBB3_305:                              ;   in Loop: Header=BB3_272 Depth=3
	s_or_b64 exec, exec, s[94:95]
	s_trap 2
	ds_read_b64 v[8:9], v0
	s_waitcnt lgkmcnt(0)
	v_lshl_add_u64 v[32:33], v[32:33], 0, v[36:37]
	v_cmp_lt_u64_e32 vcc, v[8:9], v[32:33]
	s_and_saveexec_b64 s[94:95], vcc
	s_cbranch_execz .LBB3_314
; %bb.306:                              ;   in Loop: Header=BB3_272 Depth=3
	s_mov_b32 s46, 0
	s_mov_b64 s[30:31], 0
                                        ; implicit-def: $sgpr34_sgpr35
                                        ; implicit-def: $sgpr36_sgpr37
	s_branch .LBB3_308
.LBB3_307:                              ;   in Loop: Header=BB3_308 Depth=4
	s_or_b64 exec, exec, s[48:49]
	s_and_b64 vcc, exec, vcc
	s_or_b64 s[30:31], vcc, s[30:31]
	s_andn2_b64 vcc, s[34:35], exec
	s_and_b64 s[34:35], s[36:37], exec
	s_or_b64 s[34:35], vcc, s[34:35]
	s_andn2_b64 exec, exec, s[30:31]
	s_cbranch_execz .LBB3_312
.LBB3_308:                              ;   Parent Loop BB3_47 Depth=1
                                        ;     Parent Loop BB3_269 Depth=2
                                        ;       Parent Loop BB3_272 Depth=3
                                        ; =>      This Inner Loop Header: Depth=4
	s_add_i32 s46, s46, 1
	s_cmpk_lg_i32 s46, 0x2710
	s_cselect_b64 s[38:39], -1, 0
	s_and_b64 vcc, exec, s[38:39]
	s_cbranch_vccz .LBB3_310
; %bb.309:                              ;   in Loop: Header=BB3_308 Depth=4
	s_mov_b64 vcc, -1
	s_or_b64 s[36:37], s[36:37], exec
	s_and_saveexec_b64 s[48:49], s[38:39]
	s_cbranch_execz .LBB3_307
	s_branch .LBB3_311
.LBB3_310:                              ;   in Loop: Header=BB3_308 Depth=4
	s_trap 2
	ds_read_b64 v[8:9], v0
	s_andn2_b64 s[38:39], s[38:39], exec
	s_mov_b32 s46, 0
	s_waitcnt vmcnt(0) lgkmcnt(0)
	flat_load_dword v2, v[8:9] sc0 sc1
	s_waitcnt vmcnt(0) lgkmcnt(0)
	buffer_inv sc0 sc1
	v_cmp_eq_u32_e32 vcc, 0, v2
	s_and_b64 vcc, vcc, exec
	s_or_b64 s[38:39], s[38:39], vcc
	s_mov_b64 vcc, -1
	s_or_b64 s[36:37], s[36:37], exec
	s_and_saveexec_b64 s[48:49], s[38:39]
	s_cbranch_execz .LBB3_307
.LBB3_311:                              ;   in Loop: Header=BB3_308 Depth=4
	s_sleep 1
	s_trap 2
	ds_read_b64 v[8:9], v0
	s_waitcnt lgkmcnt(0)
	s_andn2_b64 s[36:37], s[36:37], exec
	v_cmp_ge_u64_e32 vcc, v[8:9], v[32:33]
	s_orn2_b64 vcc, vcc, exec
	s_branch .LBB3_307
.LBB3_312:                              ;   in Loop: Header=BB3_272 Depth=3
	s_or_b64 exec, exec, s[30:31]
	s_and_saveexec_b64 vcc, s[34:35]
	s_xor_b64 vcc, exec, vcc
	s_cbranch_execz .LBB3_314
; %bb.313:                              ;   in Loop: Header=BB3_272 Depth=3
	ds_write_b32 v0, v61
	s_trap 2
.LBB3_314:                              ;   in Loop: Header=BB3_272 Depth=3
	s_or_b64 exec, exec, s[94:95]
	;;#ASMSTART
	s_wakeup
	;;#ASMEND
.LBB3_315:                              ;   in Loop: Header=BB3_272 Depth=3
	s_or_b64 exec, exec, s[92:93]
.LBB3_316:                              ;   in Loop: Header=BB3_272 Depth=3
	s_andn2_saveexec_b64 s[26:27], s[26:27]
	s_cbranch_execz .LBB3_318
; %bb.317:                              ;   in Loop: Header=BB3_272 Depth=3
	s_waitcnt lgkmcnt(0)
	s_barrier
.LBB3_318:                              ;   in Loop: Header=BB3_272 Depth=3
	s_or_b64 exec, exec, s[26:27]
.LBB3_319:                              ;   in Loop: Header=BB3_272 Depth=3
	s_or_b64 exec, exec, s[24:25]
	s_trap 2
	ds_read_b32 v8, v0
	v_and_b32_e32 v2, 0x4000, v58
	v_cmp_ne_u32_e32 vcc, 0, v2
	s_xor_b64 s[24:25], s[2:3], -1
	s_and_b64 s[26:27], s[24:25], vcc
	s_and_saveexec_b64 s[24:25], s[26:27]
	s_cbranch_execz .LBB3_338
; %bb.320:                              ;   in Loop: Header=BB3_272 Depth=3
	s_and_saveexec_b64 s[26:27], s[56:57]
	s_xor_b64 s[26:27], exec, s[26:27]
	s_cbranch_execz .LBB3_335
; %bb.321:                              ;   in Loop: Header=BB3_272 Depth=3
	s_and_saveexec_b64 s[92:93], s[12:13]
	s_cbranch_execz .LBB3_334
; %bb.322:                              ;   in Loop: Header=BB3_272 Depth=3
	s_mov_b64 s[30:31], exec
	v_mbcnt_lo_u32_b32 v2, s30, 0
	v_mbcnt_hi_u32_b32 v2, s31, v2
	v_cmp_eq_u32_e32 vcc, 0, v2
	s_waitcnt lgkmcnt(0)
	s_and_saveexec_b64 s[94:95], vcc
	s_cbranch_execz .LBB3_324
; %bb.323:                              ;   in Loop: Header=BB3_272 Depth=3
	s_bcnt1_i32_b64 s46, s[30:31]
	v_mov_b32_e32 v2, s46
	ds_add_u64 v0, v[2:3]
	s_trap 2
.LBB3_324:                              ;   in Loop: Header=BB3_272 Depth=3
	s_or_b64 exec, exec, s[94:95]
	s_trap 2
	ds_read_b64 v[10:11], v0
	s_waitcnt lgkmcnt(0)
	v_lshl_add_u64 v[32:33], v[32:33], 0, v[36:37]
	v_cmp_lt_u64_e32 vcc, v[10:11], v[32:33]
	s_and_saveexec_b64 s[94:95], vcc
	s_cbranch_execz .LBB3_333
; %bb.325:                              ;   in Loop: Header=BB3_272 Depth=3
	s_mov_b32 s46, 0
	s_mov_b64 s[30:31], 0
                                        ; implicit-def: $sgpr34_sgpr35
                                        ; implicit-def: $sgpr36_sgpr37
	s_branch .LBB3_327
.LBB3_326:                              ;   in Loop: Header=BB3_327 Depth=4
	s_or_b64 exec, exec, s[48:49]
	s_and_b64 vcc, exec, vcc
	s_or_b64 s[30:31], vcc, s[30:31]
	s_andn2_b64 vcc, s[34:35], exec
	s_and_b64 s[34:35], s[36:37], exec
	s_or_b64 s[34:35], vcc, s[34:35]
	s_andn2_b64 exec, exec, s[30:31]
	s_cbranch_execz .LBB3_331
.LBB3_327:                              ;   Parent Loop BB3_47 Depth=1
                                        ;     Parent Loop BB3_269 Depth=2
                                        ;       Parent Loop BB3_272 Depth=3
                                        ; =>      This Inner Loop Header: Depth=4
	s_add_i32 s46, s46, 1
	s_cmpk_lg_i32 s46, 0x2710
	s_cselect_b64 s[38:39], -1, 0
	s_and_b64 vcc, exec, s[38:39]
	s_cbranch_vccz .LBB3_329
; %bb.328:                              ;   in Loop: Header=BB3_327 Depth=4
	s_mov_b64 vcc, -1
	s_or_b64 s[36:37], s[36:37], exec
	s_and_saveexec_b64 s[48:49], s[38:39]
	s_cbranch_execz .LBB3_326
	s_branch .LBB3_330
.LBB3_329:                              ;   in Loop: Header=BB3_327 Depth=4
	s_trap 2
	ds_read_b64 v[10:11], v0
	s_andn2_b64 s[38:39], s[38:39], exec
	s_mov_b32 s46, 0
	s_waitcnt vmcnt(0) lgkmcnt(0)
	flat_load_dword v2, v[10:11] sc0 sc1
	s_waitcnt vmcnt(0) lgkmcnt(0)
	buffer_inv sc0 sc1
	v_cmp_eq_u32_e32 vcc, 0, v2
	s_and_b64 vcc, vcc, exec
	s_or_b64 s[38:39], s[38:39], vcc
	s_mov_b64 vcc, -1
	s_or_b64 s[36:37], s[36:37], exec
	s_and_saveexec_b64 s[48:49], s[38:39]
	s_cbranch_execz .LBB3_326
.LBB3_330:                              ;   in Loop: Header=BB3_327 Depth=4
	s_sleep 1
	s_trap 2
	ds_read_b64 v[10:11], v0
	s_waitcnt lgkmcnt(0)
	s_andn2_b64 s[36:37], s[36:37], exec
	v_cmp_ge_u64_e32 vcc, v[10:11], v[32:33]
	s_orn2_b64 vcc, vcc, exec
	s_branch .LBB3_326
.LBB3_331:                              ;   in Loop: Header=BB3_272 Depth=3
	s_or_b64 exec, exec, s[30:31]
	s_and_saveexec_b64 vcc, s[34:35]
	s_xor_b64 vcc, exec, vcc
	s_cbranch_execz .LBB3_333
; %bb.332:                              ;   in Loop: Header=BB3_272 Depth=3
	ds_write_b32 v0, v61
	s_trap 2
.LBB3_333:                              ;   in Loop: Header=BB3_272 Depth=3
	s_or_b64 exec, exec, s[94:95]
	;;#ASMSTART
	s_wakeup
	;;#ASMEND
.LBB3_334:                              ;   in Loop: Header=BB3_272 Depth=3
	s_or_b64 exec, exec, s[92:93]
.LBB3_335:                              ;   in Loop: Header=BB3_272 Depth=3
	s_andn2_saveexec_b64 s[26:27], s[26:27]
	s_cbranch_execz .LBB3_337
; %bb.336:                              ;   in Loop: Header=BB3_272 Depth=3
	s_waitcnt lgkmcnt(0)
	s_barrier
.LBB3_337:                              ;   in Loop: Header=BB3_272 Depth=3
	s_or_b64 exec, exec, s[26:27]
.LBB3_338:                              ;   in Loop: Header=BB3_272 Depth=3
	s_or_b64 exec, exec, s[24:25]
	s_trap 2
	ds_read_b64 v[116:117], v0
	s_waitcnt lgkmcnt(0)
	v_cmp_eq_u64_e32 vcc, 0, v[116:117]
	s_cbranch_vccnz .LBB3_346
; %bb.339:                              ;   in Loop: Header=BB3_272 Depth=3
	s_trap 2
	ds_read_b64 v[118:119], v0
	s_waitcnt lgkmcnt(0)
	v_cmp_eq_u64_e32 vcc, 0, v[118:119]
	s_cbranch_vccnz .LBB3_346
; %bb.340:                              ;   in Loop: Header=BB3_272 Depth=3
	s_trap 2
	ds_read_b64 v[10:11], v0
	s_mov_b64 s[24:25], -1
	s_waitcnt lgkmcnt(0)
	v_readfirstlane_b32 s36, v10
	s_and_saveexec_b64 s[26:27], s[18:19]
	s_cbranch_execz .LBB3_342
; %bb.341:                              ;   in Loop: Header=BB3_272 Depth=3
	ds_read_b32 v2, v0 offset:720
	s_waitcnt lgkmcnt(0)
	v_and_b32_e32 v2, 15, v2
	v_cmp_eq_u32_e32 vcc, 0, v2
	s_orn2_b64 s[24:25], vcc, exec
.LBB3_342:                              ;   in Loop: Header=BB3_272 Depth=3
	s_or_b64 exec, exec, s[26:27]
	s_and_saveexec_b64 s[26:27], s[16:17]
	s_cbranch_execz .LBB3_344
; %bb.343:                              ;   in Loop: Header=BB3_272 Depth=3
	ds_read_b32 v2, v0 offset:784
	s_waitcnt lgkmcnt(0)
	v_and_b32_e32 v2, 15, v2
	v_cmp_eq_u32_e32 vcc, 0, v2
	s_and_b64 s[92:93], s[24:25], vcc
	s_andn2_b64 s[24:25], s[24:25], exec
	s_and_b64 s[92:93], s[92:93], exec
	s_or_b64 s[24:25], s[24:25], s[92:93]
.LBB3_344:                              ;   in Loop: Header=BB3_272 Depth=3
	s_or_b64 exec, exec, s[26:27]
	v_cmp_eq_u32_e32 vcc, 0, v8
	s_xor_b64 s[24:25], s[24:25], -1
	v_cndmask_b32_e64 v8, 0, 1, s[24:25]
	v_cndmask_b32_e32 v2, 0, v102, vcc
	v_lshlrev_b32_e32 v103, 1, v2
	s_mov_b64 s[94:95], -1
	v_cmp_ne_u32_e32 vcc, 0, v8
	v_mov_b32_e32 v14, 0
	s_cbranch_vccz .LBB3_347
; %bb.345:                              ;   in Loop: Header=BB3_272 Depth=3
	v_mov_b32_e32 v15, v0
	s_and_saveexec_b64 s[26:27], s[94:95]
	s_cbranch_execnz .LBB3_422
	s_branch .LBB3_450
.LBB3_346:                              ;   in Loop: Header=BB3_272 Depth=3
	s_mov_b64 s[24:25], 0
	s_and_saveexec_b64 s[26:27], s[4:5]
	s_cbranch_execnz .LBB3_451
	s_branch .LBB3_469
.LBB3_347:                              ;   in Loop: Header=BB3_272 Depth=3
	v_ashrrev_i32_e32 v8, 31, v103
	v_lshrrev_b32_e32 v8, 22, v8
	v_add_u32_e32 v8, v103, v8
	v_and_b32_e32 v47, 0xfffffc00, v8
	v_ashrrev_i32_e32 v9, 10, v8
	v_sub_u32_e32 v57, v103, v47
	v_sub_u32_e32 v8, v9, v60
	v_cmp_lt_i32_e32 vcc, 15, v57
	v_sub_u32_e32 v113, v103, v38
	s_nop 0
	v_addc_co_u32_e64 v56, s[24:25], 0, v8, vcc
	v_cmp_lt_i32_e64 s[24:25], 15, v113
	s_and_saveexec_b64 s[92:93], s[24:25]
	s_cbranch_execz .LBB3_383
; %bb.348:                              ;   in Loop: Header=BB3_272 Depth=3
	s_trap 2
	ds_read_b64 v[8:9], v0
	s_and_b32 s46, s36, 1
	s_cmp_eq_u64 s[46:47], 0
	v_lshl_add_u64 v[40:41], v[116:117], 0, v[38:39]
	v_lshl_add_u64 v[42:43], v[118:119], 0, v[38:39]
	s_waitcnt lgkmcnt(0)
	v_lshl_add_u64 v[44:45], v[8:9], 0, v[38:39]
	s_mov_b64 s[94:95], 0
	s_cselect_b64 s[24:25], -1, 0
	s_branch .LBB3_350
.LBB3_349:                              ;   in Loop: Header=BB3_350 Depth=4
	s_or_b64 exec, exec, s[30:31]
	v_lshrrev_b32_e32 v12, 16, v12
	v_and_or_b32 v9, v9, s69, v12
	v_lshrrev_b32_e32 v12, 16, v74
	v_and_or_b32 v8, v8, s69, v12
	;; [unrolled: 2-line block ×3, first 2 shown]
	v_lshrrev_b32_e32 v12, 16, v14
	v_sub_u32_e32 v113, v113, v54
	v_and_or_b32 v11, v11, s69, v12
	v_cmp_gt_i32_e64 s[26:27], 16, v113
	global_store_dwordx4 v[42:43], v[8:11], off
	v_lshl_add_u64 v[40:41], v[40:41], 0, v[54:55]
	v_lshl_add_u64 v[44:45], v[44:45], 0, v[54:55]
	;; [unrolled: 1-line block ×3, first 2 shown]
	s_or_b64 s[94:95], s[26:27], s[94:95]
	v_sub_u32_e32 v56, v56, v36
	s_andn2_b64 exec, exec, s[94:95]
	s_cbranch_execz .LBB3_382
.LBB3_350:                              ;   Parent Loop BB3_47 Depth=1
                                        ;     Parent Loop BB3_269 Depth=2
                                        ;       Parent Loop BB3_272 Depth=3
                                        ; =>      This Inner Loop Header: Depth=4
	global_load_dwordx4 v[8:11], v[44:45], off nt
	global_load_dwordx4 v[12:15], v[40:41], off nt
	s_waitcnt vmcnt(0)
	v_lshlrev_b32_e32 v74, 16, v8
	v_lshlrev_b32_e32 v75, 16, v12
	v_max_f32_e32 v74, v74, v74
	v_max_f32_e32 v75, v75, v75
	v_min_f32_e32 v76, v75, v74
	v_max_f32_e32 v74, v75, v74
	v_cndmask_b32_e64 v75, v74, v76, s[24:25]
	v_and_b32_e32 v74, 0x7f800000, v75
	v_cmp_ne_u32_e64 s[26:27], s67, v74
                                        ; implicit-def: $vgpr74
	s_and_saveexec_b64 s[30:31], s[26:27]
	s_xor_b64 s[26:27], exec, s[30:31]
; %bb.351:                              ;   in Loop: Header=BB3_350 Depth=4
	v_bfe_u32 v74, v75, 16, 1
	v_add3_u32 v74, v75, v74, s68
                                        ; implicit-def: $vgpr75
; %bb.352:                              ;   in Loop: Header=BB3_350 Depth=4
	s_andn2_saveexec_b64 s[30:31], s[26:27]
; %bb.353:                              ;   in Loop: Header=BB3_350 Depth=4
	v_or_b32_e32 v74, 0x10000, v75
	v_cmp_eq_u32_sdwa s[26:27], v75, v3 src0_sel:WORD_0 src1_sel:DWORD
	s_nop 1
	v_cndmask_b32_e64 v74, v74, v75, s[26:27]
; %bb.354:                              ;   in Loop: Header=BB3_350 Depth=4
	s_or_b64 exec, exec, s[30:31]
	v_and_b32_e32 v8, 0xffff0000, v8
	v_and_b32_e32 v12, 0xffff0000, v12
	v_max_f32_e32 v8, v8, v8
	v_max_f32_e32 v12, v12, v12
	v_min_f32_e32 v75, v12, v8
	v_max_f32_e32 v8, v12, v8
	v_cndmask_b32_e64 v12, v8, v75, s[24:25]
	v_and_b32_e32 v8, 0x7f800000, v12
	v_cmp_ne_u32_e64 s[26:27], s67, v8
                                        ; implicit-def: $vgpr8
	s_and_saveexec_b64 s[30:31], s[26:27]
	s_xor_b64 s[26:27], exec, s[30:31]
; %bb.355:                              ;   in Loop: Header=BB3_350 Depth=4
	v_bfe_u32 v8, v12, 16, 1
	v_add3_u32 v8, v12, v8, s68
                                        ; implicit-def: $vgpr12
; %bb.356:                              ;   in Loop: Header=BB3_350 Depth=4
	s_andn2_saveexec_b64 s[30:31], s[26:27]
; %bb.357:                              ;   in Loop: Header=BB3_350 Depth=4
	v_or_b32_e32 v8, 0x10000, v12
	v_cmp_eq_u32_sdwa s[26:27], v12, v3 src0_sel:WORD_0 src1_sel:DWORD
	s_nop 1
	v_cndmask_b32_e64 v8, v8, v12, s[26:27]
; %bb.358:                              ;   in Loop: Header=BB3_350 Depth=4
	s_or_b64 exec, exec, s[30:31]
	v_lshlrev_b32_e32 v12, 16, v9
	v_lshlrev_b32_e32 v75, 16, v13
	v_max_f32_e32 v12, v12, v12
	v_max_f32_e32 v75, v75, v75
	v_min_f32_e32 v76, v75, v12
	v_max_f32_e32 v12, v75, v12
	v_cndmask_b32_e64 v75, v12, v76, s[24:25]
	v_and_b32_e32 v12, 0x7f800000, v75
	v_cmp_ne_u32_e64 s[26:27], s67, v12
                                        ; implicit-def: $vgpr12
	s_and_saveexec_b64 s[30:31], s[26:27]
	s_xor_b64 s[26:27], exec, s[30:31]
; %bb.359:                              ;   in Loop: Header=BB3_350 Depth=4
	v_bfe_u32 v12, v75, 16, 1
	v_add3_u32 v12, v75, v12, s68
                                        ; implicit-def: $vgpr75
; %bb.360:                              ;   in Loop: Header=BB3_350 Depth=4
	s_andn2_saveexec_b64 s[30:31], s[26:27]
; %bb.361:                              ;   in Loop: Header=BB3_350 Depth=4
	v_or_b32_e32 v12, 0x10000, v75
	v_cmp_eq_u32_sdwa s[26:27], v75, v3 src0_sel:WORD_0 src1_sel:DWORD
	s_nop 1
	v_cndmask_b32_e64 v12, v12, v75, s[26:27]
; %bb.362:                              ;   in Loop: Header=BB3_350 Depth=4
	s_or_b64 exec, exec, s[30:31]
	v_and_b32_e32 v13, 0xffff0000, v13
	v_and_b32_e32 v9, 0xffff0000, v9
	v_max_f32_e32 v9, v9, v9
	v_max_f32_e32 v13, v13, v13
	v_min_f32_e32 v75, v13, v9
	v_max_f32_e32 v9, v13, v9
	v_cndmask_b32_e64 v13, v9, v75, s[24:25]
	v_and_b32_e32 v9, 0x7f800000, v13
	v_cmp_ne_u32_e64 s[26:27], s67, v9
                                        ; implicit-def: $vgpr9
	s_and_saveexec_b64 s[30:31], s[26:27]
	s_xor_b64 s[26:27], exec, s[30:31]
; %bb.363:                              ;   in Loop: Header=BB3_350 Depth=4
	v_bfe_u32 v9, v13, 16, 1
	v_add3_u32 v9, v13, v9, s68
                                        ; implicit-def: $vgpr13
; %bb.364:                              ;   in Loop: Header=BB3_350 Depth=4
	s_andn2_saveexec_b64 s[30:31], s[26:27]
; %bb.365:                              ;   in Loop: Header=BB3_350 Depth=4
	v_or_b32_e32 v9, 0x10000, v13
	v_cmp_eq_u32_sdwa s[26:27], v13, v3 src0_sel:WORD_0 src1_sel:DWORD
	s_nop 1
	v_cndmask_b32_e64 v9, v9, v13, s[26:27]
; %bb.366:                              ;   in Loop: Header=BB3_350 Depth=4
	s_or_b64 exec, exec, s[30:31]
	v_lshlrev_b32_e32 v13, 16, v10
	v_lshlrev_b32_e32 v75, 16, v14
	v_max_f32_e32 v13, v13, v13
	v_max_f32_e32 v75, v75, v75
	v_min_f32_e32 v76, v75, v13
	v_max_f32_e32 v13, v75, v13
	v_cndmask_b32_e64 v75, v13, v76, s[24:25]
	v_and_b32_e32 v13, 0x7f800000, v75
	v_cmp_ne_u32_e64 s[26:27], s67, v13
                                        ; implicit-def: $vgpr13
	s_and_saveexec_b64 s[30:31], s[26:27]
	s_xor_b64 s[26:27], exec, s[30:31]
; %bb.367:                              ;   in Loop: Header=BB3_350 Depth=4
	v_bfe_u32 v13, v75, 16, 1
	v_add3_u32 v13, v75, v13, s68
                                        ; implicit-def: $vgpr75
; %bb.368:                              ;   in Loop: Header=BB3_350 Depth=4
	s_andn2_saveexec_b64 s[30:31], s[26:27]
; %bb.369:                              ;   in Loop: Header=BB3_350 Depth=4
	v_or_b32_e32 v13, 0x10000, v75
	v_cmp_eq_u32_sdwa s[26:27], v75, v3 src0_sel:WORD_0 src1_sel:DWORD
	s_nop 1
	v_cndmask_b32_e64 v13, v13, v75, s[26:27]
; %bb.370:                              ;   in Loop: Header=BB3_350 Depth=4
	s_or_b64 exec, exec, s[30:31]
	v_and_b32_e32 v14, 0xffff0000, v14
	v_and_b32_e32 v10, 0xffff0000, v10
	v_max_f32_e32 v10, v10, v10
	v_max_f32_e32 v14, v14, v14
	v_min_f32_e32 v75, v14, v10
	v_max_f32_e32 v10, v14, v10
	v_cndmask_b32_e64 v14, v10, v75, s[24:25]
	v_and_b32_e32 v10, 0x7f800000, v14
	v_cmp_ne_u32_e64 s[26:27], s67, v10
                                        ; implicit-def: $vgpr10
	s_and_saveexec_b64 s[30:31], s[26:27]
	s_xor_b64 s[26:27], exec, s[30:31]
; %bb.371:                              ;   in Loop: Header=BB3_350 Depth=4
	v_bfe_u32 v10, v14, 16, 1
	v_add3_u32 v10, v14, v10, s68
                                        ; implicit-def: $vgpr14
; %bb.372:                              ;   in Loop: Header=BB3_350 Depth=4
	s_andn2_saveexec_b64 s[30:31], s[26:27]
; %bb.373:                              ;   in Loop: Header=BB3_350 Depth=4
	v_or_b32_e32 v10, 0x10000, v14
	v_cmp_eq_u32_sdwa s[26:27], v14, v3 src0_sel:WORD_0 src1_sel:DWORD
	s_nop 1
	v_cndmask_b32_e64 v10, v10, v14, s[26:27]
; %bb.374:                              ;   in Loop: Header=BB3_350 Depth=4
	s_or_b64 exec, exec, s[30:31]
	v_lshlrev_b32_e32 v14, 16, v11
	v_lshlrev_b32_e32 v75, 16, v15
	v_max_f32_e32 v14, v14, v14
	v_max_f32_e32 v75, v75, v75
	v_min_f32_e32 v76, v75, v14
	v_max_f32_e32 v14, v75, v14
	v_cndmask_b32_e64 v75, v14, v76, s[24:25]
	v_and_b32_e32 v14, 0x7f800000, v75
	v_cmp_ne_u32_e64 s[26:27], s67, v14
                                        ; implicit-def: $vgpr14
	s_and_saveexec_b64 s[30:31], s[26:27]
	s_xor_b64 s[26:27], exec, s[30:31]
; %bb.375:                              ;   in Loop: Header=BB3_350 Depth=4
	v_bfe_u32 v14, v75, 16, 1
	v_add3_u32 v14, v75, v14, s68
                                        ; implicit-def: $vgpr75
; %bb.376:                              ;   in Loop: Header=BB3_350 Depth=4
	s_andn2_saveexec_b64 s[30:31], s[26:27]
; %bb.377:                              ;   in Loop: Header=BB3_350 Depth=4
	v_or_b32_e32 v14, 0x10000, v75
	v_cmp_eq_u32_sdwa s[26:27], v75, v3 src0_sel:WORD_0 src1_sel:DWORD
	s_nop 1
	v_cndmask_b32_e64 v14, v14, v75, s[26:27]
; %bb.378:                              ;   in Loop: Header=BB3_350 Depth=4
	s_or_b64 exec, exec, s[30:31]
	v_and_b32_e32 v15, 0xffff0000, v15
	v_and_b32_e32 v11, 0xffff0000, v11
	v_max_f32_e32 v11, v11, v11
	v_max_f32_e32 v15, v15, v15
	v_min_f32_e32 v75, v15, v11
	v_max_f32_e32 v11, v15, v11
	v_cndmask_b32_e64 v15, v11, v75, s[24:25]
	v_and_b32_e32 v11, 0x7f800000, v15
	v_cmp_ne_u32_e64 s[26:27], s67, v11
                                        ; implicit-def: $vgpr11
	s_and_saveexec_b64 s[30:31], s[26:27]
	s_xor_b64 s[26:27], exec, s[30:31]
; %bb.379:                              ;   in Loop: Header=BB3_350 Depth=4
	v_bfe_u32 v11, v15, 16, 1
	v_add3_u32 v11, v15, v11, s68
                                        ; implicit-def: $vgpr15
; %bb.380:                              ;   in Loop: Header=BB3_350 Depth=4
	s_andn2_saveexec_b64 s[30:31], s[26:27]
	s_cbranch_execz .LBB3_349
; %bb.381:                              ;   in Loop: Header=BB3_350 Depth=4
	v_or_b32_e32 v11, 0x10000, v15
	v_cmp_eq_u32_sdwa s[26:27], v15, v3 src0_sel:WORD_0 src1_sel:DWORD
	s_nop 1
	v_cndmask_b32_e64 v11, v11, v15, s[26:27]
	s_branch .LBB3_349
.LBB3_382:                              ;   in Loop: Header=BB3_272 Depth=3
	s_or_b64 exec, exec, s[94:95]
.LBB3_383:                              ;   in Loop: Header=BB3_272 Depth=3
	s_or_b64 exec, exec, s[92:93]
	v_and_b32_e32 v8, 14, v103
	v_cndmask_b32_e32 v113, v57, v8, vcc
	v_mov_b32_e32 v14, 0
	v_cmp_ne_u32_e64 s[24:25], 0, v113
	s_mov_b64 s[94:95], 0
                                        ; implicit-def: $vgpr103
                                        ; implicit-def: $vgpr15
	s_and_saveexec_b64 s[92:93], s[24:25]
	s_cbranch_execz .LBB3_421
; %bb.384:                              ;   in Loop: Header=BB3_272 Depth=3
	v_sub_u32_e32 v8, v57, v8
	v_cndmask_b32_e32 v8, 0, v8, vcc
	v_cmp_lt_i32_e32 vcc, 0, v56
	v_add_u32_e32 v103, v8, v47
	s_nop 0
	v_cndmask_b32_e32 v8, 0, v36, vcc
	v_sub_u32_e32 v8, v8, v56
	v_lshl_or_b32 v8, v8, 6, v59
	v_ashrrev_i32_e32 v9, 31, v8
	v_lshrrev_b32_e32 v9, 26, v9
	v_add_u32_e32 v9, v8, v9
	v_ashrrev_i32_e32 v10, 6, v9
	v_and_b32_e32 v9, 0xffffffc0, v9
	v_sub_u32_e32 v47, v8, v9
	v_ashrrev_i32_e32 v9, 31, v113
	v_lshrrev_b32_e32 v9, 22, v9
	v_add_u32_e32 v9, v113, v9
	v_and_b32_e32 v56, 0xfffffc00, v9
	v_lshlrev_b32_e32 v8, 4, v47
	v_sub_u32_e32 v57, v113, v56
	v_lshl_add_u32 v8, v10, 10, v8
	v_ashrrev_i32_e32 v11, 10, v9
	v_cmp_lt_i32_e32 vcc, 15, v57
	v_sub_u32_e32 v75, v113, v8
	s_nop 0
	v_addc_co_u32_e64 v9, s[24:25], 0, v11, vcc
	v_sub_u32_e32 v74, v9, v10
	v_cmp_lt_i32_e64 s[24:25], 15, v75
	s_and_saveexec_b64 s[94:95], s[24:25]
	s_cbranch_execz .LBB3_420
; %bb.385:                              ;   in Loop: Header=BB3_272 Depth=3
	s_trap 2
	ds_read_b64 v[10:11], v0
	v_add_u32_e32 v8, v8, v103
	s_and_b32 s46, s36, 1
	v_ashrrev_i32_e32 v9, 31, v8
	s_cmp_eq_u64 s[46:47], 0
	v_lshl_add_u64 v[40:41], v[8:9], 0, v[116:117]
	s_waitcnt lgkmcnt(0)
	v_lshl_add_u64 v[42:43], v[10:11], 0, v[8:9]
	v_lshl_add_u64 v[44:45], v[8:9], 0, v[118:119]
	s_mov_b64 s[30:31], 0
	s_cselect_b64 s[24:25], -1, 0
	s_branch .LBB3_387
.LBB3_386:                              ;   in Loop: Header=BB3_387 Depth=4
	s_or_b64 exec, exec, s[34:35]
	v_lshrrev_b32_e32 v12, 16, v12
	v_and_or_b32 v9, v9, s69, v12
	v_lshrrev_b32_e32 v12, 16, v76
	v_and_or_b32 v8, v8, s69, v12
	;; [unrolled: 2-line block ×3, first 2 shown]
	v_lshrrev_b32_e32 v12, 16, v14
	v_sub_u32_e32 v75, v75, v54
	v_and_or_b32 v11, v11, s69, v12
	v_cmp_gt_i32_e64 s[26:27], 16, v75
	global_store_dwordx4 v[44:45], v[8:11], off
	v_lshl_add_u64 v[40:41], v[40:41], 0, v[54:55]
	v_lshl_add_u64 v[42:43], v[42:43], 0, v[54:55]
	;; [unrolled: 1-line block ×3, first 2 shown]
	s_or_b64 s[30:31], s[26:27], s[30:31]
	v_sub_u32_e32 v74, v74, v36
	s_andn2_b64 exec, exec, s[30:31]
	s_cbranch_execz .LBB3_419
.LBB3_387:                              ;   Parent Loop BB3_47 Depth=1
                                        ;     Parent Loop BB3_269 Depth=2
                                        ;       Parent Loop BB3_272 Depth=3
                                        ; =>      This Inner Loop Header: Depth=4
	global_load_dwordx4 v[8:11], v[42:43], off nt
	global_load_dwordx4 v[12:15], v[40:41], off nt
	s_waitcnt vmcnt(0)
	v_lshlrev_b32_e32 v76, 16, v8
	v_lshlrev_b32_e32 v77, 16, v12
	v_max_f32_e32 v76, v76, v76
	v_max_f32_e32 v77, v77, v77
	v_min_f32_e32 v78, v77, v76
	v_max_f32_e32 v76, v77, v76
	v_cndmask_b32_e64 v77, v76, v78, s[24:25]
	v_and_b32_e32 v76, 0x7f800000, v77
	v_cmp_ne_u32_e64 s[26:27], s67, v76
                                        ; implicit-def: $vgpr76
	s_and_saveexec_b64 s[34:35], s[26:27]
	s_xor_b64 s[26:27], exec, s[34:35]
; %bb.388:                              ;   in Loop: Header=BB3_387 Depth=4
	v_bfe_u32 v76, v77, 16, 1
	v_add3_u32 v76, v77, v76, s68
                                        ; implicit-def: $vgpr77
; %bb.389:                              ;   in Loop: Header=BB3_387 Depth=4
	s_andn2_saveexec_b64 s[34:35], s[26:27]
; %bb.390:                              ;   in Loop: Header=BB3_387 Depth=4
	v_or_b32_e32 v76, 0x10000, v77
	v_cmp_eq_u32_sdwa s[26:27], v77, v3 src0_sel:WORD_0 src1_sel:DWORD
	s_nop 1
	v_cndmask_b32_e64 v76, v76, v77, s[26:27]
; %bb.391:                              ;   in Loop: Header=BB3_387 Depth=4
	s_or_b64 exec, exec, s[34:35]
	v_and_b32_e32 v8, 0xffff0000, v8
	v_and_b32_e32 v12, 0xffff0000, v12
	v_max_f32_e32 v8, v8, v8
	v_max_f32_e32 v12, v12, v12
	v_min_f32_e32 v77, v12, v8
	v_max_f32_e32 v8, v12, v8
	v_cndmask_b32_e64 v12, v8, v77, s[24:25]
	v_and_b32_e32 v8, 0x7f800000, v12
	v_cmp_ne_u32_e64 s[26:27], s67, v8
                                        ; implicit-def: $vgpr8
	s_and_saveexec_b64 s[34:35], s[26:27]
	s_xor_b64 s[26:27], exec, s[34:35]
; %bb.392:                              ;   in Loop: Header=BB3_387 Depth=4
	v_bfe_u32 v8, v12, 16, 1
	v_add3_u32 v8, v12, v8, s68
                                        ; implicit-def: $vgpr12
; %bb.393:                              ;   in Loop: Header=BB3_387 Depth=4
	s_andn2_saveexec_b64 s[34:35], s[26:27]
; %bb.394:                              ;   in Loop: Header=BB3_387 Depth=4
	v_or_b32_e32 v8, 0x10000, v12
	v_cmp_eq_u32_sdwa s[26:27], v12, v3 src0_sel:WORD_0 src1_sel:DWORD
	s_nop 1
	v_cndmask_b32_e64 v8, v8, v12, s[26:27]
; %bb.395:                              ;   in Loop: Header=BB3_387 Depth=4
	s_or_b64 exec, exec, s[34:35]
	v_lshlrev_b32_e32 v12, 16, v9
	v_lshlrev_b32_e32 v77, 16, v13
	v_max_f32_e32 v12, v12, v12
	v_max_f32_e32 v77, v77, v77
	v_min_f32_e32 v78, v77, v12
	v_max_f32_e32 v12, v77, v12
	v_cndmask_b32_e64 v77, v12, v78, s[24:25]
	v_and_b32_e32 v12, 0x7f800000, v77
	v_cmp_ne_u32_e64 s[26:27], s67, v12
                                        ; implicit-def: $vgpr12
	s_and_saveexec_b64 s[34:35], s[26:27]
	s_xor_b64 s[26:27], exec, s[34:35]
; %bb.396:                              ;   in Loop: Header=BB3_387 Depth=4
	v_bfe_u32 v12, v77, 16, 1
	v_add3_u32 v12, v77, v12, s68
                                        ; implicit-def: $vgpr77
; %bb.397:                              ;   in Loop: Header=BB3_387 Depth=4
	s_andn2_saveexec_b64 s[34:35], s[26:27]
; %bb.398:                              ;   in Loop: Header=BB3_387 Depth=4
	v_or_b32_e32 v12, 0x10000, v77
	v_cmp_eq_u32_sdwa s[26:27], v77, v3 src0_sel:WORD_0 src1_sel:DWORD
	s_nop 1
	v_cndmask_b32_e64 v12, v12, v77, s[26:27]
; %bb.399:                              ;   in Loop: Header=BB3_387 Depth=4
	s_or_b64 exec, exec, s[34:35]
	v_and_b32_e32 v13, 0xffff0000, v13
	v_and_b32_e32 v9, 0xffff0000, v9
	v_max_f32_e32 v9, v9, v9
	v_max_f32_e32 v13, v13, v13
	v_min_f32_e32 v77, v13, v9
	v_max_f32_e32 v9, v13, v9
	v_cndmask_b32_e64 v13, v9, v77, s[24:25]
	v_and_b32_e32 v9, 0x7f800000, v13
	v_cmp_ne_u32_e64 s[26:27], s67, v9
                                        ; implicit-def: $vgpr9
	s_and_saveexec_b64 s[34:35], s[26:27]
	s_xor_b64 s[26:27], exec, s[34:35]
; %bb.400:                              ;   in Loop: Header=BB3_387 Depth=4
	v_bfe_u32 v9, v13, 16, 1
	v_add3_u32 v9, v13, v9, s68
                                        ; implicit-def: $vgpr13
; %bb.401:                              ;   in Loop: Header=BB3_387 Depth=4
	s_andn2_saveexec_b64 s[34:35], s[26:27]
; %bb.402:                              ;   in Loop: Header=BB3_387 Depth=4
	v_or_b32_e32 v9, 0x10000, v13
	v_cmp_eq_u32_sdwa s[26:27], v13, v3 src0_sel:WORD_0 src1_sel:DWORD
	s_nop 1
	v_cndmask_b32_e64 v9, v9, v13, s[26:27]
; %bb.403:                              ;   in Loop: Header=BB3_387 Depth=4
	s_or_b64 exec, exec, s[34:35]
	v_lshlrev_b32_e32 v13, 16, v10
	v_lshlrev_b32_e32 v77, 16, v14
	v_max_f32_e32 v13, v13, v13
	v_max_f32_e32 v77, v77, v77
	v_min_f32_e32 v78, v77, v13
	v_max_f32_e32 v13, v77, v13
	v_cndmask_b32_e64 v77, v13, v78, s[24:25]
	v_and_b32_e32 v13, 0x7f800000, v77
	v_cmp_ne_u32_e64 s[26:27], s67, v13
                                        ; implicit-def: $vgpr13
	s_and_saveexec_b64 s[34:35], s[26:27]
	s_xor_b64 s[26:27], exec, s[34:35]
; %bb.404:                              ;   in Loop: Header=BB3_387 Depth=4
	v_bfe_u32 v13, v77, 16, 1
	v_add3_u32 v13, v77, v13, s68
                                        ; implicit-def: $vgpr77
; %bb.405:                              ;   in Loop: Header=BB3_387 Depth=4
	s_andn2_saveexec_b64 s[34:35], s[26:27]
; %bb.406:                              ;   in Loop: Header=BB3_387 Depth=4
	v_or_b32_e32 v13, 0x10000, v77
	v_cmp_eq_u32_sdwa s[26:27], v77, v3 src0_sel:WORD_0 src1_sel:DWORD
	s_nop 1
	v_cndmask_b32_e64 v13, v13, v77, s[26:27]
; %bb.407:                              ;   in Loop: Header=BB3_387 Depth=4
	s_or_b64 exec, exec, s[34:35]
	v_and_b32_e32 v14, 0xffff0000, v14
	v_and_b32_e32 v10, 0xffff0000, v10
	v_max_f32_e32 v10, v10, v10
	v_max_f32_e32 v14, v14, v14
	v_min_f32_e32 v77, v14, v10
	v_max_f32_e32 v10, v14, v10
	v_cndmask_b32_e64 v14, v10, v77, s[24:25]
	v_and_b32_e32 v10, 0x7f800000, v14
	v_cmp_ne_u32_e64 s[26:27], s67, v10
                                        ; implicit-def: $vgpr10
	s_and_saveexec_b64 s[34:35], s[26:27]
	s_xor_b64 s[26:27], exec, s[34:35]
; %bb.408:                              ;   in Loop: Header=BB3_387 Depth=4
	v_bfe_u32 v10, v14, 16, 1
	v_add3_u32 v10, v14, v10, s68
                                        ; implicit-def: $vgpr14
; %bb.409:                              ;   in Loop: Header=BB3_387 Depth=4
	s_andn2_saveexec_b64 s[34:35], s[26:27]
; %bb.410:                              ;   in Loop: Header=BB3_387 Depth=4
	v_or_b32_e32 v10, 0x10000, v14
	v_cmp_eq_u32_sdwa s[26:27], v14, v3 src0_sel:WORD_0 src1_sel:DWORD
	s_nop 1
	v_cndmask_b32_e64 v10, v10, v14, s[26:27]
; %bb.411:                              ;   in Loop: Header=BB3_387 Depth=4
	s_or_b64 exec, exec, s[34:35]
	v_lshlrev_b32_e32 v14, 16, v11
	v_lshlrev_b32_e32 v77, 16, v15
	v_max_f32_e32 v14, v14, v14
	v_max_f32_e32 v77, v77, v77
	v_min_f32_e32 v78, v77, v14
	v_max_f32_e32 v14, v77, v14
	v_cndmask_b32_e64 v77, v14, v78, s[24:25]
	v_and_b32_e32 v14, 0x7f800000, v77
	v_cmp_ne_u32_e64 s[26:27], s67, v14
                                        ; implicit-def: $vgpr14
	s_and_saveexec_b64 s[34:35], s[26:27]
	s_xor_b64 s[26:27], exec, s[34:35]
; %bb.412:                              ;   in Loop: Header=BB3_387 Depth=4
	v_bfe_u32 v14, v77, 16, 1
	v_add3_u32 v14, v77, v14, s68
                                        ; implicit-def: $vgpr77
; %bb.413:                              ;   in Loop: Header=BB3_387 Depth=4
	s_andn2_saveexec_b64 s[34:35], s[26:27]
; %bb.414:                              ;   in Loop: Header=BB3_387 Depth=4
	v_or_b32_e32 v14, 0x10000, v77
	v_cmp_eq_u32_sdwa s[26:27], v77, v3 src0_sel:WORD_0 src1_sel:DWORD
	s_nop 1
	v_cndmask_b32_e64 v14, v14, v77, s[26:27]
; %bb.415:                              ;   in Loop: Header=BB3_387 Depth=4
	s_or_b64 exec, exec, s[34:35]
	v_and_b32_e32 v15, 0xffff0000, v15
	v_and_b32_e32 v11, 0xffff0000, v11
	v_max_f32_e32 v11, v11, v11
	v_max_f32_e32 v15, v15, v15
	v_min_f32_e32 v77, v15, v11
	v_max_f32_e32 v11, v15, v11
	v_cndmask_b32_e64 v15, v11, v77, s[24:25]
	v_and_b32_e32 v11, 0x7f800000, v15
	v_cmp_ne_u32_e64 s[26:27], s67, v11
                                        ; implicit-def: $vgpr11
	s_and_saveexec_b64 s[34:35], s[26:27]
	s_xor_b64 s[26:27], exec, s[34:35]
; %bb.416:                              ;   in Loop: Header=BB3_387 Depth=4
	v_bfe_u32 v11, v15, 16, 1
	v_add3_u32 v11, v15, v11, s68
                                        ; implicit-def: $vgpr15
; %bb.417:                              ;   in Loop: Header=BB3_387 Depth=4
	s_andn2_saveexec_b64 s[34:35], s[26:27]
	s_cbranch_execz .LBB3_386
; %bb.418:                              ;   in Loop: Header=BB3_387 Depth=4
	v_or_b32_e32 v11, 0x10000, v15
	v_cmp_eq_u32_sdwa s[26:27], v15, v3 src0_sel:WORD_0 src1_sel:DWORD
	s_nop 1
	v_cndmask_b32_e64 v11, v11, v15, s[26:27]
	s_branch .LBB3_386
.LBB3_419:                              ;   in Loop: Header=BB3_272 Depth=3
	s_or_b64 exec, exec, s[30:31]
.LBB3_420:                              ;   in Loop: Header=BB3_272 Depth=3
	s_or_b64 exec, exec, s[94:95]
	v_and_b32_e32 v8, 14, v113
	v_sub_u32_e32 v9, v57, v8
	v_cndmask_b32_e32 v9, 0, v9, vcc
	v_add3_u32 v14, v56, v103, v9
	v_cndmask_b32_e32 v103, v57, v8, vcc
	v_cmp_lt_i32_e32 vcc, 0, v74
	s_nop 1
	v_cndmask_b32_e32 v8, 0, v36, vcc
	v_sub_u32_e32 v8, v8, v74
	v_cmp_ne_u32_e32 vcc, 0, v103
	v_lshl_add_u32 v15, v8, 6, v47
	s_and_b64 s[94:95], vcc, exec
.LBB3_421:                              ;   in Loop: Header=BB3_272 Depth=3
	s_or_b64 exec, exec, s[92:93]
	s_and_saveexec_b64 s[26:27], s[94:95]
	s_cbranch_execz .LBB3_450
.LBB3_422:                              ;   in Loop: Header=BB3_272 Depth=3
	v_ashrrev_i32_e32 v8, 31, v15
	v_ashrrev_i32_e32 v9, 31, v103
	v_lshrrev_b32_e32 v8, 26, v8
	v_lshrrev_b32_e32 v9, 23, v9
	v_add_u32_e32 v8, v15, v8
	v_add_u32_e32 v9, v103, v9
	v_ashrrev_i32_e32 v113, 6, v8
	v_ashrrev_i32_e32 v41, 9, v9
	v_sub_u32_e32 v40, v41, v113
	v_cmp_lt_i32_e32 vcc, 0, v40
	s_and_saveexec_b64 s[92:93], vcc
	s_cbranch_execz .LBB3_442
; %bb.423:                              ;   in Loop: Header=BB3_272 Depth=3
	v_and_b32_e32 v8, 0x7fffffc0, v8
	s_trap 2
	ds_read_b64 v[10:11], v0
	v_sub_u32_e32 v8, v15, v8
	v_lshlrev_b32_e32 v8, 1, v8
	v_lshlrev_b32_e32 v9, 9, v113
	v_add3_u32 v12, v8, v14, v9
	s_and_b32 s46, s36, 1
	v_ashrrev_i32_e32 v13, 31, v12
	s_cmp_eq_u64 s[46:47], 0
	v_lshl_add_u64 v[8:9], v[12:13], 0, v[116:117]
	s_waitcnt lgkmcnt(0)
	v_lshl_add_u64 v[10:11], v[10:11], 0, v[12:13]
	v_lshl_add_u64 v[12:13], v[12:13], 0, v[118:119]
	s_mov_b64 s[94:95], 0
	s_cselect_b64 vcc, -1, 0
	s_branch .LBB3_425
.LBB3_424:                              ;   in Loop: Header=BB3_425 Depth=4
	s_or_b64 exec, exec, s[30:31]
	v_sub_u32_e32 v40, v40, v36
	v_cmp_gt_i32_e64 s[24:25], 1, v40
	flat_store_short_d16_hi v[12:13], v42 nt
	flat_store_short_d16_hi v[12:13], v45 offset:128 nt
	flat_store_short_d16_hi v[12:13], v47 offset:256 nt
	;; [unrolled: 1-line block ×3, first 2 shown]
	v_lshl_add_u64 v[8:9], v[8:9], 0, v[64:65]
	v_lshl_add_u64 v[10:11], v[10:11], 0, v[64:65]
	s_or_b64 s[94:95], s[24:25], s[94:95]
	v_lshl_add_u64 v[12:13], v[12:13], 0, v[64:65]
	s_andn2_b64 exec, exec, s[94:95]
	s_cbranch_execz .LBB3_441
.LBB3_425:                              ;   Parent Loop BB3_47 Depth=1
                                        ;     Parent Loop BB3_269 Depth=2
                                        ;       Parent Loop BB3_272 Depth=3
                                        ; =>      This Inner Loop Header: Depth=4
	flat_load_ushort v47, v[8:9] offset:256 nt
	flat_load_ushort v43, v[8:9] offset:384 nt
	flat_load_ushort v42, v[8:9] nt
	flat_load_ushort v56, v[10:11] offset:256 nt
	flat_load_ushort v44, v[10:11] offset:384 nt
	flat_load_ushort v74, v[10:11] nt
	flat_load_ushort v45, v[8:9] offset:128 nt
	flat_load_ushort v57, v[10:11] offset:128 nt
	s_waitcnt vmcnt(0) lgkmcnt(0)
	v_lshlrev_b32_e32 v42, 16, v42
	v_max_f32_e32 v42, v42, v42
	v_lshlrev_b32_e32 v74, 16, v74
	v_max_f32_e32 v74, v74, v74
	v_min_f32_e32 v75, v42, v74
	v_max_f32_e32 v42, v42, v74
	v_cndmask_b32_e32 v74, v42, v75, vcc
	v_and_b32_e32 v42, 0x7f800000, v74
	v_cmp_ne_u32_e64 s[24:25], s67, v42
                                        ; implicit-def: $vgpr42
	s_and_saveexec_b64 s[30:31], s[24:25]
	s_xor_b64 s[24:25], exec, s[30:31]
; %bb.426:                              ;   in Loop: Header=BB3_425 Depth=4
	v_bfe_u32 v42, v74, 16, 1
	v_add3_u32 v42, v74, v42, s68
                                        ; implicit-def: $vgpr74
; %bb.427:                              ;   in Loop: Header=BB3_425 Depth=4
	s_andn2_saveexec_b64 s[30:31], s[24:25]
; %bb.428:                              ;   in Loop: Header=BB3_425 Depth=4
	v_or_b32_e32 v42, 0x10000, v74
	v_cmp_eq_u32_sdwa s[24:25], v74, v3 src0_sel:WORD_0 src1_sel:DWORD
	s_nop 1
	v_cndmask_b32_e64 v42, v42, v74, s[24:25]
; %bb.429:                              ;   in Loop: Header=BB3_425 Depth=4
	s_or_b64 exec, exec, s[30:31]
	v_lshlrev_b32_e32 v45, 16, v45
	v_lshlrev_b32_e32 v57, 16, v57
	v_max_f32_e32 v57, v57, v57
	v_max_f32_e32 v45, v45, v45
	v_min_f32_e32 v74, v45, v57
	v_max_f32_e32 v45, v45, v57
	v_cndmask_b32_e32 v57, v45, v74, vcc
	v_and_b32_e32 v45, 0x7f800000, v57
	v_cmp_ne_u32_e64 s[24:25], s67, v45
                                        ; implicit-def: $vgpr45
	s_and_saveexec_b64 s[30:31], s[24:25]
	s_xor_b64 s[24:25], exec, s[30:31]
; %bb.430:                              ;   in Loop: Header=BB3_425 Depth=4
	v_bfe_u32 v45, v57, 16, 1
	v_add3_u32 v45, v57, v45, s68
                                        ; implicit-def: $vgpr57
; %bb.431:                              ;   in Loop: Header=BB3_425 Depth=4
	s_andn2_saveexec_b64 s[30:31], s[24:25]
; %bb.432:                              ;   in Loop: Header=BB3_425 Depth=4
	v_or_b32_e32 v45, 0x10000, v57
	v_cmp_eq_u32_sdwa s[24:25], v57, v3 src0_sel:WORD_0 src1_sel:DWORD
	s_nop 1
	v_cndmask_b32_e64 v45, v45, v57, s[24:25]
; %bb.433:                              ;   in Loop: Header=BB3_425 Depth=4
	s_or_b64 exec, exec, s[30:31]
	v_lshlrev_b32_e32 v47, 16, v47
	v_lshlrev_b32_e32 v56, 16, v56
	v_max_f32_e32 v56, v56, v56
	v_max_f32_e32 v47, v47, v47
	v_min_f32_e32 v57, v47, v56
	v_max_f32_e32 v47, v47, v56
	v_cndmask_b32_e32 v56, v47, v57, vcc
	v_and_b32_e32 v47, 0x7f800000, v56
	v_cmp_ne_u32_e64 s[24:25], s67, v47
                                        ; implicit-def: $vgpr47
	s_and_saveexec_b64 s[30:31], s[24:25]
	s_xor_b64 s[24:25], exec, s[30:31]
; %bb.434:                              ;   in Loop: Header=BB3_425 Depth=4
	v_bfe_u32 v47, v56, 16, 1
	v_add3_u32 v47, v56, v47, s68
                                        ; implicit-def: $vgpr56
; %bb.435:                              ;   in Loop: Header=BB3_425 Depth=4
	s_andn2_saveexec_b64 s[30:31], s[24:25]
; %bb.436:                              ;   in Loop: Header=BB3_425 Depth=4
	v_or_b32_e32 v47, 0x10000, v56
	v_cmp_eq_u32_sdwa s[24:25], v56, v3 src0_sel:WORD_0 src1_sel:DWORD
	s_nop 1
	v_cndmask_b32_e64 v47, v47, v56, s[24:25]
; %bb.437:                              ;   in Loop: Header=BB3_425 Depth=4
	s_or_b64 exec, exec, s[30:31]
	v_lshlrev_b32_e32 v43, 16, v43
	v_lshlrev_b32_e32 v44, 16, v44
	v_max_f32_e32 v44, v44, v44
	v_max_f32_e32 v43, v43, v43
	v_min_f32_e32 v56, v43, v44
	v_max_f32_e32 v43, v43, v44
	v_cndmask_b32_e32 v44, v43, v56, vcc
	v_and_b32_e32 v43, 0x7f800000, v44
	v_cmp_ne_u32_e64 s[24:25], s67, v43
                                        ; implicit-def: $vgpr43
	s_and_saveexec_b64 s[30:31], s[24:25]
	s_xor_b64 s[24:25], exec, s[30:31]
; %bb.438:                              ;   in Loop: Header=BB3_425 Depth=4
	v_bfe_u32 v43, v44, 16, 1
	v_add3_u32 v43, v44, v43, s68
                                        ; implicit-def: $vgpr44
; %bb.439:                              ;   in Loop: Header=BB3_425 Depth=4
	s_andn2_saveexec_b64 s[30:31], s[24:25]
	s_cbranch_execz .LBB3_424
; %bb.440:                              ;   in Loop: Header=BB3_425 Depth=4
	v_or_b32_e32 v43, 0x10000, v44
	v_cmp_eq_u32_sdwa s[24:25], v44, v3 src0_sel:WORD_0 src1_sel:DWORD
	s_nop 1
	v_cndmask_b32_e64 v43, v43, v44, s[24:25]
	s_branch .LBB3_424
.LBB3_441:                              ;   in Loop: Header=BB3_272 Depth=3
	s_or_b64 exec, exec, s[94:95]
.LBB3_442:                              ;   in Loop: Header=BB3_272 Depth=3
	s_or_b64 exec, exec, s[92:93]
	v_lshlrev_b32_e32 v8, 9, v41
	v_cmp_ne_u32_e32 vcc, v103, v8
	s_and_b64 exec, exec, vcc
	s_cbranch_execz .LBB3_450
; %bb.443:                              ;   in Loop: Header=BB3_272 Depth=3
	v_lshlrev_b32_e32 v9, 6, v113
	v_sub_u32_e32 v9, v15, v9
	v_lshlrev_b32_e32 v10, 6, v40
	v_sub_u32_e32 v9, v9, v10
	v_ashrrev_i32_e32 v10, 31, v9
	v_lshrrev_b32_e32 v10, 26, v10
	v_add_u32_e32 v10, v9, v10
	v_and_b32_e32 v11, 0x7fffffc0, v10
	v_sub_u32_e32 v9, v9, v11
	v_lshlrev_b32_e32 v10, 1, v10
	v_and_b32_e32 v10, 0xffffff80, v10
	v_lshlrev_b32_e32 v9, 1, v9
	v_add3_u32 v8, v10, v9, v8
	v_sub_u32_e32 v15, v103, v8
	v_cmp_lt_i32_e32 vcc, 1, v15
	s_and_b64 exec, exec, vcc
	s_cbranch_execz .LBB3_450
; %bb.444:                              ;   in Loop: Header=BB3_272 Depth=3
	s_trap 2
	ds_read_b64 v[10:11], v0
	v_add_u32_e32 v12, v8, v14
	s_and_b32 s46, s36, 1
	v_ashrrev_i32_e32 v13, 31, v12
	s_cmp_eq_u64 s[46:47], 0
	v_lshl_add_u64 v[8:9], v[12:13], 0, v[116:117]
	s_waitcnt lgkmcnt(0)
	v_lshl_add_u64 v[10:11], v[10:11], 0, v[12:13]
	v_lshl_add_u64 v[12:13], v[12:13], 0, v[118:119]
	s_mov_b64 s[92:93], 0
	s_cselect_b64 vcc, -1, 0
	s_branch .LBB3_446
.LBB3_445:                              ;   in Loop: Header=BB3_446 Depth=4
	s_or_b64 exec, exec, s[94:95]
	v_sub_u32_e32 v15, v15, v66
	v_cmp_gt_i32_e64 s[24:25], 2, v15
	flat_store_short_d16_hi v[12:13], v103 nt
	v_lshl_add_u64 v[8:9], v[8:9], 0, v[66:67]
	v_lshl_add_u64 v[10:11], v[10:11], 0, v[66:67]
	s_or_b64 s[92:93], s[24:25], s[92:93]
	v_lshl_add_u64 v[12:13], v[12:13], 0, v[66:67]
	s_andn2_b64 exec, exec, s[92:93]
	s_cbranch_execz .LBB3_450
.LBB3_446:                              ;   Parent Loop BB3_47 Depth=1
                                        ;     Parent Loop BB3_269 Depth=2
                                        ;       Parent Loop BB3_272 Depth=3
                                        ; =>      This Inner Loop Header: Depth=4
	flat_load_ushort v14, v[10:11] nt
	flat_load_ushort v103, v[8:9] nt
	s_waitcnt vmcnt(0) lgkmcnt(0)
	v_lshlrev_b32_e32 v14, 16, v14
	v_lshlrev_b32_e32 v103, 16, v103
	v_max_f32_e32 v14, v14, v14
	v_max_f32_e32 v103, v103, v103
	v_min_f32_e32 v113, v103, v14
	v_max_f32_e32 v14, v103, v14
	v_cndmask_b32_e32 v14, v14, v113, vcc
	v_and_b32_e32 v103, 0x7f800000, v14
	v_cmp_ne_u32_e64 s[24:25], s67, v103
                                        ; implicit-def: $vgpr103
	s_and_saveexec_b64 s[94:95], s[24:25]
	s_xor_b64 s[24:25], exec, s[94:95]
; %bb.447:                              ;   in Loop: Header=BB3_446 Depth=4
	v_bfe_u32 v103, v14, 16, 1
	v_add3_u32 v103, v14, v103, s68
                                        ; implicit-def: $vgpr14
; %bb.448:                              ;   in Loop: Header=BB3_446 Depth=4
	s_andn2_saveexec_b64 s[94:95], s[24:25]
	s_cbranch_execz .LBB3_445
; %bb.449:                              ;   in Loop: Header=BB3_446 Depth=4
	v_or_b32_e32 v103, 0x10000, v14
	v_cmp_eq_u32_sdwa s[24:25], v14, v3 src0_sel:WORD_0 src1_sel:DWORD
	s_nop 1
	v_cndmask_b32_e64 v103, v103, v14, s[24:25]
	s_branch .LBB3_445
.LBB3_450:                              ;   in Loop: Header=BB3_272 Depth=3
	s_or_b64 exec, exec, s[26:27]
	v_cmp_lt_i32_e64 s[24:25], 0, v2
	s_and_saveexec_b64 s[26:27], s[4:5]
	s_cbranch_execz .LBB3_469
.LBB3_451:                              ;   in Loop: Header=BB3_272 Depth=3
	s_and_saveexec_b64 s[92:93], s[56:57]
	s_xor_b64 s[92:93], exec, s[92:93]
	s_cbranch_execz .LBB3_466
; %bb.452:                              ;   in Loop: Header=BB3_272 Depth=3
	s_and_saveexec_b64 s[94:95], s[12:13]
	s_cbranch_execz .LBB3_465
; %bb.453:                              ;   in Loop: Header=BB3_272 Depth=3
	s_mov_b64 s[34:35], exec
	v_mbcnt_lo_u32_b32 v2, s34, 0
	v_mbcnt_hi_u32_b32 v2, s35, v2
	v_cmp_eq_u32_e32 vcc, 0, v2
	s_waitcnt lgkmcnt(0)
	s_and_saveexec_b64 s[30:31], vcc
	s_cbranch_execz .LBB3_455
; %bb.454:                              ;   in Loop: Header=BB3_272 Depth=3
	s_bcnt1_i32_b64 s46, s[34:35]
	v_mov_b32_e32 v2, s46
	ds_add_u64 v0, v[2:3]
	s_trap 2
.LBB3_455:                              ;   in Loop: Header=BB3_272 Depth=3
	s_or_b64 exec, exec, s[30:31]
	s_trap 2
	ds_read_b64 v[8:9], v0
	s_waitcnt lgkmcnt(0)
	v_lshl_add_u64 v[32:33], v[32:33], 0, v[36:37]
	v_cmp_lt_u64_e32 vcc, v[8:9], v[32:33]
	s_and_saveexec_b64 s[30:31], vcc
	s_cbranch_execz .LBB3_464
; %bb.456:                              ;   in Loop: Header=BB3_272 Depth=3
	s_mov_b32 s46, 0
	s_mov_b64 s[34:35], 0
                                        ; implicit-def: $sgpr36_sgpr37
                                        ; implicit-def: $sgpr38_sgpr39
	s_branch .LBB3_458
.LBB3_457:                              ;   in Loop: Header=BB3_458 Depth=4
	s_or_b64 exec, exec, s[50:51]
	s_and_b64 vcc, exec, vcc
	s_or_b64 s[34:35], vcc, s[34:35]
	s_andn2_b64 vcc, s[36:37], exec
	s_and_b64 s[36:37], s[38:39], exec
	s_or_b64 s[36:37], vcc, s[36:37]
	s_andn2_b64 exec, exec, s[34:35]
	s_cbranch_execz .LBB3_462
.LBB3_458:                              ;   Parent Loop BB3_47 Depth=1
                                        ;     Parent Loop BB3_269 Depth=2
                                        ;       Parent Loop BB3_272 Depth=3
                                        ; =>      This Inner Loop Header: Depth=4
	s_add_i32 s46, s46, 1
	s_cmpk_lg_i32 s46, 0x2710
	s_cselect_b64 s[48:49], -1, 0
	s_and_b64 vcc, exec, s[48:49]
	s_cbranch_vccz .LBB3_460
; %bb.459:                              ;   in Loop: Header=BB3_458 Depth=4
	s_mov_b64 vcc, -1
	s_or_b64 s[38:39], s[38:39], exec
	s_and_saveexec_b64 s[50:51], s[48:49]
	s_cbranch_execz .LBB3_457
	s_branch .LBB3_461
.LBB3_460:                              ;   in Loop: Header=BB3_458 Depth=4
	s_trap 2
	ds_read_b64 v[8:9], v0
	s_andn2_b64 s[48:49], s[48:49], exec
	s_mov_b32 s46, 0
	s_waitcnt vmcnt(0) lgkmcnt(0)
	flat_load_dword v2, v[8:9] sc0 sc1
	s_waitcnt vmcnt(0) lgkmcnt(0)
	buffer_inv sc0 sc1
	v_cmp_eq_u32_e32 vcc, 0, v2
	s_and_b64 vcc, vcc, exec
	s_or_b64 s[48:49], s[48:49], vcc
	s_mov_b64 vcc, -1
	s_or_b64 s[38:39], s[38:39], exec
	s_and_saveexec_b64 s[50:51], s[48:49]
	s_cbranch_execz .LBB3_457
.LBB3_461:                              ;   in Loop: Header=BB3_458 Depth=4
	s_sleep 1
	s_trap 2
	ds_read_b64 v[8:9], v0
	s_waitcnt lgkmcnt(0)
	s_andn2_b64 s[38:39], s[38:39], exec
	v_cmp_ge_u64_e32 vcc, v[8:9], v[32:33]
	s_orn2_b64 vcc, vcc, exec
	s_branch .LBB3_457
.LBB3_462:                              ;   in Loop: Header=BB3_272 Depth=3
	s_or_b64 exec, exec, s[34:35]
	s_and_saveexec_b64 vcc, s[36:37]
	s_xor_b64 vcc, exec, vcc
	s_cbranch_execz .LBB3_464
; %bb.463:                              ;   in Loop: Header=BB3_272 Depth=3
	ds_write_b32 v0, v61
	s_trap 2
.LBB3_464:                              ;   in Loop: Header=BB3_272 Depth=3
	s_or_b64 exec, exec, s[30:31]
	;;#ASMSTART
	s_wakeup
	;;#ASMEND
.LBB3_465:                              ;   in Loop: Header=BB3_272 Depth=3
	s_or_b64 exec, exec, s[94:95]
.LBB3_466:                              ;   in Loop: Header=BB3_272 Depth=3
	s_andn2_saveexec_b64 s[92:93], s[92:93]
	s_cbranch_execz .LBB3_468
; %bb.467:                              ;   in Loop: Header=BB3_272 Depth=3
	s_waitcnt lgkmcnt(0)
	s_barrier
.LBB3_468:                              ;   in Loop: Header=BB3_272 Depth=3
	s_or_b64 exec, exec, s[92:93]
.LBB3_469:                              ;   in Loop: Header=BB3_272 Depth=3
	s_or_b64 exec, exec, s[26:27]
	v_and_b32_e32 v8, 16, v58
	s_and_saveexec_b64 s[26:27], s[20:21]
	s_xor_b64 s[26:27], exec, s[26:27]
	s_cbranch_execz .LBB3_473
; %bb.470:                              ;   in Loop: Header=BB3_272 Depth=3
	v_and_b32_e32 v2, 16, v58
	v_cmp_ne_u32_e32 vcc, 0, v2
	v_and_b32_e32 v8, 16, v58
	s_and_b64 s[92:93], vcc, s[24:25]
	s_and_saveexec_b64 s[24:25], s[92:93]
	s_cbranch_execz .LBB3_472
; %bb.471:                              ;   in Loop: Header=BB3_272 Depth=3
	v_mov_b32_e32 v8, 1
	buffer_wbl2 sc1
	s_waitcnt vmcnt(0) lgkmcnt(0)
	buffer_inv sc1
.LBB3_472:                              ;   in Loop: Header=BB3_272 Depth=3
	s_or_b64 exec, exec, s[24:25]
.LBB3_473:                              ;   in Loop: Header=BB3_272 Depth=3
	s_andn2_saveexec_b64 s[24:25], s[26:27]
	s_cbranch_execz .LBB3_492
; %bb.474:                              ;   in Loop: Header=BB3_272 Depth=3
	s_and_saveexec_b64 s[26:27], s[56:57]
	s_xor_b64 s[26:27], exec, s[26:27]
	s_cbranch_execz .LBB3_489
; %bb.475:                              ;   in Loop: Header=BB3_272 Depth=3
	s_and_saveexec_b64 s[92:93], s[12:13]
	s_cbranch_execz .LBB3_488
; %bb.476:                              ;   in Loop: Header=BB3_272 Depth=3
	s_mov_b64 s[30:31], exec
	v_mbcnt_lo_u32_b32 v2, s30, 0
	v_mbcnt_hi_u32_b32 v2, s31, v2
	v_cmp_eq_u32_e32 vcc, 0, v2
	;;#ASMSTART
	s_waitcnt lgkmcnt(0) vmcnt(0)
	;;#ASMEND
	s_and_saveexec_b64 s[94:95], vcc
	s_cbranch_execz .LBB3_478
; %bb.477:                              ;   in Loop: Header=BB3_272 Depth=3
	s_bcnt1_i32_b64 s46, s[30:31]
	v_mov_b32_e32 v2, s46
	s_waitcnt lgkmcnt(0)
	ds_add_u64 v0, v[2:3]
	s_trap 2
.LBB3_478:                              ;   in Loop: Header=BB3_272 Depth=3
	s_or_b64 exec, exec, s[94:95]
	s_trap 2
	ds_read_b64 v[10:11], v0
	s_waitcnt lgkmcnt(0)
	v_lshl_add_u64 v[32:33], v[32:33], 0, v[36:37]
	v_cmp_lt_u64_e32 vcc, v[10:11], v[32:33]
	s_and_saveexec_b64 s[94:95], vcc
	s_cbranch_execz .LBB3_487
; %bb.479:                              ;   in Loop: Header=BB3_272 Depth=3
	s_mov_b32 s46, 0
	s_mov_b64 s[30:31], 0
                                        ; implicit-def: $sgpr34_sgpr35
                                        ; implicit-def: $sgpr36_sgpr37
	s_branch .LBB3_481
.LBB3_480:                              ;   in Loop: Header=BB3_481 Depth=4
	s_or_b64 exec, exec, s[48:49]
	s_and_b64 vcc, exec, vcc
	s_or_b64 s[30:31], vcc, s[30:31]
	s_andn2_b64 vcc, s[34:35], exec
	s_and_b64 s[34:35], s[36:37], exec
	s_or_b64 s[34:35], vcc, s[34:35]
	s_andn2_b64 exec, exec, s[30:31]
	s_cbranch_execz .LBB3_485
.LBB3_481:                              ;   Parent Loop BB3_47 Depth=1
                                        ;     Parent Loop BB3_269 Depth=2
                                        ;       Parent Loop BB3_272 Depth=3
                                        ; =>      This Inner Loop Header: Depth=4
	s_add_i32 s46, s46, 1
	s_cmpk_lg_i32 s46, 0x2710
	s_cselect_b64 s[38:39], -1, 0
	s_and_b64 vcc, exec, s[38:39]
	s_cbranch_vccz .LBB3_483
; %bb.482:                              ;   in Loop: Header=BB3_481 Depth=4
	s_mov_b64 vcc, -1
	s_or_b64 s[36:37], s[36:37], exec
	s_and_saveexec_b64 s[48:49], s[38:39]
	s_cbranch_execz .LBB3_480
	s_branch .LBB3_484
.LBB3_483:                              ;   in Loop: Header=BB3_481 Depth=4
	s_trap 2
	ds_read_b64 v[10:11], v0
	s_andn2_b64 s[38:39], s[38:39], exec
	s_mov_b32 s46, 0
	s_waitcnt vmcnt(0) lgkmcnt(0)
	flat_load_dword v2, v[10:11] sc0 sc1
	s_waitcnt vmcnt(0) lgkmcnt(0)
	buffer_inv sc0 sc1
	v_cmp_eq_u32_e32 vcc, 0, v2
	s_and_b64 vcc, vcc, exec
	s_or_b64 s[38:39], s[38:39], vcc
	s_mov_b64 vcc, -1
	s_or_b64 s[36:37], s[36:37], exec
	s_and_saveexec_b64 s[48:49], s[38:39]
	s_cbranch_execz .LBB3_480
.LBB3_484:                              ;   in Loop: Header=BB3_481 Depth=4
	s_sleep 1
	s_trap 2
	ds_read_b64 v[10:11], v0
	s_waitcnt lgkmcnt(0)
	s_andn2_b64 s[36:37], s[36:37], exec
	v_cmp_ge_u64_e32 vcc, v[10:11], v[32:33]
	s_orn2_b64 vcc, vcc, exec
	s_branch .LBB3_480
.LBB3_485:                              ;   in Loop: Header=BB3_272 Depth=3
	s_or_b64 exec, exec, s[30:31]
	s_and_saveexec_b64 vcc, s[34:35]
	s_xor_b64 vcc, exec, vcc
	s_cbranch_execz .LBB3_487
; %bb.486:                              ;   in Loop: Header=BB3_272 Depth=3
	ds_write_b32 v0, v61
	s_trap 2
.LBB3_487:                              ;   in Loop: Header=BB3_272 Depth=3
	s_or_b64 exec, exec, s[94:95]
	;;#ASMSTART
	s_wakeup
	;;#ASMEND
.LBB3_488:                              ;   in Loop: Header=BB3_272 Depth=3
	s_or_b64 exec, exec, s[92:93]
.LBB3_489:                              ;   in Loop: Header=BB3_272 Depth=3
	s_andn2_saveexec_b64 s[26:27], s[26:27]
	s_cbranch_execz .LBB3_491
; %bb.490:                              ;   in Loop: Header=BB3_272 Depth=3
	;;#ASMSTART
	s_waitcnt lgkmcnt(0) vmcnt(0)
	;;#ASMEND
	s_barrier
.LBB3_491:                              ;   in Loop: Header=BB3_272 Depth=3
	s_or_b64 exec, exec, s[26:27]
.LBB3_492:                              ;   in Loop: Header=BB3_272 Depth=3
	s_or_b64 exec, exec, s[24:25]
	v_cmp_ne_u32_e32 vcc, 0, v8
	s_xor_b64 s[24:25], s[6:7], -1
	s_and_b64 s[26:27], vcc, s[24:25]
	s_and_saveexec_b64 s[24:25], s[26:27]
	s_cbranch_execz .LBB3_494
; %bb.493:                              ;   in Loop: Header=BB3_272 Depth=3
	flat_store_dword v[28:29], v61 sc0 sc1
.LBB3_494:                              ;   in Loop: Header=BB3_272 Depth=3
	s_or_b64 exec, exec, s[24:25]
	v_and_b32_e32 v2, 48, v58
	v_cmp_ne_u32_e32 vcc, 0, v2
	s_and_saveexec_b64 s[24:25], vcc
	s_cbranch_execz .LBB3_271
; %bb.495:                              ;   in Loop: Header=BB3_272 Depth=3
	v_lshl_add_u64 v[96:97], v[96:97], 0, 2
	flat_store_dwordx2 v[22:23], v[96:97] sc0 sc1
	s_branch .LBB3_271
.LBB3_496:                              ;   in Loop: Header=BB3_269 Depth=2
	s_or_b64 exec, exec, s[40:41]
.LBB3_497:                              ;   in Loop: Header=BB3_269 Depth=2
	s_or_b64 exec, exec, s[28:29]
	v_cmp_gt_i32_e32 vcc, 2, v2
	s_and_saveexec_b64 s[26:27], vcc
	s_cbranch_execz .LBB3_268
; %bb.498:                              ;   in Loop: Header=BB3_269 Depth=2
	v_cmp_eq_u32_e64 s[40:41], 0, v2
	s_mov_b64 s[28:29], 0
	s_branch .LBB3_500
.LBB3_499:                              ;   in Loop: Header=BB3_500 Depth=3
	s_or_b64 exec, exec, s[24:25]
	v_add_u32_e32 v112, v102, v112
	s_mov_b64 s[40:41], 0
	s_andn2_b64 exec, exec, s[28:29]
	s_cbranch_execz .LBB3_267
.LBB3_500:                              ;   Parent Loop BB3_47 Depth=1
                                        ;     Parent Loop BB3_269 Depth=2
                                        ; =>    This Loop Header: Depth=3
                                        ;         Child Loop BB3_506 Depth 4
                                        ;         Child Loop BB3_534 Depth 4
	;; [unrolled: 1-line block ×3, first 2 shown]
	v_sub_u32_e32 v2, v46, v112
	v_min_i32_e32 v102, v102, v2
	v_and_b32_e32 v2, 12, v58
	v_cmp_ne_u32_e32 vcc, 0, v2
	s_and_saveexec_b64 s[90:91], vcc
	s_cbranch_execz .LBB3_526
; %bb.501:                              ;   in Loop: Header=BB3_500 Depth=3
	v_and_b32_e32 v2, 8, v58
	s_waitcnt vmcnt(0) lgkmcnt(0)
	v_lshl_add_u64 v[10:11], v[34:35], 0, v[2:3]
	v_lshl_add_u64 v[8:9], v[96:97], 0, 2
	v_cmp_lt_u64_e32 vcc, v[10:11], v[8:9]
	s_and_saveexec_b64 s[92:93], vcc
	s_cbranch_execz .LBB3_513
; %bb.502:                              ;   in Loop: Header=BB3_500 Depth=3
	v_and_b32_e32 v10, 64, v58
	s_mov_b32 s46, 0
	v_cmp_eq_u32_e32 vcc, 0, v10
	s_mov_b64 s[94:95], 0
                                        ; implicit-def: $sgpr30_sgpr31
                                        ; implicit-def: $sgpr34_sgpr35
                                        ; implicit-def: $sgpr36_sgpr37
	s_branch .LBB3_506
.LBB3_503:                              ;   in Loop: Header=BB3_506 Depth=4
	s_waitcnt vmcnt(0) lgkmcnt(0)
	v_lshl_add_u64 v[12:13], v[34:35], 0, v[2:3]
	v_cmp_ge_u64_e64 s[24:25], v[12:13], v[8:9]
	s_or_b64 s[50:51], s[50:51], exec
	s_orn2_b64 s[48:49], s[24:25], exec
.LBB3_504:                              ;   in Loop: Header=BB3_506 Depth=4
	s_or_b64 exec, exec, s[54:55]
	s_andn2_b64 s[24:25], s[36:37], exec
	s_and_b64 s[36:37], s[50:51], exec
	s_or_b64 s[36:37], s[24:25], s[36:37]
	s_andn2_b64 s[24:25], s[34:35], exec
	s_and_b64 s[34:35], s[48:49], exec
	s_or_b64 s[34:35], s[24:25], s[34:35]
.LBB3_505:                              ;   in Loop: Header=BB3_506 Depth=4
	s_or_b64 exec, exec, s[38:39]
	s_and_b64 s[24:25], exec, s[34:35]
	s_or_b64 s[94:95], s[24:25], s[94:95]
	s_andn2_b64 s[24:25], s[30:31], exec
	s_and_b64 s[30:31], s[36:37], exec
	s_or_b64 s[30:31], s[24:25], s[30:31]
	s_andn2_b64 exec, exec, s[94:95]
	s_cbranch_execz .LBB3_510
.LBB3_506:                              ;   Parent Loop BB3_47 Depth=1
                                        ;     Parent Loop BB3_269 Depth=2
                                        ;       Parent Loop BB3_500 Depth=3
                                        ; =>      This Inner Loop Header: Depth=4
	s_sleep 1
	s_waitcnt vmcnt(0) lgkmcnt(0)
	flat_load_dwordx2 v[34:35], v[22:23] sc0 sc1
	s_or_b64 s[36:37], s[36:37], exec
	s_or_b64 s[34:35], s[34:35], exec
                                        ; implicit-def: $vgpr10
	s_and_saveexec_b64 s[38:39], vcc
	s_cbranch_execz .LBB3_505
; %bb.507:                              ;   in Loop: Header=BB3_506 Depth=4
	s_cmpk_lt_i32 s46, 0x270f
	s_cselect_b64 s[52:53], -1, 0
	s_cmpk_gt_i32 s46, 0x270e
	s_mov_b64 s[48:49], -1
	s_cbranch_scc0 .LBB3_509
; %bb.508:                              ;   in Loop: Header=BB3_506 Depth=4
	s_trap 2
	ds_read_b64 v[10:11], v0
	s_andn2_b64 s[52:53], s[52:53], exec
	s_mov_b32 s46, 0
	s_mov_b64 s[50:51], 0
	s_waitcnt vmcnt(0) lgkmcnt(0)
	flat_load_dword v10, v[10:11] sc0 sc1
	s_waitcnt vmcnt(0) lgkmcnt(0)
	buffer_inv sc0 sc1
	v_cmp_eq_u32_e64 s[24:25], 0, v10
	s_and_b64 s[24:25], s[24:25], exec
	s_or_b64 s[52:53], s[52:53], s[24:25]
	s_and_saveexec_b64 s[54:55], s[52:53]
	s_cbranch_execz .LBB3_504
	s_branch .LBB3_503
.LBB3_509:                              ;   in Loop: Header=BB3_506 Depth=4
	s_add_i32 s46, s46, 1
	s_mov_b64 s[50:51], -1
                                        ; implicit-def: $vgpr10
	s_and_saveexec_b64 s[54:55], s[52:53]
	s_cbranch_execz .LBB3_504
	s_branch .LBB3_503
.LBB3_510:                              ;   in Loop: Header=BB3_500 Depth=3
	s_or_b64 exec, exec, s[94:95]
	s_xor_b64 s[24:25], s[30:31], -1
	s_and_saveexec_b64 s[94:95], s[24:25]
	s_xor_b64 s[24:25], exec, s[94:95]
	s_cbranch_execz .LBB3_512
; %bb.511:                              ;   in Loop: Header=BB3_500 Depth=3
	v_or_b32_e32 v58, 64, v58
	s_waitcnt lgkmcnt(0)
	ds_write_b32 v0, v10
	s_trap 2
.LBB3_512:                              ;   in Loop: Header=BB3_500 Depth=3
	s_or_b64 exec, exec, s[24:25]
.LBB3_513:                              ;   in Loop: Header=BB3_500 Depth=3
	s_or_b64 exec, exec, s[92:93]
	v_and_b32_e32 v10, 0x108, v58
	v_cmp_ne_u32_e32 vcc, s66, v10
	;;#ASMSTART
	s_wakeup
	;;#ASMEND
                                        ; implicit-def: $vgpr10_vgpr11
	s_and_saveexec_b64 s[24:25], vcc
	s_xor_b64 s[24:25], exec, s[24:25]
; %bb.514:                              ;   in Loop: Header=BB3_500 Depth=3
	v_and_b32_e32 v10, 7, v96
	v_mov_b32_e32 v11, v3
                                        ; implicit-def: $vgpr96_vgpr97
; %bb.515:                              ;   in Loop: Header=BB3_500 Depth=3
	s_andn2_saveexec_b64 s[24:25], s[24:25]
	s_cbranch_execz .LBB3_517
; %bb.516:                              ;   in Loop: Header=BB3_500 Depth=3
	v_and_b32_e32 v10, 7, v96
	v_ashrrev_i32_e32 v103, 31, v102
	v_mov_b32_e32 v11, v3
	v_mad_u64_u32 v[12:13], s[92:93], v10, 24, v[6:7]
	v_lshlrev_b64 v[14:15], 1, v[102:103]
	flat_store_dwordx2 v[12:13], v[14:15] offset:8
.LBB3_517:                              ;   in Loop: Header=BB3_500 Depth=3
	s_or_b64 exec, exec, s[24:25]
	v_and_b32_e32 v12, 0x100, v58
	v_cmp_ne_u32_e32 vcc, 0, v12
	s_mov_b64 s[24:25], -1
                                        ; implicit-def: $vgpr12_vgpr13
	s_and_saveexec_b64 s[92:93], vcc
	s_cbranch_execz .LBB3_521
; %bb.518:                              ;   in Loop: Header=BB3_500 Depth=3
	v_mad_u64_u32 v[14:15], s[24:25], v10, 24, v[6:7]
	v_mov_b32_e32 v12, v15
	v_mad_u64_u32 v[12:13], s[24:25], v11, 24, v[12:13]
	v_mov_b32_e32 v15, v12
	flat_load_dword v12, v[14:15]
	s_waitcnt vmcnt(0) lgkmcnt(0)
	v_cmp_ne_u32_e32 vcc, 1, v12
	v_cmp_eq_u32_e64 s[24:25], 1, v12
                                        ; implicit-def: $vgpr12_vgpr13
	s_and_saveexec_b64 s[94:95], s[24:25]
	s_cbranch_execz .LBB3_520
; %bb.519:                              ;   in Loop: Header=BB3_500 Depth=3
	flat_load_dword v12, v[14:15] offset:4 sc0 sc1
	s_waitcnt vmcnt(0) lgkmcnt(0)
	v_ashrrev_i32_e32 v13, 31, v12
	v_lshrrev_b64 v[12:13], 1, v[12:13]
.LBB3_520:                              ;   in Loop: Header=BB3_500 Depth=3
	s_or_b64 exec, exec, s[94:95]
	s_orn2_b64 s[24:25], vcc, exec
.LBB3_521:                              ;   in Loop: Header=BB3_500 Depth=3
	s_or_b64 exec, exec, s[92:93]
	s_and_saveexec_b64 s[92:93], s[24:25]
; %bb.522:                              ;   in Loop: Header=BB3_500 Depth=3
	v_mul_lo_u32 v11, v11, v24
	v_mul_lo_u32 v14, v10, v25
	v_mad_u64_u32 v[12:13], s[24:25], v10, v24, 0
	v_add3_u32 v13, v13, v14, v11
; %bb.523:                              ;   in Loop: Header=BB3_500 Depth=3
	s_or_b64 exec, exec, s[92:93]
	v_cmp_eq_u32_e32 vcc, 0, v2
	v_lshl_add_u64 v[10:11], v[12:13], 1, v[26:27]
	s_nop 0
	v_cndmask_b32_e32 v2, v62, v63, vcc
	v_add_u32_e32 v2, v0, v2
	ds_write_b64 v2, v[10:11] offset:584
	v_and_b32_e32 v2, 0x2000, v58
	v_cmp_ne_u32_e32 vcc, 0, v2
	s_and_saveexec_b64 s[24:25], vcc
	s_cbranch_execz .LBB3_525
; %bb.524:                              ;   in Loop: Header=BB3_500 Depth=3
	ds_read_b64 v[10:11], v0 offset:872
	s_waitcnt lgkmcnt(0)
	v_lshl_add_u64 v[10:11], v[10:11], 0, 1
	ds_write_b64 v0, v[10:11] offset:872
.LBB3_525:                              ;   in Loop: Header=BB3_500 Depth=3
	s_or_b64 exec, exec, s[24:25]
	v_mov_b64_e32 v[96:97], v[8:9]
.LBB3_526:                              ;   in Loop: Header=BB3_500 Depth=3
	s_or_b64 exec, exec, s[90:91]
	s_xor_b64 s[24:25], s[40:41], -1
	s_and_b64 s[24:25], exec, s[24:25]
	s_or_b64 s[28:29], s[24:25], s[28:29]
	s_and_saveexec_b64 s[24:25], s[4:5]
	s_cbranch_execz .LBB3_545
; %bb.527:                              ;   in Loop: Header=BB3_500 Depth=3
	s_and_saveexec_b64 s[40:41], s[56:57]
	s_xor_b64 s[40:41], exec, s[40:41]
	s_cbranch_execz .LBB3_542
; %bb.528:                              ;   in Loop: Header=BB3_500 Depth=3
	s_and_saveexec_b64 s[90:91], s[12:13]
	s_cbranch_execz .LBB3_541
; %bb.529:                              ;   in Loop: Header=BB3_500 Depth=3
	s_mov_b64 s[94:95], exec
	v_mbcnt_lo_u32_b32 v2, s94, 0
	v_mbcnt_hi_u32_b32 v2, s95, v2
	v_cmp_eq_u32_e32 vcc, 0, v2
	s_waitcnt lgkmcnt(0)
	s_and_saveexec_b64 s[92:93], vcc
	s_cbranch_execz .LBB3_531
; %bb.530:                              ;   in Loop: Header=BB3_500 Depth=3
	s_bcnt1_i32_b64 s46, s[94:95]
	v_mov_b32_e32 v2, s46
	ds_add_u64 v0, v[2:3]
	s_trap 2
.LBB3_531:                              ;   in Loop: Header=BB3_500 Depth=3
	s_or_b64 exec, exec, s[92:93]
	s_trap 2
	ds_read_b64 v[8:9], v0
	s_waitcnt lgkmcnt(0)
	v_lshl_add_u64 v[32:33], v[32:33], 0, v[36:37]
	v_cmp_lt_u64_e32 vcc, v[8:9], v[32:33]
	s_and_saveexec_b64 s[92:93], vcc
	s_cbranch_execz .LBB3_540
; %bb.532:                              ;   in Loop: Header=BB3_500 Depth=3
	s_mov_b32 s46, 0
	s_mov_b64 s[94:95], 0
                                        ; implicit-def: $sgpr30_sgpr31
                                        ; implicit-def: $sgpr34_sgpr35
	s_branch .LBB3_534
.LBB3_533:                              ;   in Loop: Header=BB3_534 Depth=4
	s_or_b64 exec, exec, s[38:39]
	s_and_b64 vcc, exec, vcc
	s_or_b64 s[94:95], vcc, s[94:95]
	s_andn2_b64 vcc, s[30:31], exec
	s_and_b64 s[30:31], s[34:35], exec
	s_or_b64 s[30:31], vcc, s[30:31]
	s_andn2_b64 exec, exec, s[94:95]
	s_cbranch_execz .LBB3_538
.LBB3_534:                              ;   Parent Loop BB3_47 Depth=1
                                        ;     Parent Loop BB3_269 Depth=2
                                        ;       Parent Loop BB3_500 Depth=3
                                        ; =>      This Inner Loop Header: Depth=4
	s_add_i32 s46, s46, 1
	s_cmpk_lg_i32 s46, 0x2710
	s_cselect_b64 s[36:37], -1, 0
	s_and_b64 vcc, exec, s[36:37]
	s_cbranch_vccz .LBB3_536
; %bb.535:                              ;   in Loop: Header=BB3_534 Depth=4
	s_mov_b64 vcc, -1
	s_or_b64 s[34:35], s[34:35], exec
	s_and_saveexec_b64 s[38:39], s[36:37]
	s_cbranch_execz .LBB3_533
	s_branch .LBB3_537
.LBB3_536:                              ;   in Loop: Header=BB3_534 Depth=4
	s_trap 2
	ds_read_b64 v[8:9], v0
	s_andn2_b64 s[36:37], s[36:37], exec
	s_mov_b32 s46, 0
	s_waitcnt vmcnt(0) lgkmcnt(0)
	flat_load_dword v2, v[8:9] sc0 sc1
	s_waitcnt vmcnt(0) lgkmcnt(0)
	buffer_inv sc0 sc1
	v_cmp_eq_u32_e32 vcc, 0, v2
	s_and_b64 vcc, vcc, exec
	s_or_b64 s[36:37], s[36:37], vcc
	s_mov_b64 vcc, -1
	s_or_b64 s[34:35], s[34:35], exec
	s_and_saveexec_b64 s[38:39], s[36:37]
	s_cbranch_execz .LBB3_533
.LBB3_537:                              ;   in Loop: Header=BB3_534 Depth=4
	s_sleep 1
	s_trap 2
	ds_read_b64 v[8:9], v0
	s_waitcnt lgkmcnt(0)
	s_andn2_b64 s[34:35], s[34:35], exec
	v_cmp_ge_u64_e32 vcc, v[8:9], v[32:33]
	s_orn2_b64 vcc, vcc, exec
	s_branch .LBB3_533
.LBB3_538:                              ;   in Loop: Header=BB3_500 Depth=3
	s_or_b64 exec, exec, s[94:95]
	s_and_saveexec_b64 s[94:95], s[30:31]
	s_xor_b64 s[94:95], exec, s[94:95]
	s_cbranch_execz .LBB3_540
; %bb.539:                              ;   in Loop: Header=BB3_500 Depth=3
	ds_write_b32 v0, v61
	s_trap 2
.LBB3_540:                              ;   in Loop: Header=BB3_500 Depth=3
	s_or_b64 exec, exec, s[92:93]
	;;#ASMSTART
	s_wakeup
	;;#ASMEND
.LBB3_541:                              ;   in Loop: Header=BB3_500 Depth=3
	s_or_b64 exec, exec, s[90:91]
.LBB3_542:                              ;   in Loop: Header=BB3_500 Depth=3
	s_andn2_saveexec_b64 s[40:41], s[40:41]
	s_cbranch_execz .LBB3_544
; %bb.543:                              ;   in Loop: Header=BB3_500 Depth=3
	s_waitcnt lgkmcnt(0)
	s_barrier
.LBB3_544:                              ;   in Loop: Header=BB3_500 Depth=3
	s_or_b64 exec, exec, s[40:41]
.LBB3_545:                              ;   in Loop: Header=BB3_500 Depth=3
	s_or_b64 exec, exec, s[24:25]
                                        ; implicit-def: $vgpr2
	s_and_saveexec_b64 s[24:25], s[76:77]
	s_xor_b64 s[24:25], exec, s[24:25]
	s_cbranch_execz .LBB3_557
; %bb.546:                              ;   in Loop: Header=BB3_500 Depth=3
	s_and_saveexec_b64 s[40:41], s[56:57]
	s_xor_b64 s[40:41], exec, s[40:41]
	s_cbranch_execz .LBB3_562
; %bb.547:                              ;   in Loop: Header=BB3_500 Depth=3
	s_and_saveexec_b64 s[90:91], s[12:13]
	s_cbranch_execz .LBB3_561
; %bb.548:                              ;   in Loop: Header=BB3_500 Depth=3
	s_mov_b64 s[94:95], exec
	v_mbcnt_lo_u32_b32 v2, s94, 0
	v_mbcnt_hi_u32_b32 v2, s95, v2
	v_cmp_eq_u32_e32 vcc, 0, v2
	;;#ASMSTART
	s_waitcnt lgkmcnt(0) vmcnt(0)
	;;#ASMEND
	s_and_saveexec_b64 s[92:93], vcc
	s_cbranch_execz .LBB3_550
; %bb.549:                              ;   in Loop: Header=BB3_500 Depth=3
	s_bcnt1_i32_b64 s46, s[94:95]
	v_mov_b32_e32 v2, s46
	s_waitcnt lgkmcnt(0)
	ds_add_u64 v0, v[2:3]
	s_trap 2
.LBB3_550:                              ;   in Loop: Header=BB3_500 Depth=3
	s_or_b64 exec, exec, s[92:93]
	s_trap 2
	ds_read_b64 v[8:9], v0
	s_waitcnt lgkmcnt(0)
	v_lshl_add_u64 v[32:33], v[32:33], 0, v[36:37]
	v_cmp_lt_u64_e32 vcc, v[8:9], v[32:33]
	s_and_saveexec_b64 s[92:93], vcc
	s_cbranch_execz .LBB3_560
; %bb.551:                              ;   in Loop: Header=BB3_500 Depth=3
	s_mov_b32 s46, 0
	s_mov_b64 s[94:95], 0
                                        ; implicit-def: $sgpr30_sgpr31
                                        ; implicit-def: $sgpr34_sgpr35
	s_branch .LBB3_553
.LBB3_552:                              ;   in Loop: Header=BB3_553 Depth=4
	s_or_b64 exec, exec, s[38:39]
	s_and_b64 vcc, exec, vcc
	s_or_b64 s[94:95], vcc, s[94:95]
	s_andn2_b64 vcc, s[30:31], exec
	s_and_b64 s[30:31], s[34:35], exec
	s_or_b64 s[30:31], vcc, s[30:31]
	s_andn2_b64 exec, exec, s[94:95]
	s_cbranch_execz .LBB3_558
.LBB3_553:                              ;   Parent Loop BB3_47 Depth=1
                                        ;     Parent Loop BB3_269 Depth=2
                                        ;       Parent Loop BB3_500 Depth=3
                                        ; =>      This Inner Loop Header: Depth=4
	s_add_i32 s46, s46, 1
	s_cmpk_lg_i32 s46, 0x2710
	s_cselect_b64 s[36:37], -1, 0
	s_and_b64 vcc, exec, s[36:37]
	s_cbranch_vccz .LBB3_555
; %bb.554:                              ;   in Loop: Header=BB3_553 Depth=4
	s_mov_b64 vcc, -1
	s_or_b64 s[34:35], s[34:35], exec
	s_and_saveexec_b64 s[38:39], s[36:37]
	s_cbranch_execz .LBB3_552
	s_branch .LBB3_556
.LBB3_555:                              ;   in Loop: Header=BB3_553 Depth=4
	s_trap 2
	ds_read_b64 v[8:9], v0
	s_andn2_b64 s[36:37], s[36:37], exec
	s_mov_b32 s46, 0
	s_waitcnt vmcnt(0) lgkmcnt(0)
	flat_load_dword v2, v[8:9] sc0 sc1
	s_waitcnt vmcnt(0) lgkmcnt(0)
	buffer_inv sc0 sc1
	v_cmp_eq_u32_e32 vcc, 0, v2
	s_and_b64 vcc, vcc, exec
	s_or_b64 s[36:37], s[36:37], vcc
	s_mov_b64 vcc, -1
	s_or_b64 s[34:35], s[34:35], exec
	s_and_saveexec_b64 s[38:39], s[36:37]
	s_cbranch_execz .LBB3_552
.LBB3_556:                              ;   in Loop: Header=BB3_553 Depth=4
	s_sleep 1
	s_trap 2
	ds_read_b64 v[8:9], v0
	s_waitcnt lgkmcnt(0)
	s_andn2_b64 s[34:35], s[34:35], exec
	v_cmp_ge_u64_e32 vcc, v[8:9], v[32:33]
	s_orn2_b64 vcc, vcc, exec
	s_branch .LBB3_552
.LBB3_557:                              ;   in Loop: Header=BB3_500 Depth=3
	s_andn2_saveexec_b64 s[24:25], s[24:25]
	s_cbranch_execnz .LBB3_565
	s_branch .LBB3_568
.LBB3_558:                              ;   in Loop: Header=BB3_500 Depth=3
	s_or_b64 exec, exec, s[94:95]
	s_and_saveexec_b64 s[94:95], s[30:31]
	s_xor_b64 s[94:95], exec, s[94:95]
	s_cbranch_execz .LBB3_560
; %bb.559:                              ;   in Loop: Header=BB3_500 Depth=3
	ds_write_b32 v0, v61
	s_trap 2
.LBB3_560:                              ;   in Loop: Header=BB3_500 Depth=3
	s_or_b64 exec, exec, s[92:93]
	;;#ASMSTART
	s_wakeup
	;;#ASMEND
.LBB3_561:                              ;   in Loop: Header=BB3_500 Depth=3
	s_or_b64 exec, exec, s[90:91]
.LBB3_562:                              ;   in Loop: Header=BB3_500 Depth=3
	s_andn2_saveexec_b64 s[40:41], s[40:41]
	s_cbranch_execz .LBB3_564
; %bb.563:                              ;   in Loop: Header=BB3_500 Depth=3
	;;#ASMSTART
	s_waitcnt lgkmcnt(0) vmcnt(0)
	;;#ASMEND
	s_barrier
.LBB3_564:                              ;   in Loop: Header=BB3_500 Depth=3
	s_or_b64 exec, exec, s[40:41]
	v_and_b32_e32 v2, 16, v58
	s_andn2_saveexec_b64 s[24:25], s[24:25]
	s_cbranch_execz .LBB3_568
.LBB3_565:                              ;   in Loop: Header=BB3_500 Depth=3
	s_trap 2
	ds_read_b32 v8, v0
	v_cmp_lt_i32_e32 vcc, 0, v102
	v_and_b32_e32 v9, 16, v58
	v_and_b32_e32 v2, 16, v58
	s_waitcnt lgkmcnt(0)
	v_readfirstlane_b32 s40, v8
	s_cmp_eq_u32 s40, 0
	s_cselect_b64 s[40:41], -1, 0
	s_and_b64 s[40:41], vcc, s[40:41]
	v_cmp_ne_u32_e32 vcc, 0, v9
	s_and_b64 s[90:91], vcc, s[40:41]
	s_and_saveexec_b64 s[40:41], s[90:91]
	s_cbranch_execz .LBB3_567
; %bb.566:                              ;   in Loop: Header=BB3_500 Depth=3
	v_mov_b32_e32 v2, 1
	buffer_wbl2 sc1
	s_waitcnt vmcnt(0)
	buffer_inv sc1
.LBB3_567:                              ;   in Loop: Header=BB3_500 Depth=3
	s_or_b64 exec, exec, s[40:41]
.LBB3_568:                              ;   in Loop: Header=BB3_500 Depth=3
	s_or_b64 exec, exec, s[24:25]
	v_cmp_ne_u32_e32 vcc, 0, v2
	s_xor_b64 s[24:25], s[6:7], -1
	s_and_b64 s[40:41], vcc, s[24:25]
	s_and_saveexec_b64 s[24:25], s[40:41]
	s_cbranch_execz .LBB3_570
; %bb.569:                              ;   in Loop: Header=BB3_500 Depth=3
	flat_store_dword v[28:29], v61 sc0 sc1
.LBB3_570:                              ;   in Loop: Header=BB3_500 Depth=3
	s_or_b64 exec, exec, s[24:25]
	v_and_b32_e32 v2, 48, v58
	v_cmp_ne_u32_e32 vcc, 0, v2
	s_and_saveexec_b64 s[24:25], vcc
	s_cbranch_execz .LBB3_499
; %bb.571:                              ;   in Loop: Header=BB3_500 Depth=3
	v_lshl_add_u64 v[96:97], v[96:97], 0, 2
	flat_store_dwordx2 v[22:23], v[96:97] sc0 sc1
	s_branch .LBB3_499
.LBB3_572:                              ;   in Loop: Header=BB3_47 Depth=1
	v_mul_lo_u32 v2, v87, s64
	v_mul_lo_u32 v10, v86, s65
	v_mad_u64_u32 v[8:9], s[24:25], v86, s64, 0
	v_add3_u32 v9, v9, v10, v2
	v_sub_co_u32_e32 v10, vcc, v98, v8
	v_mov_b32_e32 v2, 0
	s_nop 0
	v_subb_co_u32_e32 v11, vcc, v99, v9, vcc
	v_cmp_lt_i64_e32 vcc, v[86:87], v[10:11]
	v_mov_b32_e32 v112, 0
	s_nop 0
	v_cndmask_b32_e32 v10, v10, v86, vcc
	v_max_i32_e32 v74, 0, v10
	v_add_u32_e32 v11, 31, v74
	v_ashrrev_i32_e32 v12, 31, v11
	v_lshrrev_b32_e32 v12, 27, v12
	v_add_u32_e32 v11, v11, v12
	v_ashrrev_i32_e32 v11, 5, v11
	v_lshlrev_b32_e32 v11, 4, v11
	v_cmp_lt_i32_e32 vcc, 0, v10
	v_max_i32_e32 v102, s81, v11
	s_and_b64 s[24:25], s[78:79], vcc
	s_and_saveexec_b64 s[90:91], s[24:25]
	s_cbranch_execz .LBB3_918
; %bb.573:                              ;   in Loop: Header=BB3_47 Depth=1
	v_lshl_add_u64 v[8:9], v[8:9], 0, v[100:101]
	s_mov_b32 s89, 1
	s_mov_b64 s[94:95], -1
	v_mov_b32_e32 v112, 0
	s_mov_b64 s[92:93], 0
	v_lshlrev_b64 v[114:115], 1, v[8:9]
	s_branch .LBB3_575
.LBB3_574:                              ;   in Loop: Header=BB3_575 Depth=2
	s_or_b64 exec, exec, s[24:25]
	v_add_u32_e32 v112, v102, v112
	v_cmp_ge_i32_e32 vcc, v112, v74
	s_xor_b64 s[24:25], s[94:95], -1
	s_or_b64 s[24:25], s[24:25], vcc
	s_and_b64 s[24:25], exec, s[24:25]
	s_or_b64 s[92:93], s[24:25], s[92:93]
	s_mov_b64 s[94:95], 0
	v_mov_b32_e32 v2, s89
	s_mov_b32 s89, 2
	s_andn2_b64 exec, exec, s[92:93]
	s_cbranch_execz .LBB3_993
.LBB3_575:                              ;   Parent Loop BB3_47 Depth=1
                                        ; =>  This Loop Header: Depth=2
                                        ;       Child Loop BB3_583 Depth 3
                                        ;       Child Loop BB3_611 Depth 3
	;; [unrolled: 1-line block ×4, first 2 shown]
                                        ;         Child Loop BB3_686 Depth 4
                                        ;       Child Loop BB3_692 Depth 3
                                        ;         Child Loop BB3_725 Depth 4
                                        ;       Child Loop BB3_733 Depth 3
                                        ;       Child Loop BB3_753 Depth 3
                                        ;         Child Loop BB3_758 Depth 4
                                        ;       Child Loop BB3_771 Depth 3
                                        ;       Child Loop BB3_808 Depth 3
	;; [unrolled: 1-line block ×6, first 2 shown]
	s_and_saveexec_b64 s[24:25], s[0:1]
	s_cbranch_execz .LBB3_577
; %bb.576:                              ;   in Loop: Header=BB3_575 Depth=2
	s_trap 2
	ds_read2_b64 v[8:11], v0 offset1:1
	ds_read_b64 v[12:13], v0
	v_ashrrev_i32_e32 v113, 31, v112
	v_lshlrev_b64 v[14:15], 1, v[112:113]
	s_waitcnt lgkmcnt(0)
	v_lshl_add_u64 v[8:9], v[8:9], 0, v[114:115]
	v_lshl_add_u64 v[8:9], v[8:9], 0, v[14:15]
	ds_write_b64 v0, v[8:9]
	v_lshl_add_u64 v[8:9], v[10:11], 0, v[114:115]
	v_lshl_add_u64 v[8:9], v[8:9], 0, v[14:15]
	ds_write_b64 v0, v[8:9]
	v_lshl_add_u64 v[8:9], v[12:13], 0, v[114:115]
	v_lshl_add_u64 v[8:9], v[8:9], 0, v[14:15]
	v_cmp_ne_u64_e32 vcc, 0, v[12:13]
	s_nop 1
	v_cndmask_b32_e32 v9, 0, v9, vcc
	v_cndmask_b32_e32 v8, 0, v8, vcc
	ds_write_b64 v0, v[8:9]
.LBB3_577:                              ;   in Loop: Header=BB3_575 Depth=2
	s_or_b64 exec, exec, s[24:25]
	v_sub_u32_e32 v2, v74, v112
	v_min_i32_e32 v102, v102, v2
	v_and_b32_e32 v2, 12, v58
	v_cmp_ne_u32_e32 vcc, 0, v2
	s_and_saveexec_b64 s[26:27], vcc
	s_cbranch_execz .LBB3_603
; %bb.578:                              ;   in Loop: Header=BB3_575 Depth=2
	v_and_b32_e32 v2, 8, v58
	s_waitcnt vmcnt(0) lgkmcnt(0)
	v_lshl_add_u64 v[10:11], v[34:35], 0, v[2:3]
	v_lshl_add_u64 v[8:9], v[96:97], 0, 2
	v_cmp_lt_u64_e32 vcc, v[10:11], v[8:9]
	s_and_saveexec_b64 s[28:29], vcc
	s_cbranch_execz .LBB3_590
; %bb.579:                              ;   in Loop: Header=BB3_575 Depth=2
	v_and_b32_e32 v10, 64, v58
	s_mov_b32 s46, 0
	v_cmp_eq_u32_e32 vcc, 0, v10
	s_mov_b64 s[40:41], 0
                                        ; implicit-def: $sgpr30_sgpr31
                                        ; implicit-def: $sgpr34_sgpr35
                                        ; implicit-def: $sgpr36_sgpr37
	s_branch .LBB3_583
.LBB3_580:                              ;   in Loop: Header=BB3_583 Depth=3
	s_waitcnt vmcnt(0) lgkmcnt(0)
	v_lshl_add_u64 v[12:13], v[34:35], 0, v[2:3]
	v_cmp_ge_u64_e64 s[24:25], v[12:13], v[8:9]
	s_or_b64 s[50:51], s[50:51], exec
	s_orn2_b64 s[48:49], s[24:25], exec
.LBB3_581:                              ;   in Loop: Header=BB3_583 Depth=3
	s_or_b64 exec, exec, s[54:55]
	s_andn2_b64 s[24:25], s[36:37], exec
	s_and_b64 s[36:37], s[50:51], exec
	s_or_b64 s[36:37], s[24:25], s[36:37]
	s_andn2_b64 s[24:25], s[34:35], exec
	s_and_b64 s[34:35], s[48:49], exec
	s_or_b64 s[34:35], s[24:25], s[34:35]
.LBB3_582:                              ;   in Loop: Header=BB3_583 Depth=3
	s_or_b64 exec, exec, s[38:39]
	s_and_b64 s[24:25], exec, s[34:35]
	s_or_b64 s[40:41], s[24:25], s[40:41]
	s_andn2_b64 s[24:25], s[30:31], exec
	s_and_b64 s[30:31], s[36:37], exec
	s_or_b64 s[30:31], s[24:25], s[30:31]
	s_andn2_b64 exec, exec, s[40:41]
	s_cbranch_execz .LBB3_587
.LBB3_583:                              ;   Parent Loop BB3_47 Depth=1
                                        ;     Parent Loop BB3_575 Depth=2
                                        ; =>    This Inner Loop Header: Depth=3
	s_sleep 1
	s_waitcnt vmcnt(0) lgkmcnt(0)
	flat_load_dwordx2 v[34:35], v[22:23] sc0 sc1
	s_or_b64 s[36:37], s[36:37], exec
	s_or_b64 s[34:35], s[34:35], exec
                                        ; implicit-def: $vgpr10
	s_and_saveexec_b64 s[38:39], vcc
	s_cbranch_execz .LBB3_582
; %bb.584:                              ;   in Loop: Header=BB3_583 Depth=3
	s_cmpk_lt_i32 s46, 0x270f
	s_cselect_b64 s[52:53], -1, 0
	s_cmpk_gt_i32 s46, 0x270e
	s_mov_b64 s[48:49], -1
	s_cbranch_scc0 .LBB3_586
; %bb.585:                              ;   in Loop: Header=BB3_583 Depth=3
	s_trap 2
	ds_read_b64 v[10:11], v0
	s_andn2_b64 s[52:53], s[52:53], exec
	s_mov_b32 s46, 0
	s_mov_b64 s[50:51], 0
	s_waitcnt vmcnt(0) lgkmcnt(0)
	flat_load_dword v10, v[10:11] sc0 sc1
	s_waitcnt vmcnt(0) lgkmcnt(0)
	buffer_inv sc0 sc1
	v_cmp_eq_u32_e64 s[24:25], 0, v10
	s_and_b64 s[24:25], s[24:25], exec
	s_or_b64 s[52:53], s[52:53], s[24:25]
	s_and_saveexec_b64 s[54:55], s[52:53]
	s_cbranch_execz .LBB3_581
	s_branch .LBB3_580
.LBB3_586:                              ;   in Loop: Header=BB3_583 Depth=3
	s_add_i32 s46, s46, 1
	s_mov_b64 s[50:51], -1
                                        ; implicit-def: $vgpr10
	s_and_saveexec_b64 s[54:55], s[52:53]
	s_cbranch_execz .LBB3_581
	s_branch .LBB3_580
.LBB3_587:                              ;   in Loop: Header=BB3_575 Depth=2
	s_or_b64 exec, exec, s[40:41]
	s_xor_b64 s[24:25], s[30:31], -1
	s_and_saveexec_b64 s[40:41], s[24:25]
	s_xor_b64 s[24:25], exec, s[40:41]
	s_cbranch_execz .LBB3_589
; %bb.588:                              ;   in Loop: Header=BB3_575 Depth=2
	v_or_b32_e32 v58, 64, v58
	s_waitcnt lgkmcnt(0)
	ds_write_b32 v0, v10
	s_trap 2
.LBB3_589:                              ;   in Loop: Header=BB3_575 Depth=2
	s_or_b64 exec, exec, s[24:25]
.LBB3_590:                              ;   in Loop: Header=BB3_575 Depth=2
	s_or_b64 exec, exec, s[28:29]
	v_and_b32_e32 v10, 0x108, v58
	v_cmp_ne_u32_e32 vcc, s66, v10
	;;#ASMSTART
	s_wakeup
	;;#ASMEND
                                        ; implicit-def: $vgpr10_vgpr11
	s_and_saveexec_b64 s[24:25], vcc
	s_xor_b64 s[24:25], exec, s[24:25]
; %bb.591:                              ;   in Loop: Header=BB3_575 Depth=2
	v_and_b32_e32 v10, 7, v96
	v_mov_b32_e32 v11, v3
                                        ; implicit-def: $vgpr96_vgpr97
; %bb.592:                              ;   in Loop: Header=BB3_575 Depth=2
	s_andn2_saveexec_b64 s[24:25], s[24:25]
	s_cbranch_execz .LBB3_594
; %bb.593:                              ;   in Loop: Header=BB3_575 Depth=2
	v_and_b32_e32 v10, 7, v96
	v_ashrrev_i32_e32 v103, 31, v102
	v_mov_b32_e32 v11, v3
	v_mad_u64_u32 v[12:13], s[28:29], v10, 24, v[6:7]
	v_lshlrev_b64 v[14:15], 1, v[102:103]
	flat_store_dwordx2 v[12:13], v[14:15] offset:8
.LBB3_594:                              ;   in Loop: Header=BB3_575 Depth=2
	s_or_b64 exec, exec, s[24:25]
	v_and_b32_e32 v12, 0x100, v58
	v_cmp_ne_u32_e32 vcc, 0, v12
	s_mov_b64 s[24:25], -1
                                        ; implicit-def: $vgpr12_vgpr13
	s_and_saveexec_b64 s[28:29], vcc
	s_cbranch_execz .LBB3_598
; %bb.595:                              ;   in Loop: Header=BB3_575 Depth=2
	v_mad_u64_u32 v[14:15], s[24:25], v10, 24, v[6:7]
	v_mov_b32_e32 v12, v15
	v_mad_u64_u32 v[12:13], s[24:25], v11, 24, v[12:13]
	v_mov_b32_e32 v15, v12
	flat_load_dword v12, v[14:15]
	s_waitcnt vmcnt(0) lgkmcnt(0)
	v_cmp_ne_u32_e32 vcc, 1, v12
	v_cmp_eq_u32_e64 s[24:25], 1, v12
                                        ; implicit-def: $vgpr12_vgpr13
	s_and_saveexec_b64 s[40:41], s[24:25]
	s_cbranch_execz .LBB3_597
; %bb.596:                              ;   in Loop: Header=BB3_575 Depth=2
	flat_load_dword v12, v[14:15] offset:4 sc0 sc1
	s_waitcnt vmcnt(0) lgkmcnt(0)
	v_ashrrev_i32_e32 v13, 31, v12
	v_lshrrev_b64 v[12:13], 1, v[12:13]
.LBB3_597:                              ;   in Loop: Header=BB3_575 Depth=2
	s_or_b64 exec, exec, s[40:41]
	s_orn2_b64 s[24:25], vcc, exec
.LBB3_598:                              ;   in Loop: Header=BB3_575 Depth=2
	s_or_b64 exec, exec, s[28:29]
	s_and_saveexec_b64 s[28:29], s[24:25]
; %bb.599:                              ;   in Loop: Header=BB3_575 Depth=2
	v_mul_lo_u32 v11, v11, v24
	v_mul_lo_u32 v14, v10, v25
	v_mad_u64_u32 v[12:13], s[24:25], v10, v24, 0
	v_add3_u32 v13, v13, v14, v11
; %bb.600:                              ;   in Loop: Header=BB3_575 Depth=2
	s_or_b64 exec, exec, s[28:29]
	v_cmp_eq_u32_e32 vcc, 0, v2
	v_lshl_add_u64 v[10:11], v[12:13], 1, v[26:27]
	s_nop 0
	v_cndmask_b32_e32 v2, v72, v63, vcc
	v_add_u32_e32 v2, v0, v2
	ds_write_b64 v2, v[10:11] offset:584
	v_and_b32_e32 v2, 0x2000, v58
	v_cmp_ne_u32_e32 vcc, 0, v2
	s_and_saveexec_b64 s[24:25], vcc
	s_cbranch_execz .LBB3_602
; %bb.601:                              ;   in Loop: Header=BB3_575 Depth=2
	ds_read_b64 v[10:11], v0 offset:872
	s_waitcnt lgkmcnt(0)
	v_lshl_add_u64 v[10:11], v[10:11], 0, 1
	ds_write_b64 v0, v[10:11] offset:872
.LBB3_602:                              ;   in Loop: Header=BB3_575 Depth=2
	s_or_b64 exec, exec, s[24:25]
	v_mov_b64_e32 v[96:97], v[8:9]
.LBB3_603:                              ;   in Loop: Header=BB3_575 Depth=2
	s_or_b64 exec, exec, s[26:27]
	s_and_saveexec_b64 s[24:25], s[4:5]
	s_cbranch_execz .LBB3_622
; %bb.604:                              ;   in Loop: Header=BB3_575 Depth=2
	s_and_saveexec_b64 s[26:27], s[56:57]
	s_xor_b64 s[26:27], exec, s[26:27]
	s_cbranch_execz .LBB3_619
; %bb.605:                              ;   in Loop: Header=BB3_575 Depth=2
	s_and_saveexec_b64 s[28:29], s[12:13]
	s_cbranch_execz .LBB3_618
; %bb.606:                              ;   in Loop: Header=BB3_575 Depth=2
	s_mov_b64 s[30:31], exec
	v_mbcnt_lo_u32_b32 v2, s30, 0
	v_mbcnt_hi_u32_b32 v2, s31, v2
	v_cmp_eq_u32_e32 vcc, 0, v2
	s_waitcnt lgkmcnt(0)
	s_and_saveexec_b64 s[40:41], vcc
	s_cbranch_execz .LBB3_608
; %bb.607:                              ;   in Loop: Header=BB3_575 Depth=2
	s_bcnt1_i32_b64 s46, s[30:31]
	v_mov_b32_e32 v2, s46
	ds_add_u64 v0, v[2:3]
	s_trap 2
.LBB3_608:                              ;   in Loop: Header=BB3_575 Depth=2
	s_or_b64 exec, exec, s[40:41]
	s_trap 2
	ds_read_b64 v[8:9], v0
	s_waitcnt lgkmcnt(0)
	v_lshl_add_u64 v[32:33], v[32:33], 0, v[36:37]
	v_cmp_lt_u64_e32 vcc, v[8:9], v[32:33]
	s_and_saveexec_b64 s[40:41], vcc
	s_cbranch_execz .LBB3_617
; %bb.609:                              ;   in Loop: Header=BB3_575 Depth=2
	s_mov_b32 s46, 0
	s_mov_b64 s[30:31], 0
                                        ; implicit-def: $sgpr34_sgpr35
                                        ; implicit-def: $sgpr36_sgpr37
	s_branch .LBB3_611
.LBB3_610:                              ;   in Loop: Header=BB3_611 Depth=3
	s_or_b64 exec, exec, s[48:49]
	s_and_b64 vcc, exec, vcc
	s_or_b64 s[30:31], vcc, s[30:31]
	s_andn2_b64 vcc, s[34:35], exec
	s_and_b64 s[34:35], s[36:37], exec
	s_or_b64 s[34:35], vcc, s[34:35]
	s_andn2_b64 exec, exec, s[30:31]
	s_cbranch_execz .LBB3_615
.LBB3_611:                              ;   Parent Loop BB3_47 Depth=1
                                        ;     Parent Loop BB3_575 Depth=2
                                        ; =>    This Inner Loop Header: Depth=3
	s_add_i32 s46, s46, 1
	s_cmpk_lg_i32 s46, 0x2710
	s_cselect_b64 s[38:39], -1, 0
	s_and_b64 vcc, exec, s[38:39]
	s_cbranch_vccz .LBB3_613
; %bb.612:                              ;   in Loop: Header=BB3_611 Depth=3
	s_mov_b64 vcc, -1
	s_or_b64 s[36:37], s[36:37], exec
	s_and_saveexec_b64 s[48:49], s[38:39]
	s_cbranch_execz .LBB3_610
	s_branch .LBB3_614
.LBB3_613:                              ;   in Loop: Header=BB3_611 Depth=3
	s_trap 2
	ds_read_b64 v[8:9], v0
	s_andn2_b64 s[38:39], s[38:39], exec
	s_mov_b32 s46, 0
	s_waitcnt vmcnt(0) lgkmcnt(0)
	flat_load_dword v2, v[8:9] sc0 sc1
	s_waitcnt vmcnt(0) lgkmcnt(0)
	buffer_inv sc0 sc1
	v_cmp_eq_u32_e32 vcc, 0, v2
	s_and_b64 vcc, vcc, exec
	s_or_b64 s[38:39], s[38:39], vcc
	s_mov_b64 vcc, -1
	s_or_b64 s[36:37], s[36:37], exec
	s_and_saveexec_b64 s[48:49], s[38:39]
	s_cbranch_execz .LBB3_610
.LBB3_614:                              ;   in Loop: Header=BB3_611 Depth=3
	s_sleep 1
	s_trap 2
	ds_read_b64 v[8:9], v0
	s_waitcnt lgkmcnt(0)
	s_andn2_b64 s[36:37], s[36:37], exec
	v_cmp_ge_u64_e32 vcc, v[8:9], v[32:33]
	s_orn2_b64 vcc, vcc, exec
	s_branch .LBB3_610
.LBB3_615:                              ;   in Loop: Header=BB3_575 Depth=2
	s_or_b64 exec, exec, s[30:31]
	s_and_saveexec_b64 vcc, s[34:35]
	s_xor_b64 vcc, exec, vcc
	s_cbranch_execz .LBB3_617
; %bb.616:                              ;   in Loop: Header=BB3_575 Depth=2
	ds_write_b32 v0, v61
	s_trap 2
.LBB3_617:                              ;   in Loop: Header=BB3_575 Depth=2
	s_or_b64 exec, exec, s[40:41]
	;;#ASMSTART
	s_wakeup
	;;#ASMEND
.LBB3_618:                              ;   in Loop: Header=BB3_575 Depth=2
	s_or_b64 exec, exec, s[28:29]
.LBB3_619:                              ;   in Loop: Header=BB3_575 Depth=2
	s_andn2_saveexec_b64 s[26:27], s[26:27]
	s_cbranch_execz .LBB3_621
; %bb.620:                              ;   in Loop: Header=BB3_575 Depth=2
	s_waitcnt lgkmcnt(0)
	s_barrier
.LBB3_621:                              ;   in Loop: Header=BB3_575 Depth=2
	s_or_b64 exec, exec, s[26:27]
.LBB3_622:                              ;   in Loop: Header=BB3_575 Depth=2
	s_or_b64 exec, exec, s[24:25]
	s_trap 2
	ds_read_b32 v8, v0
	v_and_b32_e32 v2, 0x4000, v58
	v_cmp_ne_u32_e32 vcc, 0, v2
	s_xor_b64 s[24:25], s[2:3], -1
	s_and_b64 s[26:27], s[24:25], vcc
	s_and_saveexec_b64 s[24:25], s[26:27]
	s_cbranch_execz .LBB3_641
; %bb.623:                              ;   in Loop: Header=BB3_575 Depth=2
	s_and_saveexec_b64 s[26:27], s[56:57]
	s_xor_b64 s[26:27], exec, s[26:27]
	s_cbranch_execz .LBB3_638
; %bb.624:                              ;   in Loop: Header=BB3_575 Depth=2
	s_and_saveexec_b64 s[28:29], s[12:13]
	s_cbranch_execz .LBB3_637
; %bb.625:                              ;   in Loop: Header=BB3_575 Depth=2
	s_mov_b64 s[30:31], exec
	v_mbcnt_lo_u32_b32 v2, s30, 0
	v_mbcnt_hi_u32_b32 v2, s31, v2
	v_cmp_eq_u32_e32 vcc, 0, v2
	s_waitcnt lgkmcnt(0)
	s_and_saveexec_b64 s[40:41], vcc
	s_cbranch_execz .LBB3_627
; %bb.626:                              ;   in Loop: Header=BB3_575 Depth=2
	s_bcnt1_i32_b64 s46, s[30:31]
	v_mov_b32_e32 v2, s46
	ds_add_u64 v0, v[2:3]
	s_trap 2
.LBB3_627:                              ;   in Loop: Header=BB3_575 Depth=2
	s_or_b64 exec, exec, s[40:41]
	s_trap 2
	ds_read_b64 v[10:11], v0
	s_waitcnt lgkmcnt(0)
	v_lshl_add_u64 v[32:33], v[32:33], 0, v[36:37]
	v_cmp_lt_u64_e32 vcc, v[10:11], v[32:33]
	s_and_saveexec_b64 s[40:41], vcc
	s_cbranch_execz .LBB3_636
; %bb.628:                              ;   in Loop: Header=BB3_575 Depth=2
	s_mov_b32 s46, 0
	s_mov_b64 s[30:31], 0
                                        ; implicit-def: $sgpr34_sgpr35
                                        ; implicit-def: $sgpr36_sgpr37
	s_branch .LBB3_630
.LBB3_629:                              ;   in Loop: Header=BB3_630 Depth=3
	s_or_b64 exec, exec, s[48:49]
	s_and_b64 vcc, exec, vcc
	s_or_b64 s[30:31], vcc, s[30:31]
	s_andn2_b64 vcc, s[34:35], exec
	s_and_b64 s[34:35], s[36:37], exec
	s_or_b64 s[34:35], vcc, s[34:35]
	s_andn2_b64 exec, exec, s[30:31]
	s_cbranch_execz .LBB3_634
.LBB3_630:                              ;   Parent Loop BB3_47 Depth=1
                                        ;     Parent Loop BB3_575 Depth=2
                                        ; =>    This Inner Loop Header: Depth=3
	s_add_i32 s46, s46, 1
	s_cmpk_lg_i32 s46, 0x2710
	s_cselect_b64 s[38:39], -1, 0
	s_and_b64 vcc, exec, s[38:39]
	s_cbranch_vccz .LBB3_632
; %bb.631:                              ;   in Loop: Header=BB3_630 Depth=3
	s_mov_b64 vcc, -1
	s_or_b64 s[36:37], s[36:37], exec
	s_and_saveexec_b64 s[48:49], s[38:39]
	s_cbranch_execz .LBB3_629
	s_branch .LBB3_633
.LBB3_632:                              ;   in Loop: Header=BB3_630 Depth=3
	s_trap 2
	ds_read_b64 v[10:11], v0
	s_andn2_b64 s[38:39], s[38:39], exec
	s_mov_b32 s46, 0
	s_waitcnt vmcnt(0) lgkmcnt(0)
	flat_load_dword v2, v[10:11] sc0 sc1
	s_waitcnt vmcnt(0) lgkmcnt(0)
	buffer_inv sc0 sc1
	v_cmp_eq_u32_e32 vcc, 0, v2
	s_and_b64 vcc, vcc, exec
	s_or_b64 s[38:39], s[38:39], vcc
	s_mov_b64 vcc, -1
	s_or_b64 s[36:37], s[36:37], exec
	s_and_saveexec_b64 s[48:49], s[38:39]
	s_cbranch_execz .LBB3_629
.LBB3_633:                              ;   in Loop: Header=BB3_630 Depth=3
	s_sleep 1
	s_trap 2
	ds_read_b64 v[10:11], v0
	s_waitcnt lgkmcnt(0)
	s_andn2_b64 s[36:37], s[36:37], exec
	v_cmp_ge_u64_e32 vcc, v[10:11], v[32:33]
	s_orn2_b64 vcc, vcc, exec
	s_branch .LBB3_629
.LBB3_634:                              ;   in Loop: Header=BB3_575 Depth=2
	s_or_b64 exec, exec, s[30:31]
	s_and_saveexec_b64 vcc, s[34:35]
	s_xor_b64 vcc, exec, vcc
	s_cbranch_execz .LBB3_636
; %bb.635:                              ;   in Loop: Header=BB3_575 Depth=2
	ds_write_b32 v0, v61
	s_trap 2
.LBB3_636:                              ;   in Loop: Header=BB3_575 Depth=2
	s_or_b64 exec, exec, s[40:41]
	;;#ASMSTART
	s_wakeup
	;;#ASMEND
.LBB3_637:                              ;   in Loop: Header=BB3_575 Depth=2
	s_or_b64 exec, exec, s[28:29]
.LBB3_638:                              ;   in Loop: Header=BB3_575 Depth=2
	s_andn2_saveexec_b64 s[26:27], s[26:27]
	s_cbranch_execz .LBB3_640
; %bb.639:                              ;   in Loop: Header=BB3_575 Depth=2
	s_waitcnt lgkmcnt(0)
	s_barrier
.LBB3_640:                              ;   in Loop: Header=BB3_575 Depth=2
	s_or_b64 exec, exec, s[26:27]
.LBB3_641:                              ;   in Loop: Header=BB3_575 Depth=2
	s_or_b64 exec, exec, s[24:25]
	s_trap 2
	ds_read_b64 v[116:117], v0
	s_waitcnt lgkmcnt(0)
	v_cmp_eq_u64_e32 vcc, 0, v[116:117]
	s_cbranch_vccnz .LBB3_650
; %bb.642:                              ;   in Loop: Header=BB3_575 Depth=2
	s_trap 2
	ds_read_b64 v[118:119], v0
	s_waitcnt lgkmcnt(0)
	v_cmp_eq_u64_e32 vcc, 0, v[118:119]
	s_cbranch_vccnz .LBB3_650
; %bb.643:                              ;   in Loop: Header=BB3_575 Depth=2
	s_trap 2
	ds_read_b64 v[40:41], v0
	v_cmp_eq_u32_e32 vcc, 0, v8
	s_mov_b64 s[24:25], -1
	s_waitcnt lgkmcnt(0)
	v_readfirstlane_b32 s50, v40
	v_cndmask_b32_e32 v2, 0, v102, vcc
	v_cmp_ne_u64_e32 vcc, 0, v[40:41]
	v_lshlrev_b32_e32 v103, 1, v2
	s_cbranch_vccz .LBB3_761
; %bb.644:                              ;   in Loop: Header=BB3_575 Depth=2
	s_and_saveexec_b64 s[26:27], s[18:19]
	s_cbranch_execz .LBB3_646
; %bb.645:                              ;   in Loop: Header=BB3_575 Depth=2
	ds_read_b32 v8, v0 offset:720
	s_waitcnt lgkmcnt(0)
	v_and_b32_e32 v8, 15, v8
	v_cmp_eq_u32_e32 vcc, 0, v8
	s_orn2_b64 s[24:25], vcc, exec
.LBB3_646:                              ;   in Loop: Header=BB3_575 Depth=2
	s_or_b64 exec, exec, s[26:27]
	s_and_saveexec_b64 s[26:27], s[18:19]
	s_cbranch_execz .LBB3_648
; %bb.647:                              ;   in Loop: Header=BB3_575 Depth=2
	ds_read_b32 v8, v0 offset:784
	s_waitcnt lgkmcnt(0)
	v_and_b32_e32 v8, 15, v8
	v_cmp_eq_u32_e32 vcc, 0, v8
	s_and_b64 s[28:29], s[24:25], vcc
	s_andn2_b64 s[24:25], s[24:25], exec
	s_and_b64 s[28:29], s[28:29], exec
	s_or_b64 s[24:25], s[24:25], s[28:29]
.LBB3_648:                              ;   in Loop: Header=BB3_575 Depth=2
	s_or_b64 exec, exec, s[26:27]
	s_xor_b64 s[24:25], s[24:25], -1
	v_cndmask_b32_e64 v8, 0, 1, s[24:25]
	s_mov_b64 s[26:27], -1
	v_mov_b32_e32 v42, 0
	v_cmp_ne_u32_e32 vcc, 0, v8
	v_mov_b32_e32 v43, v103
	v_mov_b32_e32 v44, v0
	s_cbranch_vccz .LBB3_651
; %bb.649:                              ;   in Loop: Header=BB3_575 Depth=2
	s_and_saveexec_b64 s[40:41], s[26:27]
	s_cbranch_execnz .LBB3_730
	s_branch .LBB3_760
.LBB3_650:                              ;   in Loop: Header=BB3_575 Depth=2
	s_mov_b64 s[24:25], 0
	s_and_saveexec_b64 s[26:27], s[4:5]
	s_cbranch_execnz .LBB3_873
	s_branch .LBB3_891
.LBB3_651:                              ;   in Loop: Header=BB3_575 Depth=2
	v_ashrrev_i32_e32 v8, 31, v103
	v_lshrrev_b32_e32 v8, 22, v8
	v_add_u32_e32 v8, v103, v8
	v_and_b32_e32 v75, 0xfffffc00, v8
	v_ashrrev_i32_e32 v9, 10, v8
	v_sub_u32_e32 v77, v103, v75
	v_sub_u32_e32 v8, v9, v60
	v_cmp_lt_i32_e64 s[24:25], 15, v77
	v_sub_u32_e32 v113, v103, v38
	s_nop 0
	v_addc_co_u32_e64 v76, vcc, 0, v8, s[24:25]
	v_cmp_lt_i32_e32 vcc, 15, v113
	s_and_saveexec_b64 s[30:31], vcc
	s_cbranch_execz .LBB3_689
; %bb.652:                              ;   in Loop: Header=BB3_575 Depth=2
	s_trap 2
	ds_read_b64 v[8:9], v0
	s_and_b32 s46, s50, 1
	s_cmp_eq_u64 s[46:47], 0
	v_lshl_add_u64 v[42:43], v[118:119], 0, v[38:39]
	v_lshl_add_u64 v[44:45], v[40:41], 0, v[38:39]
	;; [unrolled: 1-line block ×3, first 2 shown]
	s_waitcnt lgkmcnt(0)
	v_lshl_add_u64 v[56:57], v[8:9], 0, v[38:39]
	s_mov_b64 s[34:35], 0
	s_cselect_b64 s[26:27], -1, 0
.LBB3_653:                              ;   Parent Loop BB3_47 Depth=1
                                        ;     Parent Loop BB3_575 Depth=2
                                        ; =>    This Loop Header: Depth=3
                                        ;         Child Loop BB3_686 Depth 4
	global_load_dwordx4 v[8:11], v[56:57], off nt
	global_load_dwordx4 v[12:15], v[46:47], off nt
	s_waitcnt vmcnt(0)
	v_lshlrev_b32_e32 v78, 16, v8
	v_lshlrev_b32_e32 v79, 16, v12
	v_max_f32_e32 v78, v78, v78
	v_max_f32_e32 v79, v79, v79
	v_min_f32_e32 v88, v79, v78
	v_max_f32_e32 v78, v79, v78
	v_cndmask_b32_e64 v79, v78, v88, s[26:27]
	v_and_b32_e32 v78, 0x7f800000, v79
	v_cmp_ne_u32_e32 vcc, s67, v78
                                        ; implicit-def: $vgpr78
	s_and_saveexec_b64 s[28:29], vcc
	s_xor_b64 s[28:29], exec, s[28:29]
; %bb.654:                              ;   in Loop: Header=BB3_653 Depth=3
	v_bfe_u32 v78, v79, 16, 1
	v_add3_u32 v78, v79, v78, s68
                                        ; implicit-def: $vgpr79
; %bb.655:                              ;   in Loop: Header=BB3_653 Depth=3
	s_andn2_saveexec_b64 s[28:29], s[28:29]
; %bb.656:                              ;   in Loop: Header=BB3_653 Depth=3
	v_or_b32_e32 v78, 0x10000, v79
	v_cmp_eq_u32_sdwa vcc, v79, v3 src0_sel:WORD_0 src1_sel:DWORD
	s_nop 1
	v_cndmask_b32_e32 v78, v78, v79, vcc
; %bb.657:                              ;   in Loop: Header=BB3_653 Depth=3
	s_or_b64 exec, exec, s[28:29]
	v_and_b32_e32 v8, 0xffff0000, v8
	v_and_b32_e32 v12, 0xffff0000, v12
	v_max_f32_e32 v8, v8, v8
	v_max_f32_e32 v12, v12, v12
	v_min_f32_e32 v79, v12, v8
	v_max_f32_e32 v8, v12, v8
	v_cndmask_b32_e64 v12, v8, v79, s[26:27]
	v_and_b32_e32 v8, 0x7f800000, v12
	v_cmp_ne_u32_e32 vcc, s67, v8
                                        ; implicit-def: $vgpr8
	s_and_saveexec_b64 s[28:29], vcc
	s_xor_b64 s[28:29], exec, s[28:29]
; %bb.658:                              ;   in Loop: Header=BB3_653 Depth=3
	v_bfe_u32 v8, v12, 16, 1
	v_add3_u32 v8, v12, v8, s68
                                        ; implicit-def: $vgpr12
; %bb.659:                              ;   in Loop: Header=BB3_653 Depth=3
	s_andn2_saveexec_b64 s[28:29], s[28:29]
; %bb.660:                              ;   in Loop: Header=BB3_653 Depth=3
	v_or_b32_e32 v8, 0x10000, v12
	v_cmp_eq_u32_sdwa vcc, v12, v3 src0_sel:WORD_0 src1_sel:DWORD
	s_nop 1
	v_cndmask_b32_e32 v8, v8, v12, vcc
; %bb.661:                              ;   in Loop: Header=BB3_653 Depth=3
	s_or_b64 exec, exec, s[28:29]
	v_lshlrev_b32_e32 v12, 16, v9
	v_lshlrev_b32_e32 v79, 16, v13
	v_max_f32_e32 v12, v12, v12
	v_max_f32_e32 v79, v79, v79
	v_min_f32_e32 v88, v79, v12
	v_max_f32_e32 v12, v79, v12
	v_cndmask_b32_e64 v79, v12, v88, s[26:27]
	v_and_b32_e32 v12, 0x7f800000, v79
	v_cmp_ne_u32_e32 vcc, s67, v12
                                        ; implicit-def: $vgpr12
	s_and_saveexec_b64 s[28:29], vcc
	s_xor_b64 s[28:29], exec, s[28:29]
; %bb.662:                              ;   in Loop: Header=BB3_653 Depth=3
	v_bfe_u32 v12, v79, 16, 1
	v_add3_u32 v12, v79, v12, s68
                                        ; implicit-def: $vgpr79
; %bb.663:                              ;   in Loop: Header=BB3_653 Depth=3
	s_andn2_saveexec_b64 s[28:29], s[28:29]
; %bb.664:                              ;   in Loop: Header=BB3_653 Depth=3
	v_or_b32_e32 v12, 0x10000, v79
	v_cmp_eq_u32_sdwa vcc, v79, v3 src0_sel:WORD_0 src1_sel:DWORD
	s_nop 1
	v_cndmask_b32_e32 v12, v12, v79, vcc
; %bb.665:                              ;   in Loop: Header=BB3_653 Depth=3
	s_or_b64 exec, exec, s[28:29]
	v_and_b32_e32 v13, 0xffff0000, v13
	v_and_b32_e32 v9, 0xffff0000, v9
	v_max_f32_e32 v9, v9, v9
	v_max_f32_e32 v13, v13, v13
	v_min_f32_e32 v79, v13, v9
	v_max_f32_e32 v9, v13, v9
	v_cndmask_b32_e64 v13, v9, v79, s[26:27]
	v_and_b32_e32 v9, 0x7f800000, v13
	v_cmp_ne_u32_e32 vcc, s67, v9
                                        ; implicit-def: $vgpr9
	s_and_saveexec_b64 s[28:29], vcc
	s_xor_b64 s[28:29], exec, s[28:29]
; %bb.666:                              ;   in Loop: Header=BB3_653 Depth=3
	v_bfe_u32 v9, v13, 16, 1
	v_add3_u32 v9, v13, v9, s68
                                        ; implicit-def: $vgpr13
; %bb.667:                              ;   in Loop: Header=BB3_653 Depth=3
	s_andn2_saveexec_b64 s[28:29], s[28:29]
; %bb.668:                              ;   in Loop: Header=BB3_653 Depth=3
	v_or_b32_e32 v9, 0x10000, v13
	v_cmp_eq_u32_sdwa vcc, v13, v3 src0_sel:WORD_0 src1_sel:DWORD
	s_nop 1
	v_cndmask_b32_e32 v9, v9, v13, vcc
; %bb.669:                              ;   in Loop: Header=BB3_653 Depth=3
	s_or_b64 exec, exec, s[28:29]
	v_lshlrev_b32_e32 v13, 16, v10
	v_lshlrev_b32_e32 v79, 16, v14
	v_max_f32_e32 v13, v13, v13
	v_max_f32_e32 v79, v79, v79
	v_min_f32_e32 v88, v79, v13
	v_max_f32_e32 v13, v79, v13
	v_cndmask_b32_e64 v79, v13, v88, s[26:27]
	v_and_b32_e32 v13, 0x7f800000, v79
	v_cmp_ne_u32_e32 vcc, s67, v13
                                        ; implicit-def: $vgpr13
	s_and_saveexec_b64 s[28:29], vcc
	s_xor_b64 s[28:29], exec, s[28:29]
; %bb.670:                              ;   in Loop: Header=BB3_653 Depth=3
	v_bfe_u32 v13, v79, 16, 1
	v_add3_u32 v13, v79, v13, s68
                                        ; implicit-def: $vgpr79
; %bb.671:                              ;   in Loop: Header=BB3_653 Depth=3
	s_andn2_saveexec_b64 s[28:29], s[28:29]
; %bb.672:                              ;   in Loop: Header=BB3_653 Depth=3
	v_or_b32_e32 v13, 0x10000, v79
	v_cmp_eq_u32_sdwa vcc, v79, v3 src0_sel:WORD_0 src1_sel:DWORD
	s_nop 1
	v_cndmask_b32_e32 v13, v13, v79, vcc
; %bb.673:                              ;   in Loop: Header=BB3_653 Depth=3
	s_or_b64 exec, exec, s[28:29]
	v_and_b32_e32 v14, 0xffff0000, v14
	v_and_b32_e32 v10, 0xffff0000, v10
	v_max_f32_e32 v10, v10, v10
	v_max_f32_e32 v14, v14, v14
	v_min_f32_e32 v79, v14, v10
	v_max_f32_e32 v10, v14, v10
	v_cndmask_b32_e64 v14, v10, v79, s[26:27]
	v_and_b32_e32 v10, 0x7f800000, v14
	v_cmp_ne_u32_e32 vcc, s67, v10
                                        ; implicit-def: $vgpr10
	s_and_saveexec_b64 s[28:29], vcc
	s_xor_b64 s[28:29], exec, s[28:29]
; %bb.674:                              ;   in Loop: Header=BB3_653 Depth=3
	v_bfe_u32 v10, v14, 16, 1
	v_add3_u32 v10, v14, v10, s68
                                        ; implicit-def: $vgpr14
; %bb.675:                              ;   in Loop: Header=BB3_653 Depth=3
	s_andn2_saveexec_b64 s[28:29], s[28:29]
; %bb.676:                              ;   in Loop: Header=BB3_653 Depth=3
	v_or_b32_e32 v10, 0x10000, v14
	v_cmp_eq_u32_sdwa vcc, v14, v3 src0_sel:WORD_0 src1_sel:DWORD
	s_nop 1
	v_cndmask_b32_e32 v10, v10, v14, vcc
; %bb.677:                              ;   in Loop: Header=BB3_653 Depth=3
	s_or_b64 exec, exec, s[28:29]
	v_lshlrev_b32_e32 v14, 16, v11
	v_lshlrev_b32_e32 v79, 16, v15
	v_max_f32_e32 v14, v14, v14
	v_max_f32_e32 v79, v79, v79
	v_min_f32_e32 v88, v79, v14
	v_max_f32_e32 v14, v79, v14
	v_cndmask_b32_e64 v79, v14, v88, s[26:27]
	v_and_b32_e32 v14, 0x7f800000, v79
	v_cmp_ne_u32_e32 vcc, s67, v14
                                        ; implicit-def: $vgpr14
	s_and_saveexec_b64 s[28:29], vcc
	s_xor_b64 s[28:29], exec, s[28:29]
; %bb.678:                              ;   in Loop: Header=BB3_653 Depth=3
	v_bfe_u32 v14, v79, 16, 1
	v_add3_u32 v14, v79, v14, s68
                                        ; implicit-def: $vgpr79
; %bb.679:                              ;   in Loop: Header=BB3_653 Depth=3
	s_andn2_saveexec_b64 s[28:29], s[28:29]
; %bb.680:                              ;   in Loop: Header=BB3_653 Depth=3
	v_or_b32_e32 v14, 0x10000, v79
	v_cmp_eq_u32_sdwa vcc, v79, v3 src0_sel:WORD_0 src1_sel:DWORD
	s_nop 1
	v_cndmask_b32_e32 v14, v14, v79, vcc
; %bb.681:                              ;   in Loop: Header=BB3_653 Depth=3
	s_or_b64 exec, exec, s[28:29]
	v_and_b32_e32 v15, 0xffff0000, v15
	v_and_b32_e32 v11, 0xffff0000, v11
	v_max_f32_e32 v11, v11, v11
	v_max_f32_e32 v15, v15, v15
	v_min_f32_e32 v79, v15, v11
	v_max_f32_e32 v11, v15, v11
	v_cndmask_b32_e64 v15, v11, v79, s[26:27]
	v_and_b32_e32 v11, 0x7f800000, v15
	v_cmp_ne_u32_e32 vcc, s67, v11
                                        ; implicit-def: $vgpr11
	s_and_saveexec_b64 s[28:29], vcc
	s_xor_b64 s[28:29], exec, s[28:29]
; %bb.682:                              ;   in Loop: Header=BB3_653 Depth=3
	v_bfe_u32 v11, v15, 16, 1
	v_add3_u32 v11, v15, v11, s68
                                        ; implicit-def: $vgpr15
; %bb.683:                              ;   in Loop: Header=BB3_653 Depth=3
	s_andn2_saveexec_b64 s[28:29], s[28:29]
; %bb.684:                              ;   in Loop: Header=BB3_653 Depth=3
	v_or_b32_e32 v11, 0x10000, v15
	v_cmp_eq_u32_sdwa vcc, v15, v3 src0_sel:WORD_0 src1_sel:DWORD
	s_nop 1
	v_cndmask_b32_e32 v11, v11, v15, vcc
; %bb.685:                              ;   in Loop: Header=BB3_653 Depth=3
	s_or_b64 exec, exec, s[28:29]
	v_lshrrev_b32_e32 v12, 16, v12
	v_and_or_b32 v9, v9, s69, v12
	v_lshrrev_b32_e32 v12, 16, v78
	v_and_or_b32 v8, v8, s69, v12
	;; [unrolled: 2-line block ×4, first 2 shown]
	s_mov_b64 s[38:39], 0
	s_mov_b64 s[36:37], -1
.LBB3_686:                              ;   Parent Loop BB3_47 Depth=1
                                        ;     Parent Loop BB3_575 Depth=2
                                        ;       Parent Loop BB3_653 Depth=3
                                        ; =>      This Inner Loop Header: Depth=4
	s_cmp_eq_u32 s38, 1
	s_cselect_b64 vcc, -1, 0
	v_cndmask_b32_e32 v13, v43, v45, vcc
	s_cmp_eq_u32 s38, 0
	v_cndmask_b32_e32 v12, v42, v44, vcc
	global_store_dwordx4 v[12:13], v[8:11], off
	v_lshl_add_u64 v[12:13], v[12:13], 0, s[60:61]
	s_cselect_b64 s[28:29], -1, 0
	s_and_b64 s[40:41], exec, s[36:37]
	s_mov_b64 s[38:39], 1
	s_mov_b64 s[36:37], 0
	v_cndmask_b32_e32 v45, v45, v13, vcc
	v_cndmask_b32_e32 v44, v44, v12, vcc
	v_cndmask_b32_e64 v43, v43, v13, s[28:29]
	v_cndmask_b32_e64 v42, v42, v12, s[28:29]
	s_mov_b64 vcc, s[40:41]
	s_cbranch_vccnz .LBB3_686
; %bb.687:                              ;   in Loop: Header=BB3_653 Depth=3
	v_sub_u32_e32 v113, v113, v54
	v_cmp_gt_i32_e32 vcc, 16, v113
	v_lshl_add_u64 v[46:47], v[46:47], 0, v[82:83]
	v_lshl_add_u64 v[56:57], v[56:57], 0, v[82:83]
	v_lshl_add_u64 v[42:43], v[42:43], 0, v[70:71]
	v_lshl_add_u64 v[44:45], v[44:45], 0, v[70:71]
	s_or_b64 s[34:35], vcc, s[34:35]
	v_sub_u32_e32 v76, v76, v36
	s_andn2_b64 exec, exec, s[34:35]
	s_cbranch_execnz .LBB3_653
; %bb.688:                              ;   in Loop: Header=BB3_575 Depth=2
	s_or_b64 exec, exec, s[34:35]
.LBB3_689:                              ;   in Loop: Header=BB3_575 Depth=2
	s_or_b64 exec, exec, s[30:31]
	v_and_b32_e32 v8, 14, v103
	v_cndmask_b32_e64 v113, v77, v8, s[24:25]
	v_mov_b32_e32 v42, 0
	v_cmp_ne_u32_e32 vcc, 0, v113
	s_mov_b64 s[26:27], 0
                                        ; implicit-def: $vgpr43
                                        ; implicit-def: $vgpr44
	s_and_saveexec_b64 s[30:31], vcc
	s_cbranch_execz .LBB3_729
; %bb.690:                              ;   in Loop: Header=BB3_575 Depth=2
	v_sub_u32_e32 v8, v77, v8
	v_cndmask_b32_e64 v8, 0, v8, s[24:25]
	v_cmp_lt_i32_e32 vcc, 0, v76
	v_add_u32_e32 v75, v8, v75
	s_nop 0
	v_cndmask_b32_e32 v8, 0, v36, vcc
	v_sub_u32_e32 v8, v8, v76
	v_lshl_or_b32 v8, v8, 6, v59
	v_ashrrev_i32_e32 v9, 31, v8
	v_lshrrev_b32_e32 v9, 26, v9
	v_add_u32_e32 v9, v8, v9
	v_ashrrev_i32_e32 v10, 6, v9
	v_and_b32_e32 v9, 0xffffffc0, v9
	v_sub_u32_e32 v76, v8, v9
	v_ashrrev_i32_e32 v9, 31, v113
	v_lshrrev_b32_e32 v9, 22, v9
	v_add_u32_e32 v9, v113, v9
	v_and_b32_e32 v77, 0xfffffc00, v9
	v_lshlrev_b32_e32 v8, 4, v76
	v_sub_u32_e32 v78, v113, v77
	v_lshl_add_u32 v8, v10, 10, v8
	v_ashrrev_i32_e32 v11, 10, v9
	v_cmp_lt_i32_e64 s[24:25], 15, v78
	v_sub_u32_e32 v88, v113, v8
	s_nop 0
	v_addc_co_u32_e64 v9, vcc, 0, v11, s[24:25]
	v_sub_u32_e32 v79, v9, v10
	v_cmp_lt_i32_e32 vcc, 15, v88
	s_and_saveexec_b64 s[34:35], vcc
	s_cbranch_execz .LBB3_728
; %bb.691:                              ;   in Loop: Header=BB3_575 Depth=2
	s_trap 2
	ds_read_b64 v[10:11], v0
	v_add_u32_e32 v8, v8, v75
	s_and_b32 s46, s50, 1
	v_ashrrev_i32_e32 v9, 31, v8
	s_cmp_eq_u64 s[46:47], 0
	v_lshl_add_u64 v[42:43], v[8:9], 0, v[118:119]
	v_lshl_add_u64 v[44:45], v[8:9], 0, v[40:41]
	;; [unrolled: 1-line block ×3, first 2 shown]
	s_waitcnt lgkmcnt(0)
	v_lshl_add_u64 v[56:57], v[10:11], 0, v[8:9]
	s_mov_b64 s[36:37], 0
	s_cselect_b64 s[26:27], -1, 0
.LBB3_692:                              ;   Parent Loop BB3_47 Depth=1
                                        ;     Parent Loop BB3_575 Depth=2
                                        ; =>    This Loop Header: Depth=3
                                        ;         Child Loop BB3_725 Depth 4
	global_load_dwordx4 v[8:11], v[56:57], off nt
	global_load_dwordx4 v[12:15], v[46:47], off nt
	s_waitcnt vmcnt(0)
	v_lshlrev_b32_e32 v89, 16, v8
	v_lshlrev_b32_e32 v90, 16, v12
	v_max_f32_e32 v89, v89, v89
	v_max_f32_e32 v90, v90, v90
	v_min_f32_e32 v91, v90, v89
	v_max_f32_e32 v89, v90, v89
	v_cndmask_b32_e64 v90, v89, v91, s[26:27]
	v_and_b32_e32 v89, 0x7f800000, v90
	v_cmp_ne_u32_e32 vcc, s67, v89
                                        ; implicit-def: $vgpr89
	s_and_saveexec_b64 s[28:29], vcc
	s_xor_b64 s[28:29], exec, s[28:29]
; %bb.693:                              ;   in Loop: Header=BB3_692 Depth=3
	v_bfe_u32 v89, v90, 16, 1
	v_add3_u32 v89, v90, v89, s68
                                        ; implicit-def: $vgpr90
; %bb.694:                              ;   in Loop: Header=BB3_692 Depth=3
	s_andn2_saveexec_b64 s[28:29], s[28:29]
; %bb.695:                              ;   in Loop: Header=BB3_692 Depth=3
	v_or_b32_e32 v89, 0x10000, v90
	v_cmp_eq_u32_sdwa vcc, v90, v3 src0_sel:WORD_0 src1_sel:DWORD
	s_nop 1
	v_cndmask_b32_e32 v89, v89, v90, vcc
; %bb.696:                              ;   in Loop: Header=BB3_692 Depth=3
	s_or_b64 exec, exec, s[28:29]
	v_and_b32_e32 v8, 0xffff0000, v8
	v_and_b32_e32 v12, 0xffff0000, v12
	v_max_f32_e32 v8, v8, v8
	v_max_f32_e32 v12, v12, v12
	v_min_f32_e32 v90, v12, v8
	v_max_f32_e32 v8, v12, v8
	v_cndmask_b32_e64 v12, v8, v90, s[26:27]
	v_and_b32_e32 v8, 0x7f800000, v12
	v_cmp_ne_u32_e32 vcc, s67, v8
                                        ; implicit-def: $vgpr8
	s_and_saveexec_b64 s[28:29], vcc
	s_xor_b64 s[28:29], exec, s[28:29]
; %bb.697:                              ;   in Loop: Header=BB3_692 Depth=3
	v_bfe_u32 v8, v12, 16, 1
	v_add3_u32 v8, v12, v8, s68
                                        ; implicit-def: $vgpr12
; %bb.698:                              ;   in Loop: Header=BB3_692 Depth=3
	s_andn2_saveexec_b64 s[28:29], s[28:29]
; %bb.699:                              ;   in Loop: Header=BB3_692 Depth=3
	v_or_b32_e32 v8, 0x10000, v12
	v_cmp_eq_u32_sdwa vcc, v12, v3 src0_sel:WORD_0 src1_sel:DWORD
	s_nop 1
	v_cndmask_b32_e32 v8, v8, v12, vcc
; %bb.700:                              ;   in Loop: Header=BB3_692 Depth=3
	s_or_b64 exec, exec, s[28:29]
	v_lshlrev_b32_e32 v12, 16, v9
	v_lshlrev_b32_e32 v90, 16, v13
	v_max_f32_e32 v12, v12, v12
	v_max_f32_e32 v90, v90, v90
	v_min_f32_e32 v91, v90, v12
	v_max_f32_e32 v12, v90, v12
	v_cndmask_b32_e64 v90, v12, v91, s[26:27]
	v_and_b32_e32 v12, 0x7f800000, v90
	v_cmp_ne_u32_e32 vcc, s67, v12
                                        ; implicit-def: $vgpr12
	s_and_saveexec_b64 s[28:29], vcc
	s_xor_b64 s[28:29], exec, s[28:29]
; %bb.701:                              ;   in Loop: Header=BB3_692 Depth=3
	v_bfe_u32 v12, v90, 16, 1
	v_add3_u32 v12, v90, v12, s68
                                        ; implicit-def: $vgpr90
; %bb.702:                              ;   in Loop: Header=BB3_692 Depth=3
	s_andn2_saveexec_b64 s[28:29], s[28:29]
; %bb.703:                              ;   in Loop: Header=BB3_692 Depth=3
	v_or_b32_e32 v12, 0x10000, v90
	v_cmp_eq_u32_sdwa vcc, v90, v3 src0_sel:WORD_0 src1_sel:DWORD
	s_nop 1
	v_cndmask_b32_e32 v12, v12, v90, vcc
; %bb.704:                              ;   in Loop: Header=BB3_692 Depth=3
	s_or_b64 exec, exec, s[28:29]
	v_and_b32_e32 v13, 0xffff0000, v13
	v_and_b32_e32 v9, 0xffff0000, v9
	v_max_f32_e32 v9, v9, v9
	v_max_f32_e32 v13, v13, v13
	v_min_f32_e32 v90, v13, v9
	v_max_f32_e32 v9, v13, v9
	v_cndmask_b32_e64 v13, v9, v90, s[26:27]
	v_and_b32_e32 v9, 0x7f800000, v13
	v_cmp_ne_u32_e32 vcc, s67, v9
                                        ; implicit-def: $vgpr9
	s_and_saveexec_b64 s[28:29], vcc
	s_xor_b64 s[28:29], exec, s[28:29]
; %bb.705:                              ;   in Loop: Header=BB3_692 Depth=3
	v_bfe_u32 v9, v13, 16, 1
	v_add3_u32 v9, v13, v9, s68
                                        ; implicit-def: $vgpr13
; %bb.706:                              ;   in Loop: Header=BB3_692 Depth=3
	s_andn2_saveexec_b64 s[28:29], s[28:29]
; %bb.707:                              ;   in Loop: Header=BB3_692 Depth=3
	v_or_b32_e32 v9, 0x10000, v13
	v_cmp_eq_u32_sdwa vcc, v13, v3 src0_sel:WORD_0 src1_sel:DWORD
	s_nop 1
	v_cndmask_b32_e32 v9, v9, v13, vcc
; %bb.708:                              ;   in Loop: Header=BB3_692 Depth=3
	s_or_b64 exec, exec, s[28:29]
	v_lshlrev_b32_e32 v13, 16, v10
	v_lshlrev_b32_e32 v90, 16, v14
	v_max_f32_e32 v13, v13, v13
	v_max_f32_e32 v90, v90, v90
	v_min_f32_e32 v91, v90, v13
	v_max_f32_e32 v13, v90, v13
	v_cndmask_b32_e64 v90, v13, v91, s[26:27]
	v_and_b32_e32 v13, 0x7f800000, v90
	v_cmp_ne_u32_e32 vcc, s67, v13
                                        ; implicit-def: $vgpr13
	s_and_saveexec_b64 s[28:29], vcc
	s_xor_b64 s[28:29], exec, s[28:29]
; %bb.709:                              ;   in Loop: Header=BB3_692 Depth=3
	v_bfe_u32 v13, v90, 16, 1
	v_add3_u32 v13, v90, v13, s68
                                        ; implicit-def: $vgpr90
; %bb.710:                              ;   in Loop: Header=BB3_692 Depth=3
	s_andn2_saveexec_b64 s[28:29], s[28:29]
; %bb.711:                              ;   in Loop: Header=BB3_692 Depth=3
	v_or_b32_e32 v13, 0x10000, v90
	v_cmp_eq_u32_sdwa vcc, v90, v3 src0_sel:WORD_0 src1_sel:DWORD
	s_nop 1
	v_cndmask_b32_e32 v13, v13, v90, vcc
; %bb.712:                              ;   in Loop: Header=BB3_692 Depth=3
	s_or_b64 exec, exec, s[28:29]
	v_and_b32_e32 v14, 0xffff0000, v14
	v_and_b32_e32 v10, 0xffff0000, v10
	v_max_f32_e32 v10, v10, v10
	v_max_f32_e32 v14, v14, v14
	v_min_f32_e32 v90, v14, v10
	v_max_f32_e32 v10, v14, v10
	v_cndmask_b32_e64 v14, v10, v90, s[26:27]
	v_and_b32_e32 v10, 0x7f800000, v14
	v_cmp_ne_u32_e32 vcc, s67, v10
                                        ; implicit-def: $vgpr10
	s_and_saveexec_b64 s[28:29], vcc
	s_xor_b64 s[28:29], exec, s[28:29]
; %bb.713:                              ;   in Loop: Header=BB3_692 Depth=3
	v_bfe_u32 v10, v14, 16, 1
	v_add3_u32 v10, v14, v10, s68
                                        ; implicit-def: $vgpr14
; %bb.714:                              ;   in Loop: Header=BB3_692 Depth=3
	s_andn2_saveexec_b64 s[28:29], s[28:29]
; %bb.715:                              ;   in Loop: Header=BB3_692 Depth=3
	v_or_b32_e32 v10, 0x10000, v14
	v_cmp_eq_u32_sdwa vcc, v14, v3 src0_sel:WORD_0 src1_sel:DWORD
	s_nop 1
	v_cndmask_b32_e32 v10, v10, v14, vcc
; %bb.716:                              ;   in Loop: Header=BB3_692 Depth=3
	s_or_b64 exec, exec, s[28:29]
	v_lshlrev_b32_e32 v14, 16, v11
	v_lshlrev_b32_e32 v90, 16, v15
	v_max_f32_e32 v14, v14, v14
	v_max_f32_e32 v90, v90, v90
	v_min_f32_e32 v91, v90, v14
	v_max_f32_e32 v14, v90, v14
	v_cndmask_b32_e64 v90, v14, v91, s[26:27]
	v_and_b32_e32 v14, 0x7f800000, v90
	v_cmp_ne_u32_e32 vcc, s67, v14
                                        ; implicit-def: $vgpr14
	s_and_saveexec_b64 s[28:29], vcc
	s_xor_b64 s[28:29], exec, s[28:29]
; %bb.717:                              ;   in Loop: Header=BB3_692 Depth=3
	v_bfe_u32 v14, v90, 16, 1
	v_add3_u32 v14, v90, v14, s68
                                        ; implicit-def: $vgpr90
; %bb.718:                              ;   in Loop: Header=BB3_692 Depth=3
	s_andn2_saveexec_b64 s[28:29], s[28:29]
; %bb.719:                              ;   in Loop: Header=BB3_692 Depth=3
	v_or_b32_e32 v14, 0x10000, v90
	v_cmp_eq_u32_sdwa vcc, v90, v3 src0_sel:WORD_0 src1_sel:DWORD
	s_nop 1
	v_cndmask_b32_e32 v14, v14, v90, vcc
; %bb.720:                              ;   in Loop: Header=BB3_692 Depth=3
	s_or_b64 exec, exec, s[28:29]
	v_and_b32_e32 v15, 0xffff0000, v15
	v_and_b32_e32 v11, 0xffff0000, v11
	v_max_f32_e32 v11, v11, v11
	v_max_f32_e32 v15, v15, v15
	v_min_f32_e32 v90, v15, v11
	v_max_f32_e32 v11, v15, v11
	v_cndmask_b32_e64 v15, v11, v90, s[26:27]
	v_and_b32_e32 v11, 0x7f800000, v15
	v_cmp_ne_u32_e32 vcc, s67, v11
                                        ; implicit-def: $vgpr11
	s_and_saveexec_b64 s[28:29], vcc
	s_xor_b64 s[28:29], exec, s[28:29]
; %bb.721:                              ;   in Loop: Header=BB3_692 Depth=3
	v_bfe_u32 v11, v15, 16, 1
	v_add3_u32 v11, v15, v11, s68
                                        ; implicit-def: $vgpr15
; %bb.722:                              ;   in Loop: Header=BB3_692 Depth=3
	s_andn2_saveexec_b64 s[28:29], s[28:29]
; %bb.723:                              ;   in Loop: Header=BB3_692 Depth=3
	v_or_b32_e32 v11, 0x10000, v15
	v_cmp_eq_u32_sdwa vcc, v15, v3 src0_sel:WORD_0 src1_sel:DWORD
	s_nop 1
	v_cndmask_b32_e32 v11, v11, v15, vcc
; %bb.724:                              ;   in Loop: Header=BB3_692 Depth=3
	s_or_b64 exec, exec, s[28:29]
	v_lshrrev_b32_e32 v12, 16, v12
	v_and_or_b32 v9, v9, s69, v12
	v_lshrrev_b32_e32 v12, 16, v89
	v_and_or_b32 v8, v8, s69, v12
	;; [unrolled: 2-line block ×4, first 2 shown]
	s_mov_b64 s[48:49], 0
	s_mov_b64 s[38:39], -1
.LBB3_725:                              ;   Parent Loop BB3_47 Depth=1
                                        ;     Parent Loop BB3_575 Depth=2
                                        ;       Parent Loop BB3_692 Depth=3
                                        ; =>      This Inner Loop Header: Depth=4
	s_cmp_eq_u32 s48, 1
	s_cselect_b64 vcc, -1, 0
	v_cndmask_b32_e32 v13, v43, v45, vcc
	s_cmp_eq_u32 s48, 0
	v_cndmask_b32_e32 v12, v42, v44, vcc
	global_store_dwordx4 v[12:13], v[8:11], off
	v_lshl_add_u64 v[12:13], v[12:13], 0, s[60:61]
	s_cselect_b64 s[28:29], -1, 0
	s_and_b64 s[40:41], exec, s[38:39]
	s_mov_b64 s[48:49], 1
	s_mov_b64 s[38:39], 0
	v_cndmask_b32_e32 v45, v45, v13, vcc
	v_cndmask_b32_e32 v44, v44, v12, vcc
	v_cndmask_b32_e64 v43, v43, v13, s[28:29]
	v_cndmask_b32_e64 v42, v42, v12, s[28:29]
	s_mov_b64 vcc, s[40:41]
	s_cbranch_vccnz .LBB3_725
; %bb.726:                              ;   in Loop: Header=BB3_692 Depth=3
	v_sub_u32_e32 v88, v88, v54
	v_cmp_gt_i32_e32 vcc, 16, v88
	v_lshl_add_u64 v[46:47], v[46:47], 0, v[82:83]
	v_lshl_add_u64 v[56:57], v[56:57], 0, v[82:83]
	;; [unrolled: 1-line block ×4, first 2 shown]
	s_or_b64 s[36:37], vcc, s[36:37]
	v_sub_u32_e32 v79, v79, v36
	s_andn2_b64 exec, exec, s[36:37]
	s_cbranch_execnz .LBB3_692
; %bb.727:                              ;   in Loop: Header=BB3_575 Depth=2
	s_or_b64 exec, exec, s[36:37]
.LBB3_728:                              ;   in Loop: Header=BB3_575 Depth=2
	s_or_b64 exec, exec, s[34:35]
	v_and_b32_e32 v8, 14, v113
	v_cmp_lt_i32_e32 vcc, 0, v79
	v_sub_u32_e32 v9, v78, v8
	v_cndmask_b32_e64 v43, v78, v8, s[24:25]
	v_cndmask_b32_e32 v8, 0, v36, vcc
	v_cndmask_b32_e64 v9, 0, v9, s[24:25]
	v_sub_u32_e32 v8, v8, v79
	v_cmp_ne_u32_e32 vcc, 0, v43
	v_add3_u32 v42, v77, v75, v9
	v_lshl_add_u32 v44, v8, 6, v76
	s_and_b64 s[26:27], vcc, exec
.LBB3_729:                              ;   in Loop: Header=BB3_575 Depth=2
	s_or_b64 exec, exec, s[30:31]
	s_and_saveexec_b64 s[40:41], s[26:27]
	s_cbranch_execz .LBB3_760
.LBB3_730:                              ;   in Loop: Header=BB3_575 Depth=2
	v_ashrrev_i32_e32 v8, 31, v44
	v_ashrrev_i32_e32 v9, 31, v43
	v_lshrrev_b32_e32 v8, 26, v8
	v_lshrrev_b32_e32 v9, 23, v9
	v_add_u32_e32 v8, v44, v8
	v_add_u32_e32 v9, v43, v9
	v_ashrrev_i32_e32 v113, 6, v8
	v_ashrrev_i32_e32 v46, 9, v9
	v_sub_u32_e32 v45, v46, v113
	v_cmp_lt_i32_e32 vcc, 0, v45
	s_and_saveexec_b64 s[26:27], vcc
	s_cbranch_execz .LBB3_750
; %bb.731:                              ;   in Loop: Header=BB3_575 Depth=2
	v_and_b32_e32 v8, 0x7fffffc0, v8
	s_trap 2
	ds_read_b64 v[56:57], v0
	v_sub_u32_e32 v8, v44, v8
	v_lshlrev_b32_e32 v8, 1, v8
	v_lshlrev_b32_e32 v9, 9, v113
	v_add3_u32 v14, v8, v42, v9
	s_and_b32 s46, s50, 1
	v_ashrrev_i32_e32 v15, 31, v14
	s_cmp_eq_u64 s[46:47], 0
	v_lshl_add_u64 v[8:9], v[14:15], 0, v[118:119]
	v_lshl_add_u64 v[10:11], v[14:15], 0, v[40:41]
	;; [unrolled: 1-line block ×3, first 2 shown]
	s_waitcnt lgkmcnt(0)
	v_lshl_add_u64 v[14:15], v[56:57], 0, v[14:15]
	s_mov_b64 s[28:29], 0
	s_cselect_b64 vcc, -1, 0
	s_branch .LBB3_733
.LBB3_732:                              ;   in Loop: Header=BB3_733 Depth=3
	s_or_b64 exec, exec, s[30:31]
	v_sub_u32_e32 v45, v45, v36
	v_lshrrev_b32_e32 v47, 16, v47
	v_cmp_gt_i32_e64 s[24:25], 1, v45
	v_lshrrev_b32_e32 v57, 16, v76
	v_lshrrev_b32_e32 v75, 16, v75
	;; [unrolled: 1-line block ×3, first 2 shown]
	flat_store_short v[8:9], v47 nt
	flat_store_short v[8:9], v75 offset:128 nt
	flat_store_short v[8:9], v57 offset:256 nt
	;; [unrolled: 1-line block ×3, first 2 shown]
	flat_store_short v[10:11], v47 nt
	flat_store_short v[10:11], v75 offset:128 nt
	flat_store_short v[10:11], v57 offset:256 nt
	;; [unrolled: 1-line block ×3, first 2 shown]
	v_lshl_add_u64 v[12:13], v[12:13], 0, v[64:65]
	v_lshl_add_u64 v[14:15], v[14:15], 0, v[64:65]
	;; [unrolled: 1-line block ×3, first 2 shown]
	s_or_b64 s[28:29], s[24:25], s[28:29]
	v_lshl_add_u64 v[10:11], v[10:11], 0, v[64:65]
	s_andn2_b64 exec, exec, s[28:29]
	s_cbranch_execz .LBB3_749
.LBB3_733:                              ;   Parent Loop BB3_47 Depth=1
                                        ;     Parent Loop BB3_575 Depth=2
                                        ; =>    This Inner Loop Header: Depth=3
	flat_load_ushort v76, v[12:13] offset:256 nt
	flat_load_ushort v56, v[12:13] offset:384 nt
	flat_load_ushort v47, v[12:13] nt
	flat_load_ushort v77, v[14:15] offset:256 nt
	flat_load_ushort v57, v[14:15] offset:384 nt
	flat_load_ushort v79, v[14:15] nt
	flat_load_ushort v75, v[12:13] offset:128 nt
	flat_load_ushort v78, v[14:15] offset:128 nt
	s_waitcnt vmcnt(0) lgkmcnt(0)
	v_lshlrev_b32_e32 v47, 16, v47
	v_max_f32_e32 v47, v47, v47
	v_lshlrev_b32_e32 v79, 16, v79
	v_max_f32_e32 v79, v79, v79
	v_min_f32_e32 v88, v47, v79
	v_max_f32_e32 v47, v47, v79
	v_cndmask_b32_e32 v79, v47, v88, vcc
	v_and_b32_e32 v47, 0x7f800000, v79
	v_cmp_ne_u32_e64 s[24:25], s67, v47
                                        ; implicit-def: $vgpr47
	s_and_saveexec_b64 s[30:31], s[24:25]
	s_xor_b64 s[24:25], exec, s[30:31]
; %bb.734:                              ;   in Loop: Header=BB3_733 Depth=3
	v_bfe_u32 v47, v79, 16, 1
	v_add3_u32 v47, v79, v47, s68
                                        ; implicit-def: $vgpr79
; %bb.735:                              ;   in Loop: Header=BB3_733 Depth=3
	s_andn2_saveexec_b64 s[30:31], s[24:25]
; %bb.736:                              ;   in Loop: Header=BB3_733 Depth=3
	v_or_b32_e32 v47, 0x10000, v79
	v_cmp_eq_u32_sdwa s[24:25], v79, v3 src0_sel:WORD_0 src1_sel:DWORD
	s_nop 1
	v_cndmask_b32_e64 v47, v47, v79, s[24:25]
; %bb.737:                              ;   in Loop: Header=BB3_733 Depth=3
	s_or_b64 exec, exec, s[30:31]
	v_lshlrev_b32_e32 v75, 16, v75
	v_lshlrev_b32_e32 v78, 16, v78
	v_max_f32_e32 v78, v78, v78
	v_max_f32_e32 v75, v75, v75
	v_min_f32_e32 v79, v75, v78
	v_max_f32_e32 v75, v75, v78
	v_cndmask_b32_e32 v78, v75, v79, vcc
	v_and_b32_e32 v75, 0x7f800000, v78
	v_cmp_ne_u32_e64 s[24:25], s67, v75
                                        ; implicit-def: $vgpr75
	s_and_saveexec_b64 s[30:31], s[24:25]
	s_xor_b64 s[24:25], exec, s[30:31]
; %bb.738:                              ;   in Loop: Header=BB3_733 Depth=3
	v_bfe_u32 v75, v78, 16, 1
	v_add3_u32 v75, v78, v75, s68
                                        ; implicit-def: $vgpr78
; %bb.739:                              ;   in Loop: Header=BB3_733 Depth=3
	s_andn2_saveexec_b64 s[30:31], s[24:25]
; %bb.740:                              ;   in Loop: Header=BB3_733 Depth=3
	v_or_b32_e32 v75, 0x10000, v78
	v_cmp_eq_u32_sdwa s[24:25], v78, v3 src0_sel:WORD_0 src1_sel:DWORD
	s_nop 1
	v_cndmask_b32_e64 v75, v75, v78, s[24:25]
; %bb.741:                              ;   in Loop: Header=BB3_733 Depth=3
	s_or_b64 exec, exec, s[30:31]
	v_lshlrev_b32_e32 v76, 16, v76
	v_lshlrev_b32_e32 v77, 16, v77
	v_max_f32_e32 v77, v77, v77
	v_max_f32_e32 v76, v76, v76
	v_min_f32_e32 v78, v76, v77
	v_max_f32_e32 v76, v76, v77
	v_cndmask_b32_e32 v77, v76, v78, vcc
	v_and_b32_e32 v76, 0x7f800000, v77
	v_cmp_ne_u32_e64 s[24:25], s67, v76
                                        ; implicit-def: $vgpr76
	s_and_saveexec_b64 s[30:31], s[24:25]
	s_xor_b64 s[24:25], exec, s[30:31]
; %bb.742:                              ;   in Loop: Header=BB3_733 Depth=3
	v_bfe_u32 v76, v77, 16, 1
	v_add3_u32 v76, v77, v76, s68
                                        ; implicit-def: $vgpr77
; %bb.743:                              ;   in Loop: Header=BB3_733 Depth=3
	s_andn2_saveexec_b64 s[30:31], s[24:25]
; %bb.744:                              ;   in Loop: Header=BB3_733 Depth=3
	v_or_b32_e32 v76, 0x10000, v77
	v_cmp_eq_u32_sdwa s[24:25], v77, v3 src0_sel:WORD_0 src1_sel:DWORD
	s_nop 1
	v_cndmask_b32_e64 v76, v76, v77, s[24:25]
; %bb.745:                              ;   in Loop: Header=BB3_733 Depth=3
	s_or_b64 exec, exec, s[30:31]
	v_lshlrev_b32_e32 v56, 16, v56
	v_lshlrev_b32_e32 v57, 16, v57
	v_max_f32_e32 v57, v57, v57
	v_max_f32_e32 v56, v56, v56
	v_min_f32_e32 v77, v56, v57
	v_max_f32_e32 v56, v56, v57
	v_cndmask_b32_e32 v57, v56, v77, vcc
	v_and_b32_e32 v56, 0x7f800000, v57
	v_cmp_ne_u32_e64 s[24:25], s67, v56
                                        ; implicit-def: $vgpr56
	s_and_saveexec_b64 s[30:31], s[24:25]
	s_xor_b64 s[24:25], exec, s[30:31]
; %bb.746:                              ;   in Loop: Header=BB3_733 Depth=3
	v_bfe_u32 v56, v57, 16, 1
	v_add3_u32 v56, v57, v56, s68
                                        ; implicit-def: $vgpr57
; %bb.747:                              ;   in Loop: Header=BB3_733 Depth=3
	s_andn2_saveexec_b64 s[30:31], s[24:25]
	s_cbranch_execz .LBB3_732
; %bb.748:                              ;   in Loop: Header=BB3_733 Depth=3
	v_or_b32_e32 v56, 0x10000, v57
	v_cmp_eq_u32_sdwa s[24:25], v57, v3 src0_sel:WORD_0 src1_sel:DWORD
	s_nop 1
	v_cndmask_b32_e64 v56, v56, v57, s[24:25]
	s_branch .LBB3_732
.LBB3_749:                              ;   in Loop: Header=BB3_575 Depth=2
	s_or_b64 exec, exec, s[28:29]
.LBB3_750:                              ;   in Loop: Header=BB3_575 Depth=2
	s_or_b64 exec, exec, s[26:27]
	v_lshlrev_b32_e32 v8, 9, v46
	v_cmp_ne_u32_e32 vcc, v43, v8
	s_and_b64 exec, exec, vcc
	s_cbranch_execz .LBB3_760
; %bb.751:                              ;   in Loop: Header=BB3_575 Depth=2
	v_lshlrev_b32_e32 v9, 6, v113
	v_sub_u32_e32 v9, v44, v9
	v_lshlrev_b32_e32 v10, 6, v45
	v_sub_u32_e32 v9, v9, v10
	v_ashrrev_i32_e32 v10, 31, v9
	v_lshrrev_b32_e32 v10, 26, v10
	v_add_u32_e32 v10, v9, v10
	v_and_b32_e32 v11, 0x7fffffc0, v10
	v_sub_u32_e32 v9, v9, v11
	v_lshlrev_b32_e32 v10, 1, v10
	v_and_b32_e32 v10, 0xffffff80, v10
	v_lshlrev_b32_e32 v9, 1, v9
	v_add3_u32 v8, v10, v9, v8
	v_sub_u32_e32 v113, v43, v8
	v_cmp_lt_i32_e32 vcc, 1, v113
	s_and_b64 exec, exec, vcc
	s_cbranch_execz .LBB3_760
; %bb.752:                              ;   in Loop: Header=BB3_575 Depth=2
	v_add_u32_e32 v14, v8, v42
	s_trap 2
	ds_read_b64 v[42:43], v0
	s_and_b32 s46, s50, 1
	v_ashrrev_i32_e32 v15, 31, v14
	s_cmp_eq_u64 s[46:47], 0
	v_lshl_add_u64 v[8:9], v[14:15], 0, v[118:119]
	v_lshl_add_u64 v[10:11], v[14:15], 0, v[40:41]
	;; [unrolled: 1-line block ×3, first 2 shown]
	s_waitcnt lgkmcnt(0)
	v_lshl_add_u64 v[14:15], v[42:43], 0, v[14:15]
	s_mov_b64 s[30:31], 0
	s_cselect_b64 s[24:25], -1, 0
.LBB3_753:                              ;   Parent Loop BB3_47 Depth=1
                                        ;     Parent Loop BB3_575 Depth=2
                                        ; =>    This Loop Header: Depth=3
                                        ;         Child Loop BB3_758 Depth 4
	flat_load_ushort v40, v[14:15] nt
	flat_load_ushort v41, v[12:13] nt
	s_waitcnt vmcnt(0) lgkmcnt(0)
	v_lshlrev_b32_e32 v40, 16, v40
	v_lshlrev_b32_e32 v41, 16, v41
	v_max_f32_e32 v40, v40, v40
	v_max_f32_e32 v41, v41, v41
	v_min_f32_e32 v42, v41, v40
	v_max_f32_e32 v40, v41, v40
	v_cndmask_b32_e64 v40, v40, v42, s[24:25]
	v_and_b32_e32 v41, 0x7f800000, v40
	v_cmp_ne_u32_e32 vcc, s67, v41
                                        ; implicit-def: $vgpr41
	s_and_saveexec_b64 s[26:27], vcc
	s_xor_b64 s[26:27], exec, s[26:27]
; %bb.754:                              ;   in Loop: Header=BB3_753 Depth=3
	v_bfe_u32 v41, v40, 16, 1
	v_add3_u32 v41, v40, v41, s68
                                        ; implicit-def: $vgpr40
; %bb.755:                              ;   in Loop: Header=BB3_753 Depth=3
	s_andn2_saveexec_b64 s[26:27], s[26:27]
; %bb.756:                              ;   in Loop: Header=BB3_753 Depth=3
	v_or_b32_e32 v41, 0x10000, v40
	v_cmp_eq_u32_sdwa vcc, v40, v3 src0_sel:WORD_0 src1_sel:DWORD
	s_nop 1
	v_cndmask_b32_e32 v41, v41, v40, vcc
; %bb.757:                              ;   in Loop: Header=BB3_753 Depth=3
	s_or_b64 exec, exec, s[26:27]
	v_lshrrev_b32_e32 v40, 16, v41
	s_mov_b64 s[36:37], 0
	s_mov_b64 s[34:35], -1
.LBB3_758:                              ;   Parent Loop BB3_47 Depth=1
                                        ;     Parent Loop BB3_575 Depth=2
                                        ;       Parent Loop BB3_753 Depth=3
                                        ; =>      This Inner Loop Header: Depth=4
	s_cmp_eq_u32 s36, 1
	s_cselect_b64 vcc, -1, 0
	v_cndmask_b32_e32 v43, v9, v11, vcc
	s_cmp_eq_u32 s36, 0
	v_cndmask_b32_e32 v42, v8, v10, vcc
	flat_store_short v[42:43], v40 nt
	v_lshl_add_u64 v[42:43], v[42:43], 0, s[62:63]
	s_cselect_b64 s[26:27], -1, 0
	s_and_b64 s[28:29], exec, s[34:35]
	s_mov_b64 s[36:37], 1
	s_mov_b64 s[34:35], 0
	v_cndmask_b32_e32 v11, v11, v43, vcc
	v_cndmask_b32_e32 v10, v10, v42, vcc
	v_cndmask_b32_e64 v9, v9, v43, s[26:27]
	v_cndmask_b32_e64 v8, v8, v42, s[26:27]
	s_mov_b64 vcc, s[28:29]
	s_cbranch_vccnz .LBB3_758
; %bb.759:                              ;   in Loop: Header=BB3_753 Depth=3
	v_sub_u32_e32 v113, v113, v66
	v_cmp_gt_i32_e32 vcc, 2, v113
	v_lshl_add_u64 v[12:13], v[12:13], 0, v[84:85]
	v_lshl_add_u64 v[14:15], v[14:15], 0, v[84:85]
	;; [unrolled: 1-line block ×3, first 2 shown]
	s_or_b64 s[30:31], vcc, s[30:31]
	v_lshl_add_u64 v[10:11], v[10:11], 0, v[80:81]
	s_andn2_b64 exec, exec, s[30:31]
	s_cbranch_execnz .LBB3_753
.LBB3_760:                              ;   in Loop: Header=BB3_575 Depth=2
	s_or_b64 exec, exec, s[40:41]
	s_mov_b64 s[24:25], 0
.LBB3_761:                              ;   in Loop: Header=BB3_575 Depth=2
	s_and_b64 vcc, exec, s[24:25]
	s_cbranch_vccz .LBB3_872
; %bb.762:                              ;   in Loop: Header=BB3_575 Depth=2
	s_mov_b64 s[24:25], -1
	s_and_saveexec_b64 s[26:27], s[18:19]
	s_cbranch_execz .LBB3_764
; %bb.763:                              ;   in Loop: Header=BB3_575 Depth=2
	ds_read_b32 v8, v0 offset:720
	s_waitcnt lgkmcnt(0)
	v_and_b32_e32 v8, 15, v8
	v_cmp_eq_u32_e32 vcc, 0, v8
	s_orn2_b64 s[24:25], vcc, exec
.LBB3_764:                              ;   in Loop: Header=BB3_575 Depth=2
	s_or_b64 exec, exec, s[26:27]
	s_and_saveexec_b64 s[26:27], s[14:15]
	s_cbranch_execz .LBB3_766
; %bb.765:                              ;   in Loop: Header=BB3_575 Depth=2
	ds_read_b32 v8, v0 offset:784
	s_waitcnt lgkmcnt(0)
	v_and_b32_e32 v8, 15, v8
	v_cmp_eq_u32_e32 vcc, 0, v8
	s_and_b64 s[28:29], s[24:25], vcc
	s_andn2_b64 s[24:25], s[24:25], exec
	s_and_b64 s[28:29], s[28:29], exec
	s_or_b64 s[24:25], s[24:25], s[28:29]
.LBB3_766:                              ;   in Loop: Header=BB3_575 Depth=2
	s_or_b64 exec, exec, s[26:27]
	s_xor_b64 s[24:25], s[24:25], -1
	v_cndmask_b32_e64 v8, 0, 1, s[24:25]
	s_mov_b64 s[40:41], -1
	v_mov_b32_e32 v14, 0
	v_cmp_ne_u32_e32 vcc, 0, v8
	s_cbranch_vccz .LBB3_768
; %bb.767:                              ;   in Loop: Header=BB3_575 Depth=2
	v_mov_b32_e32 v15, v0
	s_and_saveexec_b64 s[26:27], s[40:41]
	s_cbranch_execnz .LBB3_843
	s_branch .LBB3_871
.LBB3_768:                              ;   in Loop: Header=BB3_575 Depth=2
	v_ashrrev_i32_e32 v8, 31, v103
	v_lshrrev_b32_e32 v8, 22, v8
	v_add_u32_e32 v8, v103, v8
	v_and_b32_e32 v46, 0xfffffc00, v8
	v_ashrrev_i32_e32 v9, 10, v8
	v_sub_u32_e32 v56, v103, v46
	v_sub_u32_e32 v8, v9, v60
	v_cmp_lt_i32_e32 vcc, 15, v56
	v_sub_u32_e32 v113, v103, v38
	s_nop 0
	v_addc_co_u32_e64 v47, s[24:25], 0, v8, vcc
	v_cmp_lt_i32_e64 s[24:25], 15, v113
	s_and_saveexec_b64 s[28:29], s[24:25]
	s_cbranch_execz .LBB3_804
; %bb.769:                              ;   in Loop: Header=BB3_575 Depth=2
	s_trap 2
	ds_read_b64 v[8:9], v0
	s_and_b32 s46, s50, 1
	s_cmp_eq_u64 s[46:47], 0
	v_lshl_add_u64 v[40:41], v[116:117], 0, v[38:39]
	v_lshl_add_u64 v[42:43], v[118:119], 0, v[38:39]
	s_waitcnt lgkmcnt(0)
	v_lshl_add_u64 v[44:45], v[8:9], 0, v[38:39]
	s_mov_b64 s[40:41], 0
	s_cselect_b64 s[24:25], -1, 0
	s_branch .LBB3_771
.LBB3_770:                              ;   in Loop: Header=BB3_771 Depth=3
	s_or_b64 exec, exec, s[30:31]
	v_lshrrev_b32_e32 v12, 16, v12
	v_and_or_b32 v9, v9, s69, v12
	v_lshrrev_b32_e32 v12, 16, v57
	v_and_or_b32 v8, v8, s69, v12
	;; [unrolled: 2-line block ×3, first 2 shown]
	v_lshrrev_b32_e32 v12, 16, v14
	v_sub_u32_e32 v113, v113, v54
	v_and_or_b32 v11, v11, s69, v12
	v_cmp_gt_i32_e64 s[26:27], 16, v113
	global_store_dwordx4 v[42:43], v[8:11], off
	v_lshl_add_u64 v[40:41], v[40:41], 0, v[54:55]
	v_lshl_add_u64 v[44:45], v[44:45], 0, v[54:55]
	;; [unrolled: 1-line block ×3, first 2 shown]
	s_or_b64 s[40:41], s[26:27], s[40:41]
	v_sub_u32_e32 v47, v47, v36
	s_andn2_b64 exec, exec, s[40:41]
	s_cbranch_execz .LBB3_803
.LBB3_771:                              ;   Parent Loop BB3_47 Depth=1
                                        ;     Parent Loop BB3_575 Depth=2
                                        ; =>    This Inner Loop Header: Depth=3
	global_load_dwordx4 v[8:11], v[44:45], off nt
	global_load_dwordx4 v[12:15], v[40:41], off nt
	s_waitcnt vmcnt(0)
	v_lshlrev_b32_e32 v57, 16, v8
	v_lshlrev_b32_e32 v75, 16, v12
	v_max_f32_e32 v57, v57, v57
	v_max_f32_e32 v75, v75, v75
	v_min_f32_e32 v76, v75, v57
	v_max_f32_e32 v57, v75, v57
	v_cndmask_b32_e64 v75, v57, v76, s[24:25]
	v_and_b32_e32 v57, 0x7f800000, v75
	v_cmp_ne_u32_e64 s[26:27], s67, v57
                                        ; implicit-def: $vgpr57
	s_and_saveexec_b64 s[30:31], s[26:27]
	s_xor_b64 s[26:27], exec, s[30:31]
; %bb.772:                              ;   in Loop: Header=BB3_771 Depth=3
	v_bfe_u32 v57, v75, 16, 1
	v_add3_u32 v57, v75, v57, s68
                                        ; implicit-def: $vgpr75
; %bb.773:                              ;   in Loop: Header=BB3_771 Depth=3
	s_andn2_saveexec_b64 s[30:31], s[26:27]
; %bb.774:                              ;   in Loop: Header=BB3_771 Depth=3
	v_or_b32_e32 v57, 0x10000, v75
	v_cmp_eq_u32_sdwa s[26:27], v75, v3 src0_sel:WORD_0 src1_sel:DWORD
	s_nop 1
	v_cndmask_b32_e64 v57, v57, v75, s[26:27]
; %bb.775:                              ;   in Loop: Header=BB3_771 Depth=3
	s_or_b64 exec, exec, s[30:31]
	v_and_b32_e32 v8, 0xffff0000, v8
	v_and_b32_e32 v12, 0xffff0000, v12
	v_max_f32_e32 v8, v8, v8
	v_max_f32_e32 v12, v12, v12
	v_min_f32_e32 v75, v12, v8
	v_max_f32_e32 v8, v12, v8
	v_cndmask_b32_e64 v12, v8, v75, s[24:25]
	v_and_b32_e32 v8, 0x7f800000, v12
	v_cmp_ne_u32_e64 s[26:27], s67, v8
                                        ; implicit-def: $vgpr8
	s_and_saveexec_b64 s[30:31], s[26:27]
	s_xor_b64 s[26:27], exec, s[30:31]
; %bb.776:                              ;   in Loop: Header=BB3_771 Depth=3
	v_bfe_u32 v8, v12, 16, 1
	v_add3_u32 v8, v12, v8, s68
                                        ; implicit-def: $vgpr12
; %bb.777:                              ;   in Loop: Header=BB3_771 Depth=3
	s_andn2_saveexec_b64 s[30:31], s[26:27]
; %bb.778:                              ;   in Loop: Header=BB3_771 Depth=3
	v_or_b32_e32 v8, 0x10000, v12
	v_cmp_eq_u32_sdwa s[26:27], v12, v3 src0_sel:WORD_0 src1_sel:DWORD
	s_nop 1
	v_cndmask_b32_e64 v8, v8, v12, s[26:27]
; %bb.779:                              ;   in Loop: Header=BB3_771 Depth=3
	s_or_b64 exec, exec, s[30:31]
	v_lshlrev_b32_e32 v12, 16, v9
	v_lshlrev_b32_e32 v75, 16, v13
	v_max_f32_e32 v12, v12, v12
	v_max_f32_e32 v75, v75, v75
	v_min_f32_e32 v76, v75, v12
	v_max_f32_e32 v12, v75, v12
	v_cndmask_b32_e64 v75, v12, v76, s[24:25]
	v_and_b32_e32 v12, 0x7f800000, v75
	v_cmp_ne_u32_e64 s[26:27], s67, v12
                                        ; implicit-def: $vgpr12
	s_and_saveexec_b64 s[30:31], s[26:27]
	s_xor_b64 s[26:27], exec, s[30:31]
; %bb.780:                              ;   in Loop: Header=BB3_771 Depth=3
	v_bfe_u32 v12, v75, 16, 1
	v_add3_u32 v12, v75, v12, s68
                                        ; implicit-def: $vgpr75
; %bb.781:                              ;   in Loop: Header=BB3_771 Depth=3
	s_andn2_saveexec_b64 s[30:31], s[26:27]
; %bb.782:                              ;   in Loop: Header=BB3_771 Depth=3
	v_or_b32_e32 v12, 0x10000, v75
	v_cmp_eq_u32_sdwa s[26:27], v75, v3 src0_sel:WORD_0 src1_sel:DWORD
	s_nop 1
	v_cndmask_b32_e64 v12, v12, v75, s[26:27]
; %bb.783:                              ;   in Loop: Header=BB3_771 Depth=3
	s_or_b64 exec, exec, s[30:31]
	v_and_b32_e32 v13, 0xffff0000, v13
	v_and_b32_e32 v9, 0xffff0000, v9
	v_max_f32_e32 v9, v9, v9
	v_max_f32_e32 v13, v13, v13
	v_min_f32_e32 v75, v13, v9
	v_max_f32_e32 v9, v13, v9
	v_cndmask_b32_e64 v13, v9, v75, s[24:25]
	v_and_b32_e32 v9, 0x7f800000, v13
	v_cmp_ne_u32_e64 s[26:27], s67, v9
                                        ; implicit-def: $vgpr9
	s_and_saveexec_b64 s[30:31], s[26:27]
	s_xor_b64 s[26:27], exec, s[30:31]
; %bb.784:                              ;   in Loop: Header=BB3_771 Depth=3
	v_bfe_u32 v9, v13, 16, 1
	v_add3_u32 v9, v13, v9, s68
                                        ; implicit-def: $vgpr13
; %bb.785:                              ;   in Loop: Header=BB3_771 Depth=3
	s_andn2_saveexec_b64 s[30:31], s[26:27]
; %bb.786:                              ;   in Loop: Header=BB3_771 Depth=3
	v_or_b32_e32 v9, 0x10000, v13
	v_cmp_eq_u32_sdwa s[26:27], v13, v3 src0_sel:WORD_0 src1_sel:DWORD
	s_nop 1
	v_cndmask_b32_e64 v9, v9, v13, s[26:27]
; %bb.787:                              ;   in Loop: Header=BB3_771 Depth=3
	s_or_b64 exec, exec, s[30:31]
	v_lshlrev_b32_e32 v13, 16, v10
	v_lshlrev_b32_e32 v75, 16, v14
	v_max_f32_e32 v13, v13, v13
	v_max_f32_e32 v75, v75, v75
	v_min_f32_e32 v76, v75, v13
	v_max_f32_e32 v13, v75, v13
	v_cndmask_b32_e64 v75, v13, v76, s[24:25]
	v_and_b32_e32 v13, 0x7f800000, v75
	v_cmp_ne_u32_e64 s[26:27], s67, v13
                                        ; implicit-def: $vgpr13
	s_and_saveexec_b64 s[30:31], s[26:27]
	s_xor_b64 s[26:27], exec, s[30:31]
; %bb.788:                              ;   in Loop: Header=BB3_771 Depth=3
	v_bfe_u32 v13, v75, 16, 1
	v_add3_u32 v13, v75, v13, s68
                                        ; implicit-def: $vgpr75
; %bb.789:                              ;   in Loop: Header=BB3_771 Depth=3
	s_andn2_saveexec_b64 s[30:31], s[26:27]
; %bb.790:                              ;   in Loop: Header=BB3_771 Depth=3
	v_or_b32_e32 v13, 0x10000, v75
	v_cmp_eq_u32_sdwa s[26:27], v75, v3 src0_sel:WORD_0 src1_sel:DWORD
	s_nop 1
	v_cndmask_b32_e64 v13, v13, v75, s[26:27]
; %bb.791:                              ;   in Loop: Header=BB3_771 Depth=3
	s_or_b64 exec, exec, s[30:31]
	v_and_b32_e32 v14, 0xffff0000, v14
	v_and_b32_e32 v10, 0xffff0000, v10
	v_max_f32_e32 v10, v10, v10
	v_max_f32_e32 v14, v14, v14
	v_min_f32_e32 v75, v14, v10
	v_max_f32_e32 v10, v14, v10
	v_cndmask_b32_e64 v14, v10, v75, s[24:25]
	v_and_b32_e32 v10, 0x7f800000, v14
	v_cmp_ne_u32_e64 s[26:27], s67, v10
                                        ; implicit-def: $vgpr10
	s_and_saveexec_b64 s[30:31], s[26:27]
	s_xor_b64 s[26:27], exec, s[30:31]
; %bb.792:                              ;   in Loop: Header=BB3_771 Depth=3
	v_bfe_u32 v10, v14, 16, 1
	v_add3_u32 v10, v14, v10, s68
                                        ; implicit-def: $vgpr14
; %bb.793:                              ;   in Loop: Header=BB3_771 Depth=3
	s_andn2_saveexec_b64 s[30:31], s[26:27]
; %bb.794:                              ;   in Loop: Header=BB3_771 Depth=3
	v_or_b32_e32 v10, 0x10000, v14
	v_cmp_eq_u32_sdwa s[26:27], v14, v3 src0_sel:WORD_0 src1_sel:DWORD
	s_nop 1
	v_cndmask_b32_e64 v10, v10, v14, s[26:27]
; %bb.795:                              ;   in Loop: Header=BB3_771 Depth=3
	s_or_b64 exec, exec, s[30:31]
	v_lshlrev_b32_e32 v14, 16, v11
	v_lshlrev_b32_e32 v75, 16, v15
	v_max_f32_e32 v14, v14, v14
	v_max_f32_e32 v75, v75, v75
	v_min_f32_e32 v76, v75, v14
	v_max_f32_e32 v14, v75, v14
	v_cndmask_b32_e64 v75, v14, v76, s[24:25]
	v_and_b32_e32 v14, 0x7f800000, v75
	v_cmp_ne_u32_e64 s[26:27], s67, v14
                                        ; implicit-def: $vgpr14
	s_and_saveexec_b64 s[30:31], s[26:27]
	s_xor_b64 s[26:27], exec, s[30:31]
; %bb.796:                              ;   in Loop: Header=BB3_771 Depth=3
	v_bfe_u32 v14, v75, 16, 1
	v_add3_u32 v14, v75, v14, s68
                                        ; implicit-def: $vgpr75
; %bb.797:                              ;   in Loop: Header=BB3_771 Depth=3
	s_andn2_saveexec_b64 s[30:31], s[26:27]
; %bb.798:                              ;   in Loop: Header=BB3_771 Depth=3
	v_or_b32_e32 v14, 0x10000, v75
	v_cmp_eq_u32_sdwa s[26:27], v75, v3 src0_sel:WORD_0 src1_sel:DWORD
	s_nop 1
	v_cndmask_b32_e64 v14, v14, v75, s[26:27]
; %bb.799:                              ;   in Loop: Header=BB3_771 Depth=3
	s_or_b64 exec, exec, s[30:31]
	v_and_b32_e32 v15, 0xffff0000, v15
	v_and_b32_e32 v11, 0xffff0000, v11
	v_max_f32_e32 v11, v11, v11
	v_max_f32_e32 v15, v15, v15
	v_min_f32_e32 v75, v15, v11
	v_max_f32_e32 v11, v15, v11
	v_cndmask_b32_e64 v15, v11, v75, s[24:25]
	v_and_b32_e32 v11, 0x7f800000, v15
	v_cmp_ne_u32_e64 s[26:27], s67, v11
                                        ; implicit-def: $vgpr11
	s_and_saveexec_b64 s[30:31], s[26:27]
	s_xor_b64 s[26:27], exec, s[30:31]
; %bb.800:                              ;   in Loop: Header=BB3_771 Depth=3
	v_bfe_u32 v11, v15, 16, 1
	v_add3_u32 v11, v15, v11, s68
                                        ; implicit-def: $vgpr15
; %bb.801:                              ;   in Loop: Header=BB3_771 Depth=3
	s_andn2_saveexec_b64 s[30:31], s[26:27]
	s_cbranch_execz .LBB3_770
; %bb.802:                              ;   in Loop: Header=BB3_771 Depth=3
	v_or_b32_e32 v11, 0x10000, v15
	v_cmp_eq_u32_sdwa s[26:27], v15, v3 src0_sel:WORD_0 src1_sel:DWORD
	s_nop 1
	v_cndmask_b32_e64 v11, v11, v15, s[26:27]
	s_branch .LBB3_770
.LBB3_803:                              ;   in Loop: Header=BB3_575 Depth=2
	s_or_b64 exec, exec, s[40:41]
.LBB3_804:                              ;   in Loop: Header=BB3_575 Depth=2
	s_or_b64 exec, exec, s[28:29]
	v_and_b32_e32 v8, 14, v103
	v_cndmask_b32_e32 v113, v56, v8, vcc
	v_mov_b32_e32 v14, 0
	v_cmp_ne_u32_e64 s[24:25], 0, v113
	s_mov_b64 s[40:41], 0
                                        ; implicit-def: $vgpr103
                                        ; implicit-def: $vgpr15
	s_and_saveexec_b64 s[28:29], s[24:25]
	s_cbranch_execz .LBB3_842
; %bb.805:                              ;   in Loop: Header=BB3_575 Depth=2
	v_sub_u32_e32 v8, v56, v8
	v_cndmask_b32_e32 v8, 0, v8, vcc
	v_cmp_lt_i32_e32 vcc, 0, v47
	v_add_u32_e32 v103, v8, v46
	s_nop 0
	v_cndmask_b32_e32 v8, 0, v36, vcc
	v_sub_u32_e32 v8, v8, v47
	v_lshl_or_b32 v8, v8, 6, v59
	v_ashrrev_i32_e32 v9, 31, v8
	v_lshrrev_b32_e32 v9, 26, v9
	v_add_u32_e32 v9, v8, v9
	v_ashrrev_i32_e32 v10, 6, v9
	v_and_b32_e32 v9, 0xffffffc0, v9
	v_sub_u32_e32 v46, v8, v9
	v_ashrrev_i32_e32 v9, 31, v113
	v_lshrrev_b32_e32 v9, 22, v9
	v_add_u32_e32 v9, v113, v9
	v_and_b32_e32 v47, 0xfffffc00, v9
	v_lshlrev_b32_e32 v8, 4, v46
	v_sub_u32_e32 v56, v113, v47
	v_lshl_add_u32 v8, v10, 10, v8
	v_ashrrev_i32_e32 v11, 10, v9
	v_cmp_lt_i32_e32 vcc, 15, v56
	v_sub_u32_e32 v75, v113, v8
	s_nop 0
	v_addc_co_u32_e64 v9, s[24:25], 0, v11, vcc
	v_sub_u32_e32 v57, v9, v10
	v_cmp_lt_i32_e64 s[24:25], 15, v75
	s_and_saveexec_b64 s[40:41], s[24:25]
	s_cbranch_execz .LBB3_841
; %bb.806:                              ;   in Loop: Header=BB3_575 Depth=2
	s_trap 2
	ds_read_b64 v[10:11], v0
	v_add_u32_e32 v8, v8, v103
	s_and_b32 s46, s50, 1
	v_ashrrev_i32_e32 v9, 31, v8
	s_cmp_eq_u64 s[46:47], 0
	v_lshl_add_u64 v[40:41], v[8:9], 0, v[116:117]
	s_waitcnt lgkmcnt(0)
	v_lshl_add_u64 v[42:43], v[10:11], 0, v[8:9]
	v_lshl_add_u64 v[44:45], v[8:9], 0, v[118:119]
	s_mov_b64 s[30:31], 0
	s_cselect_b64 s[24:25], -1, 0
	s_branch .LBB3_808
.LBB3_807:                              ;   in Loop: Header=BB3_808 Depth=3
	s_or_b64 exec, exec, s[34:35]
	v_lshrrev_b32_e32 v12, 16, v12
	v_and_or_b32 v9, v9, s69, v12
	v_lshrrev_b32_e32 v12, 16, v76
	v_and_or_b32 v8, v8, s69, v12
	;; [unrolled: 2-line block ×3, first 2 shown]
	v_lshrrev_b32_e32 v12, 16, v14
	v_sub_u32_e32 v75, v75, v54
	v_and_or_b32 v11, v11, s69, v12
	v_cmp_gt_i32_e64 s[26:27], 16, v75
	global_store_dwordx4 v[44:45], v[8:11], off
	v_lshl_add_u64 v[40:41], v[40:41], 0, v[54:55]
	v_lshl_add_u64 v[42:43], v[42:43], 0, v[54:55]
	;; [unrolled: 1-line block ×3, first 2 shown]
	s_or_b64 s[30:31], s[26:27], s[30:31]
	v_sub_u32_e32 v57, v57, v36
	s_andn2_b64 exec, exec, s[30:31]
	s_cbranch_execz .LBB3_840
.LBB3_808:                              ;   Parent Loop BB3_47 Depth=1
                                        ;     Parent Loop BB3_575 Depth=2
                                        ; =>    This Inner Loop Header: Depth=3
	global_load_dwordx4 v[8:11], v[42:43], off nt
	global_load_dwordx4 v[12:15], v[40:41], off nt
	s_waitcnt vmcnt(0)
	v_lshlrev_b32_e32 v76, 16, v8
	v_lshlrev_b32_e32 v77, 16, v12
	v_max_f32_e32 v76, v76, v76
	v_max_f32_e32 v77, v77, v77
	v_min_f32_e32 v78, v77, v76
	v_max_f32_e32 v76, v77, v76
	v_cndmask_b32_e64 v77, v76, v78, s[24:25]
	v_and_b32_e32 v76, 0x7f800000, v77
	v_cmp_ne_u32_e64 s[26:27], s67, v76
                                        ; implicit-def: $vgpr76
	s_and_saveexec_b64 s[34:35], s[26:27]
	s_xor_b64 s[26:27], exec, s[34:35]
; %bb.809:                              ;   in Loop: Header=BB3_808 Depth=3
	v_bfe_u32 v76, v77, 16, 1
	v_add3_u32 v76, v77, v76, s68
                                        ; implicit-def: $vgpr77
; %bb.810:                              ;   in Loop: Header=BB3_808 Depth=3
	s_andn2_saveexec_b64 s[34:35], s[26:27]
; %bb.811:                              ;   in Loop: Header=BB3_808 Depth=3
	v_or_b32_e32 v76, 0x10000, v77
	v_cmp_eq_u32_sdwa s[26:27], v77, v3 src0_sel:WORD_0 src1_sel:DWORD
	s_nop 1
	v_cndmask_b32_e64 v76, v76, v77, s[26:27]
; %bb.812:                              ;   in Loop: Header=BB3_808 Depth=3
	s_or_b64 exec, exec, s[34:35]
	v_and_b32_e32 v8, 0xffff0000, v8
	v_and_b32_e32 v12, 0xffff0000, v12
	v_max_f32_e32 v8, v8, v8
	v_max_f32_e32 v12, v12, v12
	v_min_f32_e32 v77, v12, v8
	v_max_f32_e32 v8, v12, v8
	v_cndmask_b32_e64 v12, v8, v77, s[24:25]
	v_and_b32_e32 v8, 0x7f800000, v12
	v_cmp_ne_u32_e64 s[26:27], s67, v8
                                        ; implicit-def: $vgpr8
	s_and_saveexec_b64 s[34:35], s[26:27]
	s_xor_b64 s[26:27], exec, s[34:35]
; %bb.813:                              ;   in Loop: Header=BB3_808 Depth=3
	v_bfe_u32 v8, v12, 16, 1
	v_add3_u32 v8, v12, v8, s68
                                        ; implicit-def: $vgpr12
; %bb.814:                              ;   in Loop: Header=BB3_808 Depth=3
	s_andn2_saveexec_b64 s[34:35], s[26:27]
; %bb.815:                              ;   in Loop: Header=BB3_808 Depth=3
	v_or_b32_e32 v8, 0x10000, v12
	v_cmp_eq_u32_sdwa s[26:27], v12, v3 src0_sel:WORD_0 src1_sel:DWORD
	s_nop 1
	v_cndmask_b32_e64 v8, v8, v12, s[26:27]
; %bb.816:                              ;   in Loop: Header=BB3_808 Depth=3
	s_or_b64 exec, exec, s[34:35]
	v_lshlrev_b32_e32 v12, 16, v9
	v_lshlrev_b32_e32 v77, 16, v13
	v_max_f32_e32 v12, v12, v12
	v_max_f32_e32 v77, v77, v77
	v_min_f32_e32 v78, v77, v12
	v_max_f32_e32 v12, v77, v12
	v_cndmask_b32_e64 v77, v12, v78, s[24:25]
	v_and_b32_e32 v12, 0x7f800000, v77
	v_cmp_ne_u32_e64 s[26:27], s67, v12
                                        ; implicit-def: $vgpr12
	s_and_saveexec_b64 s[34:35], s[26:27]
	s_xor_b64 s[26:27], exec, s[34:35]
; %bb.817:                              ;   in Loop: Header=BB3_808 Depth=3
	v_bfe_u32 v12, v77, 16, 1
	v_add3_u32 v12, v77, v12, s68
                                        ; implicit-def: $vgpr77
; %bb.818:                              ;   in Loop: Header=BB3_808 Depth=3
	s_andn2_saveexec_b64 s[34:35], s[26:27]
; %bb.819:                              ;   in Loop: Header=BB3_808 Depth=3
	v_or_b32_e32 v12, 0x10000, v77
	v_cmp_eq_u32_sdwa s[26:27], v77, v3 src0_sel:WORD_0 src1_sel:DWORD
	s_nop 1
	v_cndmask_b32_e64 v12, v12, v77, s[26:27]
; %bb.820:                              ;   in Loop: Header=BB3_808 Depth=3
	s_or_b64 exec, exec, s[34:35]
	v_and_b32_e32 v13, 0xffff0000, v13
	v_and_b32_e32 v9, 0xffff0000, v9
	v_max_f32_e32 v9, v9, v9
	v_max_f32_e32 v13, v13, v13
	v_min_f32_e32 v77, v13, v9
	v_max_f32_e32 v9, v13, v9
	v_cndmask_b32_e64 v13, v9, v77, s[24:25]
	v_and_b32_e32 v9, 0x7f800000, v13
	v_cmp_ne_u32_e64 s[26:27], s67, v9
                                        ; implicit-def: $vgpr9
	s_and_saveexec_b64 s[34:35], s[26:27]
	s_xor_b64 s[26:27], exec, s[34:35]
; %bb.821:                              ;   in Loop: Header=BB3_808 Depth=3
	v_bfe_u32 v9, v13, 16, 1
	v_add3_u32 v9, v13, v9, s68
                                        ; implicit-def: $vgpr13
; %bb.822:                              ;   in Loop: Header=BB3_808 Depth=3
	s_andn2_saveexec_b64 s[34:35], s[26:27]
; %bb.823:                              ;   in Loop: Header=BB3_808 Depth=3
	v_or_b32_e32 v9, 0x10000, v13
	v_cmp_eq_u32_sdwa s[26:27], v13, v3 src0_sel:WORD_0 src1_sel:DWORD
	s_nop 1
	v_cndmask_b32_e64 v9, v9, v13, s[26:27]
; %bb.824:                              ;   in Loop: Header=BB3_808 Depth=3
	s_or_b64 exec, exec, s[34:35]
	v_lshlrev_b32_e32 v13, 16, v10
	v_lshlrev_b32_e32 v77, 16, v14
	v_max_f32_e32 v13, v13, v13
	v_max_f32_e32 v77, v77, v77
	v_min_f32_e32 v78, v77, v13
	v_max_f32_e32 v13, v77, v13
	v_cndmask_b32_e64 v77, v13, v78, s[24:25]
	v_and_b32_e32 v13, 0x7f800000, v77
	v_cmp_ne_u32_e64 s[26:27], s67, v13
                                        ; implicit-def: $vgpr13
	s_and_saveexec_b64 s[34:35], s[26:27]
	s_xor_b64 s[26:27], exec, s[34:35]
; %bb.825:                              ;   in Loop: Header=BB3_808 Depth=3
	v_bfe_u32 v13, v77, 16, 1
	v_add3_u32 v13, v77, v13, s68
                                        ; implicit-def: $vgpr77
; %bb.826:                              ;   in Loop: Header=BB3_808 Depth=3
	s_andn2_saveexec_b64 s[34:35], s[26:27]
; %bb.827:                              ;   in Loop: Header=BB3_808 Depth=3
	v_or_b32_e32 v13, 0x10000, v77
	v_cmp_eq_u32_sdwa s[26:27], v77, v3 src0_sel:WORD_0 src1_sel:DWORD
	s_nop 1
	v_cndmask_b32_e64 v13, v13, v77, s[26:27]
; %bb.828:                              ;   in Loop: Header=BB3_808 Depth=3
	s_or_b64 exec, exec, s[34:35]
	v_and_b32_e32 v14, 0xffff0000, v14
	v_and_b32_e32 v10, 0xffff0000, v10
	v_max_f32_e32 v10, v10, v10
	v_max_f32_e32 v14, v14, v14
	v_min_f32_e32 v77, v14, v10
	v_max_f32_e32 v10, v14, v10
	v_cndmask_b32_e64 v14, v10, v77, s[24:25]
	v_and_b32_e32 v10, 0x7f800000, v14
	v_cmp_ne_u32_e64 s[26:27], s67, v10
                                        ; implicit-def: $vgpr10
	s_and_saveexec_b64 s[34:35], s[26:27]
	s_xor_b64 s[26:27], exec, s[34:35]
; %bb.829:                              ;   in Loop: Header=BB3_808 Depth=3
	v_bfe_u32 v10, v14, 16, 1
	v_add3_u32 v10, v14, v10, s68
                                        ; implicit-def: $vgpr14
; %bb.830:                              ;   in Loop: Header=BB3_808 Depth=3
	s_andn2_saveexec_b64 s[34:35], s[26:27]
; %bb.831:                              ;   in Loop: Header=BB3_808 Depth=3
	v_or_b32_e32 v10, 0x10000, v14
	v_cmp_eq_u32_sdwa s[26:27], v14, v3 src0_sel:WORD_0 src1_sel:DWORD
	s_nop 1
	v_cndmask_b32_e64 v10, v10, v14, s[26:27]
; %bb.832:                              ;   in Loop: Header=BB3_808 Depth=3
	s_or_b64 exec, exec, s[34:35]
	v_lshlrev_b32_e32 v14, 16, v11
	v_lshlrev_b32_e32 v77, 16, v15
	v_max_f32_e32 v14, v14, v14
	v_max_f32_e32 v77, v77, v77
	v_min_f32_e32 v78, v77, v14
	v_max_f32_e32 v14, v77, v14
	v_cndmask_b32_e64 v77, v14, v78, s[24:25]
	v_and_b32_e32 v14, 0x7f800000, v77
	v_cmp_ne_u32_e64 s[26:27], s67, v14
                                        ; implicit-def: $vgpr14
	s_and_saveexec_b64 s[34:35], s[26:27]
	s_xor_b64 s[26:27], exec, s[34:35]
; %bb.833:                              ;   in Loop: Header=BB3_808 Depth=3
	v_bfe_u32 v14, v77, 16, 1
	v_add3_u32 v14, v77, v14, s68
                                        ; implicit-def: $vgpr77
; %bb.834:                              ;   in Loop: Header=BB3_808 Depth=3
	s_andn2_saveexec_b64 s[34:35], s[26:27]
; %bb.835:                              ;   in Loop: Header=BB3_808 Depth=3
	v_or_b32_e32 v14, 0x10000, v77
	v_cmp_eq_u32_sdwa s[26:27], v77, v3 src0_sel:WORD_0 src1_sel:DWORD
	s_nop 1
	v_cndmask_b32_e64 v14, v14, v77, s[26:27]
; %bb.836:                              ;   in Loop: Header=BB3_808 Depth=3
	s_or_b64 exec, exec, s[34:35]
	v_and_b32_e32 v15, 0xffff0000, v15
	v_and_b32_e32 v11, 0xffff0000, v11
	v_max_f32_e32 v11, v11, v11
	v_max_f32_e32 v15, v15, v15
	v_min_f32_e32 v77, v15, v11
	v_max_f32_e32 v11, v15, v11
	v_cndmask_b32_e64 v15, v11, v77, s[24:25]
	v_and_b32_e32 v11, 0x7f800000, v15
	v_cmp_ne_u32_e64 s[26:27], s67, v11
                                        ; implicit-def: $vgpr11
	s_and_saveexec_b64 s[34:35], s[26:27]
	s_xor_b64 s[26:27], exec, s[34:35]
; %bb.837:                              ;   in Loop: Header=BB3_808 Depth=3
	v_bfe_u32 v11, v15, 16, 1
	v_add3_u32 v11, v15, v11, s68
                                        ; implicit-def: $vgpr15
; %bb.838:                              ;   in Loop: Header=BB3_808 Depth=3
	s_andn2_saveexec_b64 s[34:35], s[26:27]
	s_cbranch_execz .LBB3_807
; %bb.839:                              ;   in Loop: Header=BB3_808 Depth=3
	v_or_b32_e32 v11, 0x10000, v15
	v_cmp_eq_u32_sdwa s[26:27], v15, v3 src0_sel:WORD_0 src1_sel:DWORD
	s_nop 1
	v_cndmask_b32_e64 v11, v11, v15, s[26:27]
	s_branch .LBB3_807
.LBB3_840:                              ;   in Loop: Header=BB3_575 Depth=2
	s_or_b64 exec, exec, s[30:31]
.LBB3_841:                              ;   in Loop: Header=BB3_575 Depth=2
	s_or_b64 exec, exec, s[40:41]
	v_and_b32_e32 v8, 14, v113
	v_sub_u32_e32 v9, v56, v8
	v_cndmask_b32_e32 v9, 0, v9, vcc
	v_add3_u32 v14, v47, v103, v9
	v_cndmask_b32_e32 v103, v56, v8, vcc
	v_cmp_lt_i32_e32 vcc, 0, v57
	s_nop 1
	v_cndmask_b32_e32 v8, 0, v36, vcc
	v_sub_u32_e32 v8, v8, v57
	v_cmp_ne_u32_e32 vcc, 0, v103
	v_lshl_add_u32 v15, v8, 6, v46
	s_and_b64 s[40:41], vcc, exec
.LBB3_842:                              ;   in Loop: Header=BB3_575 Depth=2
	s_or_b64 exec, exec, s[28:29]
	s_and_saveexec_b64 s[26:27], s[40:41]
	s_cbranch_execz .LBB3_871
.LBB3_843:                              ;   in Loop: Header=BB3_575 Depth=2
	v_ashrrev_i32_e32 v8, 31, v15
	v_ashrrev_i32_e32 v9, 31, v103
	v_lshrrev_b32_e32 v8, 26, v8
	v_lshrrev_b32_e32 v9, 23, v9
	v_add_u32_e32 v8, v15, v8
	v_add_u32_e32 v9, v103, v9
	v_ashrrev_i32_e32 v113, 6, v8
	v_ashrrev_i32_e32 v41, 9, v9
	v_sub_u32_e32 v40, v41, v113
	v_cmp_lt_i32_e32 vcc, 0, v40
	s_and_saveexec_b64 s[28:29], vcc
	s_cbranch_execz .LBB3_863
; %bb.844:                              ;   in Loop: Header=BB3_575 Depth=2
	v_and_b32_e32 v8, 0x7fffffc0, v8
	s_trap 2
	ds_read_b64 v[10:11], v0
	v_sub_u32_e32 v8, v15, v8
	v_lshlrev_b32_e32 v8, 1, v8
	v_lshlrev_b32_e32 v9, 9, v113
	v_add3_u32 v12, v8, v14, v9
	s_and_b32 s46, s50, 1
	v_ashrrev_i32_e32 v13, 31, v12
	s_cmp_eq_u64 s[46:47], 0
	v_lshl_add_u64 v[8:9], v[12:13], 0, v[116:117]
	s_waitcnt lgkmcnt(0)
	v_lshl_add_u64 v[10:11], v[10:11], 0, v[12:13]
	v_lshl_add_u64 v[12:13], v[12:13], 0, v[118:119]
	s_mov_b64 s[40:41], 0
	s_cselect_b64 vcc, -1, 0
	s_branch .LBB3_846
.LBB3_845:                              ;   in Loop: Header=BB3_846 Depth=3
	s_or_b64 exec, exec, s[30:31]
	v_sub_u32_e32 v40, v40, v36
	v_cmp_gt_i32_e64 s[24:25], 1, v40
	flat_store_short_d16_hi v[12:13], v42 nt
	flat_store_short_d16_hi v[12:13], v45 offset:128 nt
	flat_store_short_d16_hi v[12:13], v46 offset:256 nt
	;; [unrolled: 1-line block ×3, first 2 shown]
	v_lshl_add_u64 v[8:9], v[8:9], 0, v[64:65]
	v_lshl_add_u64 v[10:11], v[10:11], 0, v[64:65]
	s_or_b64 s[40:41], s[24:25], s[40:41]
	v_lshl_add_u64 v[12:13], v[12:13], 0, v[64:65]
	s_andn2_b64 exec, exec, s[40:41]
	s_cbranch_execz .LBB3_862
.LBB3_846:                              ;   Parent Loop BB3_47 Depth=1
                                        ;     Parent Loop BB3_575 Depth=2
                                        ; =>    This Inner Loop Header: Depth=3
	flat_load_ushort v46, v[8:9] offset:256 nt
	flat_load_ushort v43, v[8:9] offset:384 nt
	flat_load_ushort v42, v[8:9] nt
	flat_load_ushort v47, v[10:11] offset:256 nt
	flat_load_ushort v44, v[10:11] offset:384 nt
	flat_load_ushort v57, v[10:11] nt
	flat_load_ushort v45, v[8:9] offset:128 nt
	flat_load_ushort v56, v[10:11] offset:128 nt
	s_waitcnt vmcnt(0) lgkmcnt(0)
	v_lshlrev_b32_e32 v42, 16, v42
	v_max_f32_e32 v42, v42, v42
	v_lshlrev_b32_e32 v57, 16, v57
	v_max_f32_e32 v57, v57, v57
	v_min_f32_e32 v75, v42, v57
	v_max_f32_e32 v42, v42, v57
	v_cndmask_b32_e32 v57, v42, v75, vcc
	v_and_b32_e32 v42, 0x7f800000, v57
	v_cmp_ne_u32_e64 s[24:25], s67, v42
                                        ; implicit-def: $vgpr42
	s_and_saveexec_b64 s[30:31], s[24:25]
	s_xor_b64 s[24:25], exec, s[30:31]
; %bb.847:                              ;   in Loop: Header=BB3_846 Depth=3
	v_bfe_u32 v42, v57, 16, 1
	v_add3_u32 v42, v57, v42, s68
                                        ; implicit-def: $vgpr57
; %bb.848:                              ;   in Loop: Header=BB3_846 Depth=3
	s_andn2_saveexec_b64 s[30:31], s[24:25]
; %bb.849:                              ;   in Loop: Header=BB3_846 Depth=3
	v_or_b32_e32 v42, 0x10000, v57
	v_cmp_eq_u32_sdwa s[24:25], v57, v3 src0_sel:WORD_0 src1_sel:DWORD
	s_nop 1
	v_cndmask_b32_e64 v42, v42, v57, s[24:25]
; %bb.850:                              ;   in Loop: Header=BB3_846 Depth=3
	s_or_b64 exec, exec, s[30:31]
	v_lshlrev_b32_e32 v45, 16, v45
	v_lshlrev_b32_e32 v56, 16, v56
	v_max_f32_e32 v56, v56, v56
	v_max_f32_e32 v45, v45, v45
	v_min_f32_e32 v57, v45, v56
	v_max_f32_e32 v45, v45, v56
	v_cndmask_b32_e32 v56, v45, v57, vcc
	v_and_b32_e32 v45, 0x7f800000, v56
	v_cmp_ne_u32_e64 s[24:25], s67, v45
                                        ; implicit-def: $vgpr45
	s_and_saveexec_b64 s[30:31], s[24:25]
	s_xor_b64 s[24:25], exec, s[30:31]
; %bb.851:                              ;   in Loop: Header=BB3_846 Depth=3
	v_bfe_u32 v45, v56, 16, 1
	v_add3_u32 v45, v56, v45, s68
                                        ; implicit-def: $vgpr56
; %bb.852:                              ;   in Loop: Header=BB3_846 Depth=3
	s_andn2_saveexec_b64 s[30:31], s[24:25]
; %bb.853:                              ;   in Loop: Header=BB3_846 Depth=3
	v_or_b32_e32 v45, 0x10000, v56
	v_cmp_eq_u32_sdwa s[24:25], v56, v3 src0_sel:WORD_0 src1_sel:DWORD
	s_nop 1
	v_cndmask_b32_e64 v45, v45, v56, s[24:25]
; %bb.854:                              ;   in Loop: Header=BB3_846 Depth=3
	s_or_b64 exec, exec, s[30:31]
	v_lshlrev_b32_e32 v46, 16, v46
	v_lshlrev_b32_e32 v47, 16, v47
	v_max_f32_e32 v47, v47, v47
	v_max_f32_e32 v46, v46, v46
	v_min_f32_e32 v56, v46, v47
	v_max_f32_e32 v46, v46, v47
	v_cndmask_b32_e32 v47, v46, v56, vcc
	v_and_b32_e32 v46, 0x7f800000, v47
	v_cmp_ne_u32_e64 s[24:25], s67, v46
                                        ; implicit-def: $vgpr46
	s_and_saveexec_b64 s[30:31], s[24:25]
	s_xor_b64 s[24:25], exec, s[30:31]
; %bb.855:                              ;   in Loop: Header=BB3_846 Depth=3
	v_bfe_u32 v46, v47, 16, 1
	v_add3_u32 v46, v47, v46, s68
                                        ; implicit-def: $vgpr47
; %bb.856:                              ;   in Loop: Header=BB3_846 Depth=3
	s_andn2_saveexec_b64 s[30:31], s[24:25]
; %bb.857:                              ;   in Loop: Header=BB3_846 Depth=3
	v_or_b32_e32 v46, 0x10000, v47
	v_cmp_eq_u32_sdwa s[24:25], v47, v3 src0_sel:WORD_0 src1_sel:DWORD
	s_nop 1
	v_cndmask_b32_e64 v46, v46, v47, s[24:25]
; %bb.858:                              ;   in Loop: Header=BB3_846 Depth=3
	s_or_b64 exec, exec, s[30:31]
	v_lshlrev_b32_e32 v43, 16, v43
	v_lshlrev_b32_e32 v44, 16, v44
	v_max_f32_e32 v44, v44, v44
	v_max_f32_e32 v43, v43, v43
	v_min_f32_e32 v47, v43, v44
	v_max_f32_e32 v43, v43, v44
	v_cndmask_b32_e32 v44, v43, v47, vcc
	v_and_b32_e32 v43, 0x7f800000, v44
	v_cmp_ne_u32_e64 s[24:25], s67, v43
                                        ; implicit-def: $vgpr43
	s_and_saveexec_b64 s[30:31], s[24:25]
	s_xor_b64 s[24:25], exec, s[30:31]
; %bb.859:                              ;   in Loop: Header=BB3_846 Depth=3
	v_bfe_u32 v43, v44, 16, 1
	v_add3_u32 v43, v44, v43, s68
                                        ; implicit-def: $vgpr44
; %bb.860:                              ;   in Loop: Header=BB3_846 Depth=3
	s_andn2_saveexec_b64 s[30:31], s[24:25]
	s_cbranch_execz .LBB3_845
; %bb.861:                              ;   in Loop: Header=BB3_846 Depth=3
	v_or_b32_e32 v43, 0x10000, v44
	v_cmp_eq_u32_sdwa s[24:25], v44, v3 src0_sel:WORD_0 src1_sel:DWORD
	s_nop 1
	v_cndmask_b32_e64 v43, v43, v44, s[24:25]
	s_branch .LBB3_845
.LBB3_862:                              ;   in Loop: Header=BB3_575 Depth=2
	s_or_b64 exec, exec, s[40:41]
.LBB3_863:                              ;   in Loop: Header=BB3_575 Depth=2
	s_or_b64 exec, exec, s[28:29]
	v_lshlrev_b32_e32 v8, 9, v41
	v_cmp_ne_u32_e32 vcc, v103, v8
	s_and_b64 exec, exec, vcc
	s_cbranch_execz .LBB3_871
; %bb.864:                              ;   in Loop: Header=BB3_575 Depth=2
	v_lshlrev_b32_e32 v9, 6, v113
	v_sub_u32_e32 v9, v15, v9
	v_lshlrev_b32_e32 v10, 6, v40
	v_sub_u32_e32 v9, v9, v10
	v_ashrrev_i32_e32 v10, 31, v9
	v_lshrrev_b32_e32 v10, 26, v10
	v_add_u32_e32 v10, v9, v10
	v_and_b32_e32 v11, 0x7fffffc0, v10
	v_sub_u32_e32 v9, v9, v11
	v_lshlrev_b32_e32 v10, 1, v10
	v_and_b32_e32 v10, 0xffffff80, v10
	v_lshlrev_b32_e32 v9, 1, v9
	v_add3_u32 v8, v10, v9, v8
	v_sub_u32_e32 v15, v103, v8
	v_cmp_lt_i32_e32 vcc, 1, v15
	s_and_b64 exec, exec, vcc
	s_cbranch_execz .LBB3_871
; %bb.865:                              ;   in Loop: Header=BB3_575 Depth=2
	s_trap 2
	ds_read_b64 v[10:11], v0
	v_add_u32_e32 v12, v8, v14
	s_and_b32 s46, s50, 1
	v_ashrrev_i32_e32 v13, 31, v12
	s_cmp_eq_u64 s[46:47], 0
	v_lshl_add_u64 v[8:9], v[12:13], 0, v[116:117]
	s_waitcnt lgkmcnt(0)
	v_lshl_add_u64 v[10:11], v[10:11], 0, v[12:13]
	v_lshl_add_u64 v[12:13], v[12:13], 0, v[118:119]
	s_mov_b64 s[28:29], 0
	s_cselect_b64 vcc, -1, 0
	s_branch .LBB3_867
.LBB3_866:                              ;   in Loop: Header=BB3_867 Depth=3
	s_or_b64 exec, exec, s[40:41]
	v_sub_u32_e32 v15, v15, v66
	v_cmp_gt_i32_e64 s[24:25], 2, v15
	flat_store_short_d16_hi v[12:13], v103 nt
	v_lshl_add_u64 v[8:9], v[8:9], 0, v[66:67]
	v_lshl_add_u64 v[10:11], v[10:11], 0, v[66:67]
	s_or_b64 s[28:29], s[24:25], s[28:29]
	v_lshl_add_u64 v[12:13], v[12:13], 0, v[66:67]
	s_andn2_b64 exec, exec, s[28:29]
	s_cbranch_execz .LBB3_871
.LBB3_867:                              ;   Parent Loop BB3_47 Depth=1
                                        ;     Parent Loop BB3_575 Depth=2
                                        ; =>    This Inner Loop Header: Depth=3
	flat_load_ushort v14, v[10:11] nt
	flat_load_ushort v103, v[8:9] nt
	s_waitcnt vmcnt(0) lgkmcnt(0)
	v_lshlrev_b32_e32 v14, 16, v14
	v_lshlrev_b32_e32 v103, 16, v103
	v_max_f32_e32 v14, v14, v14
	v_max_f32_e32 v103, v103, v103
	v_min_f32_e32 v113, v103, v14
	v_max_f32_e32 v14, v103, v14
	v_cndmask_b32_e32 v14, v14, v113, vcc
	v_and_b32_e32 v103, 0x7f800000, v14
	v_cmp_ne_u32_e64 s[24:25], s67, v103
                                        ; implicit-def: $vgpr103
	s_and_saveexec_b64 s[40:41], s[24:25]
	s_xor_b64 s[24:25], exec, s[40:41]
; %bb.868:                              ;   in Loop: Header=BB3_867 Depth=3
	v_bfe_u32 v103, v14, 16, 1
	v_add3_u32 v103, v14, v103, s68
                                        ; implicit-def: $vgpr14
; %bb.869:                              ;   in Loop: Header=BB3_867 Depth=3
	s_andn2_saveexec_b64 s[40:41], s[24:25]
	s_cbranch_execz .LBB3_866
; %bb.870:                              ;   in Loop: Header=BB3_867 Depth=3
	v_or_b32_e32 v103, 0x10000, v14
	v_cmp_eq_u32_sdwa s[24:25], v14, v3 src0_sel:WORD_0 src1_sel:DWORD
	s_nop 1
	v_cndmask_b32_e64 v103, v103, v14, s[24:25]
	s_branch .LBB3_866
.LBB3_871:                              ;   in Loop: Header=BB3_575 Depth=2
	s_or_b64 exec, exec, s[26:27]
.LBB3_872:                              ;   in Loop: Header=BB3_575 Depth=2
	v_cmp_lt_i32_e64 s[24:25], 0, v2
	s_and_saveexec_b64 s[26:27], s[4:5]
	s_cbranch_execz .LBB3_891
.LBB3_873:                              ;   in Loop: Header=BB3_575 Depth=2
	s_and_saveexec_b64 s[28:29], s[56:57]
	s_xor_b64 s[28:29], exec, s[28:29]
	s_cbranch_execz .LBB3_888
; %bb.874:                              ;   in Loop: Header=BB3_575 Depth=2
	s_and_saveexec_b64 s[40:41], s[12:13]
	s_cbranch_execz .LBB3_887
; %bb.875:                              ;   in Loop: Header=BB3_575 Depth=2
	s_mov_b64 s[34:35], exec
	v_mbcnt_lo_u32_b32 v2, s34, 0
	v_mbcnt_hi_u32_b32 v2, s35, v2
	v_cmp_eq_u32_e32 vcc, 0, v2
	s_waitcnt lgkmcnt(0)
	s_and_saveexec_b64 s[30:31], vcc
	s_cbranch_execz .LBB3_877
; %bb.876:                              ;   in Loop: Header=BB3_575 Depth=2
	s_bcnt1_i32_b64 s46, s[34:35]
	v_mov_b32_e32 v2, s46
	ds_add_u64 v0, v[2:3]
	s_trap 2
.LBB3_877:                              ;   in Loop: Header=BB3_575 Depth=2
	s_or_b64 exec, exec, s[30:31]
	s_trap 2
	ds_read_b64 v[8:9], v0
	s_waitcnt lgkmcnt(0)
	v_lshl_add_u64 v[32:33], v[32:33], 0, v[36:37]
	v_cmp_lt_u64_e32 vcc, v[8:9], v[32:33]
	s_and_saveexec_b64 s[30:31], vcc
	s_cbranch_execz .LBB3_886
; %bb.878:                              ;   in Loop: Header=BB3_575 Depth=2
	s_mov_b32 s46, 0
	s_mov_b64 s[34:35], 0
                                        ; implicit-def: $sgpr36_sgpr37
                                        ; implicit-def: $sgpr38_sgpr39
	s_branch .LBB3_880
.LBB3_879:                              ;   in Loop: Header=BB3_880 Depth=3
	s_or_b64 exec, exec, s[50:51]
	s_and_b64 vcc, exec, vcc
	s_or_b64 s[34:35], vcc, s[34:35]
	s_andn2_b64 vcc, s[36:37], exec
	s_and_b64 s[36:37], s[38:39], exec
	s_or_b64 s[36:37], vcc, s[36:37]
	s_andn2_b64 exec, exec, s[34:35]
	s_cbranch_execz .LBB3_884
.LBB3_880:                              ;   Parent Loop BB3_47 Depth=1
                                        ;     Parent Loop BB3_575 Depth=2
                                        ; =>    This Inner Loop Header: Depth=3
	s_add_i32 s46, s46, 1
	s_cmpk_lg_i32 s46, 0x2710
	s_cselect_b64 s[48:49], -1, 0
	s_and_b64 vcc, exec, s[48:49]
	s_cbranch_vccz .LBB3_882
; %bb.881:                              ;   in Loop: Header=BB3_880 Depth=3
	s_mov_b64 vcc, -1
	s_or_b64 s[38:39], s[38:39], exec
	s_and_saveexec_b64 s[50:51], s[48:49]
	s_cbranch_execz .LBB3_879
	s_branch .LBB3_883
.LBB3_882:                              ;   in Loop: Header=BB3_880 Depth=3
	s_trap 2
	ds_read_b64 v[8:9], v0
	s_andn2_b64 s[48:49], s[48:49], exec
	s_mov_b32 s46, 0
	s_waitcnt vmcnt(0) lgkmcnt(0)
	flat_load_dword v2, v[8:9] sc0 sc1
	s_waitcnt vmcnt(0) lgkmcnt(0)
	buffer_inv sc0 sc1
	v_cmp_eq_u32_e32 vcc, 0, v2
	s_and_b64 vcc, vcc, exec
	s_or_b64 s[48:49], s[48:49], vcc
	s_mov_b64 vcc, -1
	s_or_b64 s[38:39], s[38:39], exec
	s_and_saveexec_b64 s[50:51], s[48:49]
	s_cbranch_execz .LBB3_879
.LBB3_883:                              ;   in Loop: Header=BB3_880 Depth=3
	s_sleep 1
	s_trap 2
	ds_read_b64 v[8:9], v0
	s_waitcnt lgkmcnt(0)
	s_andn2_b64 s[38:39], s[38:39], exec
	v_cmp_ge_u64_e32 vcc, v[8:9], v[32:33]
	s_orn2_b64 vcc, vcc, exec
	s_branch .LBB3_879
.LBB3_884:                              ;   in Loop: Header=BB3_575 Depth=2
	s_or_b64 exec, exec, s[34:35]
	s_and_saveexec_b64 vcc, s[36:37]
	s_xor_b64 vcc, exec, vcc
	s_cbranch_execz .LBB3_886
; %bb.885:                              ;   in Loop: Header=BB3_575 Depth=2
	ds_write_b32 v0, v61
	s_trap 2
.LBB3_886:                              ;   in Loop: Header=BB3_575 Depth=2
	s_or_b64 exec, exec, s[30:31]
	;;#ASMSTART
	s_wakeup
	;;#ASMEND
.LBB3_887:                              ;   in Loop: Header=BB3_575 Depth=2
	s_or_b64 exec, exec, s[40:41]
.LBB3_888:                              ;   in Loop: Header=BB3_575 Depth=2
	s_andn2_saveexec_b64 s[28:29], s[28:29]
	s_cbranch_execz .LBB3_890
; %bb.889:                              ;   in Loop: Header=BB3_575 Depth=2
	s_waitcnt lgkmcnt(0)
	s_barrier
.LBB3_890:                              ;   in Loop: Header=BB3_575 Depth=2
	s_or_b64 exec, exec, s[28:29]
.LBB3_891:                              ;   in Loop: Header=BB3_575 Depth=2
	s_or_b64 exec, exec, s[26:27]
	v_and_b32_e32 v8, 16, v58
	s_and_saveexec_b64 s[26:27], s[20:21]
	s_xor_b64 s[26:27], exec, s[26:27]
	s_cbranch_execz .LBB3_895
; %bb.892:                              ;   in Loop: Header=BB3_575 Depth=2
	v_and_b32_e32 v2, 16, v58
	v_cmp_ne_u32_e32 vcc, 0, v2
	v_and_b32_e32 v8, 16, v58
	s_and_b64 s[28:29], vcc, s[24:25]
	s_and_saveexec_b64 s[24:25], s[28:29]
	s_cbranch_execz .LBB3_894
; %bb.893:                              ;   in Loop: Header=BB3_575 Depth=2
	v_mov_b32_e32 v8, 1
	buffer_wbl2 sc1
	s_waitcnt vmcnt(0) lgkmcnt(0)
	buffer_inv sc1
.LBB3_894:                              ;   in Loop: Header=BB3_575 Depth=2
	s_or_b64 exec, exec, s[24:25]
.LBB3_895:                              ;   in Loop: Header=BB3_575 Depth=2
	s_andn2_saveexec_b64 s[24:25], s[26:27]
	s_cbranch_execz .LBB3_914
; %bb.896:                              ;   in Loop: Header=BB3_575 Depth=2
	s_and_saveexec_b64 s[26:27], s[56:57]
	s_xor_b64 s[26:27], exec, s[26:27]
	s_cbranch_execz .LBB3_911
; %bb.897:                              ;   in Loop: Header=BB3_575 Depth=2
	s_and_saveexec_b64 s[28:29], s[12:13]
	s_cbranch_execz .LBB3_910
; %bb.898:                              ;   in Loop: Header=BB3_575 Depth=2
	s_mov_b64 s[30:31], exec
	v_mbcnt_lo_u32_b32 v2, s30, 0
	v_mbcnt_hi_u32_b32 v2, s31, v2
	v_cmp_eq_u32_e32 vcc, 0, v2
	;;#ASMSTART
	s_waitcnt lgkmcnt(0) vmcnt(0)
	;;#ASMEND
	s_and_saveexec_b64 s[40:41], vcc
	s_cbranch_execz .LBB3_900
; %bb.899:                              ;   in Loop: Header=BB3_575 Depth=2
	s_bcnt1_i32_b64 s46, s[30:31]
	v_mov_b32_e32 v2, s46
	s_waitcnt lgkmcnt(0)
	ds_add_u64 v0, v[2:3]
	s_trap 2
.LBB3_900:                              ;   in Loop: Header=BB3_575 Depth=2
	s_or_b64 exec, exec, s[40:41]
	s_trap 2
	ds_read_b64 v[10:11], v0
	s_waitcnt lgkmcnt(0)
	v_lshl_add_u64 v[32:33], v[32:33], 0, v[36:37]
	v_cmp_lt_u64_e32 vcc, v[10:11], v[32:33]
	s_and_saveexec_b64 s[40:41], vcc
	s_cbranch_execz .LBB3_909
; %bb.901:                              ;   in Loop: Header=BB3_575 Depth=2
	s_mov_b32 s46, 0
	s_mov_b64 s[30:31], 0
                                        ; implicit-def: $sgpr34_sgpr35
                                        ; implicit-def: $sgpr36_sgpr37
	s_branch .LBB3_903
.LBB3_902:                              ;   in Loop: Header=BB3_903 Depth=3
	s_or_b64 exec, exec, s[48:49]
	s_and_b64 vcc, exec, vcc
	s_or_b64 s[30:31], vcc, s[30:31]
	s_andn2_b64 vcc, s[34:35], exec
	s_and_b64 s[34:35], s[36:37], exec
	s_or_b64 s[34:35], vcc, s[34:35]
	s_andn2_b64 exec, exec, s[30:31]
	s_cbranch_execz .LBB3_907
.LBB3_903:                              ;   Parent Loop BB3_47 Depth=1
                                        ;     Parent Loop BB3_575 Depth=2
                                        ; =>    This Inner Loop Header: Depth=3
	s_add_i32 s46, s46, 1
	s_cmpk_lg_i32 s46, 0x2710
	s_cselect_b64 s[38:39], -1, 0
	s_and_b64 vcc, exec, s[38:39]
	s_cbranch_vccz .LBB3_905
; %bb.904:                              ;   in Loop: Header=BB3_903 Depth=3
	s_mov_b64 vcc, -1
	s_or_b64 s[36:37], s[36:37], exec
	s_and_saveexec_b64 s[48:49], s[38:39]
	s_cbranch_execz .LBB3_902
	s_branch .LBB3_906
.LBB3_905:                              ;   in Loop: Header=BB3_903 Depth=3
	s_trap 2
	ds_read_b64 v[10:11], v0
	s_andn2_b64 s[38:39], s[38:39], exec
	s_mov_b32 s46, 0
	s_waitcnt vmcnt(0) lgkmcnt(0)
	flat_load_dword v2, v[10:11] sc0 sc1
	s_waitcnt vmcnt(0) lgkmcnt(0)
	buffer_inv sc0 sc1
	v_cmp_eq_u32_e32 vcc, 0, v2
	s_and_b64 vcc, vcc, exec
	s_or_b64 s[38:39], s[38:39], vcc
	s_mov_b64 vcc, -1
	s_or_b64 s[36:37], s[36:37], exec
	s_and_saveexec_b64 s[48:49], s[38:39]
	s_cbranch_execz .LBB3_902
.LBB3_906:                              ;   in Loop: Header=BB3_903 Depth=3
	s_sleep 1
	s_trap 2
	ds_read_b64 v[10:11], v0
	s_waitcnt lgkmcnt(0)
	s_andn2_b64 s[36:37], s[36:37], exec
	v_cmp_ge_u64_e32 vcc, v[10:11], v[32:33]
	s_orn2_b64 vcc, vcc, exec
	s_branch .LBB3_902
.LBB3_907:                              ;   in Loop: Header=BB3_575 Depth=2
	s_or_b64 exec, exec, s[30:31]
	s_and_saveexec_b64 vcc, s[34:35]
	s_xor_b64 vcc, exec, vcc
	s_cbranch_execz .LBB3_909
; %bb.908:                              ;   in Loop: Header=BB3_575 Depth=2
	ds_write_b32 v0, v61
	s_trap 2
.LBB3_909:                              ;   in Loop: Header=BB3_575 Depth=2
	s_or_b64 exec, exec, s[40:41]
	;;#ASMSTART
	s_wakeup
	;;#ASMEND
.LBB3_910:                              ;   in Loop: Header=BB3_575 Depth=2
	s_or_b64 exec, exec, s[28:29]
.LBB3_911:                              ;   in Loop: Header=BB3_575 Depth=2
	s_andn2_saveexec_b64 s[26:27], s[26:27]
	s_cbranch_execz .LBB3_913
; %bb.912:                              ;   in Loop: Header=BB3_575 Depth=2
	;;#ASMSTART
	s_waitcnt lgkmcnt(0) vmcnt(0)
	;;#ASMEND
	s_barrier
.LBB3_913:                              ;   in Loop: Header=BB3_575 Depth=2
	s_or_b64 exec, exec, s[26:27]
.LBB3_914:                              ;   in Loop: Header=BB3_575 Depth=2
	s_or_b64 exec, exec, s[24:25]
	v_cmp_ne_u32_e32 vcc, 0, v8
	s_xor_b64 s[24:25], s[6:7], -1
	s_and_b64 s[26:27], vcc, s[24:25]
	s_and_saveexec_b64 s[24:25], s[26:27]
	s_cbranch_execz .LBB3_916
; %bb.915:                              ;   in Loop: Header=BB3_575 Depth=2
	flat_store_dword v[28:29], v61 sc0 sc1
.LBB3_916:                              ;   in Loop: Header=BB3_575 Depth=2
	s_or_b64 exec, exec, s[24:25]
	v_and_b32_e32 v2, 48, v58
	v_cmp_ne_u32_e32 vcc, 0, v2
	s_and_saveexec_b64 s[24:25], vcc
	s_cbranch_execz .LBB3_574
; %bb.917:                              ;   in Loop: Header=BB3_575 Depth=2
	v_lshl_add_u64 v[96:97], v[96:97], 0, 2
	flat_store_dwordx2 v[22:23], v[96:97] sc0 sc1
	s_branch .LBB3_574
.LBB3_918:                              ;   in Loop: Header=BB3_47 Depth=1
	s_or_b64 exec, exec, s[90:91]
	v_cmp_gt_i32_e32 vcc, 2, v2
	s_and_saveexec_b64 s[26:27], vcc
	s_cbranch_execz .LBB3_994
.LBB3_919:                              ;   in Loop: Header=BB3_47 Depth=1
	v_cmp_eq_u32_e64 s[40:41], 0, v2
	s_mov_b64 s[28:29], 0
	s_branch .LBB3_921
.LBB3_920:                              ;   in Loop: Header=BB3_921 Depth=2
	s_or_b64 exec, exec, s[24:25]
	v_add_u32_e32 v112, v102, v112
	s_mov_b64 s[40:41], 0
	s_andn2_b64 exec, exec, s[28:29]
	s_cbranch_execz .LBB3_995
.LBB3_921:                              ;   Parent Loop BB3_47 Depth=1
                                        ; =>  This Loop Header: Depth=2
                                        ;       Child Loop BB3_927 Depth 3
                                        ;       Child Loop BB3_955 Depth 3
	;; [unrolled: 1-line block ×3, first 2 shown]
	v_sub_u32_e32 v2, v74, v112
	v_min_i32_e32 v102, v102, v2
	v_and_b32_e32 v2, 12, v58
	v_cmp_ne_u32_e32 vcc, 0, v2
	s_and_saveexec_b64 s[90:91], vcc
	s_cbranch_execz .LBB3_947
; %bb.922:                              ;   in Loop: Header=BB3_921 Depth=2
	v_and_b32_e32 v2, 8, v58
	s_waitcnt vmcnt(0) lgkmcnt(0)
	v_lshl_add_u64 v[10:11], v[34:35], 0, v[2:3]
	v_lshl_add_u64 v[8:9], v[96:97], 0, 2
	v_cmp_lt_u64_e32 vcc, v[10:11], v[8:9]
	s_and_saveexec_b64 s[92:93], vcc
	s_cbranch_execz .LBB3_934
; %bb.923:                              ;   in Loop: Header=BB3_921 Depth=2
	v_and_b32_e32 v10, 64, v58
	s_mov_b32 s46, 0
	v_cmp_eq_u32_e32 vcc, 0, v10
	s_mov_b64 s[94:95], 0
                                        ; implicit-def: $sgpr30_sgpr31
                                        ; implicit-def: $sgpr34_sgpr35
                                        ; implicit-def: $sgpr36_sgpr37
	s_branch .LBB3_927
.LBB3_924:                              ;   in Loop: Header=BB3_927 Depth=3
	s_waitcnt vmcnt(0) lgkmcnt(0)
	v_lshl_add_u64 v[12:13], v[34:35], 0, v[2:3]
	v_cmp_ge_u64_e64 s[24:25], v[12:13], v[8:9]
	s_or_b64 s[50:51], s[50:51], exec
	s_orn2_b64 s[48:49], s[24:25], exec
.LBB3_925:                              ;   in Loop: Header=BB3_927 Depth=3
	s_or_b64 exec, exec, s[54:55]
	s_andn2_b64 s[24:25], s[36:37], exec
	s_and_b64 s[36:37], s[50:51], exec
	s_or_b64 s[36:37], s[24:25], s[36:37]
	s_andn2_b64 s[24:25], s[34:35], exec
	s_and_b64 s[34:35], s[48:49], exec
	s_or_b64 s[34:35], s[24:25], s[34:35]
.LBB3_926:                              ;   in Loop: Header=BB3_927 Depth=3
	s_or_b64 exec, exec, s[38:39]
	s_and_b64 s[24:25], exec, s[34:35]
	s_or_b64 s[94:95], s[24:25], s[94:95]
	s_andn2_b64 s[24:25], s[30:31], exec
	s_and_b64 s[30:31], s[36:37], exec
	s_or_b64 s[30:31], s[24:25], s[30:31]
	s_andn2_b64 exec, exec, s[94:95]
	s_cbranch_execz .LBB3_931
.LBB3_927:                              ;   Parent Loop BB3_47 Depth=1
                                        ;     Parent Loop BB3_921 Depth=2
                                        ; =>    This Inner Loop Header: Depth=3
	s_sleep 1
	s_waitcnt vmcnt(0) lgkmcnt(0)
	flat_load_dwordx2 v[34:35], v[22:23] sc0 sc1
	s_or_b64 s[36:37], s[36:37], exec
	s_or_b64 s[34:35], s[34:35], exec
                                        ; implicit-def: $vgpr10
	s_and_saveexec_b64 s[38:39], vcc
	s_cbranch_execz .LBB3_926
; %bb.928:                              ;   in Loop: Header=BB3_927 Depth=3
	s_cmpk_lt_i32 s46, 0x270f
	s_cselect_b64 s[52:53], -1, 0
	s_cmpk_gt_i32 s46, 0x270e
	s_mov_b64 s[48:49], -1
	s_cbranch_scc0 .LBB3_930
; %bb.929:                              ;   in Loop: Header=BB3_927 Depth=3
	s_trap 2
	ds_read_b64 v[10:11], v0
	s_andn2_b64 s[52:53], s[52:53], exec
	s_mov_b32 s46, 0
	s_mov_b64 s[50:51], 0
	s_waitcnt vmcnt(0) lgkmcnt(0)
	flat_load_dword v10, v[10:11] sc0 sc1
	s_waitcnt vmcnt(0) lgkmcnt(0)
	buffer_inv sc0 sc1
	v_cmp_eq_u32_e64 s[24:25], 0, v10
	s_and_b64 s[24:25], s[24:25], exec
	s_or_b64 s[52:53], s[52:53], s[24:25]
	s_and_saveexec_b64 s[54:55], s[52:53]
	s_cbranch_execz .LBB3_925
	s_branch .LBB3_924
.LBB3_930:                              ;   in Loop: Header=BB3_927 Depth=3
	s_add_i32 s46, s46, 1
	s_mov_b64 s[50:51], -1
                                        ; implicit-def: $vgpr10
	s_and_saveexec_b64 s[54:55], s[52:53]
	s_cbranch_execz .LBB3_925
	s_branch .LBB3_924
.LBB3_931:                              ;   in Loop: Header=BB3_921 Depth=2
	s_or_b64 exec, exec, s[94:95]
	s_xor_b64 s[24:25], s[30:31], -1
	s_and_saveexec_b64 s[94:95], s[24:25]
	s_xor_b64 s[24:25], exec, s[94:95]
	s_cbranch_execz .LBB3_933
; %bb.932:                              ;   in Loop: Header=BB3_921 Depth=2
	v_or_b32_e32 v58, 64, v58
	s_waitcnt lgkmcnt(0)
	ds_write_b32 v0, v10
	s_trap 2
.LBB3_933:                              ;   in Loop: Header=BB3_921 Depth=2
	s_or_b64 exec, exec, s[24:25]
.LBB3_934:                              ;   in Loop: Header=BB3_921 Depth=2
	s_or_b64 exec, exec, s[92:93]
	v_and_b32_e32 v10, 0x108, v58
	v_cmp_ne_u32_e32 vcc, s66, v10
	;;#ASMSTART
	s_wakeup
	;;#ASMEND
                                        ; implicit-def: $vgpr10_vgpr11
	s_and_saveexec_b64 s[24:25], vcc
	s_xor_b64 s[24:25], exec, s[24:25]
; %bb.935:                              ;   in Loop: Header=BB3_921 Depth=2
	v_and_b32_e32 v10, 7, v96
	v_mov_b32_e32 v11, v3
                                        ; implicit-def: $vgpr96_vgpr97
; %bb.936:                              ;   in Loop: Header=BB3_921 Depth=2
	s_andn2_saveexec_b64 s[24:25], s[24:25]
	s_cbranch_execz .LBB3_938
; %bb.937:                              ;   in Loop: Header=BB3_921 Depth=2
	v_and_b32_e32 v10, 7, v96
	v_ashrrev_i32_e32 v103, 31, v102
	v_mov_b32_e32 v11, v3
	v_mad_u64_u32 v[12:13], s[92:93], v10, 24, v[6:7]
	v_lshlrev_b64 v[14:15], 1, v[102:103]
	flat_store_dwordx2 v[12:13], v[14:15] offset:8
.LBB3_938:                              ;   in Loop: Header=BB3_921 Depth=2
	s_or_b64 exec, exec, s[24:25]
	v_and_b32_e32 v12, 0x100, v58
	v_cmp_ne_u32_e32 vcc, 0, v12
	s_mov_b64 s[24:25], -1
                                        ; implicit-def: $vgpr12_vgpr13
	s_and_saveexec_b64 s[92:93], vcc
	s_cbranch_execz .LBB3_942
; %bb.939:                              ;   in Loop: Header=BB3_921 Depth=2
	v_mad_u64_u32 v[14:15], s[24:25], v10, 24, v[6:7]
	v_mov_b32_e32 v12, v15
	v_mad_u64_u32 v[12:13], s[24:25], v11, 24, v[12:13]
	v_mov_b32_e32 v15, v12
	flat_load_dword v12, v[14:15]
	s_waitcnt vmcnt(0) lgkmcnt(0)
	v_cmp_ne_u32_e32 vcc, 1, v12
	v_cmp_eq_u32_e64 s[24:25], 1, v12
                                        ; implicit-def: $vgpr12_vgpr13
	s_and_saveexec_b64 s[94:95], s[24:25]
	s_cbranch_execz .LBB3_941
; %bb.940:                              ;   in Loop: Header=BB3_921 Depth=2
	flat_load_dword v12, v[14:15] offset:4 sc0 sc1
	s_waitcnt vmcnt(0) lgkmcnt(0)
	v_ashrrev_i32_e32 v13, 31, v12
	v_lshrrev_b64 v[12:13], 1, v[12:13]
.LBB3_941:                              ;   in Loop: Header=BB3_921 Depth=2
	s_or_b64 exec, exec, s[94:95]
	s_orn2_b64 s[24:25], vcc, exec
.LBB3_942:                              ;   in Loop: Header=BB3_921 Depth=2
	s_or_b64 exec, exec, s[92:93]
	s_and_saveexec_b64 s[92:93], s[24:25]
; %bb.943:                              ;   in Loop: Header=BB3_921 Depth=2
	v_mul_lo_u32 v11, v11, v24
	v_mul_lo_u32 v14, v10, v25
	v_mad_u64_u32 v[12:13], s[24:25], v10, v24, 0
	v_add3_u32 v13, v13, v14, v11
; %bb.944:                              ;   in Loop: Header=BB3_921 Depth=2
	s_or_b64 exec, exec, s[92:93]
	v_cmp_eq_u32_e32 vcc, 0, v2
	v_lshl_add_u64 v[10:11], v[12:13], 1, v[26:27]
	s_nop 0
	v_cndmask_b32_e32 v2, v72, v63, vcc
	v_add_u32_e32 v2, v0, v2
	ds_write_b64 v2, v[10:11] offset:584
	v_and_b32_e32 v2, 0x2000, v58
	v_cmp_ne_u32_e32 vcc, 0, v2
	s_and_saveexec_b64 s[24:25], vcc
	s_cbranch_execz .LBB3_946
; %bb.945:                              ;   in Loop: Header=BB3_921 Depth=2
	ds_read_b64 v[10:11], v0 offset:872
	s_waitcnt lgkmcnt(0)
	v_lshl_add_u64 v[10:11], v[10:11], 0, 1
	ds_write_b64 v0, v[10:11] offset:872
.LBB3_946:                              ;   in Loop: Header=BB3_921 Depth=2
	s_or_b64 exec, exec, s[24:25]
	v_mov_b64_e32 v[96:97], v[8:9]
.LBB3_947:                              ;   in Loop: Header=BB3_921 Depth=2
	s_or_b64 exec, exec, s[90:91]
	s_xor_b64 s[24:25], s[40:41], -1
	s_and_b64 s[24:25], exec, s[24:25]
	s_or_b64 s[28:29], s[24:25], s[28:29]
	s_and_saveexec_b64 s[24:25], s[4:5]
	s_cbranch_execz .LBB3_966
; %bb.948:                              ;   in Loop: Header=BB3_921 Depth=2
	s_and_saveexec_b64 s[40:41], s[56:57]
	s_xor_b64 s[40:41], exec, s[40:41]
	s_cbranch_execz .LBB3_963
; %bb.949:                              ;   in Loop: Header=BB3_921 Depth=2
	s_and_saveexec_b64 s[90:91], s[12:13]
	s_cbranch_execz .LBB3_962
; %bb.950:                              ;   in Loop: Header=BB3_921 Depth=2
	s_mov_b64 s[94:95], exec
	v_mbcnt_lo_u32_b32 v2, s94, 0
	v_mbcnt_hi_u32_b32 v2, s95, v2
	v_cmp_eq_u32_e32 vcc, 0, v2
	s_waitcnt lgkmcnt(0)
	s_and_saveexec_b64 s[92:93], vcc
	s_cbranch_execz .LBB3_952
; %bb.951:                              ;   in Loop: Header=BB3_921 Depth=2
	s_bcnt1_i32_b64 s46, s[94:95]
	v_mov_b32_e32 v2, s46
	ds_add_u64 v0, v[2:3]
	s_trap 2
.LBB3_952:                              ;   in Loop: Header=BB3_921 Depth=2
	s_or_b64 exec, exec, s[92:93]
	s_trap 2
	ds_read_b64 v[8:9], v0
	s_waitcnt lgkmcnt(0)
	v_lshl_add_u64 v[32:33], v[32:33], 0, v[36:37]
	v_cmp_lt_u64_e32 vcc, v[8:9], v[32:33]
	s_and_saveexec_b64 s[92:93], vcc
	s_cbranch_execz .LBB3_961
; %bb.953:                              ;   in Loop: Header=BB3_921 Depth=2
	s_mov_b32 s46, 0
	s_mov_b64 s[94:95], 0
                                        ; implicit-def: $sgpr30_sgpr31
                                        ; implicit-def: $sgpr34_sgpr35
	s_branch .LBB3_955
.LBB3_954:                              ;   in Loop: Header=BB3_955 Depth=3
	s_or_b64 exec, exec, s[38:39]
	s_and_b64 vcc, exec, vcc
	s_or_b64 s[94:95], vcc, s[94:95]
	s_andn2_b64 vcc, s[30:31], exec
	s_and_b64 s[30:31], s[34:35], exec
	s_or_b64 s[30:31], vcc, s[30:31]
	s_andn2_b64 exec, exec, s[94:95]
	s_cbranch_execz .LBB3_959
.LBB3_955:                              ;   Parent Loop BB3_47 Depth=1
                                        ;     Parent Loop BB3_921 Depth=2
                                        ; =>    This Inner Loop Header: Depth=3
	s_add_i32 s46, s46, 1
	s_cmpk_lg_i32 s46, 0x2710
	s_cselect_b64 s[36:37], -1, 0
	s_and_b64 vcc, exec, s[36:37]
	s_cbranch_vccz .LBB3_957
; %bb.956:                              ;   in Loop: Header=BB3_955 Depth=3
	s_mov_b64 vcc, -1
	s_or_b64 s[34:35], s[34:35], exec
	s_and_saveexec_b64 s[38:39], s[36:37]
	s_cbranch_execz .LBB3_954
	s_branch .LBB3_958
.LBB3_957:                              ;   in Loop: Header=BB3_955 Depth=3
	s_trap 2
	ds_read_b64 v[8:9], v0
	s_andn2_b64 s[36:37], s[36:37], exec
	s_mov_b32 s46, 0
	s_waitcnt vmcnt(0) lgkmcnt(0)
	flat_load_dword v2, v[8:9] sc0 sc1
	s_waitcnt vmcnt(0) lgkmcnt(0)
	buffer_inv sc0 sc1
	v_cmp_eq_u32_e32 vcc, 0, v2
	s_and_b64 vcc, vcc, exec
	s_or_b64 s[36:37], s[36:37], vcc
	s_mov_b64 vcc, -1
	s_or_b64 s[34:35], s[34:35], exec
	s_and_saveexec_b64 s[38:39], s[36:37]
	s_cbranch_execz .LBB3_954
.LBB3_958:                              ;   in Loop: Header=BB3_955 Depth=3
	s_sleep 1
	s_trap 2
	ds_read_b64 v[8:9], v0
	s_waitcnt lgkmcnt(0)
	s_andn2_b64 s[34:35], s[34:35], exec
	v_cmp_ge_u64_e32 vcc, v[8:9], v[32:33]
	s_orn2_b64 vcc, vcc, exec
	s_branch .LBB3_954
.LBB3_959:                              ;   in Loop: Header=BB3_921 Depth=2
	s_or_b64 exec, exec, s[94:95]
	s_and_saveexec_b64 s[94:95], s[30:31]
	s_xor_b64 s[94:95], exec, s[94:95]
	s_cbranch_execz .LBB3_961
; %bb.960:                              ;   in Loop: Header=BB3_921 Depth=2
	ds_write_b32 v0, v61
	s_trap 2
.LBB3_961:                              ;   in Loop: Header=BB3_921 Depth=2
	s_or_b64 exec, exec, s[92:93]
	;;#ASMSTART
	s_wakeup
	;;#ASMEND
.LBB3_962:                              ;   in Loop: Header=BB3_921 Depth=2
	s_or_b64 exec, exec, s[90:91]
.LBB3_963:                              ;   in Loop: Header=BB3_921 Depth=2
	s_andn2_saveexec_b64 s[40:41], s[40:41]
	s_cbranch_execz .LBB3_965
; %bb.964:                              ;   in Loop: Header=BB3_921 Depth=2
	s_waitcnt lgkmcnt(0)
	s_barrier
.LBB3_965:                              ;   in Loop: Header=BB3_921 Depth=2
	s_or_b64 exec, exec, s[40:41]
.LBB3_966:                              ;   in Loop: Header=BB3_921 Depth=2
	s_or_b64 exec, exec, s[24:25]
	v_and_b32_e32 v8, 16, v58
	s_and_saveexec_b64 s[24:25], s[20:21]
	s_xor_b64 s[24:25], exec, s[24:25]
	s_cbranch_execz .LBB3_970
; %bb.967:                              ;   in Loop: Header=BB3_921 Depth=2
	s_trap 2
	ds_read_b32 v2, v0
	v_cmp_lt_i32_e32 vcc, 0, v102
	v_and_b32_e32 v9, 16, v58
	v_and_b32_e32 v8, 16, v58
	s_waitcnt lgkmcnt(0)
	v_readfirstlane_b32 s40, v2
	s_cmp_eq_u32 s40, 0
	s_cselect_b64 s[40:41], -1, 0
	s_and_b64 s[40:41], vcc, s[40:41]
	v_cmp_ne_u32_e32 vcc, 0, v9
	s_and_b64 s[90:91], vcc, s[40:41]
	s_and_saveexec_b64 s[40:41], s[90:91]
	s_cbranch_execz .LBB3_969
; %bb.968:                              ;   in Loop: Header=BB3_921 Depth=2
	v_mov_b32_e32 v8, 1
	buffer_wbl2 sc1
	s_waitcnt vmcnt(0)
	buffer_inv sc1
.LBB3_969:                              ;   in Loop: Header=BB3_921 Depth=2
	s_or_b64 exec, exec, s[40:41]
.LBB3_970:                              ;   in Loop: Header=BB3_921 Depth=2
	s_andn2_saveexec_b64 s[24:25], s[24:25]
	s_cbranch_execz .LBB3_989
; %bb.971:                              ;   in Loop: Header=BB3_921 Depth=2
	s_and_saveexec_b64 s[40:41], s[56:57]
	s_xor_b64 s[40:41], exec, s[40:41]
	s_cbranch_execz .LBB3_986
; %bb.972:                              ;   in Loop: Header=BB3_921 Depth=2
	s_and_saveexec_b64 s[90:91], s[12:13]
	s_cbranch_execz .LBB3_985
; %bb.973:                              ;   in Loop: Header=BB3_921 Depth=2
	s_mov_b64 s[94:95], exec
	v_mbcnt_lo_u32_b32 v2, s94, 0
	v_mbcnt_hi_u32_b32 v2, s95, v2
	v_cmp_eq_u32_e32 vcc, 0, v2
	;;#ASMSTART
	s_waitcnt lgkmcnt(0) vmcnt(0)
	;;#ASMEND
	s_and_saveexec_b64 s[92:93], vcc
	s_cbranch_execz .LBB3_975
; %bb.974:                              ;   in Loop: Header=BB3_921 Depth=2
	s_bcnt1_i32_b64 s46, s[94:95]
	v_mov_b32_e32 v2, s46
	s_waitcnt lgkmcnt(0)
	ds_add_u64 v0, v[2:3]
	s_trap 2
.LBB3_975:                              ;   in Loop: Header=BB3_921 Depth=2
	s_or_b64 exec, exec, s[92:93]
	s_trap 2
	ds_read_b64 v[10:11], v0
	s_waitcnt lgkmcnt(0)
	v_lshl_add_u64 v[32:33], v[32:33], 0, v[36:37]
	v_cmp_lt_u64_e32 vcc, v[10:11], v[32:33]
	s_and_saveexec_b64 s[92:93], vcc
	s_cbranch_execz .LBB3_984
; %bb.976:                              ;   in Loop: Header=BB3_921 Depth=2
	s_mov_b32 s46, 0
	s_mov_b64 s[94:95], 0
                                        ; implicit-def: $sgpr30_sgpr31
                                        ; implicit-def: $sgpr34_sgpr35
	s_branch .LBB3_978
.LBB3_977:                              ;   in Loop: Header=BB3_978 Depth=3
	s_or_b64 exec, exec, s[38:39]
	s_and_b64 vcc, exec, vcc
	s_or_b64 s[94:95], vcc, s[94:95]
	s_andn2_b64 vcc, s[30:31], exec
	s_and_b64 s[30:31], s[34:35], exec
	s_or_b64 s[30:31], vcc, s[30:31]
	s_andn2_b64 exec, exec, s[94:95]
	s_cbranch_execz .LBB3_982
.LBB3_978:                              ;   Parent Loop BB3_47 Depth=1
                                        ;     Parent Loop BB3_921 Depth=2
                                        ; =>    This Inner Loop Header: Depth=3
	s_add_i32 s46, s46, 1
	s_cmpk_lg_i32 s46, 0x2710
	s_cselect_b64 s[36:37], -1, 0
	s_and_b64 vcc, exec, s[36:37]
	s_cbranch_vccz .LBB3_980
; %bb.979:                              ;   in Loop: Header=BB3_978 Depth=3
	s_mov_b64 vcc, -1
	s_or_b64 s[34:35], s[34:35], exec
	s_and_saveexec_b64 s[38:39], s[36:37]
	s_cbranch_execz .LBB3_977
	s_branch .LBB3_981
.LBB3_980:                              ;   in Loop: Header=BB3_978 Depth=3
	s_trap 2
	ds_read_b64 v[10:11], v0
	s_andn2_b64 s[36:37], s[36:37], exec
	s_mov_b32 s46, 0
	s_waitcnt vmcnt(0) lgkmcnt(0)
	flat_load_dword v2, v[10:11] sc0 sc1
	s_waitcnt vmcnt(0) lgkmcnt(0)
	buffer_inv sc0 sc1
	v_cmp_eq_u32_e32 vcc, 0, v2
	s_and_b64 vcc, vcc, exec
	s_or_b64 s[36:37], s[36:37], vcc
	s_mov_b64 vcc, -1
	s_or_b64 s[34:35], s[34:35], exec
	s_and_saveexec_b64 s[38:39], s[36:37]
	s_cbranch_execz .LBB3_977
.LBB3_981:                              ;   in Loop: Header=BB3_978 Depth=3
	s_sleep 1
	s_trap 2
	ds_read_b64 v[10:11], v0
	s_waitcnt lgkmcnt(0)
	s_andn2_b64 s[34:35], s[34:35], exec
	v_cmp_ge_u64_e32 vcc, v[10:11], v[32:33]
	s_orn2_b64 vcc, vcc, exec
	s_branch .LBB3_977
.LBB3_982:                              ;   in Loop: Header=BB3_921 Depth=2
	s_or_b64 exec, exec, s[94:95]
	s_and_saveexec_b64 s[94:95], s[30:31]
	s_xor_b64 s[94:95], exec, s[94:95]
	s_cbranch_execz .LBB3_984
; %bb.983:                              ;   in Loop: Header=BB3_921 Depth=2
	ds_write_b32 v0, v61
	s_trap 2
.LBB3_984:                              ;   in Loop: Header=BB3_921 Depth=2
	s_or_b64 exec, exec, s[92:93]
	;;#ASMSTART
	s_wakeup
	;;#ASMEND
.LBB3_985:                              ;   in Loop: Header=BB3_921 Depth=2
	s_or_b64 exec, exec, s[90:91]
.LBB3_986:                              ;   in Loop: Header=BB3_921 Depth=2
	s_andn2_saveexec_b64 s[40:41], s[40:41]
	s_cbranch_execz .LBB3_988
; %bb.987:                              ;   in Loop: Header=BB3_921 Depth=2
	;;#ASMSTART
	s_waitcnt lgkmcnt(0) vmcnt(0)
	;;#ASMEND
	s_barrier
.LBB3_988:                              ;   in Loop: Header=BB3_921 Depth=2
	s_or_b64 exec, exec, s[40:41]
.LBB3_989:                              ;   in Loop: Header=BB3_921 Depth=2
	s_or_b64 exec, exec, s[24:25]
	v_cmp_ne_u32_e32 vcc, 0, v8
	s_xor_b64 s[24:25], s[6:7], -1
	s_and_b64 s[40:41], vcc, s[24:25]
	s_and_saveexec_b64 s[24:25], s[40:41]
	s_cbranch_execz .LBB3_991
; %bb.990:                              ;   in Loop: Header=BB3_921 Depth=2
	flat_store_dword v[28:29], v61 sc0 sc1
.LBB3_991:                              ;   in Loop: Header=BB3_921 Depth=2
	s_or_b64 exec, exec, s[24:25]
	v_and_b32_e32 v2, 48, v58
	v_cmp_ne_u32_e32 vcc, 0, v2
	s_and_saveexec_b64 s[24:25], vcc
	s_cbranch_execz .LBB3_920
; %bb.992:                              ;   in Loop: Header=BB3_921 Depth=2
	v_lshl_add_u64 v[96:97], v[96:97], 0, 2
	flat_store_dwordx2 v[22:23], v[96:97] sc0 sc1
	s_branch .LBB3_920
.LBB3_993:                              ;   in Loop: Header=BB3_47 Depth=1
	s_or_b64 exec, exec, s[92:93]
	s_or_b64 exec, exec, s[90:91]
	v_cmp_gt_i32_e32 vcc, 2, v2
	s_and_saveexec_b64 s[26:27], vcc
	s_cbranch_execnz .LBB3_919
.LBB3_994:                              ;   in Loop: Header=BB3_47 Depth=1
	s_or_b64 exec, exec, s[26:27]
	s_and_b64 vcc, exec, s[22:23]
	s_cbranch_vccz .LBB3_996
	s_branch .LBB3_1254
.LBB3_995:                              ;   in Loop: Header=BB3_47 Depth=1
	s_or_b64 exec, exec, s[28:29]
	s_or_b64 exec, exec, s[26:27]
	s_and_b64 vcc, exec, s[22:23]
	s_cbranch_vccnz .LBB3_1254
.LBB3_996:                              ;   in Loop: Header=BB3_47 Depth=1
	s_mov_b32 s46, 1
.LBB3_997:                              ;   Parent Loop BB3_47 Depth=1
                                        ; =>  This Loop Header: Depth=2
                                        ;       Child Loop BB3_1000 Depth 3
                                        ;         Child Loop BB3_1008 Depth 4
                                        ;         Child Loop BB3_1036 Depth 4
	;; [unrolled: 1-line block ×4, first 2 shown]
                                        ;           Child Loop BB3_1079 Depth 5
                                        ;         Child Loop BB3_1085 Depth 4
                                        ;           Child Loop BB3_1086 Depth 5
                                        ;         Child Loop BB3_1093 Depth 4
                                        ;         Child Loop BB3_1098 Depth 4
                                        ;           Child Loop BB3_1099 Depth 5
                                        ;         Child Loop BB3_1111 Depth 4
                                        ;         Child Loop BB3_1116 Depth 4
	;; [unrolled: 1-line block ×6, first 2 shown]
                                        ;       Child Loop BB3_1178 Depth 3
                                        ;         Child Loop BB3_1184 Depth 4
                                        ;         Child Loop BB3_1212 Depth 4
	;; [unrolled: 1-line block ×3, first 2 shown]
	s_sub_i32 s22, s70, s46
	s_cmp_ge_i32 s22, s64
	s_cselect_b32 s23, s64, 0
	s_sub_i32 s22, s22, s23
	s_ashr_i32 s23, s22, 31
	v_mul_lo_u32 v2, v86, s23
	v_mul_lo_u32 v10, v87, s22
	v_mad_u64_u32 v[8:9], s[22:23], v86, s22, 0
	v_add3_u32 v9, v9, v2, v10
	v_sub_co_u32_e32 v10, vcc, v98, v8
	v_mov_b32_e32 v14, 0
	s_nop 0
	v_subb_co_u32_e32 v11, vcc, v99, v9, vcc
	v_cmp_lt_i64_e32 vcc, v[86:87], v[10:11]
	s_nop 1
	v_cndmask_b32_e32 v2, v10, v86, vcc
	v_max_i32_e32 v44, 0, v2
	v_add_u32_e32 v10, 31, v44
	v_ashrrev_i32_e32 v11, 31, v10
	v_lshrrev_b32_e32 v11, 27, v11
	v_add_u32_e32 v10, v10, v11
	v_ashrrev_i32_e32 v10, 5, v10
	v_lshlrev_b32_e32 v10, 4, v10
	v_cmp_lt_i32_e32 vcc, 0, v2
	v_max_i32_e32 v12, s81, v10
	s_and_b64 s[22:23], s[78:79], vcc
	v_mov_b32_e32 v2, 0
	s_and_saveexec_b64 s[28:29], s[22:23]
	s_cbranch_execz .LBB3_1175
; %bb.998:                              ;   in Loop: Header=BB3_997 Depth=2
	v_lshl_add_u64 v[8:9], v[8:9], 0, v[100:101]
	s_mov_b32 s89, 1
	s_mov_b64 s[90:91], -1
	v_mov_b32_e32 v14, 0
	s_mov_b64 s[40:41], 0
	v_lshlrev_b64 v[102:103], 1, v[8:9]
	s_branch .LBB3_1000
.LBB3_999:                              ;   in Loop: Header=BB3_1000 Depth=3
	s_or_b64 exec, exec, s[22:23]
	v_add_u32_e32 v14, v12, v14
	v_cmp_ge_i32_e32 vcc, v14, v44
	s_xor_b64 s[22:23], s[90:91], -1
	s_or_b64 s[22:23], s[22:23], vcc
	s_and_b64 s[22:23], exec, s[22:23]
	s_or_b64 s[40:41], s[22:23], s[40:41]
	s_mov_b64 s[90:91], 0
	v_mov_b32_e32 v2, s89
	s_mov_b32 s89, 2
	s_andn2_b64 exec, exec, s[40:41]
	s_cbranch_execz .LBB3_1250
.LBB3_1000:                             ;   Parent Loop BB3_47 Depth=1
                                        ;     Parent Loop BB3_997 Depth=2
                                        ; =>    This Loop Header: Depth=3
                                        ;         Child Loop BB3_1008 Depth 4
                                        ;         Child Loop BB3_1036 Depth 4
	;; [unrolled: 1-line block ×4, first 2 shown]
                                        ;           Child Loop BB3_1079 Depth 5
                                        ;         Child Loop BB3_1085 Depth 4
                                        ;           Child Loop BB3_1086 Depth 5
                                        ;         Child Loop BB3_1093 Depth 4
                                        ;         Child Loop BB3_1098 Depth 4
                                        ;           Child Loop BB3_1099 Depth 5
                                        ;         Child Loop BB3_1111 Depth 4
                                        ;         Child Loop BB3_1116 Depth 4
	;; [unrolled: 1-line block ×6, first 2 shown]
	s_and_saveexec_b64 s[22:23], s[0:1]
	s_cbranch_execz .LBB3_1002
; %bb.1001:                             ;   in Loop: Header=BB3_1000 Depth=3
	s_trap 2
	ds_read_b128 v[8:11], v0
	v_ashrrev_i32_e32 v15, 31, v14
	v_lshlrev_b64 v[112:113], 1, v[14:15]
	s_waitcnt lgkmcnt(0)
	v_lshl_add_u64 v[8:9], v[8:9], 0, v[102:103]
	v_lshl_add_u64 v[114:115], v[10:11], 0, v[102:103]
	;; [unrolled: 1-line block ×3, first 2 shown]
	ds_write_b64 v0, v[8:9]
	v_lshl_add_u64 v[8:9], v[114:115], 0, v[112:113]
	v_cmp_ne_u64_e32 vcc, 0, v[10:11]
	s_nop 1
	v_cndmask_b32_e32 v9, 0, v9, vcc
	v_cndmask_b32_e32 v8, 0, v8, vcc
	ds_write_b64 v0, v[8:9]
.LBB3_1002:                             ;   in Loop: Header=BB3_1000 Depth=3
	s_or_b64 exec, exec, s[22:23]
	v_sub_u32_e32 v2, v44, v14
	v_min_i32_e32 v12, v12, v2
	v_and_b32_e32 v2, 12, v58
	v_cmp_ne_u32_e32 vcc, 0, v2
	s_and_saveexec_b64 s[24:25], vcc
	s_cbranch_execz .LBB3_1028
; %bb.1003:                             ;   in Loop: Header=BB3_1000 Depth=3
	v_and_b32_e32 v2, 8, v58
	s_waitcnt vmcnt(0) lgkmcnt(0)
	v_lshl_add_u64 v[10:11], v[34:35], 0, v[2:3]
	v_lshl_add_u64 v[8:9], v[96:97], 0, 2
	v_cmp_lt_u64_e32 vcc, v[10:11], v[8:9]
	s_and_saveexec_b64 s[26:27], vcc
	s_cbranch_execz .LBB3_1015
; %bb.1004:                             ;   in Loop: Header=BB3_1000 Depth=3
	v_and_b32_e32 v10, 64, v58
	s_mov_b32 s54, 0
	v_cmp_eq_u32_e32 vcc, 0, v10
	s_mov_b64 s[92:93], 0
                                        ; implicit-def: $sgpr94_sgpr95
                                        ; implicit-def: $sgpr30_sgpr31
                                        ; implicit-def: $sgpr34_sgpr35
	s_branch .LBB3_1008
.LBB3_1005:                             ;   in Loop: Header=BB3_1008 Depth=4
	s_waitcnt vmcnt(0) lgkmcnt(0)
	v_lshl_add_u64 v[112:113], v[34:35], 0, v[2:3]
	v_cmp_ge_u64_e64 s[22:23], v[112:113], v[8:9]
	s_or_b64 s[48:49], s[48:49], exec
	s_orn2_b64 s[38:39], s[22:23], exec
.LBB3_1006:                             ;   in Loop: Header=BB3_1008 Depth=4
	s_or_b64 exec, exec, s[52:53]
	s_andn2_b64 s[22:23], s[34:35], exec
	s_and_b64 s[34:35], s[48:49], exec
	s_or_b64 s[34:35], s[22:23], s[34:35]
	s_andn2_b64 s[22:23], s[30:31], exec
	s_and_b64 s[30:31], s[38:39], exec
	s_or_b64 s[30:31], s[22:23], s[30:31]
.LBB3_1007:                             ;   in Loop: Header=BB3_1008 Depth=4
	s_or_b64 exec, exec, s[36:37]
	s_and_b64 s[22:23], exec, s[30:31]
	s_or_b64 s[92:93], s[22:23], s[92:93]
	s_andn2_b64 s[22:23], s[94:95], exec
	s_and_b64 s[94:95], s[34:35], exec
	s_or_b64 s[94:95], s[22:23], s[94:95]
	s_andn2_b64 exec, exec, s[92:93]
	s_cbranch_execz .LBB3_1012
.LBB3_1008:                             ;   Parent Loop BB3_47 Depth=1
                                        ;     Parent Loop BB3_997 Depth=2
                                        ;       Parent Loop BB3_1000 Depth=3
                                        ; =>      This Inner Loop Header: Depth=4
	s_sleep 1
	s_waitcnt vmcnt(0) lgkmcnt(0)
	flat_load_dwordx2 v[34:35], v[22:23] sc0 sc1
	s_or_b64 s[34:35], s[34:35], exec
	s_or_b64 s[30:31], s[30:31], exec
                                        ; implicit-def: $vgpr10
	s_and_saveexec_b64 s[36:37], vcc
	s_cbranch_execz .LBB3_1007
; %bb.1009:                             ;   in Loop: Header=BB3_1008 Depth=4
	s_cmpk_lt_i32 s54, 0x270f
	s_cselect_b64 s[50:51], -1, 0
	s_cmpk_gt_i32 s54, 0x270e
	s_mov_b64 s[38:39], -1
	s_cbranch_scc0 .LBB3_1011
; %bb.1010:                             ;   in Loop: Header=BB3_1008 Depth=4
	s_trap 2
	ds_read_b64 v[10:11], v0
	s_andn2_b64 s[50:51], s[50:51], exec
	s_mov_b32 s54, 0
	s_mov_b64 s[48:49], 0
	s_waitcnt vmcnt(0) lgkmcnt(0)
	flat_load_dword v10, v[10:11] sc0 sc1
	s_waitcnt vmcnt(0) lgkmcnt(0)
	buffer_inv sc0 sc1
	v_cmp_eq_u32_e64 s[22:23], 0, v10
	s_and_b64 s[22:23], s[22:23], exec
	s_or_b64 s[50:51], s[50:51], s[22:23]
	s_and_saveexec_b64 s[52:53], s[50:51]
	s_cbranch_execz .LBB3_1006
	s_branch .LBB3_1005
.LBB3_1011:                             ;   in Loop: Header=BB3_1008 Depth=4
	s_add_i32 s54, s54, 1
	s_mov_b64 s[48:49], -1
                                        ; implicit-def: $vgpr10
	s_and_saveexec_b64 s[52:53], s[50:51]
	s_cbranch_execz .LBB3_1006
	s_branch .LBB3_1005
.LBB3_1012:                             ;   in Loop: Header=BB3_1000 Depth=3
	s_or_b64 exec, exec, s[92:93]
	s_xor_b64 s[22:23], s[94:95], -1
	s_and_saveexec_b64 s[92:93], s[22:23]
	s_xor_b64 s[22:23], exec, s[92:93]
	s_cbranch_execz .LBB3_1014
; %bb.1013:                             ;   in Loop: Header=BB3_1000 Depth=3
	v_or_b32_e32 v58, 64, v58
	s_waitcnt lgkmcnt(0)
	ds_write_b32 v0, v10
	s_trap 2
.LBB3_1014:                             ;   in Loop: Header=BB3_1000 Depth=3
	s_or_b64 exec, exec, s[22:23]
.LBB3_1015:                             ;   in Loop: Header=BB3_1000 Depth=3
	s_or_b64 exec, exec, s[26:27]
	v_and_b32_e32 v10, 0x108, v58
	v_cmp_ne_u32_e32 vcc, s66, v10
	;;#ASMSTART
	s_wakeup
	;;#ASMEND
                                        ; implicit-def: $vgpr10_vgpr11
	s_and_saveexec_b64 s[22:23], vcc
	s_xor_b64 s[22:23], exec, s[22:23]
; %bb.1016:                             ;   in Loop: Header=BB3_1000 Depth=3
	v_and_b32_e32 v10, 7, v96
	v_mov_b32_e32 v11, v3
                                        ; implicit-def: $vgpr96_vgpr97
; %bb.1017:                             ;   in Loop: Header=BB3_1000 Depth=3
	s_andn2_saveexec_b64 s[22:23], s[22:23]
	s_cbranch_execz .LBB3_1019
; %bb.1018:                             ;   in Loop: Header=BB3_1000 Depth=3
	v_and_b32_e32 v10, 7, v96
	v_ashrrev_i32_e32 v13, 31, v12
	v_mov_b32_e32 v11, v3
	v_mad_u64_u32 v[96:97], s[26:27], v10, 24, v[6:7]
	v_lshlrev_b64 v[112:113], 1, v[12:13]
	flat_store_dwordx2 v[96:97], v[112:113] offset:8
.LBB3_1019:                             ;   in Loop: Header=BB3_1000 Depth=3
	s_or_b64 exec, exec, s[22:23]
	v_and_b32_e32 v13, 0x100, v58
	v_cmp_ne_u32_e32 vcc, 0, v13
	s_mov_b64 s[22:23], -1
                                        ; implicit-def: $vgpr96_vgpr97
	s_and_saveexec_b64 s[26:27], vcc
	s_cbranch_execz .LBB3_1023
; %bb.1020:                             ;   in Loop: Header=BB3_1000 Depth=3
	v_mad_u64_u32 v[112:113], s[22:23], v10, 24, v[6:7]
	v_mov_b32_e32 v96, v113
	v_mad_u64_u32 v[96:97], s[22:23], v11, 24, v[96:97]
	v_mov_b32_e32 v113, v96
	flat_load_dword v13, v[112:113]
                                        ; implicit-def: $vgpr96_vgpr97
	s_waitcnt vmcnt(0) lgkmcnt(0)
	v_cmp_ne_u32_e32 vcc, 1, v13
	v_cmp_eq_u32_e64 s[22:23], 1, v13
	s_and_saveexec_b64 s[92:93], s[22:23]
	s_cbranch_execz .LBB3_1022
; %bb.1021:                             ;   in Loop: Header=BB3_1000 Depth=3
	flat_load_dword v96, v[112:113] offset:4 sc0 sc1
	s_waitcnt vmcnt(0) lgkmcnt(0)
	v_ashrrev_i32_e32 v97, 31, v96
	v_lshrrev_b64 v[96:97], 1, v[96:97]
.LBB3_1022:                             ;   in Loop: Header=BB3_1000 Depth=3
	s_or_b64 exec, exec, s[92:93]
	s_orn2_b64 s[22:23], vcc, exec
.LBB3_1023:                             ;   in Loop: Header=BB3_1000 Depth=3
	s_or_b64 exec, exec, s[26:27]
	s_and_saveexec_b64 s[26:27], s[22:23]
; %bb.1024:                             ;   in Loop: Header=BB3_1000 Depth=3
	v_mul_lo_u32 v11, v11, v24
	v_mul_lo_u32 v13, v10, v25
	v_mad_u64_u32 v[96:97], s[22:23], v10, v24, 0
	v_add3_u32 v97, v97, v13, v11
; %bb.1025:                             ;   in Loop: Header=BB3_1000 Depth=3
	s_or_b64 exec, exec, s[26:27]
	v_cmp_eq_u32_e32 vcc, 0, v2
	v_lshl_add_u64 v[10:11], v[96:97], 1, v[26:27]
	s_nop 0
	v_cndmask_b32_e32 v2, v72, v73, vcc
	v_add_u32_e32 v2, v0, v2
	ds_write_b64 v2, v[10:11] offset:584
	v_and_b32_e32 v2, 0x2000, v58
	v_cmp_ne_u32_e32 vcc, 0, v2
	s_and_saveexec_b64 s[22:23], vcc
	s_cbranch_execz .LBB3_1027
; %bb.1026:                             ;   in Loop: Header=BB3_1000 Depth=3
	ds_read_b64 v[10:11], v0 offset:872
	s_waitcnt lgkmcnt(0)
	v_lshl_add_u64 v[10:11], v[10:11], 0, 1
	ds_write_b64 v0, v[10:11] offset:872
.LBB3_1027:                             ;   in Loop: Header=BB3_1000 Depth=3
	s_or_b64 exec, exec, s[22:23]
	v_mov_b64_e32 v[96:97], v[8:9]
.LBB3_1028:                             ;   in Loop: Header=BB3_1000 Depth=3
	s_or_b64 exec, exec, s[24:25]
	s_and_saveexec_b64 s[22:23], s[4:5]
	s_cbranch_execz .LBB3_1047
; %bb.1029:                             ;   in Loop: Header=BB3_1000 Depth=3
	s_and_saveexec_b64 s[24:25], s[56:57]
	s_xor_b64 s[24:25], exec, s[24:25]
	s_cbranch_execz .LBB3_1044
; %bb.1030:                             ;   in Loop: Header=BB3_1000 Depth=3
	s_and_saveexec_b64 s[26:27], s[12:13]
	s_cbranch_execz .LBB3_1043
; %bb.1031:                             ;   in Loop: Header=BB3_1000 Depth=3
	s_mov_b64 s[94:95], exec
	v_mbcnt_lo_u32_b32 v2, s94, 0
	v_mbcnt_hi_u32_b32 v2, s95, v2
	v_cmp_eq_u32_e32 vcc, 0, v2
	s_waitcnt lgkmcnt(0)
	s_and_saveexec_b64 s[92:93], vcc
	s_cbranch_execz .LBB3_1033
; %bb.1032:                             ;   in Loop: Header=BB3_1000 Depth=3
	s_bcnt1_i32_b64 s94, s[94:95]
	v_mov_b32_e32 v2, s94
	ds_add_u64 v0, v[2:3]
	s_trap 2
.LBB3_1033:                             ;   in Loop: Header=BB3_1000 Depth=3
	s_or_b64 exec, exec, s[92:93]
	s_trap 2
	ds_read_b64 v[8:9], v0
	s_waitcnt lgkmcnt(0)
	v_lshl_add_u64 v[32:33], v[32:33], 0, v[36:37]
	v_cmp_lt_u64_e32 vcc, v[8:9], v[32:33]
	s_and_saveexec_b64 s[92:93], vcc
	s_cbranch_execz .LBB3_1042
; %bb.1034:                             ;   in Loop: Header=BB3_1000 Depth=3
	s_mov_b32 s48, 0
	s_mov_b64 s[94:95], 0
                                        ; implicit-def: $sgpr30_sgpr31
                                        ; implicit-def: $sgpr34_sgpr35
	s_branch .LBB3_1036
.LBB3_1035:                             ;   in Loop: Header=BB3_1036 Depth=4
	s_or_b64 exec, exec, s[38:39]
	s_and_b64 vcc, exec, vcc
	s_or_b64 s[94:95], vcc, s[94:95]
	s_andn2_b64 vcc, s[30:31], exec
	s_and_b64 s[30:31], s[34:35], exec
	s_or_b64 s[30:31], vcc, s[30:31]
	s_andn2_b64 exec, exec, s[94:95]
	s_cbranch_execz .LBB3_1040
.LBB3_1036:                             ;   Parent Loop BB3_47 Depth=1
                                        ;     Parent Loop BB3_997 Depth=2
                                        ;       Parent Loop BB3_1000 Depth=3
                                        ; =>      This Inner Loop Header: Depth=4
	s_add_i32 s48, s48, 1
	s_cmpk_lg_i32 s48, 0x2710
	s_cselect_b64 s[36:37], -1, 0
	s_and_b64 vcc, exec, s[36:37]
	s_cbranch_vccz .LBB3_1038
; %bb.1037:                             ;   in Loop: Header=BB3_1036 Depth=4
	s_mov_b64 vcc, -1
	s_or_b64 s[34:35], s[34:35], exec
	s_and_saveexec_b64 s[38:39], s[36:37]
	s_cbranch_execz .LBB3_1035
	s_branch .LBB3_1039
.LBB3_1038:                             ;   in Loop: Header=BB3_1036 Depth=4
	s_trap 2
	ds_read_b64 v[8:9], v0
	s_andn2_b64 s[36:37], s[36:37], exec
	s_mov_b32 s48, 0
	s_waitcnt vmcnt(0) lgkmcnt(0)
	flat_load_dword v2, v[8:9] sc0 sc1
	s_waitcnt vmcnt(0) lgkmcnt(0)
	buffer_inv sc0 sc1
	v_cmp_eq_u32_e32 vcc, 0, v2
	s_and_b64 vcc, vcc, exec
	s_or_b64 s[36:37], s[36:37], vcc
	s_mov_b64 vcc, -1
	s_or_b64 s[34:35], s[34:35], exec
	s_and_saveexec_b64 s[38:39], s[36:37]
	s_cbranch_execz .LBB3_1035
.LBB3_1039:                             ;   in Loop: Header=BB3_1036 Depth=4
	s_sleep 1
	s_trap 2
	ds_read_b64 v[8:9], v0
	s_waitcnt lgkmcnt(0)
	s_andn2_b64 s[34:35], s[34:35], exec
	v_cmp_ge_u64_e32 vcc, v[8:9], v[32:33]
	s_orn2_b64 vcc, vcc, exec
	s_branch .LBB3_1035
.LBB3_1040:                             ;   in Loop: Header=BB3_1000 Depth=3
	s_or_b64 exec, exec, s[94:95]
	s_and_saveexec_b64 s[94:95], s[30:31]
	s_xor_b64 s[94:95], exec, s[94:95]
	s_cbranch_execz .LBB3_1042
; %bb.1041:                             ;   in Loop: Header=BB3_1000 Depth=3
	ds_write_b32 v0, v61
	s_trap 2
.LBB3_1042:                             ;   in Loop: Header=BB3_1000 Depth=3
	s_or_b64 exec, exec, s[92:93]
	;;#ASMSTART
	s_wakeup
	;;#ASMEND
.LBB3_1043:                             ;   in Loop: Header=BB3_1000 Depth=3
	s_or_b64 exec, exec, s[26:27]
.LBB3_1044:                             ;   in Loop: Header=BB3_1000 Depth=3
	s_andn2_saveexec_b64 s[24:25], s[24:25]
	s_cbranch_execz .LBB3_1046
; %bb.1045:                             ;   in Loop: Header=BB3_1000 Depth=3
	s_waitcnt lgkmcnt(0)
	s_barrier
.LBB3_1046:                             ;   in Loop: Header=BB3_1000 Depth=3
	s_or_b64 exec, exec, s[24:25]
.LBB3_1047:                             ;   in Loop: Header=BB3_1000 Depth=3
	s_or_b64 exec, exec, s[22:23]
	s_trap 2
	ds_read_b32 v8, v0
	v_and_b32_e32 v2, 0x4000, v58
	v_cmp_ne_u32_e32 vcc, 0, v2
	s_xor_b64 s[22:23], s[2:3], -1
	s_and_b64 s[24:25], s[22:23], vcc
	s_and_saveexec_b64 s[22:23], s[24:25]
	s_cbranch_execz .LBB3_1066
; %bb.1048:                             ;   in Loop: Header=BB3_1000 Depth=3
	s_and_saveexec_b64 s[24:25], s[56:57]
	s_xor_b64 s[24:25], exec, s[24:25]
	s_cbranch_execz .LBB3_1063
; %bb.1049:                             ;   in Loop: Header=BB3_1000 Depth=3
	s_and_saveexec_b64 s[26:27], s[12:13]
	s_cbranch_execz .LBB3_1062
; %bb.1050:                             ;   in Loop: Header=BB3_1000 Depth=3
	s_mov_b64 s[94:95], exec
	v_mbcnt_lo_u32_b32 v2, s94, 0
	v_mbcnt_hi_u32_b32 v2, s95, v2
	v_cmp_eq_u32_e32 vcc, 0, v2
	s_waitcnt lgkmcnt(0)
	s_and_saveexec_b64 s[92:93], vcc
	s_cbranch_execz .LBB3_1052
; %bb.1051:                             ;   in Loop: Header=BB3_1000 Depth=3
	s_bcnt1_i32_b64 s94, s[94:95]
	v_mov_b32_e32 v2, s94
	ds_add_u64 v0, v[2:3]
	s_trap 2
.LBB3_1052:                             ;   in Loop: Header=BB3_1000 Depth=3
	s_or_b64 exec, exec, s[92:93]
	s_trap 2
	ds_read_b64 v[10:11], v0
	s_waitcnt lgkmcnt(0)
	v_lshl_add_u64 v[32:33], v[32:33], 0, v[36:37]
	v_cmp_lt_u64_e32 vcc, v[10:11], v[32:33]
	s_and_saveexec_b64 s[92:93], vcc
	s_cbranch_execz .LBB3_1061
; %bb.1053:                             ;   in Loop: Header=BB3_1000 Depth=3
	s_mov_b32 s48, 0
	s_mov_b64 s[94:95], 0
                                        ; implicit-def: $sgpr30_sgpr31
                                        ; implicit-def: $sgpr34_sgpr35
	s_branch .LBB3_1055
.LBB3_1054:                             ;   in Loop: Header=BB3_1055 Depth=4
	s_or_b64 exec, exec, s[38:39]
	s_and_b64 vcc, exec, vcc
	s_or_b64 s[94:95], vcc, s[94:95]
	s_andn2_b64 vcc, s[30:31], exec
	s_and_b64 s[30:31], s[34:35], exec
	s_or_b64 s[30:31], vcc, s[30:31]
	s_andn2_b64 exec, exec, s[94:95]
	s_cbranch_execz .LBB3_1059
.LBB3_1055:                             ;   Parent Loop BB3_47 Depth=1
                                        ;     Parent Loop BB3_997 Depth=2
                                        ;       Parent Loop BB3_1000 Depth=3
                                        ; =>      This Inner Loop Header: Depth=4
	s_add_i32 s48, s48, 1
	s_cmpk_lg_i32 s48, 0x2710
	s_cselect_b64 s[36:37], -1, 0
	s_and_b64 vcc, exec, s[36:37]
	s_cbranch_vccz .LBB3_1057
; %bb.1056:                             ;   in Loop: Header=BB3_1055 Depth=4
	s_mov_b64 vcc, -1
	s_or_b64 s[34:35], s[34:35], exec
	s_and_saveexec_b64 s[38:39], s[36:37]
	s_cbranch_execz .LBB3_1054
	s_branch .LBB3_1058
.LBB3_1057:                             ;   in Loop: Header=BB3_1055 Depth=4
	s_trap 2
	ds_read_b64 v[10:11], v0
	s_andn2_b64 s[36:37], s[36:37], exec
	s_mov_b32 s48, 0
	s_waitcnt vmcnt(0) lgkmcnt(0)
	flat_load_dword v2, v[10:11] sc0 sc1
	s_waitcnt vmcnt(0) lgkmcnt(0)
	buffer_inv sc0 sc1
	v_cmp_eq_u32_e32 vcc, 0, v2
	s_and_b64 vcc, vcc, exec
	s_or_b64 s[36:37], s[36:37], vcc
	s_mov_b64 vcc, -1
	s_or_b64 s[34:35], s[34:35], exec
	s_and_saveexec_b64 s[38:39], s[36:37]
	s_cbranch_execz .LBB3_1054
.LBB3_1058:                             ;   in Loop: Header=BB3_1055 Depth=4
	s_sleep 1
	s_trap 2
	ds_read_b64 v[10:11], v0
	s_waitcnt lgkmcnt(0)
	s_andn2_b64 s[34:35], s[34:35], exec
	v_cmp_ge_u64_e32 vcc, v[10:11], v[32:33]
	s_orn2_b64 vcc, vcc, exec
	s_branch .LBB3_1054
.LBB3_1059:                             ;   in Loop: Header=BB3_1000 Depth=3
	s_or_b64 exec, exec, s[94:95]
	s_and_saveexec_b64 s[94:95], s[30:31]
	s_xor_b64 s[94:95], exec, s[94:95]
	s_cbranch_execz .LBB3_1061
; %bb.1060:                             ;   in Loop: Header=BB3_1000 Depth=3
	ds_write_b32 v0, v61
	s_trap 2
.LBB3_1061:                             ;   in Loop: Header=BB3_1000 Depth=3
	s_or_b64 exec, exec, s[92:93]
	;;#ASMSTART
	s_wakeup
	;;#ASMEND
.LBB3_1062:                             ;   in Loop: Header=BB3_1000 Depth=3
	s_or_b64 exec, exec, s[26:27]
.LBB3_1063:                             ;   in Loop: Header=BB3_1000 Depth=3
	s_andn2_saveexec_b64 s[24:25], s[24:25]
	s_cbranch_execz .LBB3_1065
; %bb.1064:                             ;   in Loop: Header=BB3_1000 Depth=3
	s_waitcnt lgkmcnt(0)
	s_barrier
.LBB3_1065:                             ;   in Loop: Header=BB3_1000 Depth=3
	s_or_b64 exec, exec, s[24:25]
.LBB3_1066:                             ;   in Loop: Header=BB3_1000 Depth=3
	s_or_b64 exec, exec, s[22:23]
	s_trap 2
	ds_read_b64 v[112:113], v0
	s_waitcnt lgkmcnt(0)
	v_cmp_eq_u64_e32 vcc, 0, v[112:113]
	s_cbranch_vccnz .LBB3_1075
; %bb.1067:                             ;   in Loop: Header=BB3_1000 Depth=3
	s_trap 2
	ds_read_b64 v[114:115], v0
	s_waitcnt lgkmcnt(0)
	v_cmp_eq_u64_e32 vcc, 0, v[114:115]
	s_cbranch_vccnz .LBB3_1075
; %bb.1068:                             ;   in Loop: Header=BB3_1000 Depth=3
	s_trap 2
	ds_read_b64 v[116:117], v0
	v_cmp_eq_u32_e32 vcc, 0, v8
	s_mov_b64 s[22:23], -1
	s_nop 0
	v_cndmask_b32_e32 v2, 0, v12, vcc
	s_waitcnt lgkmcnt(0)
	v_cmp_ne_u64_e32 vcc, 0, v[116:117]
	v_lshlrev_b32_e32 v13, 1, v2
	s_cbranch_vccz .LBB3_1102
; %bb.1069:                             ;   in Loop: Header=BB3_1000 Depth=3
	s_and_saveexec_b64 s[24:25], s[16:17]
	s_cbranch_execz .LBB3_1071
; %bb.1070:                             ;   in Loop: Header=BB3_1000 Depth=3
	ds_read_b32 v8, v0 offset:720
	s_waitcnt lgkmcnt(0)
	v_and_b32_e32 v8, 15, v8
	v_cmp_eq_u32_e32 vcc, 0, v8
	s_orn2_b64 s[22:23], vcc, exec
.LBB3_1071:                             ;   in Loop: Header=BB3_1000 Depth=3
	s_or_b64 exec, exec, s[24:25]
	s_and_saveexec_b64 s[24:25], s[18:19]
	s_cbranch_execz .LBB3_1073
; %bb.1072:                             ;   in Loop: Header=BB3_1000 Depth=3
	ds_read_b32 v8, v0 offset:784
	s_waitcnt lgkmcnt(0)
	v_and_b32_e32 v8, 15, v8
	v_cmp_eq_u32_e32 vcc, 0, v8
	s_and_b64 s[26:27], s[22:23], vcc
	s_andn2_b64 s[22:23], s[22:23], exec
	s_and_b64 s[26:27], s[26:27], exec
	s_or_b64 s[22:23], s[22:23], s[26:27]
.LBB3_1073:                             ;   in Loop: Header=BB3_1000 Depth=3
	s_or_b64 exec, exec, s[24:25]
	s_xor_b64 s[22:23], s[22:23], -1
	v_cndmask_b32_e64 v8, 0, 1, s[22:23]
	s_mov_b64 s[24:25], -1
	v_mov_b32_e32 v15, 0
	v_cmp_ne_u32_e32 vcc, 0, v8
	v_mov_b32_e32 v40, v13
	v_mov_b32_e32 v41, v0
	s_cbranch_vccz .LBB3_1076
; %bb.1074:                             ;   in Loop: Header=BB3_1000 Depth=3
	s_and_saveexec_b64 s[26:27], s[24:25]
	s_cbranch_execnz .LBB3_1091
	s_branch .LBB3_1101
.LBB3_1075:                             ;   in Loop: Header=BB3_1000 Depth=3
	s_mov_b64 s[22:23], 0
	s_and_saveexec_b64 s[24:25], s[4:5]
	s_cbranch_execnz .LBB3_1130
	s_branch .LBB3_1148
.LBB3_1076:                             ;   in Loop: Header=BB3_1000 Depth=3
	v_ashrrev_i32_e32 v8, 31, v13
	v_lshrrev_b32_e32 v8, 22, v8
	v_add_u32_e32 v8, v13, v8
	v_and_b32_e32 v46, 0xfffffc00, v8
	v_ashrrev_i32_e32 v9, 10, v8
	v_sub_u32_e32 v56, v13, v46
	v_sub_u32_e32 v8, v9, v60
	v_cmp_lt_i32_e64 s[22:23], 15, v56
	v_sub_u32_e32 v15, v13, v38
	s_nop 0
	v_addc_co_u32_e64 v47, vcc, 0, v8, s[22:23]
	v_cmp_lt_i32_e32 vcc, 15, v15
	s_and_saveexec_b64 s[92:93], vcc
	s_cbranch_execz .LBB3_1082
; %bb.1077:                             ;   in Loop: Header=BB3_1000 Depth=3
	v_lshl_add_u64 v[118:119], v[112:113], 0, v[38:39]
	v_lshl_add_u64 v[40:41], v[114:115], 0, v[38:39]
	;; [unrolled: 1-line block ×3, first 2 shown]
	s_mov_b64 s[94:95], 0
.LBB3_1078:                             ;   Parent Loop BB3_47 Depth=1
                                        ;     Parent Loop BB3_997 Depth=2
                                        ;       Parent Loop BB3_1000 Depth=3
                                        ; =>      This Loop Header: Depth=4
                                        ;           Child Loop BB3_1079 Depth 5
	global_load_dwordx4 v[8:11], v[118:119], off nt
	s_mov_b64 s[30:31], -1
	s_mov_b64 s[34:35], 0
	s_waitcnt vmcnt(0)
.LBB3_1079:                             ;   Parent Loop BB3_47 Depth=1
                                        ;     Parent Loop BB3_997 Depth=2
                                        ;       Parent Loop BB3_1000 Depth=3
                                        ;         Parent Loop BB3_1078 Depth=4
                                        ; =>        This Inner Loop Header: Depth=5
	s_cmp_eq_u32 s34, 1
	s_cselect_b64 vcc, -1, 0
	v_cndmask_b32_e32 v75, v41, v43, vcc
	s_cmp_eq_u32 s34, 0
	v_cndmask_b32_e32 v74, v40, v42, vcc
	global_store_dwordx4 v[74:75], v[8:11], off
	v_lshl_add_u64 v[74:75], v[74:75], 0, s[60:61]
	s_cselect_b64 s[24:25], -1, 0
	s_and_b64 s[26:27], exec, s[30:31]
	s_mov_b64 s[34:35], 1
	s_mov_b64 s[30:31], 0
	v_cndmask_b32_e32 v43, v43, v75, vcc
	v_cndmask_b32_e32 v42, v42, v74, vcc
	v_cndmask_b32_e64 v41, v41, v75, s[24:25]
	v_cndmask_b32_e64 v40, v40, v74, s[24:25]
	s_mov_b64 vcc, s[26:27]
	s_cbranch_vccnz .LBB3_1079
; %bb.1080:                             ;   in Loop: Header=BB3_1078 Depth=4
	v_sub_u32_e32 v15, v15, v54
	v_cmp_gt_i32_e32 vcc, 16, v15
	v_lshl_add_u64 v[40:41], v[40:41], 0, v[70:71]
	v_lshl_add_u64 v[42:43], v[42:43], 0, v[70:71]
	;; [unrolled: 1-line block ×3, first 2 shown]
	s_or_b64 s[94:95], vcc, s[94:95]
	v_sub_u32_e32 v47, v47, v36
	s_andn2_b64 exec, exec, s[94:95]
	s_cbranch_execnz .LBB3_1078
; %bb.1081:                             ;   in Loop: Header=BB3_1000 Depth=3
	s_or_b64 exec, exec, s[94:95]
.LBB3_1082:                             ;   in Loop: Header=BB3_1000 Depth=3
	s_or_b64 exec, exec, s[92:93]
	v_and_b32_e32 v8, 14, v13
	v_cndmask_b32_e64 v45, v56, v8, s[22:23]
	v_mov_b32_e32 v15, 0
	v_cmp_ne_u32_e32 vcc, 0, v45
	s_mov_b64 s[24:25], 0
                                        ; implicit-def: $vgpr40
                                        ; implicit-def: $vgpr41
	s_and_saveexec_b64 s[92:93], vcc
	s_cbranch_execz .LBB3_1090
; %bb.1083:                             ;   in Loop: Header=BB3_1000 Depth=3
	v_sub_u32_e32 v8, v56, v8
	v_cndmask_b32_e64 v8, 0, v8, s[22:23]
	v_cmp_lt_i32_e32 vcc, 0, v47
	v_add_u32_e32 v15, v8, v46
	s_nop 0
	v_cndmask_b32_e32 v8, 0, v36, vcc
	v_sub_u32_e32 v8, v8, v47
	v_lshl_or_b32 v8, v8, 6, v59
	v_ashrrev_i32_e32 v9, 31, v8
	v_lshrrev_b32_e32 v9, 26, v9
	v_add_u32_e32 v9, v8, v9
	v_ashrrev_i32_e32 v10, 6, v9
	v_and_b32_e32 v9, 0xffffffc0, v9
	v_sub_u32_e32 v46, v8, v9
	v_ashrrev_i32_e32 v9, 31, v45
	v_lshrrev_b32_e32 v9, 22, v9
	v_add_u32_e32 v9, v45, v9
	v_and_b32_e32 v47, 0xfffffc00, v9
	v_lshlrev_b32_e32 v8, 4, v46
	v_sub_u32_e32 v56, v45, v47
	v_lshl_add_u32 v8, v10, 10, v8
	v_ashrrev_i32_e32 v11, 10, v9
	v_cmp_lt_i32_e64 s[22:23], 15, v56
	v_sub_u32_e32 v74, v45, v8
	s_nop 0
	v_addc_co_u32_e64 v9, vcc, 0, v11, s[22:23]
	v_sub_u32_e32 v57, v9, v10
	v_cmp_lt_i32_e32 vcc, 15, v74
	s_and_saveexec_b64 s[94:95], vcc
	s_cbranch_execz .LBB3_1089
; %bb.1084:                             ;   in Loop: Header=BB3_1000 Depth=3
	v_add_u32_e32 v8, v8, v15
	v_ashrrev_i32_e32 v9, 31, v8
	v_lshl_add_u64 v[118:119], v[8:9], 0, v[112:113]
	v_lshl_add_u64 v[40:41], v[8:9], 0, v[114:115]
	;; [unrolled: 1-line block ×3, first 2 shown]
	s_mov_b64 s[30:31], 0
.LBB3_1085:                             ;   Parent Loop BB3_47 Depth=1
                                        ;     Parent Loop BB3_997 Depth=2
                                        ;       Parent Loop BB3_1000 Depth=3
                                        ; =>      This Loop Header: Depth=4
                                        ;           Child Loop BB3_1086 Depth 5
	global_load_dwordx4 v[8:11], v[118:119], off nt
	s_mov_b64 s[34:35], -1
	s_mov_b64 s[36:37], 0
	s_waitcnt vmcnt(0)
.LBB3_1086:                             ;   Parent Loop BB3_47 Depth=1
                                        ;     Parent Loop BB3_997 Depth=2
                                        ;       Parent Loop BB3_1000 Depth=3
                                        ;         Parent Loop BB3_1085 Depth=4
                                        ; =>        This Inner Loop Header: Depth=5
	s_cmp_eq_u32 s36, 1
	s_cselect_b64 vcc, -1, 0
	v_cndmask_b32_e32 v77, v41, v43, vcc
	s_cmp_eq_u32 s36, 0
	v_cndmask_b32_e32 v76, v40, v42, vcc
	global_store_dwordx4 v[76:77], v[8:11], off
	v_lshl_add_u64 v[76:77], v[76:77], 0, s[60:61]
	s_cselect_b64 s[24:25], -1, 0
	s_and_b64 s[26:27], exec, s[34:35]
	s_mov_b64 s[36:37], 1
	s_mov_b64 s[34:35], 0
	v_cndmask_b32_e32 v43, v43, v77, vcc
	v_cndmask_b32_e32 v42, v42, v76, vcc
	v_cndmask_b32_e64 v41, v41, v77, s[24:25]
	v_cndmask_b32_e64 v40, v40, v76, s[24:25]
	s_mov_b64 vcc, s[26:27]
	s_cbranch_vccnz .LBB3_1086
; %bb.1087:                             ;   in Loop: Header=BB3_1085 Depth=4
	v_sub_u32_e32 v74, v74, v54
	v_cmp_gt_i32_e32 vcc, 16, v74
	v_lshl_add_u64 v[40:41], v[40:41], 0, v[70:71]
	v_lshl_add_u64 v[42:43], v[42:43], 0, v[70:71]
	;; [unrolled: 1-line block ×3, first 2 shown]
	s_or_b64 s[30:31], vcc, s[30:31]
	v_sub_u32_e32 v57, v57, v36
	s_andn2_b64 exec, exec, s[30:31]
	s_cbranch_execnz .LBB3_1085
; %bb.1088:                             ;   in Loop: Header=BB3_1000 Depth=3
	s_or_b64 exec, exec, s[30:31]
.LBB3_1089:                             ;   in Loop: Header=BB3_1000 Depth=3
	s_or_b64 exec, exec, s[94:95]
	v_and_b32_e32 v8, 14, v45
	v_cmp_lt_i32_e32 vcc, 0, v57
	v_sub_u32_e32 v9, v56, v8
	v_cndmask_b32_e64 v40, v56, v8, s[22:23]
	v_cndmask_b32_e32 v8, 0, v36, vcc
	v_cndmask_b32_e64 v9, 0, v9, s[22:23]
	v_sub_u32_e32 v8, v8, v57
	v_cmp_ne_u32_e32 vcc, 0, v40
	v_add3_u32 v15, v47, v15, v9
	v_lshl_add_u32 v41, v8, 6, v46
	s_and_b64 s[24:25], vcc, exec
.LBB3_1090:                             ;   in Loop: Header=BB3_1000 Depth=3
	s_or_b64 exec, exec, s[92:93]
	s_and_saveexec_b64 s[26:27], s[24:25]
	s_cbranch_execz .LBB3_1101
.LBB3_1091:                             ;   in Loop: Header=BB3_1000 Depth=3
	v_ashrrev_i32_e32 v8, 31, v41
	v_ashrrev_i32_e32 v9, 31, v40
	v_lshrrev_b32_e32 v8, 26, v8
	v_lshrrev_b32_e32 v9, 23, v9
	v_add_u32_e32 v8, v41, v8
	v_add_u32_e32 v9, v40, v9
	v_ashrrev_i32_e32 v42, 6, v8
	v_ashrrev_i32_e32 v45, 9, v9
	v_sub_u32_e32 v43, v45, v42
	v_cmp_lt_i32_e32 vcc, 0, v43
	s_and_saveexec_b64 s[22:23], vcc
	s_cbranch_execz .LBB3_1095
; %bb.1092:                             ;   in Loop: Header=BB3_1000 Depth=3
	v_and_b32_e32 v8, 0x7fffffc0, v8
	v_sub_u32_e32 v8, v41, v8
	v_lshlrev_b32_e32 v8, 1, v8
	v_lshlrev_b32_e32 v9, 9, v42
	v_add3_u32 v118, v8, v15, v9
	v_ashrrev_i32_e32 v119, 31, v118
	v_lshl_add_u64 v[8:9], v[118:119], 0, v[112:113]
	v_lshl_add_u64 v[10:11], v[118:119], 0, v[114:115]
	;; [unrolled: 1-line block ×3, first 2 shown]
	s_mov_b64 s[24:25], 0
.LBB3_1093:                             ;   Parent Loop BB3_47 Depth=1
                                        ;     Parent Loop BB3_997 Depth=2
                                        ;       Parent Loop BB3_1000 Depth=3
                                        ; =>      This Inner Loop Header: Depth=4
	flat_load_ushort v46, v[8:9] nt
	flat_load_ushort v47, v[8:9] offset:128 nt
	flat_load_ushort v56, v[8:9] offset:256 nt
	;; [unrolled: 1-line block ×3, first 2 shown]
	v_sub_u32_e32 v43, v43, v36
	v_cmp_gt_i32_e32 vcc, 1, v43
	v_lshl_add_u64 v[8:9], v[8:9], 0, v[64:65]
	s_or_b64 s[24:25], vcc, s[24:25]
	s_waitcnt vmcnt(0) lgkmcnt(0)
	flat_store_short v[10:11], v46 nt
	flat_store_short v[10:11], v47 offset:128 nt
	flat_store_short v[10:11], v56 offset:256 nt
	;; [unrolled: 1-line block ×3, first 2 shown]
	flat_store_short v[118:119], v46 nt
	flat_store_short v[118:119], v47 offset:128 nt
	flat_store_short v[118:119], v56 offset:256 nt
	;; [unrolled: 1-line block ×3, first 2 shown]
	v_lshl_add_u64 v[10:11], v[10:11], 0, v[64:65]
	v_lshl_add_u64 v[118:119], v[118:119], 0, v[64:65]
	s_andn2_b64 exec, exec, s[24:25]
	s_cbranch_execnz .LBB3_1093
; %bb.1094:                             ;   in Loop: Header=BB3_1000 Depth=3
	s_or_b64 exec, exec, s[24:25]
.LBB3_1095:                             ;   in Loop: Header=BB3_1000 Depth=3
	s_or_b64 exec, exec, s[22:23]
	v_lshlrev_b32_e32 v8, 9, v45
	v_cmp_ne_u32_e32 vcc, v40, v8
	s_and_b64 exec, exec, vcc
	s_cbranch_execz .LBB3_1101
; %bb.1096:                             ;   in Loop: Header=BB3_1000 Depth=3
	v_lshlrev_b32_e32 v9, 6, v42
	v_sub_u32_e32 v9, v41, v9
	v_lshlrev_b32_e32 v10, 6, v43
	v_sub_u32_e32 v9, v9, v10
	v_ashrrev_i32_e32 v10, 31, v9
	v_lshrrev_b32_e32 v10, 26, v10
	v_add_u32_e32 v10, v9, v10
	v_and_b32_e32 v11, 0x7fffffc0, v10
	v_sub_u32_e32 v9, v9, v11
	v_lshlrev_b32_e32 v10, 1, v10
	v_and_b32_e32 v10, 0xffffff80, v10
	v_lshlrev_b32_e32 v9, 1, v9
	v_add3_u32 v8, v10, v9, v8
	v_sub_u32_e32 v118, v40, v8
	v_cmp_lt_i32_e32 vcc, 1, v118
	s_and_b64 exec, exec, vcc
	s_cbranch_execz .LBB3_1101
; %bb.1097:                             ;   in Loop: Header=BB3_1000 Depth=3
	v_add_u32_e32 v40, v8, v15
	v_ashrrev_i32_e32 v41, 31, v40
	v_lshl_add_u64 v[8:9], v[40:41], 0, v[112:113]
	v_lshl_add_u64 v[10:11], v[40:41], 0, v[114:115]
	;; [unrolled: 1-line block ×3, first 2 shown]
	s_mov_b64 s[92:93], 0
.LBB3_1098:                             ;   Parent Loop BB3_47 Depth=1
                                        ;     Parent Loop BB3_997 Depth=2
                                        ;       Parent Loop BB3_1000 Depth=3
                                        ; =>      This Loop Header: Depth=4
                                        ;           Child Loop BB3_1099 Depth 5
	flat_load_ushort v15, v[8:9] nt
	s_mov_b64 s[94:95], -1
	s_mov_b64 s[30:31], 0
	s_waitcnt vmcnt(0)
.LBB3_1099:                             ;   Parent Loop BB3_47 Depth=1
                                        ;     Parent Loop BB3_997 Depth=2
                                        ;       Parent Loop BB3_1000 Depth=3
                                        ;         Parent Loop BB3_1098 Depth=4
                                        ; =>        This Inner Loop Header: Depth=5
	s_cmp_eq_u32 s30, 1
	s_cselect_b64 vcc, -1, 0
	v_cndmask_b32_e32 v41, v11, v117, vcc
	s_cmp_eq_u32 s30, 0
	v_cndmask_b32_e32 v40, v10, v116, vcc
	s_waitcnt lgkmcnt(0)
	flat_store_short v[40:41], v15 nt
	v_lshl_add_u64 v[40:41], v[40:41], 0, s[62:63]
	s_cselect_b64 s[22:23], -1, 0
	s_and_b64 s[24:25], exec, s[94:95]
	s_mov_b64 s[30:31], 1
	s_mov_b64 s[94:95], 0
	v_cndmask_b32_e32 v117, v117, v41, vcc
	v_cndmask_b32_e32 v116, v116, v40, vcc
	v_cndmask_b32_e64 v11, v11, v41, s[22:23]
	v_cndmask_b32_e64 v10, v10, v40, s[22:23]
	s_mov_b64 vcc, s[24:25]
	s_cbranch_vccnz .LBB3_1099
; %bb.1100:                             ;   in Loop: Header=BB3_1098 Depth=4
	v_sub_u32_e32 v118, v118, v66
	v_cmp_gt_i32_e32 vcc, 2, v118
	v_lshl_add_u64 v[10:11], v[10:11], 0, v[80:81]
	v_lshl_add_u64 v[116:117], v[116:117], 0, v[80:81]
	s_or_b64 s[92:93], vcc, s[92:93]
	v_lshl_add_u64 v[8:9], v[84:85], 0, v[8:9]
	s_andn2_b64 exec, exec, s[92:93]
	s_cbranch_execnz .LBB3_1098
.LBB3_1101:                             ;   in Loop: Header=BB3_1000 Depth=3
	s_or_b64 exec, exec, s[26:27]
	s_mov_b64 s[22:23], 0
.LBB3_1102:                             ;   in Loop: Header=BB3_1000 Depth=3
	s_and_b64 vcc, exec, s[22:23]
	s_cbranch_vccz .LBB3_1129
; %bb.1103:                             ;   in Loop: Header=BB3_1000 Depth=3
	s_mov_b64 s[22:23], -1
	s_and_saveexec_b64 s[24:25], s[16:17]
	s_cbranch_execz .LBB3_1105
; %bb.1104:                             ;   in Loop: Header=BB3_1000 Depth=3
	ds_read_b32 v8, v0 offset:720
	s_waitcnt lgkmcnt(0)
	v_and_b32_e32 v8, 15, v8
	v_cmp_eq_u32_e32 vcc, 0, v8
	s_orn2_b64 s[22:23], vcc, exec
.LBB3_1105:                             ;   in Loop: Header=BB3_1000 Depth=3
	s_or_b64 exec, exec, s[24:25]
	s_and_saveexec_b64 s[24:25], s[14:15]
	s_cbranch_execz .LBB3_1107
; %bb.1106:                             ;   in Loop: Header=BB3_1000 Depth=3
	ds_read_b32 v8, v0 offset:784
	s_waitcnt lgkmcnt(0)
	v_and_b32_e32 v8, 15, v8
	v_cmp_eq_u32_e32 vcc, 0, v8
	s_and_b64 s[26:27], s[22:23], vcc
	s_andn2_b64 s[22:23], s[22:23], exec
	s_and_b64 s[26:27], s[26:27], exec
	s_or_b64 s[22:23], s[22:23], s[26:27]
.LBB3_1107:                             ;   in Loop: Header=BB3_1000 Depth=3
	s_or_b64 exec, exec, s[24:25]
	s_xor_b64 s[22:23], s[22:23], -1
	v_cndmask_b32_e64 v8, 0, 1, s[22:23]
	s_mov_b64 s[26:27], -1
	v_mov_b32_e32 v15, 0
	v_cmp_ne_u32_e32 vcc, 0, v8
	s_cbranch_vccz .LBB3_1109
; %bb.1108:                             ;   in Loop: Header=BB3_1000 Depth=3
	v_mov_b32_e32 v118, v0
	s_and_saveexec_b64 s[22:23], s[26:27]
	s_cbranch_execnz .LBB3_1120
	s_branch .LBB3_1128
.LBB3_1109:                             ;   in Loop: Header=BB3_1000 Depth=3
	v_ashrrev_i32_e32 v8, 31, v13
	v_lshrrev_b32_e32 v8, 21, v8
	v_add_u32_e32 v8, v13, v8
	v_ashrrev_i32_e32 v10, 11, v8
	v_sub_u32_e32 v11, v10, v60
	v_cmp_lt_i32_e32 vcc, 0, v11
	s_and_saveexec_b64 s[22:23], vcc
	s_cbranch_execz .LBB3_1113
; %bb.1110:                             ;   in Loop: Header=BB3_1000 Depth=3
	s_mov_b64 s[24:25], 0
	v_mov_b64_e32 v[8:9], v[68:69]
.LBB3_1111:                             ;   Parent Loop BB3_47 Depth=1
                                        ;     Parent Loop BB3_997 Depth=2
                                        ;       Parent Loop BB3_1000 Depth=3
                                        ; =>      This Inner Loop Header: Depth=4
	v_lshl_add_u64 v[40:41], v[112:113], 0, v[8:9]
	global_load_dwordx4 v[116:119], v[40:41], off nt
	s_nop 0
	global_load_dwordx4 v[40:43], v[40:41], off offset:1024 nt
	v_sub_u32_e32 v11, v11, v36
	v_cmp_gt_i32_e32 vcc, 1, v11
	v_lshl_add_u64 v[46:47], v[114:115], 0, v[8:9]
	v_lshl_add_u64 v[8:9], v[8:9], 0, v[52:53]
	s_or_b64 s[24:25], vcc, s[24:25]
	s_waitcnt vmcnt(0)
	global_store_dwordx4 v[46:47], v[116:119], off
	global_store_dwordx4 v[46:47], v[40:43], off offset:1024
	s_andn2_b64 exec, exec, s[24:25]
	s_cbranch_execnz .LBB3_1111
; %bb.1112:                             ;   in Loop: Header=BB3_1000 Depth=3
	s_or_b64 exec, exec, s[24:25]
.LBB3_1113:                             ;   in Loop: Header=BB3_1000 Depth=3
	s_or_b64 exec, exec, s[22:23]
	v_lshlrev_b32_e32 v10, 11, v10
	v_cmp_ne_u32_e32 vcc, v13, v10
	s_mov_b64 s[26:27], 0
	v_mov_b32_e32 v15, 0
                                        ; implicit-def: $vgpr118
	s_and_saveexec_b64 s[24:25], vcc
	s_cbranch_execz .LBB3_1119
; %bb.1114:                             ;   in Loop: Header=BB3_1000 Depth=3
	v_lshlrev_b32_e32 v8, 6, v11
	v_sub_u32_e32 v8, v59, v8
	v_sub_u32_e32 v9, v13, v10
	v_ashrrev_i32_e32 v11, 31, v8
	v_lshrrev_b32_e32 v11, 26, v11
	v_ashrrev_i32_e32 v15, 31, v9
	v_add_u32_e32 v11, v8, v11
	v_lshrrev_b32_e32 v15, 22, v15
	v_ashrrev_i32_e32 v117, 6, v11
	v_and_b32_e32 v11, 0xffffffc0, v11
	v_add_u32_e32 v15, v9, v15
	v_sub_u32_e32 v11, v8, v11
	v_ashrrev_i32_e32 v119, 10, v15
	v_and_b32_e32 v15, 0xfffffc00, v15
	v_lshlrev_b32_e32 v8, 4, v11
	v_sub_u32_e32 v116, v9, v15
	v_lshl_add_u32 v8, v117, 10, v8
	v_cmp_lt_i32_e32 vcc, 15, v116
	v_sub_u32_e32 v118, v9, v8
	s_nop 0
	v_addc_co_u32_e64 v9, s[22:23], 0, v119, vcc
	v_sub_u32_e32 v117, v9, v117
	v_cmp_lt_i32_e64 s[22:23], 15, v118
	s_and_saveexec_b64 s[26:27], s[22:23]
	s_cbranch_execz .LBB3_1118
; %bb.1115:                             ;   in Loop: Header=BB3_1000 Depth=3
	v_add_u32_e32 v8, v8, v10
	v_ashrrev_i32_e32 v9, 31, v8
	s_mov_b64 s[92:93], 0
.LBB3_1116:                             ;   Parent Loop BB3_47 Depth=1
                                        ;     Parent Loop BB3_997 Depth=2
                                        ;       Parent Loop BB3_1000 Depth=3
                                        ; =>      This Inner Loop Header: Depth=4
	v_lshl_add_u64 v[40:41], v[112:113], 0, v[8:9]
	global_load_dwordx4 v[40:43], v[40:41], off nt
	v_sub_u32_e32 v118, v118, v54
	v_cmp_gt_i32_e64 s[22:23], 16, v118
	v_lshl_add_u64 v[46:47], v[114:115], 0, v[8:9]
	v_sub_u32_e32 v117, v117, v36
	v_lshl_add_u64 v[8:9], v[8:9], 0, v[54:55]
	s_or_b64 s[92:93], s[22:23], s[92:93]
	s_waitcnt vmcnt(0)
	global_store_dwordx4 v[46:47], v[40:43], off
	s_andn2_b64 exec, exec, s[92:93]
	s_cbranch_execnz .LBB3_1116
; %bb.1117:                             ;   in Loop: Header=BB3_1000 Depth=3
	s_or_b64 exec, exec, s[92:93]
.LBB3_1118:                             ;   in Loop: Header=BB3_1000 Depth=3
	s_or_b64 exec, exec, s[26:27]
	v_and_b32_e32 v8, 14, v13
	v_sub_u32_e32 v9, v116, v8
	v_cndmask_b32_e32 v9, 0, v9, vcc
	v_cndmask_b32_e32 v13, v116, v8, vcc
	v_cmp_lt_i32_e32 vcc, 0, v117
	v_add3_u32 v15, v15, v10, v9
	s_nop 0
	v_cndmask_b32_e32 v8, 0, v36, vcc
	v_sub_u32_e32 v8, v8, v117
	v_cmp_ne_u32_e32 vcc, 0, v13
	v_lshl_add_u32 v118, v8, 6, v11
	s_and_b64 s[26:27], vcc, exec
.LBB3_1119:                             ;   in Loop: Header=BB3_1000 Depth=3
	s_or_b64 exec, exec, s[24:25]
	s_and_saveexec_b64 s[22:23], s[26:27]
	s_cbranch_execz .LBB3_1128
.LBB3_1120:                             ;   in Loop: Header=BB3_1000 Depth=3
	v_ashrrev_i32_e32 v8, 31, v118
	v_ashrrev_i32_e32 v9, 31, v13
	v_lshrrev_b32_e32 v8, 26, v8
	v_lshrrev_b32_e32 v9, 23, v9
	v_add_u32_e32 v8, v118, v8
	v_add_u32_e32 v9, v13, v9
	v_ashrrev_i32_e32 v119, 6, v8
	v_ashrrev_i32_e32 v41, 9, v9
	v_sub_u32_e32 v40, v41, v119
	v_cmp_lt_i32_e32 vcc, 0, v40
	s_and_saveexec_b64 s[24:25], vcc
	s_cbranch_execz .LBB3_1124
; %bb.1121:                             ;   in Loop: Header=BB3_1000 Depth=3
	v_and_b32_e32 v8, 0x7fffffc0, v8
	v_sub_u32_e32 v8, v118, v8
	v_lshlrev_b32_e32 v8, 1, v8
	v_lshlrev_b32_e32 v9, 9, v119
	v_add3_u32 v8, v8, v15, v9
	v_ashrrev_i32_e32 v9, 31, v8
	s_mov_b64 s[26:27], 0
	v_mov_b64_e32 v[10:11], v[114:115]
	v_mov_b64_e32 v[116:117], v[112:113]
.LBB3_1122:                             ;   Parent Loop BB3_47 Depth=1
                                        ;     Parent Loop BB3_997 Depth=2
                                        ;       Parent Loop BB3_1000 Depth=3
                                        ; =>      This Inner Loop Header: Depth=4
	v_lshl_add_u64 v[42:43], v[8:9], 0, v[116:117]
	flat_load_ushort v45, v[42:43] nt
	flat_load_ushort v46, v[42:43] offset:128 nt
	flat_load_ushort v47, v[42:43] offset:256 nt
	;; [unrolled: 1-line block ×3, first 2 shown]
	v_sub_u32_e32 v40, v40, v36
	v_cmp_gt_i32_e32 vcc, 1, v40
	v_lshl_add_u64 v[42:43], v[8:9], 0, v[10:11]
	v_lshl_add_u64 v[116:117], v[116:117], 0, v[64:65]
	;; [unrolled: 1-line block ×3, first 2 shown]
	s_or_b64 s[26:27], vcc, s[26:27]
	s_waitcnt vmcnt(0) lgkmcnt(0)
	flat_store_short v[42:43], v45 nt
	flat_store_short v[42:43], v46 offset:128 nt
	flat_store_short v[42:43], v47 offset:256 nt
	;; [unrolled: 1-line block ×3, first 2 shown]
	s_andn2_b64 exec, exec, s[26:27]
	s_cbranch_execnz .LBB3_1122
; %bb.1123:                             ;   in Loop: Header=BB3_1000 Depth=3
	s_or_b64 exec, exec, s[26:27]
.LBB3_1124:                             ;   in Loop: Header=BB3_1000 Depth=3
	s_or_b64 exec, exec, s[24:25]
	v_lshlrev_b32_e32 v8, 9, v41
	v_cmp_ne_u32_e32 vcc, v13, v8
	s_and_b64 exec, exec, vcc
	s_cbranch_execz .LBB3_1128
; %bb.1125:                             ;   in Loop: Header=BB3_1000 Depth=3
	v_lshlrev_b32_e32 v9, 6, v119
	v_sub_u32_e32 v9, v118, v9
	v_lshlrev_b32_e32 v10, 6, v40
	v_sub_u32_e32 v9, v9, v10
	v_ashrrev_i32_e32 v10, 31, v9
	v_lshrrev_b32_e32 v10, 26, v10
	v_add_u32_e32 v10, v9, v10
	v_and_b32_e32 v11, 0x7fffffc0, v10
	v_sub_u32_e32 v9, v9, v11
	v_lshlrev_b32_e32 v10, 1, v10
	v_and_b32_e32 v10, 0xffffff80, v10
	v_lshlrev_b32_e32 v9, 1, v9
	v_add3_u32 v8, v10, v9, v8
	v_sub_u32_e32 v10, v13, v8
	v_cmp_lt_i32_e32 vcc, 1, v10
	s_and_b64 exec, exec, vcc
	s_cbranch_execz .LBB3_1128
; %bb.1126:                             ;   in Loop: Header=BB3_1000 Depth=3
	v_add_u32_e32 v8, v8, v15
	v_ashrrev_i32_e32 v9, 31, v8
	s_mov_b64 s[24:25], 0
.LBB3_1127:                             ;   Parent Loop BB3_47 Depth=1
                                        ;     Parent Loop BB3_997 Depth=2
                                        ;       Parent Loop BB3_1000 Depth=3
                                        ; =>      This Inner Loop Header: Depth=4
	v_lshl_add_u64 v[116:117], v[112:113], 0, v[8:9]
	flat_load_ushort v11, v[116:117] nt
	v_sub_u32_e32 v10, v10, v66
	v_cmp_gt_i32_e32 vcc, 2, v10
	v_lshl_add_u64 v[116:117], v[114:115], 0, v[8:9]
	v_lshl_add_u64 v[8:9], v[8:9], 0, v[66:67]
	s_or_b64 s[24:25], vcc, s[24:25]
	s_waitcnt vmcnt(0) lgkmcnt(0)
	flat_store_short v[116:117], v11 nt
	s_andn2_b64 exec, exec, s[24:25]
	s_cbranch_execnz .LBB3_1127
.LBB3_1128:                             ;   in Loop: Header=BB3_1000 Depth=3
	s_or_b64 exec, exec, s[22:23]
.LBB3_1129:                             ;   in Loop: Header=BB3_1000 Depth=3
	v_cmp_lt_i32_e64 s[22:23], 0, v2
	s_and_saveexec_b64 s[24:25], s[4:5]
	s_cbranch_execz .LBB3_1148
.LBB3_1130:                             ;   in Loop: Header=BB3_1000 Depth=3
	s_and_saveexec_b64 s[26:27], s[56:57]
	s_xor_b64 s[26:27], exec, s[26:27]
	s_cbranch_execz .LBB3_1145
; %bb.1131:                             ;   in Loop: Header=BB3_1000 Depth=3
	s_and_saveexec_b64 s[92:93], s[12:13]
	s_cbranch_execz .LBB3_1144
; %bb.1132:                             ;   in Loop: Header=BB3_1000 Depth=3
	s_mov_b64 s[30:31], exec
	v_mbcnt_lo_u32_b32 v2, s30, 0
	v_mbcnt_hi_u32_b32 v2, s31, v2
	v_cmp_eq_u32_e32 vcc, 0, v2
	s_waitcnt lgkmcnt(0)
	s_and_saveexec_b64 s[94:95], vcc
	s_cbranch_execz .LBB3_1134
; %bb.1133:                             ;   in Loop: Header=BB3_1000 Depth=3
	s_bcnt1_i32_b64 vcc_lo, s[30:31]
	v_mov_b32_e32 v2, vcc_lo
	ds_add_u64 v0, v[2:3]
	s_trap 2
.LBB3_1134:                             ;   in Loop: Header=BB3_1000 Depth=3
	s_or_b64 exec, exec, s[94:95]
	s_trap 2
	ds_read_b64 v[8:9], v0
	s_waitcnt lgkmcnt(0)
	v_lshl_add_u64 v[32:33], v[32:33], 0, v[36:37]
	v_cmp_lt_u64_e32 vcc, v[8:9], v[32:33]
	s_and_saveexec_b64 s[94:95], vcc
	s_cbranch_execz .LBB3_1143
; %bb.1135:                             ;   in Loop: Header=BB3_1000 Depth=3
	s_mov_b32 s50, 0
	s_mov_b64 s[30:31], 0
                                        ; implicit-def: $sgpr34_sgpr35
                                        ; implicit-def: $sgpr36_sgpr37
	s_branch .LBB3_1137
.LBB3_1136:                             ;   in Loop: Header=BB3_1137 Depth=4
	s_or_b64 exec, exec, s[48:49]
	s_and_b64 vcc, exec, vcc
	s_or_b64 s[30:31], vcc, s[30:31]
	s_andn2_b64 vcc, s[34:35], exec
	s_and_b64 s[34:35], s[36:37], exec
	s_or_b64 s[34:35], vcc, s[34:35]
	s_andn2_b64 exec, exec, s[30:31]
	s_cbranch_execz .LBB3_1141
.LBB3_1137:                             ;   Parent Loop BB3_47 Depth=1
                                        ;     Parent Loop BB3_997 Depth=2
                                        ;       Parent Loop BB3_1000 Depth=3
                                        ; =>      This Inner Loop Header: Depth=4
	s_add_i32 s50, s50, 1
	s_cmpk_lg_i32 s50, 0x2710
	s_cselect_b64 s[38:39], -1, 0
	s_and_b64 vcc, exec, s[38:39]
	s_cbranch_vccz .LBB3_1139
; %bb.1138:                             ;   in Loop: Header=BB3_1137 Depth=4
	s_mov_b64 vcc, -1
	s_or_b64 s[36:37], s[36:37], exec
	s_and_saveexec_b64 s[48:49], s[38:39]
	s_cbranch_execz .LBB3_1136
	s_branch .LBB3_1140
.LBB3_1139:                             ;   in Loop: Header=BB3_1137 Depth=4
	s_trap 2
	ds_read_b64 v[8:9], v0
	s_andn2_b64 s[38:39], s[38:39], exec
	s_mov_b32 s50, 0
	s_waitcnt vmcnt(0) lgkmcnt(0)
	flat_load_dword v2, v[8:9] sc0 sc1
	s_waitcnt vmcnt(0) lgkmcnt(0)
	buffer_inv sc0 sc1
	v_cmp_eq_u32_e32 vcc, 0, v2
	s_and_b64 vcc, vcc, exec
	s_or_b64 s[38:39], s[38:39], vcc
	s_mov_b64 vcc, -1
	s_or_b64 s[36:37], s[36:37], exec
	s_and_saveexec_b64 s[48:49], s[38:39]
	s_cbranch_execz .LBB3_1136
.LBB3_1140:                             ;   in Loop: Header=BB3_1137 Depth=4
	s_sleep 1
	s_trap 2
	ds_read_b64 v[8:9], v0
	s_waitcnt lgkmcnt(0)
	s_andn2_b64 s[36:37], s[36:37], exec
	v_cmp_ge_u64_e32 vcc, v[8:9], v[32:33]
	s_orn2_b64 vcc, vcc, exec
	s_branch .LBB3_1136
.LBB3_1141:                             ;   in Loop: Header=BB3_1000 Depth=3
	s_or_b64 exec, exec, s[30:31]
	s_and_saveexec_b64 vcc, s[34:35]
	s_xor_b64 vcc, exec, vcc
	s_cbranch_execz .LBB3_1143
; %bb.1142:                             ;   in Loop: Header=BB3_1000 Depth=3
	ds_write_b32 v0, v61
	s_trap 2
.LBB3_1143:                             ;   in Loop: Header=BB3_1000 Depth=3
	s_or_b64 exec, exec, s[94:95]
	;;#ASMSTART
	s_wakeup
	;;#ASMEND
.LBB3_1144:                             ;   in Loop: Header=BB3_1000 Depth=3
	s_or_b64 exec, exec, s[92:93]
.LBB3_1145:                             ;   in Loop: Header=BB3_1000 Depth=3
	s_andn2_saveexec_b64 s[26:27], s[26:27]
	s_cbranch_execz .LBB3_1147
; %bb.1146:                             ;   in Loop: Header=BB3_1000 Depth=3
	s_waitcnt lgkmcnt(0)
	s_barrier
.LBB3_1147:                             ;   in Loop: Header=BB3_1000 Depth=3
	s_or_b64 exec, exec, s[26:27]
.LBB3_1148:                             ;   in Loop: Header=BB3_1000 Depth=3
	s_or_b64 exec, exec, s[24:25]
	v_and_b32_e32 v8, 16, v58
	s_and_saveexec_b64 s[24:25], s[20:21]
	s_xor_b64 s[24:25], exec, s[24:25]
	s_cbranch_execz .LBB3_1152
; %bb.1149:                             ;   in Loop: Header=BB3_1000 Depth=3
	v_and_b32_e32 v2, 16, v58
	v_cmp_ne_u32_e32 vcc, 0, v2
	v_and_b32_e32 v8, 16, v58
	s_and_b64 s[26:27], vcc, s[22:23]
	s_and_saveexec_b64 s[22:23], s[26:27]
	s_cbranch_execz .LBB3_1151
; %bb.1150:                             ;   in Loop: Header=BB3_1000 Depth=3
	v_mov_b32_e32 v8, 1
	buffer_wbl2 sc1
	s_waitcnt vmcnt(0) lgkmcnt(0)
	buffer_inv sc1
.LBB3_1151:                             ;   in Loop: Header=BB3_1000 Depth=3
	s_or_b64 exec, exec, s[22:23]
.LBB3_1152:                             ;   in Loop: Header=BB3_1000 Depth=3
	s_andn2_saveexec_b64 s[22:23], s[24:25]
	s_cbranch_execz .LBB3_1171
; %bb.1153:                             ;   in Loop: Header=BB3_1000 Depth=3
	s_and_saveexec_b64 s[24:25], s[56:57]
	s_xor_b64 s[24:25], exec, s[24:25]
	s_cbranch_execz .LBB3_1168
; %bb.1154:                             ;   in Loop: Header=BB3_1000 Depth=3
	s_and_saveexec_b64 s[26:27], s[12:13]
	s_cbranch_execz .LBB3_1167
; %bb.1155:                             ;   in Loop: Header=BB3_1000 Depth=3
	s_mov_b64 s[94:95], exec
	v_mbcnt_lo_u32_b32 v2, s94, 0
	v_mbcnt_hi_u32_b32 v2, s95, v2
	v_cmp_eq_u32_e32 vcc, 0, v2
	;;#ASMSTART
	s_waitcnt lgkmcnt(0) vmcnt(0)
	;;#ASMEND
	s_and_saveexec_b64 s[92:93], vcc
	s_cbranch_execz .LBB3_1157
; %bb.1156:                             ;   in Loop: Header=BB3_1000 Depth=3
	s_bcnt1_i32_b64 s94, s[94:95]
	v_mov_b32_e32 v2, s94
	s_waitcnt lgkmcnt(0)
	ds_add_u64 v0, v[2:3]
	s_trap 2
.LBB3_1157:                             ;   in Loop: Header=BB3_1000 Depth=3
	s_or_b64 exec, exec, s[92:93]
	s_trap 2
	ds_read_b64 v[10:11], v0
	s_waitcnt lgkmcnt(0)
	v_lshl_add_u64 v[32:33], v[32:33], 0, v[36:37]
	v_cmp_lt_u64_e32 vcc, v[10:11], v[32:33]
	s_and_saveexec_b64 s[92:93], vcc
	s_cbranch_execz .LBB3_1166
; %bb.1158:                             ;   in Loop: Header=BB3_1000 Depth=3
	s_mov_b32 s48, 0
	s_mov_b64 s[94:95], 0
                                        ; implicit-def: $sgpr30_sgpr31
                                        ; implicit-def: $sgpr34_sgpr35
	s_branch .LBB3_1160
.LBB3_1159:                             ;   in Loop: Header=BB3_1160 Depth=4
	s_or_b64 exec, exec, s[38:39]
	s_and_b64 vcc, exec, vcc
	s_or_b64 s[94:95], vcc, s[94:95]
	s_andn2_b64 vcc, s[30:31], exec
	s_and_b64 s[30:31], s[34:35], exec
	s_or_b64 s[30:31], vcc, s[30:31]
	s_andn2_b64 exec, exec, s[94:95]
	s_cbranch_execz .LBB3_1164
.LBB3_1160:                             ;   Parent Loop BB3_47 Depth=1
                                        ;     Parent Loop BB3_997 Depth=2
                                        ;       Parent Loop BB3_1000 Depth=3
                                        ; =>      This Inner Loop Header: Depth=4
	s_add_i32 s48, s48, 1
	s_cmpk_lg_i32 s48, 0x2710
	s_cselect_b64 s[36:37], -1, 0
	s_and_b64 vcc, exec, s[36:37]
	s_cbranch_vccz .LBB3_1162
; %bb.1161:                             ;   in Loop: Header=BB3_1160 Depth=4
	s_mov_b64 vcc, -1
	s_or_b64 s[34:35], s[34:35], exec
	s_and_saveexec_b64 s[38:39], s[36:37]
	s_cbranch_execz .LBB3_1159
	s_branch .LBB3_1163
.LBB3_1162:                             ;   in Loop: Header=BB3_1160 Depth=4
	s_trap 2
	ds_read_b64 v[10:11], v0
	s_andn2_b64 s[36:37], s[36:37], exec
	s_mov_b32 s48, 0
	s_waitcnt vmcnt(0) lgkmcnt(0)
	flat_load_dword v2, v[10:11] sc0 sc1
	s_waitcnt vmcnt(0) lgkmcnt(0)
	buffer_inv sc0 sc1
	v_cmp_eq_u32_e32 vcc, 0, v2
	s_and_b64 vcc, vcc, exec
	s_or_b64 s[36:37], s[36:37], vcc
	s_mov_b64 vcc, -1
	s_or_b64 s[34:35], s[34:35], exec
	s_and_saveexec_b64 s[38:39], s[36:37]
	s_cbranch_execz .LBB3_1159
.LBB3_1163:                             ;   in Loop: Header=BB3_1160 Depth=4
	s_sleep 1
	s_trap 2
	ds_read_b64 v[10:11], v0
	s_waitcnt lgkmcnt(0)
	s_andn2_b64 s[34:35], s[34:35], exec
	v_cmp_ge_u64_e32 vcc, v[10:11], v[32:33]
	s_orn2_b64 vcc, vcc, exec
	s_branch .LBB3_1159
.LBB3_1164:                             ;   in Loop: Header=BB3_1000 Depth=3
	s_or_b64 exec, exec, s[94:95]
	s_and_saveexec_b64 s[94:95], s[30:31]
	s_xor_b64 s[94:95], exec, s[94:95]
	s_cbranch_execz .LBB3_1166
; %bb.1165:                             ;   in Loop: Header=BB3_1000 Depth=3
	ds_write_b32 v0, v61
	s_trap 2
.LBB3_1166:                             ;   in Loop: Header=BB3_1000 Depth=3
	s_or_b64 exec, exec, s[92:93]
	;;#ASMSTART
	s_wakeup
	;;#ASMEND
.LBB3_1167:                             ;   in Loop: Header=BB3_1000 Depth=3
	s_or_b64 exec, exec, s[26:27]
.LBB3_1168:                             ;   in Loop: Header=BB3_1000 Depth=3
	s_andn2_saveexec_b64 s[24:25], s[24:25]
	s_cbranch_execz .LBB3_1170
; %bb.1169:                             ;   in Loop: Header=BB3_1000 Depth=3
	;;#ASMSTART
	s_waitcnt lgkmcnt(0) vmcnt(0)
	;;#ASMEND
	s_barrier
.LBB3_1170:                             ;   in Loop: Header=BB3_1000 Depth=3
	s_or_b64 exec, exec, s[24:25]
.LBB3_1171:                             ;   in Loop: Header=BB3_1000 Depth=3
	s_or_b64 exec, exec, s[22:23]
	v_cmp_ne_u32_e32 vcc, 0, v8
	s_xor_b64 s[22:23], s[6:7], -1
	s_and_b64 s[24:25], vcc, s[22:23]
	s_and_saveexec_b64 s[22:23], s[24:25]
	s_cbranch_execz .LBB3_1173
; %bb.1172:                             ;   in Loop: Header=BB3_1000 Depth=3
	flat_store_dword v[28:29], v61 sc0 sc1
.LBB3_1173:                             ;   in Loop: Header=BB3_1000 Depth=3
	s_or_b64 exec, exec, s[22:23]
	v_and_b32_e32 v2, 48, v58
	v_cmp_ne_u32_e32 vcc, 0, v2
	s_and_saveexec_b64 s[22:23], vcc
	s_cbranch_execz .LBB3_999
; %bb.1174:                             ;   in Loop: Header=BB3_1000 Depth=3
	v_lshl_add_u64 v[96:97], v[96:97], 0, 2
	flat_store_dwordx2 v[22:23], v[96:97] sc0 sc1
	s_branch .LBB3_999
.LBB3_1175:                             ;   in Loop: Header=BB3_997 Depth=2
	s_or_b64 exec, exec, s[28:29]
	v_cmp_gt_i32_e32 vcc, 2, v2
	s_and_saveexec_b64 s[24:25], vcc
	s_cbranch_execz .LBB3_1251
.LBB3_1176:                             ;   in Loop: Header=BB3_997 Depth=2
	v_cmp_eq_u32_e64 s[28:29], 0, v2
	s_mov_b64 s[26:27], 0
	s_branch .LBB3_1178
.LBB3_1177:                             ;   in Loop: Header=BB3_1178 Depth=3
	s_or_b64 exec, exec, s[22:23]
	v_add_u32_e32 v14, v12, v14
	s_mov_b64 s[28:29], 0
	s_andn2_b64 exec, exec, s[26:27]
	s_cbranch_execz .LBB3_1252
.LBB3_1178:                             ;   Parent Loop BB3_47 Depth=1
                                        ;     Parent Loop BB3_997 Depth=2
                                        ; =>    This Loop Header: Depth=3
                                        ;         Child Loop BB3_1184 Depth 4
                                        ;         Child Loop BB3_1212 Depth 4
	;; [unrolled: 1-line block ×3, first 2 shown]
	v_sub_u32_e32 v2, v44, v14
	v_min_i32_e32 v12, v12, v2
	v_and_b32_e32 v2, 12, v58
	v_cmp_ne_u32_e32 vcc, 0, v2
	s_and_saveexec_b64 s[40:41], vcc
	s_cbranch_execz .LBB3_1204
; %bb.1179:                             ;   in Loop: Header=BB3_1178 Depth=3
	v_and_b32_e32 v2, 8, v58
	s_waitcnt vmcnt(0) lgkmcnt(0)
	v_lshl_add_u64 v[10:11], v[34:35], 0, v[2:3]
	v_lshl_add_u64 v[8:9], v[96:97], 0, 2
	v_cmp_lt_u64_e32 vcc, v[10:11], v[8:9]
	s_and_saveexec_b64 s[90:91], vcc
	s_cbranch_execz .LBB3_1191
; %bb.1180:                             ;   in Loop: Header=BB3_1178 Depth=3
	v_and_b32_e32 v10, 64, v58
	s_mov_b32 s89, 0
	v_cmp_eq_u32_e32 vcc, 0, v10
	s_mov_b64 s[92:93], 0
                                        ; implicit-def: $sgpr94_sgpr95
                                        ; implicit-def: $sgpr30_sgpr31
                                        ; implicit-def: $sgpr34_sgpr35
	s_branch .LBB3_1184
.LBB3_1181:                             ;   in Loop: Header=BB3_1184 Depth=4
	s_waitcnt vmcnt(0) lgkmcnt(0)
	v_lshl_add_u64 v[102:103], v[34:35], 0, v[2:3]
	v_cmp_ge_u64_e64 s[22:23], v[102:103], v[8:9]
	s_or_b64 s[48:49], s[48:49], exec
	s_orn2_b64 s[38:39], s[22:23], exec
.LBB3_1182:                             ;   in Loop: Header=BB3_1184 Depth=4
	s_or_b64 exec, exec, s[52:53]
	s_andn2_b64 s[22:23], s[34:35], exec
	s_and_b64 s[34:35], s[48:49], exec
	s_or_b64 s[34:35], s[22:23], s[34:35]
	s_andn2_b64 s[22:23], s[30:31], exec
	s_and_b64 s[30:31], s[38:39], exec
	s_or_b64 s[30:31], s[22:23], s[30:31]
.LBB3_1183:                             ;   in Loop: Header=BB3_1184 Depth=4
	s_or_b64 exec, exec, s[36:37]
	s_and_b64 s[22:23], exec, s[30:31]
	s_or_b64 s[92:93], s[22:23], s[92:93]
	s_andn2_b64 s[22:23], s[94:95], exec
	s_and_b64 s[94:95], s[34:35], exec
	s_or_b64 s[94:95], s[22:23], s[94:95]
	s_andn2_b64 exec, exec, s[92:93]
	s_cbranch_execz .LBB3_1188
.LBB3_1184:                             ;   Parent Loop BB3_47 Depth=1
                                        ;     Parent Loop BB3_997 Depth=2
                                        ;       Parent Loop BB3_1178 Depth=3
                                        ; =>      This Inner Loop Header: Depth=4
	s_sleep 1
	s_waitcnt vmcnt(0) lgkmcnt(0)
	flat_load_dwordx2 v[34:35], v[22:23] sc0 sc1
	s_or_b64 s[34:35], s[34:35], exec
	s_or_b64 s[30:31], s[30:31], exec
                                        ; implicit-def: $vgpr10
	s_and_saveexec_b64 s[36:37], vcc
	s_cbranch_execz .LBB3_1183
; %bb.1185:                             ;   in Loop: Header=BB3_1184 Depth=4
	s_cmpk_lt_i32 s89, 0x270f
	s_cselect_b64 s[50:51], -1, 0
	s_cmpk_gt_i32 s89, 0x270e
	s_mov_b64 s[38:39], -1
	s_cbranch_scc0 .LBB3_1187
; %bb.1186:                             ;   in Loop: Header=BB3_1184 Depth=4
	s_trap 2
	ds_read_b64 v[10:11], v0
	s_andn2_b64 s[50:51], s[50:51], exec
	s_mov_b32 s89, 0
	s_mov_b64 s[48:49], 0
	s_waitcnt vmcnt(0) lgkmcnt(0)
	flat_load_dword v10, v[10:11] sc0 sc1
	s_waitcnt vmcnt(0) lgkmcnt(0)
	buffer_inv sc0 sc1
	v_cmp_eq_u32_e64 s[22:23], 0, v10
	s_and_b64 s[22:23], s[22:23], exec
	s_or_b64 s[50:51], s[50:51], s[22:23]
	s_and_saveexec_b64 s[52:53], s[50:51]
	s_cbranch_execz .LBB3_1182
	s_branch .LBB3_1181
.LBB3_1187:                             ;   in Loop: Header=BB3_1184 Depth=4
	s_add_i32 s89, s89, 1
	s_mov_b64 s[48:49], -1
                                        ; implicit-def: $vgpr10
	s_and_saveexec_b64 s[52:53], s[50:51]
	s_cbranch_execz .LBB3_1182
	s_branch .LBB3_1181
.LBB3_1188:                             ;   in Loop: Header=BB3_1178 Depth=3
	s_or_b64 exec, exec, s[92:93]
	s_xor_b64 s[22:23], s[94:95], -1
	s_and_saveexec_b64 s[92:93], s[22:23]
	s_xor_b64 s[22:23], exec, s[92:93]
	s_cbranch_execz .LBB3_1190
; %bb.1189:                             ;   in Loop: Header=BB3_1178 Depth=3
	v_or_b32_e32 v58, 64, v58
	s_waitcnt lgkmcnt(0)
	ds_write_b32 v0, v10
	s_trap 2
.LBB3_1190:                             ;   in Loop: Header=BB3_1178 Depth=3
	s_or_b64 exec, exec, s[22:23]
.LBB3_1191:                             ;   in Loop: Header=BB3_1178 Depth=3
	s_or_b64 exec, exec, s[90:91]
	v_and_b32_e32 v10, 0x108, v58
	v_cmp_ne_u32_e32 vcc, s66, v10
	;;#ASMSTART
	s_wakeup
	;;#ASMEND
                                        ; implicit-def: $vgpr10_vgpr11
	s_and_saveexec_b64 s[22:23], vcc
	s_xor_b64 s[22:23], exec, s[22:23]
; %bb.1192:                             ;   in Loop: Header=BB3_1178 Depth=3
	v_and_b32_e32 v10, 7, v96
	v_mov_b32_e32 v11, v3
                                        ; implicit-def: $vgpr96_vgpr97
; %bb.1193:                             ;   in Loop: Header=BB3_1178 Depth=3
	s_andn2_saveexec_b64 s[22:23], s[22:23]
	s_cbranch_execz .LBB3_1195
; %bb.1194:                             ;   in Loop: Header=BB3_1178 Depth=3
	v_and_b32_e32 v10, 7, v96
	v_ashrrev_i32_e32 v13, 31, v12
	v_mov_b32_e32 v11, v3
	v_mad_u64_u32 v[96:97], s[90:91], v10, 24, v[6:7]
	v_lshlrev_b64 v[102:103], 1, v[12:13]
	flat_store_dwordx2 v[96:97], v[102:103] offset:8
.LBB3_1195:                             ;   in Loop: Header=BB3_1178 Depth=3
	s_or_b64 exec, exec, s[22:23]
	v_and_b32_e32 v13, 0x100, v58
	v_cmp_ne_u32_e32 vcc, 0, v13
	s_mov_b64 s[22:23], -1
                                        ; implicit-def: $vgpr96_vgpr97
	s_and_saveexec_b64 s[90:91], vcc
	s_cbranch_execz .LBB3_1199
; %bb.1196:                             ;   in Loop: Header=BB3_1178 Depth=3
	v_mad_u64_u32 v[102:103], s[22:23], v10, 24, v[6:7]
	v_mov_b32_e32 v96, v103
	v_mad_u64_u32 v[96:97], s[22:23], v11, 24, v[96:97]
	v_mov_b32_e32 v103, v96
	flat_load_dword v13, v[102:103]
                                        ; implicit-def: $vgpr96_vgpr97
	s_waitcnt vmcnt(0) lgkmcnt(0)
	v_cmp_ne_u32_e32 vcc, 1, v13
	v_cmp_eq_u32_e64 s[22:23], 1, v13
	s_and_saveexec_b64 s[92:93], s[22:23]
	s_cbranch_execz .LBB3_1198
; %bb.1197:                             ;   in Loop: Header=BB3_1178 Depth=3
	flat_load_dword v96, v[102:103] offset:4 sc0 sc1
	s_waitcnt vmcnt(0) lgkmcnt(0)
	v_ashrrev_i32_e32 v97, 31, v96
	v_lshrrev_b64 v[96:97], 1, v[96:97]
.LBB3_1198:                             ;   in Loop: Header=BB3_1178 Depth=3
	s_or_b64 exec, exec, s[92:93]
	s_orn2_b64 s[22:23], vcc, exec
.LBB3_1199:                             ;   in Loop: Header=BB3_1178 Depth=3
	s_or_b64 exec, exec, s[90:91]
	s_and_saveexec_b64 s[90:91], s[22:23]
; %bb.1200:                             ;   in Loop: Header=BB3_1178 Depth=3
	v_mul_lo_u32 v11, v11, v24
	v_mul_lo_u32 v13, v10, v25
	v_mad_u64_u32 v[96:97], s[22:23], v10, v24, 0
	v_add3_u32 v97, v97, v13, v11
; %bb.1201:                             ;   in Loop: Header=BB3_1178 Depth=3
	s_or_b64 exec, exec, s[90:91]
	v_cmp_eq_u32_e32 vcc, 0, v2
	v_lshl_add_u64 v[10:11], v[96:97], 1, v[26:27]
	s_nop 0
	v_cndmask_b32_e32 v2, v72, v73, vcc
	v_add_u32_e32 v2, v0, v2
	ds_write_b64 v2, v[10:11] offset:584
	v_and_b32_e32 v2, 0x2000, v58
	v_cmp_ne_u32_e32 vcc, 0, v2
	s_and_saveexec_b64 s[22:23], vcc
	s_cbranch_execz .LBB3_1203
; %bb.1202:                             ;   in Loop: Header=BB3_1178 Depth=3
	ds_read_b64 v[10:11], v0 offset:872
	s_waitcnt lgkmcnt(0)
	v_lshl_add_u64 v[10:11], v[10:11], 0, 1
	ds_write_b64 v0, v[10:11] offset:872
.LBB3_1203:                             ;   in Loop: Header=BB3_1178 Depth=3
	s_or_b64 exec, exec, s[22:23]
	v_mov_b64_e32 v[96:97], v[8:9]
.LBB3_1204:                             ;   in Loop: Header=BB3_1178 Depth=3
	s_or_b64 exec, exec, s[40:41]
	s_xor_b64 s[22:23], s[28:29], -1
	s_and_b64 s[22:23], exec, s[22:23]
	s_or_b64 s[26:27], s[22:23], s[26:27]
	s_and_saveexec_b64 s[22:23], s[4:5]
	s_cbranch_execz .LBB3_1223
; %bb.1205:                             ;   in Loop: Header=BB3_1178 Depth=3
	s_and_saveexec_b64 s[28:29], s[56:57]
	s_xor_b64 s[28:29], exec, s[28:29]
	s_cbranch_execz .LBB3_1220
; %bb.1206:                             ;   in Loop: Header=BB3_1178 Depth=3
	s_and_saveexec_b64 s[40:41], s[12:13]
	s_cbranch_execz .LBB3_1219
; %bb.1207:                             ;   in Loop: Header=BB3_1178 Depth=3
	s_mov_b64 s[92:93], exec
	v_mbcnt_lo_u32_b32 v2, s92, 0
	v_mbcnt_hi_u32_b32 v2, s93, v2
	v_cmp_eq_u32_e32 vcc, 0, v2
	s_waitcnt lgkmcnt(0)
	s_and_saveexec_b64 s[90:91], vcc
	s_cbranch_execz .LBB3_1209
; %bb.1208:                             ;   in Loop: Header=BB3_1178 Depth=3
	s_bcnt1_i32_b64 s89, s[92:93]
	v_mov_b32_e32 v2, s89
	ds_add_u64 v0, v[2:3]
	s_trap 2
.LBB3_1209:                             ;   in Loop: Header=BB3_1178 Depth=3
	s_or_b64 exec, exec, s[90:91]
	s_trap 2
	ds_read_b64 v[8:9], v0
	s_waitcnt lgkmcnt(0)
	v_lshl_add_u64 v[32:33], v[32:33], 0, v[36:37]
	v_cmp_lt_u64_e32 vcc, v[8:9], v[32:33]
	s_and_saveexec_b64 s[90:91], vcc
	s_cbranch_execz .LBB3_1218
; %bb.1210:                             ;   in Loop: Header=BB3_1178 Depth=3
	s_mov_b32 s89, 0
	s_mov_b64 s[92:93], 0
                                        ; implicit-def: $sgpr94_sgpr95
                                        ; implicit-def: $sgpr30_sgpr31
	s_branch .LBB3_1212
.LBB3_1211:                             ;   in Loop: Header=BB3_1212 Depth=4
	s_or_b64 exec, exec, s[36:37]
	s_and_b64 vcc, exec, vcc
	s_or_b64 s[92:93], vcc, s[92:93]
	s_andn2_b64 s[94:95], s[94:95], exec
	s_and_b64 vcc, s[30:31], exec
	s_or_b64 s[94:95], s[94:95], vcc
	s_andn2_b64 exec, exec, s[92:93]
	s_cbranch_execz .LBB3_1216
.LBB3_1212:                             ;   Parent Loop BB3_47 Depth=1
                                        ;     Parent Loop BB3_997 Depth=2
                                        ;       Parent Loop BB3_1178 Depth=3
                                        ; =>      This Inner Loop Header: Depth=4
	s_add_i32 s89, s89, 1
	s_cmpk_lg_i32 s89, 0x2710
	s_cselect_b64 s[34:35], -1, 0
	s_and_b64 vcc, exec, s[34:35]
	s_cbranch_vccz .LBB3_1214
; %bb.1213:                             ;   in Loop: Header=BB3_1212 Depth=4
	s_mov_b64 vcc, -1
	s_or_b64 s[30:31], s[30:31], exec
	s_and_saveexec_b64 s[36:37], s[34:35]
	s_cbranch_execz .LBB3_1211
	s_branch .LBB3_1215
.LBB3_1214:                             ;   in Loop: Header=BB3_1212 Depth=4
	s_trap 2
	ds_read_b64 v[8:9], v0
	s_andn2_b64 s[34:35], s[34:35], exec
	s_mov_b32 s89, 0
	s_waitcnt vmcnt(0) lgkmcnt(0)
	flat_load_dword v2, v[8:9] sc0 sc1
	s_waitcnt vmcnt(0) lgkmcnt(0)
	buffer_inv sc0 sc1
	v_cmp_eq_u32_e32 vcc, 0, v2
	s_and_b64 vcc, vcc, exec
	s_or_b64 s[34:35], s[34:35], vcc
	s_mov_b64 vcc, -1
	s_or_b64 s[30:31], s[30:31], exec
	s_and_saveexec_b64 s[36:37], s[34:35]
	s_cbranch_execz .LBB3_1211
.LBB3_1215:                             ;   in Loop: Header=BB3_1212 Depth=4
	s_sleep 1
	s_trap 2
	ds_read_b64 v[8:9], v0
	s_waitcnt lgkmcnt(0)
	s_andn2_b64 s[30:31], s[30:31], exec
	v_cmp_ge_u64_e32 vcc, v[8:9], v[32:33]
	s_orn2_b64 vcc, vcc, exec
	s_branch .LBB3_1211
.LBB3_1216:                             ;   in Loop: Header=BB3_1178 Depth=3
	s_or_b64 exec, exec, s[92:93]
	s_and_saveexec_b64 s[92:93], s[94:95]
	s_xor_b64 s[92:93], exec, s[92:93]
	s_cbranch_execz .LBB3_1218
; %bb.1217:                             ;   in Loop: Header=BB3_1178 Depth=3
	ds_write_b32 v0, v61
	s_trap 2
.LBB3_1218:                             ;   in Loop: Header=BB3_1178 Depth=3
	s_or_b64 exec, exec, s[90:91]
	;;#ASMSTART
	s_wakeup
	;;#ASMEND
.LBB3_1219:                             ;   in Loop: Header=BB3_1178 Depth=3
	s_or_b64 exec, exec, s[40:41]
.LBB3_1220:                             ;   in Loop: Header=BB3_1178 Depth=3
	s_andn2_saveexec_b64 s[28:29], s[28:29]
	s_cbranch_execz .LBB3_1222
; %bb.1221:                             ;   in Loop: Header=BB3_1178 Depth=3
	s_waitcnt lgkmcnt(0)
	s_barrier
.LBB3_1222:                             ;   in Loop: Header=BB3_1178 Depth=3
	s_or_b64 exec, exec, s[28:29]
.LBB3_1223:                             ;   in Loop: Header=BB3_1178 Depth=3
	s_or_b64 exec, exec, s[22:23]
	v_and_b32_e32 v8, 16, v58
	s_and_saveexec_b64 s[22:23], s[20:21]
	s_xor_b64 s[22:23], exec, s[22:23]
	s_cbranch_execz .LBB3_1227
; %bb.1224:                             ;   in Loop: Header=BB3_1178 Depth=3
	s_trap 2
	ds_read_b32 v2, v0
	v_cmp_lt_i32_e32 vcc, 0, v12
	v_and_b32_e32 v9, 16, v58
	v_and_b32_e32 v8, 16, v58
	s_waitcnt lgkmcnt(0)
	v_readfirstlane_b32 s28, v2
	s_cmp_eq_u32 s28, 0
	s_cselect_b64 s[28:29], -1, 0
	s_and_b64 s[28:29], vcc, s[28:29]
	v_cmp_ne_u32_e32 vcc, 0, v9
	s_and_b64 s[40:41], vcc, s[28:29]
	s_and_saveexec_b64 s[28:29], s[40:41]
	s_cbranch_execz .LBB3_1226
; %bb.1225:                             ;   in Loop: Header=BB3_1178 Depth=3
	v_mov_b32_e32 v8, 1
	buffer_wbl2 sc1
	s_waitcnt vmcnt(0)
	buffer_inv sc1
.LBB3_1226:                             ;   in Loop: Header=BB3_1178 Depth=3
	s_or_b64 exec, exec, s[28:29]
.LBB3_1227:                             ;   in Loop: Header=BB3_1178 Depth=3
	s_andn2_saveexec_b64 s[22:23], s[22:23]
	s_cbranch_execz .LBB3_1246
; %bb.1228:                             ;   in Loop: Header=BB3_1178 Depth=3
	s_and_saveexec_b64 s[28:29], s[56:57]
	s_xor_b64 s[28:29], exec, s[28:29]
	s_cbranch_execz .LBB3_1243
; %bb.1229:                             ;   in Loop: Header=BB3_1178 Depth=3
	s_and_saveexec_b64 s[40:41], s[12:13]
	s_cbranch_execz .LBB3_1242
; %bb.1230:                             ;   in Loop: Header=BB3_1178 Depth=3
	s_mov_b64 s[92:93], exec
	v_mbcnt_lo_u32_b32 v2, s92, 0
	v_mbcnt_hi_u32_b32 v2, s93, v2
	v_cmp_eq_u32_e32 vcc, 0, v2
	;;#ASMSTART
	s_waitcnt lgkmcnt(0) vmcnt(0)
	;;#ASMEND
	s_and_saveexec_b64 s[90:91], vcc
	s_cbranch_execz .LBB3_1232
; %bb.1231:                             ;   in Loop: Header=BB3_1178 Depth=3
	s_bcnt1_i32_b64 s89, s[92:93]
	v_mov_b32_e32 v2, s89
	s_waitcnt lgkmcnt(0)
	ds_add_u64 v0, v[2:3]
	s_trap 2
.LBB3_1232:                             ;   in Loop: Header=BB3_1178 Depth=3
	s_or_b64 exec, exec, s[90:91]
	s_trap 2
	ds_read_b64 v[10:11], v0
	s_waitcnt lgkmcnt(0)
	v_lshl_add_u64 v[32:33], v[32:33], 0, v[36:37]
	v_cmp_lt_u64_e32 vcc, v[10:11], v[32:33]
	s_and_saveexec_b64 s[90:91], vcc
	s_cbranch_execz .LBB3_1241
; %bb.1233:                             ;   in Loop: Header=BB3_1178 Depth=3
	s_mov_b32 s89, 0
	s_mov_b64 s[92:93], 0
                                        ; implicit-def: $sgpr94_sgpr95
                                        ; implicit-def: $sgpr30_sgpr31
	s_branch .LBB3_1235
.LBB3_1234:                             ;   in Loop: Header=BB3_1235 Depth=4
	s_or_b64 exec, exec, s[36:37]
	s_and_b64 vcc, exec, vcc
	s_or_b64 s[92:93], vcc, s[92:93]
	s_andn2_b64 s[94:95], s[94:95], exec
	s_and_b64 vcc, s[30:31], exec
	s_or_b64 s[94:95], s[94:95], vcc
	s_andn2_b64 exec, exec, s[92:93]
	s_cbranch_execz .LBB3_1239
.LBB3_1235:                             ;   Parent Loop BB3_47 Depth=1
                                        ;     Parent Loop BB3_997 Depth=2
                                        ;       Parent Loop BB3_1178 Depth=3
                                        ; =>      This Inner Loop Header: Depth=4
	s_add_i32 s89, s89, 1
	s_cmpk_lg_i32 s89, 0x2710
	s_cselect_b64 s[34:35], -1, 0
	s_and_b64 vcc, exec, s[34:35]
	s_cbranch_vccz .LBB3_1237
; %bb.1236:                             ;   in Loop: Header=BB3_1235 Depth=4
	s_mov_b64 vcc, -1
	s_or_b64 s[30:31], s[30:31], exec
	s_and_saveexec_b64 s[36:37], s[34:35]
	s_cbranch_execz .LBB3_1234
	s_branch .LBB3_1238
.LBB3_1237:                             ;   in Loop: Header=BB3_1235 Depth=4
	s_trap 2
	ds_read_b64 v[10:11], v0
	s_andn2_b64 s[34:35], s[34:35], exec
	s_mov_b32 s89, 0
	s_waitcnt vmcnt(0) lgkmcnt(0)
	flat_load_dword v2, v[10:11] sc0 sc1
	s_waitcnt vmcnt(0) lgkmcnt(0)
	buffer_inv sc0 sc1
	v_cmp_eq_u32_e32 vcc, 0, v2
	s_and_b64 vcc, vcc, exec
	s_or_b64 s[34:35], s[34:35], vcc
	s_mov_b64 vcc, -1
	s_or_b64 s[30:31], s[30:31], exec
	s_and_saveexec_b64 s[36:37], s[34:35]
	s_cbranch_execz .LBB3_1234
.LBB3_1238:                             ;   in Loop: Header=BB3_1235 Depth=4
	s_sleep 1
	s_trap 2
	ds_read_b64 v[10:11], v0
	s_waitcnt lgkmcnt(0)
	s_andn2_b64 s[30:31], s[30:31], exec
	v_cmp_ge_u64_e32 vcc, v[10:11], v[32:33]
	s_orn2_b64 vcc, vcc, exec
	s_branch .LBB3_1234
.LBB3_1239:                             ;   in Loop: Header=BB3_1178 Depth=3
	s_or_b64 exec, exec, s[92:93]
	s_and_saveexec_b64 s[92:93], s[94:95]
	s_xor_b64 s[92:93], exec, s[92:93]
	s_cbranch_execz .LBB3_1241
; %bb.1240:                             ;   in Loop: Header=BB3_1178 Depth=3
	ds_write_b32 v0, v61
	s_trap 2
.LBB3_1241:                             ;   in Loop: Header=BB3_1178 Depth=3
	s_or_b64 exec, exec, s[90:91]
	;;#ASMSTART
	s_wakeup
	;;#ASMEND
.LBB3_1242:                             ;   in Loop: Header=BB3_1178 Depth=3
	s_or_b64 exec, exec, s[40:41]
.LBB3_1243:                             ;   in Loop: Header=BB3_1178 Depth=3
	s_andn2_saveexec_b64 s[28:29], s[28:29]
	s_cbranch_execz .LBB3_1245
; %bb.1244:                             ;   in Loop: Header=BB3_1178 Depth=3
	;;#ASMSTART
	s_waitcnt lgkmcnt(0) vmcnt(0)
	;;#ASMEND
	s_barrier
.LBB3_1245:                             ;   in Loop: Header=BB3_1178 Depth=3
	s_or_b64 exec, exec, s[28:29]
.LBB3_1246:                             ;   in Loop: Header=BB3_1178 Depth=3
	s_or_b64 exec, exec, s[22:23]
	v_cmp_ne_u32_e32 vcc, 0, v8
	s_xor_b64 s[22:23], s[6:7], -1
	s_and_b64 s[28:29], vcc, s[22:23]
	s_and_saveexec_b64 s[22:23], s[28:29]
	s_cbranch_execz .LBB3_1248
; %bb.1247:                             ;   in Loop: Header=BB3_1178 Depth=3
	flat_store_dword v[28:29], v61 sc0 sc1
.LBB3_1248:                             ;   in Loop: Header=BB3_1178 Depth=3
	s_or_b64 exec, exec, s[22:23]
	v_and_b32_e32 v2, 48, v58
	v_cmp_ne_u32_e32 vcc, 0, v2
	s_and_saveexec_b64 s[22:23], vcc
	s_cbranch_execz .LBB3_1177
; %bb.1249:                             ;   in Loop: Header=BB3_1178 Depth=3
	v_lshl_add_u64 v[96:97], v[96:97], 0, 2
	flat_store_dwordx2 v[22:23], v[96:97] sc0 sc1
	s_branch .LBB3_1177
.LBB3_1250:                             ;   in Loop: Header=BB3_997 Depth=2
	s_or_b64 exec, exec, s[40:41]
	s_or_b64 exec, exec, s[28:29]
	v_cmp_gt_i32_e32 vcc, 2, v2
	s_and_saveexec_b64 s[24:25], vcc
	s_cbranch_execnz .LBB3_1176
.LBB3_1251:                             ;   in Loop: Header=BB3_997 Depth=2
	s_or_b64 exec, exec, s[24:25]
	s_add_i32 s22, s46, 1
	s_cmp_eq_u32 s46, s82
	s_cbranch_scc0 .LBB3_1253
	s_branch .LBB3_1254
.LBB3_1252:                             ;   in Loop: Header=BB3_997 Depth=2
	s_or_b64 exec, exec, s[26:27]
	s_or_b64 exec, exec, s[24:25]
	s_add_i32 s22, s46, 1
	s_cmp_eq_u32 s46, s82
	s_cbranch_scc1 .LBB3_1254
.LBB3_1253:                             ;   in Loop: Header=BB3_997 Depth=2
	s_mov_b32 s46, s22
	s_branch .LBB3_997
.LBB3_1254:                             ;   in Loop: Header=BB3_47 Depth=1
	v_mul_lo_u32 v2, v87, s83
	v_mul_lo_u32 v8, v86, s84
	v_mad_u64_u32 v[10:11], s[22:23], v86, s83, 0
	v_add3_u32 v11, v11, v8, v2
	v_sub_co_u32_e32 v8, vcc, v98, v10
	v_mov_b32_e32 v2, 0
	s_nop 0
	v_subb_co_u32_e32 v9, vcc, v99, v11, vcc
	v_cmp_lt_i64_e32 vcc, v[86:87], v[8:9]
	s_nop 1
	v_cndmask_b32_e32 v8, v8, v86, vcc
	v_max_i32_e32 v112, 0, v8
	v_add_u32_e32 v9, 31, v112
	v_ashrrev_i32_e32 v12, 31, v9
	v_lshrrev_b32_e32 v12, 27, v12
	v_add_u32_e32 v9, v9, v12
	v_ashrrev_i32_e32 v9, 5, v9
	v_lshlrev_b32_e32 v9, 4, v9
	v_cmp_lt_i32_e32 vcc, 0, v8
	v_max_i32_e32 v113, s81, v9
	s_and_b64 s[22:23], s[78:79], vcc
	v_mov_b32_e32 v8, 0
	s_and_saveexec_b64 s[24:25], s[22:23]
	s_cbranch_execz .LBB3_1392
; %bb.1255:                             ;   in Loop: Header=BB3_47 Depth=1
	v_lshl_add_u64 v[10:11], v[10:11], 0, v[100:101]
	s_mov_b32 s46, 1
	s_mov_b64 s[28:29], -1
	v_mov_b32_e32 v8, 0
	s_mov_b64 s[26:27], 0
	v_lshlrev_b64 v[10:11], 1, v[10:11]
	s_branch .LBB3_1257
.LBB3_1256:                             ;   in Loop: Header=BB3_1257 Depth=2
	s_or_b64 exec, exec, s[22:23]
	v_add_u32_e32 v8, v113, v8
	v_cmp_ge_i32_e32 vcc, v8, v112
	s_xor_b64 s[22:23], s[28:29], -1
	s_or_b64 s[22:23], s[22:23], vcc
	s_and_b64 s[22:23], exec, s[22:23]
	s_or_b64 s[26:27], s[22:23], s[26:27]
	s_mov_b64 s[28:29], 0
	v_mov_b32_e32 v2, s46
	s_mov_b32 s46, 2
	s_andn2_b64 exec, exec, s[26:27]
	s_cbranch_execz .LBB3_1391
.LBB3_1257:                             ;   Parent Loop BB3_47 Depth=1
                                        ; =>  This Loop Header: Depth=2
                                        ;       Child Loop BB3_1265 Depth 3
                                        ;       Child Loop BB3_1289 Depth 3
	;; [unrolled: 1-line block ×9, first 2 shown]
	s_and_saveexec_b64 s[22:23], s[0:1]
	s_cbranch_execz .LBB3_1259
; %bb.1258:                             ;   in Loop: Header=BB3_1257 Depth=2
	s_trap 2
	ds_read_b128 v[12:15], v0
	v_ashrrev_i32_e32 v9, 31, v8
	v_lshlrev_b64 v[98:99], 1, v[8:9]
	s_waitcnt lgkmcnt(0)
	v_lshl_add_u64 v[12:13], v[12:13], 0, v[10:11]
	v_lshl_add_u64 v[100:101], v[14:15], 0, v[10:11]
	;; [unrolled: 1-line block ×3, first 2 shown]
	ds_write_b64 v0, v[12:13]
	v_lshl_add_u64 v[12:13], v[100:101], 0, v[98:99]
	v_cmp_ne_u64_e32 vcc, 0, v[14:15]
	s_nop 1
	v_cndmask_b32_e32 v13, 0, v13, vcc
	v_cndmask_b32_e32 v12, 0, v12, vcc
	ds_write_b64 v0, v[12:13]
.LBB3_1259:                             ;   in Loop: Header=BB3_1257 Depth=2
	s_or_b64 exec, exec, s[22:23]
	v_and_b32_e32 v2, 4, v58
	v_cmp_ne_u32_e32 vcc, 0, v2
	s_and_saveexec_b64 s[40:41], vcc
	s_cbranch_execz .LBB3_1281
; %bb.1260:                             ;   in Loop: Header=BB3_1257 Depth=2
	v_lshl_add_u64 v[12:13], v[96:97], 0, 2
	s_waitcnt vmcnt(0) lgkmcnt(0)
	v_cmp_lt_u64_e32 vcc, v[34:35], v[12:13]
	s_and_saveexec_b64 s[90:91], vcc
	s_cbranch_execz .LBB3_1272
; %bb.1261:                             ;   in Loop: Header=BB3_1257 Depth=2
	v_and_b32_e32 v2, 64, v58
	s_mov_b32 s89, 0
	v_cmp_eq_u32_e32 vcc, 0, v2
	s_mov_b64 s[92:93], 0
                                        ; implicit-def: $sgpr94_sgpr95
                                        ; implicit-def: $sgpr30_sgpr31
                                        ; implicit-def: $sgpr34_sgpr35
	s_branch .LBB3_1265
.LBB3_1262:                             ;   in Loop: Header=BB3_1265 Depth=3
	s_waitcnt vmcnt(0) lgkmcnt(0)
	v_cmp_ge_u64_e64 s[22:23], v[34:35], v[12:13]
	s_or_b64 s[48:49], s[48:49], exec
	s_orn2_b64 s[38:39], s[22:23], exec
.LBB3_1263:                             ;   in Loop: Header=BB3_1265 Depth=3
	s_or_b64 exec, exec, s[52:53]
	s_andn2_b64 s[22:23], s[34:35], exec
	s_and_b64 s[34:35], s[48:49], exec
	s_or_b64 s[34:35], s[22:23], s[34:35]
	s_andn2_b64 s[22:23], s[30:31], exec
	s_and_b64 s[30:31], s[38:39], exec
	s_or_b64 s[30:31], s[22:23], s[30:31]
.LBB3_1264:                             ;   in Loop: Header=BB3_1265 Depth=3
	s_or_b64 exec, exec, s[36:37]
	s_and_b64 s[22:23], exec, s[30:31]
	s_or_b64 s[92:93], s[22:23], s[92:93]
	s_andn2_b64 s[22:23], s[94:95], exec
	s_and_b64 s[94:95], s[34:35], exec
	s_or_b64 s[94:95], s[22:23], s[94:95]
	s_andn2_b64 exec, exec, s[92:93]
	s_cbranch_execz .LBB3_1269
.LBB3_1265:                             ;   Parent Loop BB3_47 Depth=1
                                        ;     Parent Loop BB3_1257 Depth=2
                                        ; =>    This Inner Loop Header: Depth=3
	s_sleep 1
	s_waitcnt vmcnt(0) lgkmcnt(0)
	flat_load_dwordx2 v[34:35], v[22:23] sc0 sc1
	s_or_b64 s[34:35], s[34:35], exec
	s_or_b64 s[30:31], s[30:31], exec
                                        ; implicit-def: $vgpr2
	s_and_saveexec_b64 s[36:37], vcc
	s_cbranch_execz .LBB3_1264
; %bb.1266:                             ;   in Loop: Header=BB3_1265 Depth=3
	s_cmpk_lt_i32 s89, 0x270f
	s_cselect_b64 s[50:51], -1, 0
	s_cmpk_gt_i32 s89, 0x270e
	s_mov_b64 s[38:39], -1
	s_cbranch_scc0 .LBB3_1268
; %bb.1267:                             ;   in Loop: Header=BB3_1265 Depth=3
	s_trap 2
	ds_read_b64 v[14:15], v0
	s_andn2_b64 s[50:51], s[50:51], exec
	s_mov_b32 s89, 0
	s_mov_b64 s[48:49], 0
	s_waitcnt vmcnt(0) lgkmcnt(0)
	flat_load_dword v2, v[14:15] sc0 sc1
	s_waitcnt vmcnt(0) lgkmcnt(0)
	buffer_inv sc0 sc1
	v_cmp_eq_u32_e64 s[22:23], 0, v2
	s_and_b64 s[22:23], s[22:23], exec
	s_or_b64 s[50:51], s[50:51], s[22:23]
	s_and_saveexec_b64 s[52:53], s[50:51]
	s_cbranch_execz .LBB3_1263
	s_branch .LBB3_1262
.LBB3_1268:                             ;   in Loop: Header=BB3_1265 Depth=3
	s_add_i32 s89, s89, 1
	s_mov_b64 s[48:49], -1
                                        ; implicit-def: $vgpr2
	s_and_saveexec_b64 s[52:53], s[50:51]
	s_cbranch_execz .LBB3_1263
	s_branch .LBB3_1262
.LBB3_1269:                             ;   in Loop: Header=BB3_1257 Depth=2
	s_or_b64 exec, exec, s[92:93]
	s_xor_b64 s[22:23], s[94:95], -1
	s_and_saveexec_b64 s[92:93], s[22:23]
	s_xor_b64 s[22:23], exec, s[92:93]
	s_cbranch_execz .LBB3_1271
; %bb.1270:                             ;   in Loop: Header=BB3_1257 Depth=2
	v_or_b32_e32 v58, 64, v58
	s_waitcnt lgkmcnt(0)
	ds_write_b32 v0, v2
	s_trap 2
.LBB3_1271:                             ;   in Loop: Header=BB3_1257 Depth=2
	s_or_b64 exec, exec, s[22:23]
.LBB3_1272:                             ;   in Loop: Header=BB3_1257 Depth=2
	s_or_b64 exec, exec, s[90:91]
	v_and_b32_e32 v2, 0x100, v58
	v_cmp_ne_u32_e32 vcc, 0, v2
	v_and_b32_e32 v2, 7, v96
	s_mov_b64 s[22:23], -1
	;;#ASMSTART
	s_wakeup
	;;#ASMEND
                                        ; implicit-def: $vgpr14_vgpr15
	s_and_saveexec_b64 s[90:91], vcc
	s_cbranch_execz .LBB3_1276
; %bb.1273:                             ;   in Loop: Header=BB3_1257 Depth=2
	v_mad_u64_u32 v[96:97], s[22:23], v2, 24, v[6:7]
	flat_load_dword v9, v[96:97]
                                        ; implicit-def: $vgpr14_vgpr15
	s_waitcnt vmcnt(0) lgkmcnt(0)
	v_cmp_ne_u32_e32 vcc, 1, v9
	v_cmp_eq_u32_e64 s[22:23], 1, v9
	s_and_saveexec_b64 s[92:93], s[22:23]
	s_cbranch_execz .LBB3_1275
; %bb.1274:                             ;   in Loop: Header=BB3_1257 Depth=2
	flat_load_dword v14, v[96:97] offset:4 sc0 sc1
	s_waitcnt vmcnt(0) lgkmcnt(0)
	v_ashrrev_i32_e32 v15, 31, v14
	v_lshrrev_b64 v[14:15], 1, v[14:15]
.LBB3_1275:                             ;   in Loop: Header=BB3_1257 Depth=2
	s_or_b64 exec, exec, s[92:93]
	s_orn2_b64 s[22:23], vcc, exec
.LBB3_1276:                             ;   in Loop: Header=BB3_1257 Depth=2
	s_or_b64 exec, exec, s[90:91]
	s_and_saveexec_b64 s[90:91], s[22:23]
; %bb.1277:                             ;   in Loop: Header=BB3_1257 Depth=2
	v_mad_i64_i32 v[14:15], s[22:23], v2, v24, 0
; %bb.1278:                             ;   in Loop: Header=BB3_1257 Depth=2
	s_or_b64 exec, exec, s[90:91]
	v_and_b32_e32 v2, 0x2000, v58
	v_lshl_add_u64 v[14:15], v[14:15], 1, v[26:27]
	v_cmp_ne_u32_e32 vcc, 0, v2
	ds_write_b64 v0, v[14:15] offset:720
	s_and_saveexec_b64 s[22:23], vcc
	s_cbranch_execz .LBB3_1280
; %bb.1279:                             ;   in Loop: Header=BB3_1257 Depth=2
	ds_read_b64 v[14:15], v0 offset:872
	s_waitcnt lgkmcnt(0)
	v_lshl_add_u64 v[14:15], v[14:15], 0, 1
	ds_write_b64 v0, v[14:15] offset:872
.LBB3_1280:                             ;   in Loop: Header=BB3_1257 Depth=2
	s_or_b64 exec, exec, s[22:23]
	v_mov_b64_e32 v[96:97], v[12:13]
.LBB3_1281:                             ;   in Loop: Header=BB3_1257 Depth=2
	s_or_b64 exec, exec, s[40:41]
	s_and_saveexec_b64 s[22:23], s[4:5]
	s_cbranch_execz .LBB3_1300
; %bb.1282:                             ;   in Loop: Header=BB3_1257 Depth=2
	s_and_saveexec_b64 s[40:41], s[56:57]
	s_xor_b64 s[40:41], exec, s[40:41]
	s_cbranch_execz .LBB3_1297
; %bb.1283:                             ;   in Loop: Header=BB3_1257 Depth=2
	s_and_saveexec_b64 s[90:91], s[12:13]
	s_cbranch_execz .LBB3_1296
; %bb.1284:                             ;   in Loop: Header=BB3_1257 Depth=2
	s_mov_b64 s[94:95], exec
	v_mbcnt_lo_u32_b32 v2, s94, 0
	v_mbcnt_hi_u32_b32 v2, s95, v2
	v_cmp_eq_u32_e32 vcc, 0, v2
	s_waitcnt lgkmcnt(0)
	s_and_saveexec_b64 s[92:93], vcc
	s_cbranch_execz .LBB3_1286
; %bb.1285:                             ;   in Loop: Header=BB3_1257 Depth=2
	s_bcnt1_i32_b64 s89, s[94:95]
	v_mov_b32_e32 v2, s89
	ds_add_u64 v0, v[2:3]
	s_trap 2
.LBB3_1286:                             ;   in Loop: Header=BB3_1257 Depth=2
	s_or_b64 exec, exec, s[92:93]
	s_trap 2
	ds_read_b64 v[12:13], v0
	s_waitcnt lgkmcnt(0)
	v_lshl_add_u64 v[32:33], v[32:33], 0, v[36:37]
	v_cmp_lt_u64_e32 vcc, v[12:13], v[32:33]
	s_and_saveexec_b64 s[92:93], vcc
	s_cbranch_execz .LBB3_1295
; %bb.1287:                             ;   in Loop: Header=BB3_1257 Depth=2
	s_mov_b32 s89, 0
	s_mov_b64 s[94:95], 0
                                        ; implicit-def: $sgpr30_sgpr31
                                        ; implicit-def: $sgpr34_sgpr35
	s_branch .LBB3_1289
.LBB3_1288:                             ;   in Loop: Header=BB3_1289 Depth=3
	s_or_b64 exec, exec, s[38:39]
	s_and_b64 vcc, exec, vcc
	s_or_b64 s[94:95], vcc, s[94:95]
	s_andn2_b64 vcc, s[30:31], exec
	s_and_b64 s[30:31], s[34:35], exec
	s_or_b64 s[30:31], vcc, s[30:31]
	s_andn2_b64 exec, exec, s[94:95]
	s_cbranch_execz .LBB3_1293
.LBB3_1289:                             ;   Parent Loop BB3_47 Depth=1
                                        ;     Parent Loop BB3_1257 Depth=2
                                        ; =>    This Inner Loop Header: Depth=3
	s_add_i32 s89, s89, 1
	s_cmpk_lg_i32 s89, 0x2710
	s_cselect_b64 s[36:37], -1, 0
	s_and_b64 vcc, exec, s[36:37]
	s_cbranch_vccz .LBB3_1291
; %bb.1290:                             ;   in Loop: Header=BB3_1289 Depth=3
	s_mov_b64 vcc, -1
	s_or_b64 s[34:35], s[34:35], exec
	s_and_saveexec_b64 s[38:39], s[36:37]
	s_cbranch_execz .LBB3_1288
	s_branch .LBB3_1292
.LBB3_1291:                             ;   in Loop: Header=BB3_1289 Depth=3
	s_trap 2
	ds_read_b64 v[12:13], v0
	s_andn2_b64 s[36:37], s[36:37], exec
	s_mov_b32 s89, 0
	s_waitcnt vmcnt(0) lgkmcnt(0)
	flat_load_dword v2, v[12:13] sc0 sc1
	s_waitcnt vmcnt(0) lgkmcnt(0)
	buffer_inv sc0 sc1
	v_cmp_eq_u32_e32 vcc, 0, v2
	s_and_b64 vcc, vcc, exec
	s_or_b64 s[36:37], s[36:37], vcc
	s_mov_b64 vcc, -1
	s_or_b64 s[34:35], s[34:35], exec
	s_and_saveexec_b64 s[38:39], s[36:37]
	s_cbranch_execz .LBB3_1288
.LBB3_1292:                             ;   in Loop: Header=BB3_1289 Depth=3
	s_sleep 1
	s_trap 2
	ds_read_b64 v[12:13], v0
	s_waitcnt lgkmcnt(0)
	s_andn2_b64 s[34:35], s[34:35], exec
	v_cmp_ge_u64_e32 vcc, v[12:13], v[32:33]
	s_orn2_b64 vcc, vcc, exec
	s_branch .LBB3_1288
.LBB3_1293:                             ;   in Loop: Header=BB3_1257 Depth=2
	s_or_b64 exec, exec, s[94:95]
	s_and_saveexec_b64 s[94:95], s[30:31]
	s_xor_b64 s[94:95], exec, s[94:95]
	s_cbranch_execz .LBB3_1295
; %bb.1294:                             ;   in Loop: Header=BB3_1257 Depth=2
	ds_write_b32 v0, v61
	s_trap 2
.LBB3_1295:                             ;   in Loop: Header=BB3_1257 Depth=2
	s_or_b64 exec, exec, s[92:93]
	;;#ASMSTART
	s_wakeup
	;;#ASMEND
.LBB3_1296:                             ;   in Loop: Header=BB3_1257 Depth=2
	s_or_b64 exec, exec, s[90:91]
.LBB3_1297:                             ;   in Loop: Header=BB3_1257 Depth=2
	s_andn2_saveexec_b64 s[40:41], s[40:41]
	s_cbranch_execz .LBB3_1299
; %bb.1298:                             ;   in Loop: Header=BB3_1257 Depth=2
	s_waitcnt lgkmcnt(0)
	s_barrier
.LBB3_1299:                             ;   in Loop: Header=BB3_1257 Depth=2
	s_or_b64 exec, exec, s[40:41]
.LBB3_1300:                             ;   in Loop: Header=BB3_1257 Depth=2
	s_or_b64 exec, exec, s[22:23]
	s_trap 2
	ds_read_b32 v9, v0
	v_and_b32_e32 v2, 0x4000, v58
	v_cmp_ne_u32_e32 vcc, 0, v2
	s_xor_b64 s[22:23], s[2:3], -1
	s_and_b64 s[40:41], s[22:23], vcc
	s_and_saveexec_b64 s[22:23], s[40:41]
	s_cbranch_execz .LBB3_1319
; %bb.1301:                             ;   in Loop: Header=BB3_1257 Depth=2
	s_and_saveexec_b64 s[40:41], s[56:57]
	s_xor_b64 s[40:41], exec, s[40:41]
	s_cbranch_execz .LBB3_1316
; %bb.1302:                             ;   in Loop: Header=BB3_1257 Depth=2
	s_and_saveexec_b64 s[90:91], s[12:13]
	s_cbranch_execz .LBB3_1315
; %bb.1303:                             ;   in Loop: Header=BB3_1257 Depth=2
	s_mov_b64 s[94:95], exec
	v_mbcnt_lo_u32_b32 v2, s94, 0
	v_mbcnt_hi_u32_b32 v2, s95, v2
	v_cmp_eq_u32_e32 vcc, 0, v2
	s_waitcnt lgkmcnt(0)
	s_and_saveexec_b64 s[92:93], vcc
	s_cbranch_execz .LBB3_1305
; %bb.1304:                             ;   in Loop: Header=BB3_1257 Depth=2
	s_bcnt1_i32_b64 s89, s[94:95]
	v_mov_b32_e32 v2, s89
	ds_add_u64 v0, v[2:3]
	s_trap 2
.LBB3_1305:                             ;   in Loop: Header=BB3_1257 Depth=2
	s_or_b64 exec, exec, s[92:93]
	s_trap 2
	ds_read_b64 v[12:13], v0
	s_waitcnt lgkmcnt(0)
	v_lshl_add_u64 v[32:33], v[32:33], 0, v[36:37]
	v_cmp_lt_u64_e32 vcc, v[12:13], v[32:33]
	s_and_saveexec_b64 s[92:93], vcc
	s_cbranch_execz .LBB3_1314
; %bb.1306:                             ;   in Loop: Header=BB3_1257 Depth=2
	s_mov_b32 s89, 0
	s_mov_b64 s[94:95], 0
                                        ; implicit-def: $sgpr30_sgpr31
                                        ; implicit-def: $sgpr34_sgpr35
	s_branch .LBB3_1308
.LBB3_1307:                             ;   in Loop: Header=BB3_1308 Depth=3
	s_or_b64 exec, exec, s[38:39]
	s_and_b64 vcc, exec, vcc
	s_or_b64 s[94:95], vcc, s[94:95]
	s_andn2_b64 vcc, s[30:31], exec
	s_and_b64 s[30:31], s[34:35], exec
	s_or_b64 s[30:31], vcc, s[30:31]
	s_andn2_b64 exec, exec, s[94:95]
	s_cbranch_execz .LBB3_1312
.LBB3_1308:                             ;   Parent Loop BB3_47 Depth=1
                                        ;     Parent Loop BB3_1257 Depth=2
                                        ; =>    This Inner Loop Header: Depth=3
	s_add_i32 s89, s89, 1
	s_cmpk_lg_i32 s89, 0x2710
	s_cselect_b64 s[36:37], -1, 0
	s_and_b64 vcc, exec, s[36:37]
	s_cbranch_vccz .LBB3_1310
; %bb.1309:                             ;   in Loop: Header=BB3_1308 Depth=3
	s_mov_b64 vcc, -1
	s_or_b64 s[34:35], s[34:35], exec
	s_and_saveexec_b64 s[38:39], s[36:37]
	s_cbranch_execz .LBB3_1307
	s_branch .LBB3_1311
.LBB3_1310:                             ;   in Loop: Header=BB3_1308 Depth=3
	s_trap 2
	ds_read_b64 v[12:13], v0
	s_andn2_b64 s[36:37], s[36:37], exec
	s_mov_b32 s89, 0
	s_waitcnt vmcnt(0) lgkmcnt(0)
	flat_load_dword v2, v[12:13] sc0 sc1
	s_waitcnt vmcnt(0) lgkmcnt(0)
	buffer_inv sc0 sc1
	v_cmp_eq_u32_e32 vcc, 0, v2
	s_and_b64 vcc, vcc, exec
	s_or_b64 s[36:37], s[36:37], vcc
	s_mov_b64 vcc, -1
	s_or_b64 s[34:35], s[34:35], exec
	s_and_saveexec_b64 s[38:39], s[36:37]
	s_cbranch_execz .LBB3_1307
.LBB3_1311:                             ;   in Loop: Header=BB3_1308 Depth=3
	s_sleep 1
	s_trap 2
	ds_read_b64 v[12:13], v0
	s_waitcnt lgkmcnt(0)
	s_andn2_b64 s[34:35], s[34:35], exec
	v_cmp_ge_u64_e32 vcc, v[12:13], v[32:33]
	s_orn2_b64 vcc, vcc, exec
	s_branch .LBB3_1307
.LBB3_1312:                             ;   in Loop: Header=BB3_1257 Depth=2
	s_or_b64 exec, exec, s[94:95]
	s_and_saveexec_b64 s[94:95], s[30:31]
	s_xor_b64 s[94:95], exec, s[94:95]
	s_cbranch_execz .LBB3_1314
; %bb.1313:                             ;   in Loop: Header=BB3_1257 Depth=2
	ds_write_b32 v0, v61
	s_trap 2
.LBB3_1314:                             ;   in Loop: Header=BB3_1257 Depth=2
	s_or_b64 exec, exec, s[92:93]
	;;#ASMSTART
	s_wakeup
	;;#ASMEND
.LBB3_1315:                             ;   in Loop: Header=BB3_1257 Depth=2
	s_or_b64 exec, exec, s[90:91]
.LBB3_1316:                             ;   in Loop: Header=BB3_1257 Depth=2
	s_andn2_saveexec_b64 s[40:41], s[40:41]
	s_cbranch_execz .LBB3_1318
; %bb.1317:                             ;   in Loop: Header=BB3_1257 Depth=2
	s_waitcnt lgkmcnt(0)
	s_barrier
.LBB3_1318:                             ;   in Loop: Header=BB3_1257 Depth=2
	s_or_b64 exec, exec, s[40:41]
.LBB3_1319:                             ;   in Loop: Header=BB3_1257 Depth=2
	s_or_b64 exec, exec, s[22:23]
	s_trap 2
	ds_read_b64 v[12:13], v0
	v_sub_u32_e32 v2, v112, v8
	v_min_i32_e32 v113, v113, v2
	s_waitcnt lgkmcnt(0)
	v_cmp_eq_u64_e32 vcc, 0, v[12:13]
	s_cbranch_vccnz .LBB3_1327
; %bb.1320:                             ;   in Loop: Header=BB3_1257 Depth=2
	s_trap 2
	ds_read_b64 v[14:15], v0
	s_waitcnt lgkmcnt(0)
	v_cmp_eq_u64_e32 vcc, 0, v[14:15]
	s_cbranch_vccnz .LBB3_1327
; %bb.1321:                             ;   in Loop: Header=BB3_1257 Depth=2
	s_mov_b64 s[22:23], -1
	s_and_saveexec_b64 s[40:41], s[16:17]
	s_cbranch_execz .LBB3_1323
; %bb.1322:                             ;   in Loop: Header=BB3_1257 Depth=2
	ds_read_b32 v2, v0 offset:720
	s_waitcnt lgkmcnt(0)
	v_and_b32_e32 v2, 15, v2
	v_cmp_eq_u32_e32 vcc, 0, v2
	s_orn2_b64 s[22:23], vcc, exec
.LBB3_1323:                             ;   in Loop: Header=BB3_1257 Depth=2
	s_or_b64 exec, exec, s[40:41]
	s_and_saveexec_b64 s[40:41], s[14:15]
	s_cbranch_execz .LBB3_1325
; %bb.1324:                             ;   in Loop: Header=BB3_1257 Depth=2
	ds_read_b32 v2, v0 offset:784
	s_waitcnt lgkmcnt(0)
	v_and_b32_e32 v2, 15, v2
	v_cmp_eq_u32_e32 vcc, 0, v2
	s_and_b64 s[90:91], s[22:23], vcc
	s_andn2_b64 s[22:23], s[22:23], exec
	s_and_b64 s[90:91], s[90:91], exec
	s_or_b64 s[22:23], s[22:23], s[90:91]
.LBB3_1325:                             ;   in Loop: Header=BB3_1257 Depth=2
	s_or_b64 exec, exec, s[40:41]
	v_cmp_eq_u32_e32 vcc, 0, v9
	s_xor_b64 s[22:23], s[22:23], -1
	v_cndmask_b32_e64 v98, 0, 1, s[22:23]
	v_cndmask_b32_e32 v2, 0, v113, vcc
	v_lshlrev_b32_e32 v9, 1, v2
	s_mov_b64 s[90:91], -1
	v_cmp_ne_u32_e32 vcc, 0, v98
	v_mov_b32_e32 v114, 0
	s_cbranch_vccz .LBB3_1332
; %bb.1326:                             ;   in Loop: Header=BB3_1257 Depth=2
	v_mov_b32_e32 v115, v0
	s_and_saveexec_b64 s[22:23], s[90:91]
	s_cbranch_execnz .LBB3_1343
	s_branch .LBB3_1351
.LBB3_1327:                             ;   in Loop: Header=BB3_1257 Depth=2
	s_mov_b64 s[22:23], 0
	s_and_saveexec_b64 s[40:41], s[4:5]
	s_cbranch_execnz .LBB3_1352
.LBB3_1328:                             ;   in Loop: Header=BB3_1257 Depth=2
	s_or_b64 exec, exec, s[40:41]
	s_and_saveexec_b64 s[40:41], s[20:21]
	s_xor_b64 s[40:41], exec, s[40:41]
	s_cbranch_execz .LBB3_1370
.LBB3_1329:                             ;   in Loop: Header=BB3_1257 Depth=2
	v_and_b32_e32 v2, 16, v58
	v_cmp_ne_u32_e32 vcc, 0, v2
	s_and_b64 s[90:91], vcc, s[22:23]
	s_and_saveexec_b64 s[22:23], s[90:91]
	s_cbranch_execz .LBB3_1331
; %bb.1330:                             ;   in Loop: Header=BB3_1257 Depth=2
	buffer_wbl2 sc1
	s_waitcnt vmcnt(0) lgkmcnt(0)
	buffer_inv sc1
.LBB3_1331:                             ;   in Loop: Header=BB3_1257 Depth=2
	s_or_b64 exec, exec, s[22:23]
	s_andn2_saveexec_b64 s[22:23], s[40:41]
	s_cbranch_execz .LBB3_1389
	s_branch .LBB3_1371
.LBB3_1332:                             ;   in Loop: Header=BB3_1257 Depth=2
	v_ashrrev_i32_e32 v98, 31, v9
	v_lshrrev_b32_e32 v98, 21, v98
	v_add_u32_e32 v98, v9, v98
	v_ashrrev_i32_e32 v100, 11, v98
	v_sub_u32_e32 v101, v100, v60
	v_cmp_lt_i32_e32 vcc, 0, v101
	s_and_saveexec_b64 s[22:23], vcc
	s_cbranch_execz .LBB3_1336
; %bb.1333:                             ;   in Loop: Header=BB3_1257 Depth=2
	s_mov_b64 s[40:41], 0
	v_mov_b64_e32 v[98:99], v[68:69]
.LBB3_1334:                             ;   Parent Loop BB3_47 Depth=1
                                        ;     Parent Loop BB3_1257 Depth=2
                                        ; =>    This Inner Loop Header: Depth=3
	v_lshl_add_u64 v[102:103], v[12:13], 0, v[98:99]
	global_load_dwordx4 v[114:117], v[102:103], off nt
	global_load_dwordx4 v[40:43], v[102:103], off offset:1024 nt
	v_sub_u32_e32 v101, v101, v36
	v_cmp_gt_i32_e32 vcc, 1, v101
	v_lshl_add_u64 v[102:103], v[14:15], 0, v[98:99]
	v_lshl_add_u64 v[98:99], v[98:99], 0, v[52:53]
	s_or_b64 s[40:41], vcc, s[40:41]
	s_waitcnt vmcnt(0)
	global_store_dwordx4 v[102:103], v[114:117], off
	global_store_dwordx4 v[102:103], v[40:43], off offset:1024
	s_andn2_b64 exec, exec, s[40:41]
	s_cbranch_execnz .LBB3_1334
; %bb.1335:                             ;   in Loop: Header=BB3_1257 Depth=2
	s_or_b64 exec, exec, s[40:41]
.LBB3_1336:                             ;   in Loop: Header=BB3_1257 Depth=2
	s_or_b64 exec, exec, s[22:23]
	v_lshlrev_b32_e32 v100, 11, v100
	v_cmp_ne_u32_e32 vcc, v9, v100
	s_mov_b64 s[90:91], 0
	v_mov_b32_e32 v114, 0
                                        ; implicit-def: $vgpr115
	s_and_saveexec_b64 s[40:41], vcc
	s_cbranch_execz .LBB3_1342
; %bb.1337:                             ;   in Loop: Header=BB3_1257 Depth=2
	v_lshlrev_b32_e32 v98, 6, v101
	v_sub_u32_e32 v98, v59, v98
	v_sub_u32_e32 v99, v9, v100
	v_ashrrev_i32_e32 v101, 31, v98
	v_lshrrev_b32_e32 v101, 26, v101
	v_ashrrev_i32_e32 v102, 31, v99
	v_add_u32_e32 v101, v98, v101
	v_lshrrev_b32_e32 v102, 22, v102
	v_ashrrev_i32_e32 v115, 6, v101
	v_and_b32_e32 v101, 0xffffffc0, v101
	v_add_u32_e32 v102, v99, v102
	v_sub_u32_e32 v101, v98, v101
	v_ashrrev_i32_e32 v116, 10, v102
	v_and_b32_e32 v102, 0xfffffc00, v102
	v_lshlrev_b32_e32 v98, 4, v101
	v_sub_u32_e32 v103, v99, v102
	v_lshl_add_u32 v98, v115, 10, v98
	v_cmp_lt_i32_e32 vcc, 15, v103
	v_sub_u32_e32 v114, v99, v98
	s_nop 0
	v_addc_co_u32_e64 v99, s[22:23], 0, v116, vcc
	v_sub_u32_e32 v115, v99, v115
	v_cmp_lt_i32_e64 s[22:23], 15, v114
	s_and_saveexec_b64 s[90:91], s[22:23]
	s_cbranch_execz .LBB3_1341
; %bb.1338:                             ;   in Loop: Header=BB3_1257 Depth=2
	v_add_u32_e32 v98, v98, v100
	v_ashrrev_i32_e32 v99, 31, v98
	s_mov_b64 s[92:93], 0
.LBB3_1339:                             ;   Parent Loop BB3_47 Depth=1
                                        ;     Parent Loop BB3_1257 Depth=2
                                        ; =>    This Inner Loop Header: Depth=3
	v_lshl_add_u64 v[116:117], v[12:13], 0, v[98:99]
	global_load_dwordx4 v[116:119], v[116:117], off nt
	v_sub_u32_e32 v114, v114, v54
	v_cmp_gt_i32_e64 s[22:23], 16, v114
	v_lshl_add_u64 v[40:41], v[14:15], 0, v[98:99]
	v_sub_u32_e32 v115, v115, v36
	v_lshl_add_u64 v[98:99], v[98:99], 0, v[54:55]
	s_or_b64 s[92:93], s[22:23], s[92:93]
	s_waitcnt vmcnt(0)
	global_store_dwordx4 v[40:41], v[116:119], off
	s_andn2_b64 exec, exec, s[92:93]
	s_cbranch_execnz .LBB3_1339
; %bb.1340:                             ;   in Loop: Header=BB3_1257 Depth=2
	s_or_b64 exec, exec, s[92:93]
.LBB3_1341:                             ;   in Loop: Header=BB3_1257 Depth=2
	s_or_b64 exec, exec, s[90:91]
	v_and_b32_e32 v9, 14, v9
	v_sub_u32_e32 v98, v103, v9
	v_cndmask_b32_e32 v98, 0, v98, vcc
	v_cndmask_b32_e32 v9, v103, v9, vcc
	v_cmp_lt_i32_e32 vcc, 0, v115
	v_add3_u32 v114, v102, v100, v98
	s_nop 0
	v_cndmask_b32_e32 v98, 0, v36, vcc
	v_sub_u32_e32 v98, v98, v115
	v_cmp_ne_u32_e32 vcc, 0, v9
	v_lshl_add_u32 v115, v98, 6, v101
	s_and_b64 s[90:91], vcc, exec
.LBB3_1342:                             ;   in Loop: Header=BB3_1257 Depth=2
	s_or_b64 exec, exec, s[40:41]
	s_and_saveexec_b64 s[22:23], s[90:91]
	s_cbranch_execz .LBB3_1351
.LBB3_1343:                             ;   in Loop: Header=BB3_1257 Depth=2
	v_ashrrev_i32_e32 v98, 31, v115
	v_ashrrev_i32_e32 v99, 31, v9
	v_lshrrev_b32_e32 v98, 26, v98
	v_lshrrev_b32_e32 v99, 23, v99
	v_add_u32_e32 v98, v115, v98
	v_add_u32_e32 v99, v9, v99
	v_ashrrev_i32_e32 v116, 6, v98
	v_ashrrev_i32_e32 v118, 9, v99
	v_sub_u32_e32 v117, v118, v116
	v_cmp_lt_i32_e32 vcc, 0, v117
	s_and_saveexec_b64 s[40:41], vcc
	s_cbranch_execz .LBB3_1347
; %bb.1344:                             ;   in Loop: Header=BB3_1257 Depth=2
	v_and_b32_e32 v98, 0x7fffffc0, v98
	v_sub_u32_e32 v98, v115, v98
	v_lshlrev_b32_e32 v98, 1, v98
	v_lshlrev_b32_e32 v99, 9, v116
	v_add3_u32 v98, v98, v114, v99
	v_ashrrev_i32_e32 v99, 31, v98
	s_mov_b64 s[90:91], 0
	v_mov_b64_e32 v[100:101], v[14:15]
	v_mov_b64_e32 v[102:103], v[12:13]
.LBB3_1345:                             ;   Parent Loop BB3_47 Depth=1
                                        ;     Parent Loop BB3_1257 Depth=2
                                        ; =>    This Inner Loop Header: Depth=3
	v_lshl_add_u64 v[40:41], v[98:99], 0, v[102:103]
	flat_load_ushort v119, v[40:41] nt
	flat_load_ushort v42, v[40:41] offset:128 nt
	flat_load_ushort v43, v[40:41] offset:256 nt
	;; [unrolled: 1-line block ×3, first 2 shown]
	v_sub_u32_e32 v117, v117, v36
	v_cmp_gt_i32_e32 vcc, 1, v117
	v_lshl_add_u64 v[40:41], v[98:99], 0, v[100:101]
	v_lshl_add_u64 v[102:103], v[102:103], 0, v[64:65]
	;; [unrolled: 1-line block ×3, first 2 shown]
	s_or_b64 s[90:91], vcc, s[90:91]
	s_waitcnt vmcnt(0) lgkmcnt(0)
	flat_store_short v[40:41], v119 nt
	flat_store_short v[40:41], v42 offset:128 nt
	flat_store_short v[40:41], v43 offset:256 nt
	;; [unrolled: 1-line block ×3, first 2 shown]
	s_andn2_b64 exec, exec, s[90:91]
	s_cbranch_execnz .LBB3_1345
; %bb.1346:                             ;   in Loop: Header=BB3_1257 Depth=2
	s_or_b64 exec, exec, s[90:91]
.LBB3_1347:                             ;   in Loop: Header=BB3_1257 Depth=2
	s_or_b64 exec, exec, s[40:41]
	v_lshlrev_b32_e32 v98, 9, v118
	v_cmp_ne_u32_e32 vcc, v9, v98
	s_and_b64 exec, exec, vcc
	s_cbranch_execz .LBB3_1351
; %bb.1348:                             ;   in Loop: Header=BB3_1257 Depth=2
	v_lshlrev_b32_e32 v99, 6, v116
	v_sub_u32_e32 v99, v115, v99
	v_lshlrev_b32_e32 v100, 6, v117
	v_sub_u32_e32 v99, v99, v100
	v_ashrrev_i32_e32 v100, 31, v99
	v_lshrrev_b32_e32 v100, 26, v100
	v_add_u32_e32 v100, v99, v100
	v_and_b32_e32 v101, 0x7fffffc0, v100
	v_sub_u32_e32 v99, v99, v101
	v_lshlrev_b32_e32 v100, 1, v100
	v_and_b32_e32 v100, 0xffffff80, v100
	v_lshlrev_b32_e32 v99, 1, v99
	v_add3_u32 v98, v100, v99, v98
	v_sub_u32_e32 v9, v9, v98
	v_cmp_lt_i32_e32 vcc, 1, v9
	s_and_b64 exec, exec, vcc
	s_cbranch_execz .LBB3_1351
; %bb.1349:                             ;   in Loop: Header=BB3_1257 Depth=2
	v_add_u32_e32 v98, v98, v114
	v_ashrrev_i32_e32 v99, 31, v98
	s_mov_b64 s[40:41], 0
.LBB3_1350:                             ;   Parent Loop BB3_47 Depth=1
                                        ;     Parent Loop BB3_1257 Depth=2
                                        ; =>    This Inner Loop Header: Depth=3
	v_lshl_add_u64 v[100:101], v[12:13], 0, v[98:99]
	flat_load_ushort v102, v[100:101] nt
	v_sub_u32_e32 v9, v9, v66
	v_cmp_gt_i32_e32 vcc, 2, v9
	v_lshl_add_u64 v[100:101], v[14:15], 0, v[98:99]
	v_lshl_add_u64 v[98:99], v[98:99], 0, v[66:67]
	s_or_b64 s[40:41], vcc, s[40:41]
	s_waitcnt vmcnt(0) lgkmcnt(0)
	flat_store_short v[100:101], v102 nt
	s_andn2_b64 exec, exec, s[40:41]
	s_cbranch_execnz .LBB3_1350
.LBB3_1351:                             ;   in Loop: Header=BB3_1257 Depth=2
	s_or_b64 exec, exec, s[22:23]
	v_cmp_lt_i32_e64 s[22:23], 0, v2
	s_and_saveexec_b64 s[40:41], s[4:5]
	s_cbranch_execz .LBB3_1328
.LBB3_1352:                             ;   in Loop: Header=BB3_1257 Depth=2
	s_and_saveexec_b64 s[90:91], s[56:57]
	s_xor_b64 s[90:91], exec, s[90:91]
	s_cbranch_execz .LBB3_1367
; %bb.1353:                             ;   in Loop: Header=BB3_1257 Depth=2
	s_and_saveexec_b64 s[92:93], s[12:13]
	s_cbranch_execz .LBB3_1366
; %bb.1354:                             ;   in Loop: Header=BB3_1257 Depth=2
	s_mov_b64 s[30:31], exec
	v_mbcnt_lo_u32_b32 v2, s30, 0
	v_mbcnt_hi_u32_b32 v2, s31, v2
	v_cmp_eq_u32_e32 vcc, 0, v2
	s_waitcnt lgkmcnt(0)
	s_and_saveexec_b64 s[94:95], vcc
	s_cbranch_execz .LBB3_1356
; %bb.1355:                             ;   in Loop: Header=BB3_1257 Depth=2
	s_bcnt1_i32_b64 s89, s[30:31]
	v_mov_b32_e32 v2, s89
	ds_add_u64 v0, v[2:3]
	s_trap 2
.LBB3_1356:                             ;   in Loop: Header=BB3_1257 Depth=2
	s_or_b64 exec, exec, s[94:95]
	s_trap 2
	ds_read_b64 v[12:13], v0
	s_waitcnt lgkmcnt(0)
	v_lshl_add_u64 v[32:33], v[32:33], 0, v[36:37]
	v_cmp_lt_u64_e32 vcc, v[12:13], v[32:33]
	s_and_saveexec_b64 s[94:95], vcc
	s_cbranch_execz .LBB3_1365
; %bb.1357:                             ;   in Loop: Header=BB3_1257 Depth=2
	s_mov_b32 s89, 0
	s_mov_b64 s[30:31], 0
                                        ; implicit-def: $sgpr34_sgpr35
                                        ; implicit-def: $sgpr36_sgpr37
	s_branch .LBB3_1359
.LBB3_1358:                             ;   in Loop: Header=BB3_1359 Depth=3
	s_or_b64 exec, exec, s[48:49]
	s_and_b64 vcc, exec, vcc
	s_or_b64 s[30:31], vcc, s[30:31]
	s_andn2_b64 vcc, s[34:35], exec
	s_and_b64 s[34:35], s[36:37], exec
	s_or_b64 s[34:35], vcc, s[34:35]
	s_andn2_b64 exec, exec, s[30:31]
	s_cbranch_execz .LBB3_1363
.LBB3_1359:                             ;   Parent Loop BB3_47 Depth=1
                                        ;     Parent Loop BB3_1257 Depth=2
                                        ; =>    This Inner Loop Header: Depth=3
	s_add_i32 s89, s89, 1
	s_cmpk_lg_i32 s89, 0x2710
	s_cselect_b64 s[38:39], -1, 0
	s_and_b64 vcc, exec, s[38:39]
	s_cbranch_vccz .LBB3_1361
; %bb.1360:                             ;   in Loop: Header=BB3_1359 Depth=3
	s_mov_b64 vcc, -1
	s_or_b64 s[36:37], s[36:37], exec
	s_and_saveexec_b64 s[48:49], s[38:39]
	s_cbranch_execz .LBB3_1358
	s_branch .LBB3_1362
.LBB3_1361:                             ;   in Loop: Header=BB3_1359 Depth=3
	s_trap 2
	ds_read_b64 v[12:13], v0
	s_andn2_b64 s[38:39], s[38:39], exec
	s_mov_b32 s89, 0
	s_waitcnt vmcnt(0) lgkmcnt(0)
	flat_load_dword v2, v[12:13] sc0 sc1
	s_waitcnt vmcnt(0) lgkmcnt(0)
	buffer_inv sc0 sc1
	v_cmp_eq_u32_e32 vcc, 0, v2
	s_and_b64 vcc, vcc, exec
	s_or_b64 s[38:39], s[38:39], vcc
	s_mov_b64 vcc, -1
	s_or_b64 s[36:37], s[36:37], exec
	s_and_saveexec_b64 s[48:49], s[38:39]
	s_cbranch_execz .LBB3_1358
.LBB3_1362:                             ;   in Loop: Header=BB3_1359 Depth=3
	s_sleep 1
	s_trap 2
	ds_read_b64 v[12:13], v0
	s_waitcnt lgkmcnt(0)
	s_andn2_b64 s[36:37], s[36:37], exec
	v_cmp_ge_u64_e32 vcc, v[12:13], v[32:33]
	s_orn2_b64 vcc, vcc, exec
	s_branch .LBB3_1358
.LBB3_1363:                             ;   in Loop: Header=BB3_1257 Depth=2
	s_or_b64 exec, exec, s[30:31]
	s_and_saveexec_b64 vcc, s[34:35]
	s_xor_b64 vcc, exec, vcc
	s_cbranch_execz .LBB3_1365
; %bb.1364:                             ;   in Loop: Header=BB3_1257 Depth=2
	ds_write_b32 v0, v61
	s_trap 2
.LBB3_1365:                             ;   in Loop: Header=BB3_1257 Depth=2
	s_or_b64 exec, exec, s[94:95]
	;;#ASMSTART
	s_wakeup
	;;#ASMEND
.LBB3_1366:                             ;   in Loop: Header=BB3_1257 Depth=2
	s_or_b64 exec, exec, s[92:93]
.LBB3_1367:                             ;   in Loop: Header=BB3_1257 Depth=2
	s_andn2_saveexec_b64 s[90:91], s[90:91]
	s_cbranch_execz .LBB3_1369
; %bb.1368:                             ;   in Loop: Header=BB3_1257 Depth=2
	s_waitcnt lgkmcnt(0)
	s_barrier
.LBB3_1369:                             ;   in Loop: Header=BB3_1257 Depth=2
	s_or_b64 exec, exec, s[90:91]
	s_or_b64 exec, exec, s[40:41]
	s_and_saveexec_b64 s[40:41], s[20:21]
	s_xor_b64 s[40:41], exec, s[40:41]
	s_cbranch_execnz .LBB3_1329
.LBB3_1370:                             ;   in Loop: Header=BB3_1257 Depth=2
	s_andn2_saveexec_b64 s[22:23], s[40:41]
	s_cbranch_execz .LBB3_1389
.LBB3_1371:                             ;   in Loop: Header=BB3_1257 Depth=2
	s_and_saveexec_b64 s[40:41], s[56:57]
	s_xor_b64 s[40:41], exec, s[40:41]
	s_cbranch_execz .LBB3_1386
; %bb.1372:                             ;   in Loop: Header=BB3_1257 Depth=2
	s_and_saveexec_b64 s[90:91], s[12:13]
	s_cbranch_execz .LBB3_1385
; %bb.1373:                             ;   in Loop: Header=BB3_1257 Depth=2
	s_mov_b64 s[94:95], exec
	v_mbcnt_lo_u32_b32 v2, s94, 0
	v_mbcnt_hi_u32_b32 v2, s95, v2
	v_cmp_eq_u32_e32 vcc, 0, v2
	;;#ASMSTART
	s_waitcnt lgkmcnt(0) vmcnt(0)
	;;#ASMEND
	s_and_saveexec_b64 s[92:93], vcc
	s_cbranch_execz .LBB3_1375
; %bb.1374:                             ;   in Loop: Header=BB3_1257 Depth=2
	s_bcnt1_i32_b64 s89, s[94:95]
	v_mov_b32_e32 v2, s89
	s_waitcnt lgkmcnt(0)
	ds_add_u64 v0, v[2:3]
	s_trap 2
.LBB3_1375:                             ;   in Loop: Header=BB3_1257 Depth=2
	s_or_b64 exec, exec, s[92:93]
	s_trap 2
	ds_read_b64 v[12:13], v0
	s_waitcnt lgkmcnt(0)
	v_lshl_add_u64 v[32:33], v[32:33], 0, v[36:37]
	v_cmp_lt_u64_e32 vcc, v[12:13], v[32:33]
	s_and_saveexec_b64 s[92:93], vcc
	s_cbranch_execz .LBB3_1384
; %bb.1376:                             ;   in Loop: Header=BB3_1257 Depth=2
	s_mov_b32 s89, 0
	s_mov_b64 s[94:95], 0
                                        ; implicit-def: $sgpr30_sgpr31
                                        ; implicit-def: $sgpr34_sgpr35
	s_branch .LBB3_1378
.LBB3_1377:                             ;   in Loop: Header=BB3_1378 Depth=3
	s_or_b64 exec, exec, s[38:39]
	s_and_b64 vcc, exec, vcc
	s_or_b64 s[94:95], vcc, s[94:95]
	s_andn2_b64 vcc, s[30:31], exec
	s_and_b64 s[30:31], s[34:35], exec
	s_or_b64 s[30:31], vcc, s[30:31]
	s_andn2_b64 exec, exec, s[94:95]
	s_cbranch_execz .LBB3_1382
.LBB3_1378:                             ;   Parent Loop BB3_47 Depth=1
                                        ;     Parent Loop BB3_1257 Depth=2
                                        ; =>    This Inner Loop Header: Depth=3
	s_add_i32 s89, s89, 1
	s_cmpk_lg_i32 s89, 0x2710
	s_cselect_b64 s[36:37], -1, 0
	s_and_b64 vcc, exec, s[36:37]
	s_cbranch_vccz .LBB3_1380
; %bb.1379:                             ;   in Loop: Header=BB3_1378 Depth=3
	s_mov_b64 vcc, -1
	s_or_b64 s[34:35], s[34:35], exec
	s_and_saveexec_b64 s[38:39], s[36:37]
	s_cbranch_execz .LBB3_1377
	s_branch .LBB3_1381
.LBB3_1380:                             ;   in Loop: Header=BB3_1378 Depth=3
	s_trap 2
	ds_read_b64 v[12:13], v0
	s_andn2_b64 s[36:37], s[36:37], exec
	s_mov_b32 s89, 0
	s_waitcnt vmcnt(0) lgkmcnt(0)
	flat_load_dword v2, v[12:13] sc0 sc1
	s_waitcnt vmcnt(0) lgkmcnt(0)
	buffer_inv sc0 sc1
	v_cmp_eq_u32_e32 vcc, 0, v2
	s_and_b64 vcc, vcc, exec
	s_or_b64 s[36:37], s[36:37], vcc
	s_mov_b64 vcc, -1
	s_or_b64 s[34:35], s[34:35], exec
	s_and_saveexec_b64 s[38:39], s[36:37]
	s_cbranch_execz .LBB3_1377
.LBB3_1381:                             ;   in Loop: Header=BB3_1378 Depth=3
	s_sleep 1
	s_trap 2
	ds_read_b64 v[12:13], v0
	s_waitcnt lgkmcnt(0)
	s_andn2_b64 s[34:35], s[34:35], exec
	v_cmp_ge_u64_e32 vcc, v[12:13], v[32:33]
	s_orn2_b64 vcc, vcc, exec
	s_branch .LBB3_1377
.LBB3_1382:                             ;   in Loop: Header=BB3_1257 Depth=2
	s_or_b64 exec, exec, s[94:95]
	s_and_saveexec_b64 s[94:95], s[30:31]
	s_xor_b64 s[94:95], exec, s[94:95]
	s_cbranch_execz .LBB3_1384
; %bb.1383:                             ;   in Loop: Header=BB3_1257 Depth=2
	ds_write_b32 v0, v61
	s_trap 2
.LBB3_1384:                             ;   in Loop: Header=BB3_1257 Depth=2
	s_or_b64 exec, exec, s[92:93]
	;;#ASMSTART
	s_wakeup
	;;#ASMEND
.LBB3_1385:                             ;   in Loop: Header=BB3_1257 Depth=2
	s_or_b64 exec, exec, s[90:91]
.LBB3_1386:                             ;   in Loop: Header=BB3_1257 Depth=2
	s_andn2_saveexec_b64 s[40:41], s[40:41]
	s_cbranch_execz .LBB3_1388
; %bb.1387:                             ;   in Loop: Header=BB3_1257 Depth=2
	;;#ASMSTART
	s_waitcnt lgkmcnt(0) vmcnt(0)
	;;#ASMEND
	s_barrier
.LBB3_1388:                             ;   in Loop: Header=BB3_1257 Depth=2
	s_or_b64 exec, exec, s[40:41]
.LBB3_1389:                             ;   in Loop: Header=BB3_1257 Depth=2
	s_or_b64 exec, exec, s[22:23]
	v_and_b32_e32 v2, 32, v58
	v_cmp_ne_u32_e32 vcc, 0, v2
	s_and_saveexec_b64 s[22:23], vcc
	s_cbranch_execz .LBB3_1256
; %bb.1390:                             ;   in Loop: Header=BB3_1257 Depth=2
	v_lshl_add_u64 v[96:97], v[96:97], 0, 2
	flat_store_dwordx2 v[22:23], v[96:97] sc0 sc1
	s_branch .LBB3_1256
.LBB3_1391:                             ;   in Loop: Header=BB3_47 Depth=1
	s_or_b64 exec, exec, s[26:27]
.LBB3_1392:                             ;   in Loop: Header=BB3_47 Depth=1
	s_or_b64 exec, exec, s[24:25]
	v_cmp_gt_i32_e32 vcc, 2, v2
	s_and_saveexec_b64 s[24:25], vcc
	s_cbranch_execz .LBB3_46
; %bb.1393:                             ;   in Loop: Header=BB3_47 Depth=1
	v_cmp_eq_u32_e64 s[28:29], 0, v2
	s_mov_b64 s[26:27], 0
	s_branch .LBB3_1395
.LBB3_1394:                             ;   in Loop: Header=BB3_1395 Depth=2
	s_or_b64 exec, exec, s[22:23]
	v_add_u32_e32 v8, v113, v8
	s_mov_b64 s[28:29], 0
	s_andn2_b64 exec, exec, s[26:27]
	s_cbranch_execz .LBB3_45
.LBB3_1395:                             ;   Parent Loop BB3_47 Depth=1
                                        ; =>  This Loop Header: Depth=2
                                        ;       Child Loop BB3_1401 Depth 3
                                        ;       Child Loop BB3_1425 Depth 3
	;; [unrolled: 1-line block ×3, first 2 shown]
	v_and_b32_e32 v2, 4, v58
	v_cmp_ne_u32_e32 vcc, 0, v2
	s_and_saveexec_b64 s[40:41], vcc
	s_cbranch_execz .LBB3_1417
; %bb.1396:                             ;   in Loop: Header=BB3_1395 Depth=2
	v_lshl_add_u64 v[10:11], v[96:97], 0, 2
	s_waitcnt vmcnt(0) lgkmcnt(0)
	v_cmp_lt_u64_e32 vcc, v[34:35], v[10:11]
	s_and_saveexec_b64 s[90:91], vcc
	s_cbranch_execz .LBB3_1408
; %bb.1397:                             ;   in Loop: Header=BB3_1395 Depth=2
	v_and_b32_e32 v2, 64, v58
	s_mov_b32 s46, 0
	v_cmp_eq_u32_e32 vcc, 0, v2
	s_mov_b64 s[92:93], 0
                                        ; implicit-def: $sgpr94_sgpr95
                                        ; implicit-def: $sgpr30_sgpr31
                                        ; implicit-def: $sgpr34_sgpr35
	s_branch .LBB3_1401
.LBB3_1398:                             ;   in Loop: Header=BB3_1401 Depth=3
	s_waitcnt vmcnt(0) lgkmcnt(0)
	v_cmp_ge_u64_e64 s[22:23], v[34:35], v[10:11]
	s_or_b64 s[48:49], s[48:49], exec
	s_orn2_b64 s[38:39], s[22:23], exec
.LBB3_1399:                             ;   in Loop: Header=BB3_1401 Depth=3
	s_or_b64 exec, exec, s[52:53]
	s_andn2_b64 s[22:23], s[34:35], exec
	s_and_b64 s[34:35], s[48:49], exec
	s_or_b64 s[34:35], s[22:23], s[34:35]
	s_andn2_b64 s[22:23], s[30:31], exec
	s_and_b64 s[30:31], s[38:39], exec
	s_or_b64 s[30:31], s[22:23], s[30:31]
.LBB3_1400:                             ;   in Loop: Header=BB3_1401 Depth=3
	s_or_b64 exec, exec, s[36:37]
	s_and_b64 s[22:23], exec, s[30:31]
	s_or_b64 s[92:93], s[22:23], s[92:93]
	s_andn2_b64 s[22:23], s[94:95], exec
	s_and_b64 s[94:95], s[34:35], exec
	s_or_b64 s[94:95], s[22:23], s[94:95]
	s_andn2_b64 exec, exec, s[92:93]
	s_cbranch_execz .LBB3_1405
.LBB3_1401:                             ;   Parent Loop BB3_47 Depth=1
                                        ;     Parent Loop BB3_1395 Depth=2
                                        ; =>    This Inner Loop Header: Depth=3
	s_sleep 1
	s_waitcnt vmcnt(0) lgkmcnt(0)
	flat_load_dwordx2 v[34:35], v[22:23] sc0 sc1
	s_or_b64 s[34:35], s[34:35], exec
	s_or_b64 s[30:31], s[30:31], exec
                                        ; implicit-def: $vgpr2
	s_and_saveexec_b64 s[36:37], vcc
	s_cbranch_execz .LBB3_1400
; %bb.1402:                             ;   in Loop: Header=BB3_1401 Depth=3
	s_cmpk_lt_i32 s46, 0x270f
	s_cselect_b64 s[50:51], -1, 0
	s_cmpk_gt_i32 s46, 0x270e
	s_mov_b64 s[38:39], -1
	s_cbranch_scc0 .LBB3_1404
; %bb.1403:                             ;   in Loop: Header=BB3_1401 Depth=3
	s_trap 2
	ds_read_b64 v[12:13], v0
	s_andn2_b64 s[50:51], s[50:51], exec
	s_mov_b32 s46, 0
	s_mov_b64 s[48:49], 0
	s_waitcnt vmcnt(0) lgkmcnt(0)
	flat_load_dword v2, v[12:13] sc0 sc1
	s_waitcnt vmcnt(0) lgkmcnt(0)
	buffer_inv sc0 sc1
	v_cmp_eq_u32_e64 s[22:23], 0, v2
	s_and_b64 s[22:23], s[22:23], exec
	s_or_b64 s[50:51], s[50:51], s[22:23]
	s_and_saveexec_b64 s[52:53], s[50:51]
	s_cbranch_execz .LBB3_1399
	s_branch .LBB3_1398
.LBB3_1404:                             ;   in Loop: Header=BB3_1401 Depth=3
	s_add_i32 s46, s46, 1
	s_mov_b64 s[48:49], -1
                                        ; implicit-def: $vgpr2
	s_and_saveexec_b64 s[52:53], s[50:51]
	s_cbranch_execz .LBB3_1399
	s_branch .LBB3_1398
.LBB3_1405:                             ;   in Loop: Header=BB3_1395 Depth=2
	s_or_b64 exec, exec, s[92:93]
	s_xor_b64 s[22:23], s[94:95], -1
	s_and_saveexec_b64 s[92:93], s[22:23]
	s_xor_b64 s[22:23], exec, s[92:93]
	s_cbranch_execz .LBB3_1407
; %bb.1406:                             ;   in Loop: Header=BB3_1395 Depth=2
	v_or_b32_e32 v58, 64, v58
	s_waitcnt lgkmcnt(0)
	ds_write_b32 v0, v2
	s_trap 2
.LBB3_1407:                             ;   in Loop: Header=BB3_1395 Depth=2
	s_or_b64 exec, exec, s[22:23]
.LBB3_1408:                             ;   in Loop: Header=BB3_1395 Depth=2
	s_or_b64 exec, exec, s[90:91]
	v_and_b32_e32 v2, 0x100, v58
	v_cmp_ne_u32_e32 vcc, 0, v2
	v_and_b32_e32 v2, 7, v96
	s_mov_b64 s[22:23], -1
	;;#ASMSTART
	s_wakeup
	;;#ASMEND
                                        ; implicit-def: $vgpr12_vgpr13
	s_and_saveexec_b64 s[90:91], vcc
	s_cbranch_execz .LBB3_1412
; %bb.1409:                             ;   in Loop: Header=BB3_1395 Depth=2
	v_mad_u64_u32 v[14:15], s[22:23], v2, 24, v[6:7]
	flat_load_dword v9, v[14:15]
                                        ; implicit-def: $vgpr12_vgpr13
	s_waitcnt vmcnt(0) lgkmcnt(0)
	v_cmp_ne_u32_e32 vcc, 1, v9
	v_cmp_eq_u32_e64 s[22:23], 1, v9
	s_and_saveexec_b64 s[92:93], s[22:23]
	s_cbranch_execz .LBB3_1411
; %bb.1410:                             ;   in Loop: Header=BB3_1395 Depth=2
	flat_load_dword v12, v[14:15] offset:4 sc0 sc1
	s_waitcnt vmcnt(0) lgkmcnt(0)
	v_ashrrev_i32_e32 v13, 31, v12
	v_lshrrev_b64 v[12:13], 1, v[12:13]
.LBB3_1411:                             ;   in Loop: Header=BB3_1395 Depth=2
	s_or_b64 exec, exec, s[92:93]
	s_orn2_b64 s[22:23], vcc, exec
.LBB3_1412:                             ;   in Loop: Header=BB3_1395 Depth=2
	s_or_b64 exec, exec, s[90:91]
	s_and_saveexec_b64 s[90:91], s[22:23]
; %bb.1413:                             ;   in Loop: Header=BB3_1395 Depth=2
	v_mad_i64_i32 v[12:13], s[22:23], v2, v24, 0
; %bb.1414:                             ;   in Loop: Header=BB3_1395 Depth=2
	s_or_b64 exec, exec, s[90:91]
	v_and_b32_e32 v2, 0x2000, v58
	v_lshl_add_u64 v[12:13], v[12:13], 1, v[26:27]
	v_cmp_ne_u32_e32 vcc, 0, v2
	ds_write_b64 v0, v[12:13] offset:720
	s_and_saveexec_b64 s[22:23], vcc
	s_cbranch_execz .LBB3_1416
; %bb.1415:                             ;   in Loop: Header=BB3_1395 Depth=2
	ds_read_b64 v[12:13], v0 offset:872
	s_waitcnt lgkmcnt(0)
	v_lshl_add_u64 v[12:13], v[12:13], 0, 1
	ds_write_b64 v0, v[12:13] offset:872
.LBB3_1416:                             ;   in Loop: Header=BB3_1395 Depth=2
	s_or_b64 exec, exec, s[22:23]
	v_mov_b64_e32 v[96:97], v[10:11]
.LBB3_1417:                             ;   in Loop: Header=BB3_1395 Depth=2
	s_or_b64 exec, exec, s[40:41]
	s_xor_b64 s[22:23], s[28:29], -1
	s_and_b64 s[22:23], exec, s[22:23]
	s_or_b64 s[26:27], s[22:23], s[26:27]
	s_and_saveexec_b64 s[22:23], s[4:5]
	s_cbranch_execz .LBB3_1436
; %bb.1418:                             ;   in Loop: Header=BB3_1395 Depth=2
	s_and_saveexec_b64 s[28:29], s[56:57]
	s_xor_b64 s[28:29], exec, s[28:29]
	s_cbranch_execz .LBB3_1433
; %bb.1419:                             ;   in Loop: Header=BB3_1395 Depth=2
	s_and_saveexec_b64 s[40:41], s[12:13]
	s_cbranch_execz .LBB3_1432
; %bb.1420:                             ;   in Loop: Header=BB3_1395 Depth=2
	s_mov_b64 s[92:93], exec
	v_mbcnt_lo_u32_b32 v2, s92, 0
	v_mbcnt_hi_u32_b32 v2, s93, v2
	v_cmp_eq_u32_e32 vcc, 0, v2
	s_waitcnt lgkmcnt(0)
	s_and_saveexec_b64 s[90:91], vcc
	s_cbranch_execz .LBB3_1422
; %bb.1421:                             ;   in Loop: Header=BB3_1395 Depth=2
	s_bcnt1_i32_b64 s46, s[92:93]
	v_mov_b32_e32 v2, s46
	ds_add_u64 v0, v[2:3]
	s_trap 2
.LBB3_1422:                             ;   in Loop: Header=BB3_1395 Depth=2
	s_or_b64 exec, exec, s[90:91]
	s_trap 2
	ds_read_b64 v[10:11], v0
	s_waitcnt lgkmcnt(0)
	v_lshl_add_u64 v[32:33], v[32:33], 0, v[36:37]
	v_cmp_lt_u64_e32 vcc, v[10:11], v[32:33]
	s_and_saveexec_b64 s[90:91], vcc
	s_cbranch_execz .LBB3_1431
; %bb.1423:                             ;   in Loop: Header=BB3_1395 Depth=2
	s_mov_b32 s46, 0
	s_mov_b64 s[92:93], 0
                                        ; implicit-def: $sgpr94_sgpr95
                                        ; implicit-def: $sgpr30_sgpr31
	s_branch .LBB3_1425
.LBB3_1424:                             ;   in Loop: Header=BB3_1425 Depth=3
	s_or_b64 exec, exec, s[36:37]
	s_and_b64 vcc, exec, vcc
	s_or_b64 s[92:93], vcc, s[92:93]
	s_andn2_b64 s[94:95], s[94:95], exec
	s_and_b64 vcc, s[30:31], exec
	s_or_b64 s[94:95], s[94:95], vcc
	s_andn2_b64 exec, exec, s[92:93]
	s_cbranch_execz .LBB3_1429
.LBB3_1425:                             ;   Parent Loop BB3_47 Depth=1
                                        ;     Parent Loop BB3_1395 Depth=2
                                        ; =>    This Inner Loop Header: Depth=3
	s_add_i32 s46, s46, 1
	s_cmpk_lg_i32 s46, 0x2710
	s_cselect_b64 s[34:35], -1, 0
	s_and_b64 vcc, exec, s[34:35]
	s_cbranch_vccz .LBB3_1427
; %bb.1426:                             ;   in Loop: Header=BB3_1425 Depth=3
	s_mov_b64 vcc, -1
	s_or_b64 s[30:31], s[30:31], exec
	s_and_saveexec_b64 s[36:37], s[34:35]
	s_cbranch_execz .LBB3_1424
	s_branch .LBB3_1428
.LBB3_1427:                             ;   in Loop: Header=BB3_1425 Depth=3
	s_trap 2
	ds_read_b64 v[10:11], v0
	s_andn2_b64 s[34:35], s[34:35], exec
	s_mov_b32 s46, 0
	s_waitcnt vmcnt(0) lgkmcnt(0)
	flat_load_dword v2, v[10:11] sc0 sc1
	s_waitcnt vmcnt(0) lgkmcnt(0)
	buffer_inv sc0 sc1
	v_cmp_eq_u32_e32 vcc, 0, v2
	s_and_b64 vcc, vcc, exec
	s_or_b64 s[34:35], s[34:35], vcc
	s_mov_b64 vcc, -1
	s_or_b64 s[30:31], s[30:31], exec
	s_and_saveexec_b64 s[36:37], s[34:35]
	s_cbranch_execz .LBB3_1424
.LBB3_1428:                             ;   in Loop: Header=BB3_1425 Depth=3
	s_sleep 1
	s_trap 2
	ds_read_b64 v[10:11], v0
	s_waitcnt lgkmcnt(0)
	s_andn2_b64 s[30:31], s[30:31], exec
	v_cmp_ge_u64_e32 vcc, v[10:11], v[32:33]
	s_orn2_b64 vcc, vcc, exec
	s_branch .LBB3_1424
.LBB3_1429:                             ;   in Loop: Header=BB3_1395 Depth=2
	s_or_b64 exec, exec, s[92:93]
	s_and_saveexec_b64 s[92:93], s[94:95]
	s_xor_b64 s[92:93], exec, s[92:93]
	s_cbranch_execz .LBB3_1431
; %bb.1430:                             ;   in Loop: Header=BB3_1395 Depth=2
	ds_write_b32 v0, v61
	s_trap 2
.LBB3_1431:                             ;   in Loop: Header=BB3_1395 Depth=2
	s_or_b64 exec, exec, s[90:91]
	;;#ASMSTART
	s_wakeup
	;;#ASMEND
.LBB3_1432:                             ;   in Loop: Header=BB3_1395 Depth=2
	s_or_b64 exec, exec, s[40:41]
.LBB3_1433:                             ;   in Loop: Header=BB3_1395 Depth=2
	s_andn2_saveexec_b64 s[28:29], s[28:29]
	s_cbranch_execz .LBB3_1435
; %bb.1434:                             ;   in Loop: Header=BB3_1395 Depth=2
	s_waitcnt lgkmcnt(0)
	s_barrier
.LBB3_1435:                             ;   in Loop: Header=BB3_1395 Depth=2
	s_or_b64 exec, exec, s[28:29]
.LBB3_1436:                             ;   in Loop: Header=BB3_1395 Depth=2
	s_or_b64 exec, exec, s[22:23]
	v_sub_u32_e32 v2, v112, v8
	v_min_i32_e32 v113, v113, v2
	s_and_saveexec_b64 s[22:23], s[20:21]
	s_xor_b64 s[22:23], exec, s[22:23]
	s_cbranch_execz .LBB3_1440
; %bb.1437:                             ;   in Loop: Header=BB3_1395 Depth=2
	s_trap 2
	ds_read_b32 v2, v0
	v_cmp_lt_i32_e32 vcc, 0, v113
	v_and_b32_e32 v9, 16, v58
	s_waitcnt lgkmcnt(0)
	v_readfirstlane_b32 s28, v2
	s_cmp_eq_u32 s28, 0
	s_cselect_b64 s[28:29], -1, 0
	s_and_b64 s[28:29], vcc, s[28:29]
	v_cmp_ne_u32_e32 vcc, 0, v9
	s_and_b64 s[40:41], vcc, s[28:29]
	s_and_saveexec_b64 s[28:29], s[40:41]
	s_cbranch_execz .LBB3_1439
; %bb.1438:                             ;   in Loop: Header=BB3_1395 Depth=2
	buffer_wbl2 sc1
	s_waitcnt vmcnt(0)
	buffer_inv sc1
.LBB3_1439:                             ;   in Loop: Header=BB3_1395 Depth=2
	s_or_b64 exec, exec, s[28:29]
.LBB3_1440:                             ;   in Loop: Header=BB3_1395 Depth=2
	s_andn2_saveexec_b64 s[22:23], s[22:23]
	s_cbranch_execz .LBB3_1459
; %bb.1441:                             ;   in Loop: Header=BB3_1395 Depth=2
	s_and_saveexec_b64 s[28:29], s[56:57]
	s_xor_b64 s[28:29], exec, s[28:29]
	s_cbranch_execz .LBB3_1456
; %bb.1442:                             ;   in Loop: Header=BB3_1395 Depth=2
	s_and_saveexec_b64 s[40:41], s[12:13]
	s_cbranch_execz .LBB3_1455
; %bb.1443:                             ;   in Loop: Header=BB3_1395 Depth=2
	s_mov_b64 s[92:93], exec
	v_mbcnt_lo_u32_b32 v2, s92, 0
	v_mbcnt_hi_u32_b32 v2, s93, v2
	v_cmp_eq_u32_e32 vcc, 0, v2
	;;#ASMSTART
	s_waitcnt lgkmcnt(0) vmcnt(0)
	;;#ASMEND
	s_and_saveexec_b64 s[90:91], vcc
	s_cbranch_execz .LBB3_1445
; %bb.1444:                             ;   in Loop: Header=BB3_1395 Depth=2
	s_bcnt1_i32_b64 s46, s[92:93]
	v_mov_b32_e32 v2, s46
	s_waitcnt lgkmcnt(0)
	ds_add_u64 v0, v[2:3]
	s_trap 2
.LBB3_1445:                             ;   in Loop: Header=BB3_1395 Depth=2
	s_or_b64 exec, exec, s[90:91]
	s_trap 2
	ds_read_b64 v[10:11], v0
	s_waitcnt lgkmcnt(0)
	v_lshl_add_u64 v[32:33], v[32:33], 0, v[36:37]
	v_cmp_lt_u64_e32 vcc, v[10:11], v[32:33]
	s_and_saveexec_b64 s[90:91], vcc
	s_cbranch_execz .LBB3_1454
; %bb.1446:                             ;   in Loop: Header=BB3_1395 Depth=2
	s_mov_b32 s46, 0
	s_mov_b64 s[92:93], 0
                                        ; implicit-def: $sgpr94_sgpr95
                                        ; implicit-def: $sgpr30_sgpr31
	s_branch .LBB3_1448
.LBB3_1447:                             ;   in Loop: Header=BB3_1448 Depth=3
	s_or_b64 exec, exec, s[36:37]
	s_and_b64 vcc, exec, vcc
	s_or_b64 s[92:93], vcc, s[92:93]
	s_andn2_b64 s[94:95], s[94:95], exec
	s_and_b64 vcc, s[30:31], exec
	s_or_b64 s[94:95], s[94:95], vcc
	s_andn2_b64 exec, exec, s[92:93]
	s_cbranch_execz .LBB3_1452
.LBB3_1448:                             ;   Parent Loop BB3_47 Depth=1
                                        ;     Parent Loop BB3_1395 Depth=2
                                        ; =>    This Inner Loop Header: Depth=3
	s_add_i32 s46, s46, 1
	s_cmpk_lg_i32 s46, 0x2710
	s_cselect_b64 s[34:35], -1, 0
	s_and_b64 vcc, exec, s[34:35]
	s_cbranch_vccz .LBB3_1450
; %bb.1449:                             ;   in Loop: Header=BB3_1448 Depth=3
	s_mov_b64 vcc, -1
	s_or_b64 s[30:31], s[30:31], exec
	s_and_saveexec_b64 s[36:37], s[34:35]
	s_cbranch_execz .LBB3_1447
	s_branch .LBB3_1451
.LBB3_1450:                             ;   in Loop: Header=BB3_1448 Depth=3
	s_trap 2
	ds_read_b64 v[10:11], v0
	s_andn2_b64 s[34:35], s[34:35], exec
	s_mov_b32 s46, 0
	s_waitcnt vmcnt(0) lgkmcnt(0)
	flat_load_dword v2, v[10:11] sc0 sc1
	s_waitcnt vmcnt(0) lgkmcnt(0)
	buffer_inv sc0 sc1
	v_cmp_eq_u32_e32 vcc, 0, v2
	s_and_b64 vcc, vcc, exec
	s_or_b64 s[34:35], s[34:35], vcc
	s_mov_b64 vcc, -1
	s_or_b64 s[30:31], s[30:31], exec
	s_and_saveexec_b64 s[36:37], s[34:35]
	s_cbranch_execz .LBB3_1447
.LBB3_1451:                             ;   in Loop: Header=BB3_1448 Depth=3
	s_sleep 1
	s_trap 2
	ds_read_b64 v[10:11], v0
	s_waitcnt lgkmcnt(0)
	s_andn2_b64 s[30:31], s[30:31], exec
	v_cmp_ge_u64_e32 vcc, v[10:11], v[32:33]
	s_orn2_b64 vcc, vcc, exec
	s_branch .LBB3_1447
.LBB3_1452:                             ;   in Loop: Header=BB3_1395 Depth=2
	s_or_b64 exec, exec, s[92:93]
	s_and_saveexec_b64 s[92:93], s[94:95]
	s_xor_b64 s[92:93], exec, s[92:93]
	s_cbranch_execz .LBB3_1454
; %bb.1453:                             ;   in Loop: Header=BB3_1395 Depth=2
	ds_write_b32 v0, v61
	s_trap 2
.LBB3_1454:                             ;   in Loop: Header=BB3_1395 Depth=2
	s_or_b64 exec, exec, s[90:91]
	;;#ASMSTART
	s_wakeup
	;;#ASMEND
.LBB3_1455:                             ;   in Loop: Header=BB3_1395 Depth=2
	s_or_b64 exec, exec, s[40:41]
.LBB3_1456:                             ;   in Loop: Header=BB3_1395 Depth=2
	s_andn2_saveexec_b64 s[28:29], s[28:29]
	s_cbranch_execz .LBB3_1458
; %bb.1457:                             ;   in Loop: Header=BB3_1395 Depth=2
	;;#ASMSTART
	s_waitcnt lgkmcnt(0) vmcnt(0)
	;;#ASMEND
	s_barrier
.LBB3_1458:                             ;   in Loop: Header=BB3_1395 Depth=2
	s_or_b64 exec, exec, s[28:29]
.LBB3_1459:                             ;   in Loop: Header=BB3_1395 Depth=2
	s_or_b64 exec, exec, s[22:23]
	v_and_b32_e32 v2, 32, v58
	v_cmp_ne_u32_e32 vcc, 0, v2
	s_and_saveexec_b64 s[22:23], vcc
	s_cbranch_execz .LBB3_1394
; %bb.1460:                             ;   in Loop: Header=BB3_1395 Depth=2
	v_lshl_add_u64 v[96:97], v[96:97], 0, 2
	flat_store_dwordx2 v[22:23], v[96:97] sc0 sc1
	s_branch .LBB3_1394
.LBB3_1461:
	s_or_b64 exec, exec, s[58:59]
.LBB3_1462:
	s_or_b64 exec, exec, s[44:45]
	v_and_b32_e32 v0, 0x800, v58
	v_cmp_eq_u32_e32 vcc, 0, v0
	s_and_saveexec_b64 s[2:3], vcc
	s_cbranch_execz .LBB3_1495
; %bb.1463:
	v_and_b32_e32 v0, 48, v58
	v_cmp_ne_u32_e32 vcc, 0, v0
	s_and_saveexec_b64 s[0:1], vcc
	s_cbranch_execz .LBB3_1465
; %bb.1464:
	flat_store_dwordx2 v[20:21], v[96:97] offset:104
.LBB3_1465:
	s_or_b64 exec, exec, s[0:1]
	s_movk_i32 s0, 0x88
	v_and_b32_e32 v0, 0x88, v58
	v_cmp_eq_u32_e32 vcc, s0, v0
	s_and_saveexec_b64 s[4:5], vcc
	s_cbranch_execz .LBB3_1475
; %bb.1466:
	v_add_u32_e32 v0, 6, v96
	v_and_b32_e32 v0, 7, v0
	v_mad_u64_u32 v[2:3], s[0:1], v0, 24, v[6:7]
	flat_load_dwordx2 v[4:5], v[2:3] offset:8 sc0 sc1
	s_waitcnt vmcnt(0)
	v_and_b32_e32 v0, 64, v58
	v_cmp_eq_u32_e64 s[0:1], 0, v0
	s_mov_b32 s18, 0
	s_waitcnt lgkmcnt(0)
	v_cmp_ne_u64_e32 vcc, -1, v[4:5]
	s_and_b64 s[0:1], vcc, s[0:1]
	s_and_b64 exec, exec, s[0:1]
	s_cbranch_execz .LBB3_1475
; %bb.1467:
	s_mov_b64 s[0:1], 0
                                        ; implicit-def: $sgpr6_sgpr7
                                        ; implicit-def: $sgpr10_sgpr11
	s_branch .LBB3_1470
.LBB3_1468:                             ;   in Loop: Header=BB3_1470 Depth=1
	flat_load_dwordx2 v[4:5], v[2:3] offset:8 sc0 sc1
	s_waitcnt vmcnt(0)
	s_andn2_b64 s[10:11], s[10:11], exec
	s_waitcnt lgkmcnt(0)
	v_cmp_eq_u64_e32 vcc, -1, v[4:5]
	s_orn2_b64 s[14:15], vcc, exec
.LBB3_1469:                             ;   in Loop: Header=BB3_1470 Depth=1
	s_or_b64 exec, exec, s[16:17]
	s_and_b64 s[12:13], exec, s[14:15]
	s_or_b64 s[0:1], s[12:13], s[0:1]
	s_andn2_b64 s[6:7], s[6:7], exec
	s_and_b64 s[12:13], s[10:11], exec
	s_or_b64 s[6:7], s[6:7], s[12:13]
	s_andn2_b64 exec, exec, s[0:1]
	s_cbranch_execz .LBB3_1473
.LBB3_1470:                             ; =>This Inner Loop Header: Depth=1
	s_cmpk_lt_i32 s18, 0x270f
	s_cselect_b64 s[12:13], -1, 0
	s_and_b64 vcc, exec, s[12:13]
	s_cbranch_vccnz .LBB3_1472
; %bb.1471:                             ;   in Loop: Header=BB3_1470 Depth=1
	s_trap 2
	ds_read_b64 v[4:5], v0
	s_andn2_b64 s[12:13], s[12:13], exec
	s_mov_b32 s18, 0
	s_waitcnt lgkmcnt(0)
	flat_load_dword v0, v[4:5] sc0 sc1
	s_waitcnt vmcnt(0) lgkmcnt(0)
	buffer_inv sc0 sc1
	v_cmp_eq_u32_e32 vcc, 0, v0
	s_and_b64 s[14:15], vcc, exec
	s_or_b64 s[12:13], s[12:13], s[14:15]
	s_mov_b64 s[14:15], -1
	s_or_b64 s[10:11], s[10:11], exec
	s_and_saveexec_b64 s[16:17], s[12:13]
	s_cbranch_execz .LBB3_1469
	s_branch .LBB3_1468
.LBB3_1472:                             ;   in Loop: Header=BB3_1470 Depth=1
	s_add_i32 s18, s18, 1
                                        ; implicit-def: $vgpr0
	s_mov_b64 s[14:15], -1
	s_or_b64 s[10:11], s[10:11], exec
	s_and_saveexec_b64 s[16:17], s[12:13]
	s_cbranch_execz .LBB3_1469
	s_branch .LBB3_1468
.LBB3_1473:
	s_or_b64 exec, exec, s[0:1]
	s_and_saveexec_b64 s[0:1], s[6:7]
	s_xor_b64 s[0:1], exec, s[0:1]
	s_cbranch_execz .LBB3_1475
; %bb.1474:
	ds_write_b32 v0, v0
	s_trap 2
.LBB3_1475:
	s_or_b64 exec, exec, s[4:5]
	v_and_b32_e32 v0, 0x2000, v58
	v_cmp_ne_u32_e32 vcc, 0, v0
	s_and_saveexec_b64 s[0:1], vcc
	s_cbranch_execz .LBB3_1477
; %bb.1476:
	s_trap 2
	ds_read_b64 v[2:3], v0
	s_waitcnt lgkmcnt(0)
	flat_store_dwordx2 v[18:19], v[2:3] offset:16
.LBB3_1477:
	s_or_b64 exec, exec, s[0:1]
	v_cmp_ne_u32_e32 vcc, 64, v1
	s_and_b64 exec, exec, vcc
	s_cbranch_execz .LBB3_1495
; %bb.1478:
	v_cmp_ne_u32_sdwa s[0:1], v1, v30 src0_sel:DWORD src1_sel:WORD_0
	s_and_saveexec_b64 s[4:5], s[0:1]
	s_xor_b64 s[0:1], exec, s[4:5]
	s_cbranch_execz .LBB3_1493
; %bb.1479:
	v_and_b32_e32 v0, 63, v31
	v_cmp_eq_u32_e32 vcc, 0, v0
	s_and_saveexec_b64 s[4:5], vcc
	s_cbranch_execz .LBB3_1492
; %bb.1480:
	s_mov_b64 s[10:11], exec
	v_mbcnt_lo_u32_b32 v0, s10, 0
	v_mbcnt_hi_u32_b32 v0, s11, v0
	v_cmp_eq_u32_e32 vcc, 0, v0
	s_waitcnt lgkmcnt(0)
	s_and_saveexec_b64 s[6:7], vcc
	s_cbranch_execz .LBB3_1482
; %bb.1481:
	s_bcnt1_i32_b64 s10, s[10:11]
	v_mov_b32_e32 v2, s10
	v_mov_b32_e32 v3, 0
	ds_add_u64 v0, v[2:3]
	s_trap 2
.LBB3_1482:
	s_or_b64 exec, exec, s[6:7]
	s_trap 2
	ds_read_b64 v[2:3], v0
	s_waitcnt lgkmcnt(0)
	v_lshrrev_b32_e32 v0, 6, v1
	v_mov_b32_e32 v1, 0
	v_lshl_add_u64 v[0:1], v[32:33], 0, v[0:1]
	v_cmp_lt_u64_e32 vcc, v[2:3], v[0:1]
	s_and_saveexec_b64 s[6:7], vcc
	s_cbranch_execz .LBB3_1491
; %bb.1483:
	s_mov_b32 s22, 0
	s_mov_b64 s[10:11], 0
                                        ; implicit-def: $sgpr12_sgpr13
                                        ; implicit-def: $sgpr14_sgpr15
	s_branch .LBB3_1485
.LBB3_1484:                             ;   in Loop: Header=BB3_1485 Depth=1
	s_or_b64 exec, exec, s[18:19]
	s_and_b64 s[16:17], exec, s[20:21]
	s_or_b64 s[10:11], s[16:17], s[10:11]
	s_andn2_b64 s[12:13], s[12:13], exec
	s_and_b64 s[16:17], s[14:15], exec
	s_or_b64 s[12:13], s[12:13], s[16:17]
	s_andn2_b64 exec, exec, s[10:11]
	s_cbranch_execz .LBB3_1489
.LBB3_1485:                             ; =>This Inner Loop Header: Depth=1
	s_add_i32 s22, s22, 1
	s_cmpk_lg_i32 s22, 0x2710
	s_cselect_b64 s[16:17], -1, 0
	s_and_b64 vcc, exec, s[16:17]
	s_cbranch_vccz .LBB3_1487
; %bb.1486:                             ;   in Loop: Header=BB3_1485 Depth=1
	s_mov_b64 s[20:21], -1
	s_or_b64 s[14:15], s[14:15], exec
	s_and_saveexec_b64 s[18:19], s[16:17]
	s_cbranch_execz .LBB3_1484
	s_branch .LBB3_1488
.LBB3_1487:                             ;   in Loop: Header=BB3_1485 Depth=1
	s_trap 2
	ds_read_b64 v[2:3], v0
	s_andn2_b64 s[16:17], s[16:17], exec
	s_mov_b32 s22, 0
	s_waitcnt vmcnt(0) lgkmcnt(0)
	flat_load_dword v2, v[2:3] sc0 sc1
	s_waitcnt vmcnt(0) lgkmcnt(0)
	buffer_inv sc0 sc1
	v_cmp_eq_u32_e32 vcc, 0, v2
	s_and_b64 s[18:19], vcc, exec
	s_or_b64 s[16:17], s[16:17], s[18:19]
	s_mov_b64 s[20:21], -1
	s_or_b64 s[14:15], s[14:15], exec
	s_and_saveexec_b64 s[18:19], s[16:17]
	s_cbranch_execz .LBB3_1484
.LBB3_1488:                             ;   in Loop: Header=BB3_1485 Depth=1
	s_sleep 1
	s_trap 2
	ds_read_b64 v[2:3], v0
	s_waitcnt lgkmcnt(0)
	s_andn2_b64 s[14:15], s[14:15], exec
	v_cmp_ge_u64_e32 vcc, v[2:3], v[0:1]
	s_orn2_b64 s[20:21], vcc, exec
	s_branch .LBB3_1484
.LBB3_1489:
	s_or_b64 exec, exec, s[10:11]
	s_and_saveexec_b64 s[10:11], s[12:13]
	s_xor_b64 s[10:11], exec, s[10:11]
	s_cbranch_execz .LBB3_1491
; %bb.1490:
	v_mov_b32_e32 v0, 1
	ds_write_b32 v0, v0
	s_trap 2
.LBB3_1491:
	s_or_b64 exec, exec, s[6:7]
	;;#ASMSTART
	s_wakeup
	;;#ASMEND
.LBB3_1492:
	s_or_b64 exec, exec, s[4:5]
.LBB3_1493:
	s_andn2_saveexec_b64 s[0:1], s[0:1]
	s_cbranch_execz .LBB3_1495
; %bb.1494:
	s_waitcnt lgkmcnt(0)
	s_barrier
.LBB3_1495:
	s_or_b64 exec, exec, s[2:3]
.LBB3_1496:
	s_andn2_saveexec_b64 s[22:23], s[42:43]
	s_cbranch_execz .LBB3_1498
; %bb.1497:
	s_getpc_b64 s[0:1]
	s_add_u32 s0, s0, __PRETTY_FUNCTION__._ZN10PrimitivesI12hip_bfloat1610FuncMinMaxIS0_E12FanSymmetricILi1EELi0E11ProtoSimpleILi2ELi2ELi0ELi1ELi0ELi0EELi0ELb0ELi0ELi0ELi0EEC2EiiPKiS9_PKvPvmhhhP15ncclDevWorkCollP14ncclDevWorkP2pii@rel32@lo+4
	s_addc_u32 s1, s1, __PRETTY_FUNCTION__._ZN10PrimitivesI12hip_bfloat1610FuncMinMaxIS0_E12FanSymmetricILi1EELi0E11ProtoSimpleILi2ELi2ELi0ELi1ELi0ELi0EELi0ELb0ELi0ELi0ELi0EEC2EiiPKiS9_PKvPvmhhhP15ncclDevWorkCollP14ncclDevWorkP2pii@rel32@hi+12
	s_getpc_b64 s[2:3]
	s_add_u32 s2, s2, __assert_fail@rel32@lo+4
	s_addc_u32 s3, s3, __assert_fail@rel32@hi+12
	v_mov_b32_e32 v0, s0
	v_mov_b32_e32 v1, s1
	s_swappc_b64 s[30:31], s[2:3]
	; divergent unreachable
.LBB3_1498:
	s_or_b64 exec, exec, s[22:23]
	scratch_load_dword v93, off, s33        ; 4-byte Folded Reload
	scratch_load_dword v92, off, s33 offset:4 ; 4-byte Folded Reload
	scratch_load_dword v91, off, s33 offset:8 ; 4-byte Folded Reload
	scratch_load_dword v90, off, s33 offset:12 ; 4-byte Folded Reload
	scratch_load_dword v89, off, s33 offset:16 ; 4-byte Folded Reload
	scratch_load_dword v88, off, s33 offset:20 ; 4-byte Folded Reload
	scratch_load_dword v79, off, s33 offset:24 ; 4-byte Folded Reload
	scratch_load_dword v78, off, s33 offset:28 ; 4-byte Folded Reload
	scratch_load_dword v77, off, s33 offset:32 ; 4-byte Folded Reload
	scratch_load_dword v76, off, s33 offset:36 ; 4-byte Folded Reload
	scratch_load_dword v75, off, s33 offset:40 ; 4-byte Folded Reload
	scratch_load_dword v74, off, s33 offset:44 ; 4-byte Folded Reload
	scratch_load_dword v73, off, s33 offset:48 ; 4-byte Folded Reload
	scratch_load_dword v72, off, s33 offset:52 ; 4-byte Folded Reload
	scratch_load_dword v63, off, s33 offset:56 ; 4-byte Folded Reload
	scratch_load_dword v62, off, s33 offset:60 ; 4-byte Folded Reload
	scratch_load_dword v61, off, s33 offset:64 ; 4-byte Folded Reload
	scratch_load_dword v60, off, s33 offset:68 ; 4-byte Folded Reload
	scratch_load_dword v59, off, s33 offset:72 ; 4-byte Folded Reload
	scratch_load_dword v58, off, s33 offset:76 ; 4-byte Folded Reload
	scratch_load_dword v57, off, s33 offset:80 ; 4-byte Folded Reload
	scratch_load_dword v56, off, s33 offset:84 ; 4-byte Folded Reload
	scratch_load_dword v47, off, s33 offset:88 ; 4-byte Folded Reload
	scratch_load_dword v46, off, s33 offset:92 ; 4-byte Folded Reload
	scratch_load_dword v45, off, s33 offset:96 ; 4-byte Folded Reload
	scratch_load_dword v44, off, s33 offset:100 ; 4-byte Folded Reload
	scratch_load_dword v43, off, s33 offset:104 ; 4-byte Folded Reload
	scratch_load_dword v42, off, s33 offset:108 ; 4-byte Folded Reload
	scratch_load_dword v41, off, s33 offset:112 ; 4-byte Folded Reload
	scratch_load_dword v40, off, s33 offset:116 ; 4-byte Folded Reload
	v_readlane_b32 s30, v94, 28
	v_readlane_b32 s31, v94, 29
	;; [unrolled: 1-line block ×30, first 2 shown]
	s_mov_b32 s32, s33
	v_readlane_b32 s0, v94, 30
	s_or_saveexec_b64 s[2:3], -1
	scratch_load_dword v94, off, s33 offset:120 ; 4-byte Folded Reload
	s_mov_b64 exec, s[2:3]
	s_mov_b32 s33, s0
	s_waitcnt vmcnt(0) lgkmcnt(0)
	s_setpc_b64 s[30:31]
.Lfunc_end3:
	.size	_ZN12_GLOBAL__N_17runRingI12hip_bfloat1610FuncMinMaxIS1_E11ProtoSimpleILi2ELi2ELi0ELi1ELi0ELi0EELi0ELi0ELi1ELi0EEEviiP15ncclDevWorkColl, .Lfunc_end3-_ZN12_GLOBAL__N_17runRingI12hip_bfloat1610FuncMinMaxIS1_E11ProtoSimpleILi2ELi2ELi0ELi1ELi0ELi0EELi0ELi0ELi1ELi0EEEviiP15ncclDevWorkColl
                                        ; -- End function
	.set .L_ZN12_GLOBAL__N_17runRingI12hip_bfloat1610FuncMinMaxIS1_E11ProtoSimpleILi2ELi2ELi0ELi1ELi0ELi0EELi0ELi0ELi1ELi0EEEviiP15ncclDevWorkColl.num_vgpr, max(120, .L__assert_fail.num_vgpr)
	.set .L_ZN12_GLOBAL__N_17runRingI12hip_bfloat1610FuncMinMaxIS1_E11ProtoSimpleILi2ELi2ELi0ELi1ELi0ELi0EELi0ELi0ELi1ELi0EEEviiP15ncclDevWorkColl.num_agpr, max(0, .L__assert_fail.num_agpr)
	.set .L_ZN12_GLOBAL__N_17runRingI12hip_bfloat1610FuncMinMaxIS1_E11ProtoSimpleILi2ELi2ELi0ELi1ELi0ELi0EELi0ELi0ELi1ELi0EEEviiP15ncclDevWorkColl.numbered_sgpr, max(96, .L__assert_fail.numbered_sgpr)
	.set .L_ZN12_GLOBAL__N_17runRingI12hip_bfloat1610FuncMinMaxIS1_E11ProtoSimpleILi2ELi2ELi0ELi1ELi0ELi0EELi0ELi0ELi1ELi0EEEviiP15ncclDevWorkColl.num_named_barrier, max(0, .L__assert_fail.num_named_barrier)
	.set .L_ZN12_GLOBAL__N_17runRingI12hip_bfloat1610FuncMinMaxIS1_E11ProtoSimpleILi2ELi2ELi0ELi1ELi0ELi0EELi0ELi0ELi1ELi0EEEviiP15ncclDevWorkColl.private_seg_size, 128+max(.L__assert_fail.private_seg_size)
	.set .L_ZN12_GLOBAL__N_17runRingI12hip_bfloat1610FuncMinMaxIS1_E11ProtoSimpleILi2ELi2ELi0ELi1ELi0ELi0EELi0ELi0ELi1ELi0EEEviiP15ncclDevWorkColl.uses_vcc, or(1, .L__assert_fail.uses_vcc)
	.set .L_ZN12_GLOBAL__N_17runRingI12hip_bfloat1610FuncMinMaxIS1_E11ProtoSimpleILi2ELi2ELi0ELi1ELi0ELi0EELi0ELi0ELi1ELi0EEEviiP15ncclDevWorkColl.uses_flat_scratch, or(0, .L__assert_fail.uses_flat_scratch)
	.set .L_ZN12_GLOBAL__N_17runRingI12hip_bfloat1610FuncMinMaxIS1_E11ProtoSimpleILi2ELi2ELi0ELi1ELi0ELi0EELi0ELi0ELi1ELi0EEEviiP15ncclDevWorkColl.has_dyn_sized_stack, or(0, .L__assert_fail.has_dyn_sized_stack)
	.set .L_ZN12_GLOBAL__N_17runRingI12hip_bfloat1610FuncMinMaxIS1_E11ProtoSimpleILi2ELi2ELi0ELi1ELi0ELi0EELi0ELi0ELi1ELi0EEEviiP15ncclDevWorkColl.has_recursion, or(1, .L__assert_fail.has_recursion)
	.set .L_ZN12_GLOBAL__N_17runRingI12hip_bfloat1610FuncMinMaxIS1_E11ProtoSimpleILi2ELi2ELi0ELi1ELi0ELi0EELi0ELi0ELi1ELi0EEEviiP15ncclDevWorkColl.has_indirect_call, or(0, .L__assert_fail.has_indirect_call)
	.section	.AMDGPU.csdata,"",@progbits
; Function info:
; codeLenInByte = 43080
; TotalNumSgprs: 102
; NumVgprs: 120
; NumAgprs: 0
; TotalNumVgprs: 120
; ScratchSize: 192
; MemoryBound: 1
	.text
	.p2align	2                               ; -- Begin function _Z51ncclDevFunc_AllReduce_RING_SIMPLE_MinMax_bf16_0_0_1v
	.type	_Z51ncclDevFunc_AllReduce_RING_SIMPLE_MinMax_bf16_0_0_1v,@function
_Z51ncclDevFunc_AllReduce_RING_SIMPLE_MinMax_bf16_0_0_1v: ; @_Z51ncclDevFunc_AllReduce_RING_SIMPLE_MinMax_bf16_0_0_1v
; %bb.0:
	s_waitcnt vmcnt(0) expcnt(0) lgkmcnt(0)
	s_mov_b32 s0, s33
	s_mov_b32 s33, s32
	s_or_saveexec_b64 s[2:3], -1
	scratch_store_dword off, v44, s33 offset:24 ; 4-byte Folded Spill
	s_mov_b64 exec, s[2:3]
	v_writelane_b32 v44, s0, 36
	s_add_i32 s32, s32, 32
	scratch_store_dword off, v40, s33 offset:20 ; 4-byte Folded Spill
	scratch_store_dword off, v41, s33 offset:16 ; 4-byte Folded Spill
	scratch_store_dword off, v42, s33 offset:12 ; 4-byte Folded Spill
	scratch_store_dword off, v43, s33 offset:8 ; 4-byte Folded Spill
	scratch_store_dword off, v91, s33 offset:4 ; 4-byte Folded Spill
	scratch_store_dword off, v94, s33       ; 4-byte Folded Spill
	v_writelane_b32 v44, s34, 0
	v_writelane_b32 v44, s35, 1
	;; [unrolled: 1-line block ×35, first 2 shown]
	s_nop 1
	v_writelane_b32 v44, s31, 35
	s_trap 2
	ds_read_b32 v0, v0
	v_mov_b32_e32 v40, v31
	v_and_b32_e32 v41, 0x3ff, v40
	s_mov_b32 s96, s12
	s_mov_b64 s[86:87], s[8:9]
	s_waitcnt lgkmcnt(0)
	v_cmp_lt_i32_e32 vcc, v41, v0
	s_and_saveexec_b64 s[0:1], vcc
	s_cbranch_execz .LBB4_5
; %bb.1:
	s_load_dword s2, s[86:87], 0x0
	v_mov_b32_e32 v1, 0
	s_mov_b32 s6, 0
	v_mov_b32_e32 v4, v41
                                        ; implicit-def: $vgpr2
	s_waitcnt lgkmcnt(0)
	s_cmp_lt_u32 s96, s2
	s_cselect_b32 s2, 12, 18
	s_add_u32 s2, s86, s2
	s_addc_u32 s3, s87, 0
	global_load_ushort v1, v1, s[2:3]
	s_trap 2
	ds_read_b32 v3, v0
	s_mov_b64 s[2:3], 0
	s_waitcnt vmcnt(0) lgkmcnt(0)
	v_mul_lo_u32 v3, v3, v1
	s_branch .LBB4_3
.LBB4_2:                                ;   in Loop: Header=BB4_3 Depth=1
	s_or_b64 exec, exec, s[4:5]
	v_add_u32_e32 v4, v4, v1
	v_cmp_ge_i32_e32 vcc, v4, v0
	s_or_b64 s[2:3], vcc, s[2:3]
	v_add_u32_e32 v2, v2, v3
	s_andn2_b64 exec, exec, s[2:3]
	s_cbranch_execz .LBB4_5
.LBB4_3:                                ; =>This Inner Loop Header: Depth=1
	ds_read_b32 v5, v2
	s_waitcnt lgkmcnt(0)
	v_and_b32_e32 v5, 0x1000000, v5
	v_cmp_ne_u32_e32 vcc, 0, v5
	s_and_saveexec_b64 s[4:5], vcc
	s_cbranch_execz .LBB4_2
; %bb.4:                                ;   in Loop: Header=BB4_3 Depth=1
	ds_read_b64 v[6:7], v2 offset:104
	s_waitcnt lgkmcnt(0)
	flat_load_ushort v5, v[6:7]
	v_mov_b32_e32 v7, s6
	s_waitcnt vmcnt(0) lgkmcnt(0)
	v_and_b32_e32 v6, 0xffff, v5
	ds_write_b64 v2, v[6:7] offset:104
	s_branch .LBB4_2
.LBB4_5:
	s_or_b64 exec, exec, s[0:1]
	s_waitcnt lgkmcnt(0)
	s_barrier
	s_trap 2
	ds_read_b32 v0, v0
	s_waitcnt lgkmcnt(0)
	v_cmp_gt_i32_e32 vcc, 1, v0
	s_cbranch_vccnz .LBB4_16
; %bb.6:
	s_mov_b32 s97, 0
	v_mov_b32_e32 v43, 6
	s_branch .LBB4_8
.LBB4_7:                                ;   in Loop: Header=BB4_8 Depth=1
	s_or_b64 exec, exec, s[98:99]
	s_trap 2
	ds_read_b32 v0, v0
	s_add_i32 s97, s97, 1
	s_waitcnt lgkmcnt(0)
	v_cmp_lt_i32_e32 vcc, s97, v0
	s_cbranch_vccz .LBB4_16
.LBB4_8:                                ; =>This Inner Loop Header: Depth=1
	s_trap 2
	ds_read_b32 v0, v0
	s_cmp_eq_u32 s97, 0
	s_cbranch_scc1 .LBB4_11
; %bb.9:                                ;   in Loop: Header=BB4_8 Depth=1
	s_trap 2
	s_waitcnt lgkmcnt(0)
	ds_read_b32 v1, v0
	s_waitcnt lgkmcnt(0)
	v_xor_b32_e32 v1, v1, v0
	v_and_b32_e32 v1, 0xff0000, v1
	v_cmp_eq_u32_e32 vcc, 0, v1
	s_cbranch_vccnz .LBB4_11
; %bb.10:                               ;   in Loop: Header=BB4_8 Depth=1
	s_barrier
	ds_read_b32 v0, v0
.LBB4_11:                               ;   in Loop: Header=BB4_8 Depth=1
	s_waitcnt lgkmcnt(0)
	v_lshlrev_b32_sdwa v42, v43, v0 dst_sel:DWORD dst_unused:UNUSED_PAD src0_sel:DWORD src1_sel:BYTE_2
	v_cmp_lt_u32_e32 vcc, v41, v42
	s_and_saveexec_b64 s[98:99], vcc
	s_cbranch_execz .LBB4_7
; %bb.12:                               ;   in Loop: Header=BB4_8 Depth=1
	v_cmp_lt_i32_e32 vcc, -1, v0
	s_mov_b64 s[84:85], src_shared_base
	s_mov_b64 s[0:1], -1
	s_cbranch_vccnz .LBB4_14
; %bb.13:                               ;   in Loop: Header=BB4_8 Depth=1
	s_getpc_b64 s[0:1]
	s_add_u32 s0, s0, _ZN12_GLOBAL__N_17runRingI12hip_bfloat1610FuncMinMaxIS1_E11ProtoSimpleILi1ELi4ELi0ELi1ELi0ELi0EELi0ELi0ELi1ELi0EEEviiP15ncclDevWorkColl@rel32@lo+4
	s_addc_u32 s1, s1, _ZN12_GLOBAL__N_17runRingI12hip_bfloat1610FuncMinMaxIS1_E11ProtoSimpleILi1ELi4ELi0ELi1ELi0ELi0EELi0ELi0ELi1ELi0EEEviiP15ncclDevWorkColl@rel32@hi+12
	s_mov_b64 s[8:9], s[86:87]
	s_mov_b32 s12, s96
	v_mov_b32_e32 v31, v40
	v_mov_b32_e32 v0, v41
	v_mov_b32_e32 v1, v42
	v_mov_b32_e32 v3, s85
	s_swappc_b64 s[30:31], s[0:1]
	s_mov_b64 s[0:1], 0
.LBB4_14:                               ;   in Loop: Header=BB4_8 Depth=1
	s_andn2_b64 vcc, exec, s[0:1]
	s_cbranch_vccnz .LBB4_7
; %bb.15:                               ;   in Loop: Header=BB4_8 Depth=1
	s_getpc_b64 s[0:1]
	s_add_u32 s0, s0, _ZN12_GLOBAL__N_17runRingI12hip_bfloat1610FuncMinMaxIS1_E11ProtoSimpleILi2ELi2ELi0ELi1ELi0ELi0EELi0ELi0ELi1ELi0EEEviiP15ncclDevWorkColl@rel32@lo+4
	s_addc_u32 s1, s1, _ZN12_GLOBAL__N_17runRingI12hip_bfloat1610FuncMinMaxIS1_E11ProtoSimpleILi2ELi2ELi0ELi1ELi0ELi0EELi0ELi0ELi1ELi0EEEviiP15ncclDevWorkColl@rel32@hi+12
	s_mov_b64 s[8:9], s[86:87]
	s_mov_b32 s12, s96
	v_mov_b32_e32 v31, v40
	v_mov_b32_e32 v0, v41
	;; [unrolled: 1-line block ×4, first 2 shown]
	s_swappc_b64 s[30:31], s[0:1]
	s_branch .LBB4_7
.LBB4_16:
	scratch_load_dword v94, off, s33        ; 4-byte Folded Reload
	scratch_load_dword v91, off, s33 offset:4 ; 4-byte Folded Reload
	scratch_load_dword v43, off, s33 offset:8 ; 4-byte Folded Reload
	;; [unrolled: 1-line block ×5, first 2 shown]
	v_readlane_b32 s30, v44, 34
	v_readlane_b32 s31, v44, 35
	;; [unrolled: 1-line block ×36, first 2 shown]
	s_mov_b32 s32, s33
	v_readlane_b32 s0, v44, 36
	s_or_saveexec_b64 s[2:3], -1
	scratch_load_dword v44, off, s33 offset:24 ; 4-byte Folded Reload
	s_mov_b64 exec, s[2:3]
	s_mov_b32 s33, s0
	s_waitcnt vmcnt(0)
	s_setpc_b64 s[30:31]
.Lfunc_end4:
	.size	_Z51ncclDevFunc_AllReduce_RING_SIMPLE_MinMax_bf16_0_0_1v, .Lfunc_end4-_Z51ncclDevFunc_AllReduce_RING_SIMPLE_MinMax_bf16_0_0_1v
                                        ; -- End function
	.set .L_Z51ncclDevFunc_AllReduce_RING_SIMPLE_MinMax_bf16_0_0_1v.num_vgpr, max(95, .L_ZN12_GLOBAL__N_17runRingI12hip_bfloat1610FuncMinMaxIS1_E11ProtoSimpleILi1ELi4ELi0ELi1ELi0ELi0EELi0ELi0ELi1ELi0EEEviiP15ncclDevWorkColl.num_vgpr, .L_ZN12_GLOBAL__N_17runRingI12hip_bfloat1610FuncMinMaxIS1_E11ProtoSimpleILi2ELi2ELi0ELi1ELi0ELi0EELi0ELi0ELi1ELi0EEEviiP15ncclDevWorkColl.num_vgpr)
	.set .L_Z51ncclDevFunc_AllReduce_RING_SIMPLE_MinMax_bf16_0_0_1v.num_agpr, max(0, .L_ZN12_GLOBAL__N_17runRingI12hip_bfloat1610FuncMinMaxIS1_E11ProtoSimpleILi1ELi4ELi0ELi1ELi0ELi0EELi0ELi0ELi1ELi0EEEviiP15ncclDevWorkColl.num_agpr, .L_ZN12_GLOBAL__N_17runRingI12hip_bfloat1610FuncMinMaxIS1_E11ProtoSimpleILi2ELi2ELi0ELi1ELi0ELi0EELi0ELi0ELi1ELi0EEEviiP15ncclDevWorkColl.num_agpr)
	.set .L_Z51ncclDevFunc_AllReduce_RING_SIMPLE_MinMax_bf16_0_0_1v.numbered_sgpr, max(100, .L_ZN12_GLOBAL__N_17runRingI12hip_bfloat1610FuncMinMaxIS1_E11ProtoSimpleILi1ELi4ELi0ELi1ELi0ELi0EELi0ELi0ELi1ELi0EEEviiP15ncclDevWorkColl.numbered_sgpr, .L_ZN12_GLOBAL__N_17runRingI12hip_bfloat1610FuncMinMaxIS1_E11ProtoSimpleILi2ELi2ELi0ELi1ELi0ELi0EELi0ELi0ELi1ELi0EEEviiP15ncclDevWorkColl.numbered_sgpr)
	.set .L_Z51ncclDevFunc_AllReduce_RING_SIMPLE_MinMax_bf16_0_0_1v.num_named_barrier, max(0, .L_ZN12_GLOBAL__N_17runRingI12hip_bfloat1610FuncMinMaxIS1_E11ProtoSimpleILi1ELi4ELi0ELi1ELi0ELi0EELi0ELi0ELi1ELi0EEEviiP15ncclDevWorkColl.num_named_barrier, .L_ZN12_GLOBAL__N_17runRingI12hip_bfloat1610FuncMinMaxIS1_E11ProtoSimpleILi2ELi2ELi0ELi1ELi0ELi0EELi0ELi0ELi1ELi0EEEviiP15ncclDevWorkColl.num_named_barrier)
	.set .L_Z51ncclDevFunc_AllReduce_RING_SIMPLE_MinMax_bf16_0_0_1v.private_seg_size, 32+max(.L_ZN12_GLOBAL__N_17runRingI12hip_bfloat1610FuncMinMaxIS1_E11ProtoSimpleILi1ELi4ELi0ELi1ELi0ELi0EELi0ELi0ELi1ELi0EEEviiP15ncclDevWorkColl.private_seg_size, .L_ZN12_GLOBAL__N_17runRingI12hip_bfloat1610FuncMinMaxIS1_E11ProtoSimpleILi2ELi2ELi0ELi1ELi0ELi0EELi0ELi0ELi1ELi0EEEviiP15ncclDevWorkColl.private_seg_size)
	.set .L_Z51ncclDevFunc_AllReduce_RING_SIMPLE_MinMax_bf16_0_0_1v.uses_vcc, or(1, .L_ZN12_GLOBAL__N_17runRingI12hip_bfloat1610FuncMinMaxIS1_E11ProtoSimpleILi1ELi4ELi0ELi1ELi0ELi0EELi0ELi0ELi1ELi0EEEviiP15ncclDevWorkColl.uses_vcc, .L_ZN12_GLOBAL__N_17runRingI12hip_bfloat1610FuncMinMaxIS1_E11ProtoSimpleILi2ELi2ELi0ELi1ELi0ELi0EELi0ELi0ELi1ELi0EEEviiP15ncclDevWorkColl.uses_vcc)
	.set .L_Z51ncclDevFunc_AllReduce_RING_SIMPLE_MinMax_bf16_0_0_1v.uses_flat_scratch, or(0, .L_ZN12_GLOBAL__N_17runRingI12hip_bfloat1610FuncMinMaxIS1_E11ProtoSimpleILi1ELi4ELi0ELi1ELi0ELi0EELi0ELi0ELi1ELi0EEEviiP15ncclDevWorkColl.uses_flat_scratch, .L_ZN12_GLOBAL__N_17runRingI12hip_bfloat1610FuncMinMaxIS1_E11ProtoSimpleILi2ELi2ELi0ELi1ELi0ELi0EELi0ELi0ELi1ELi0EEEviiP15ncclDevWorkColl.uses_flat_scratch)
	.set .L_Z51ncclDevFunc_AllReduce_RING_SIMPLE_MinMax_bf16_0_0_1v.has_dyn_sized_stack, or(0, .L_ZN12_GLOBAL__N_17runRingI12hip_bfloat1610FuncMinMaxIS1_E11ProtoSimpleILi1ELi4ELi0ELi1ELi0ELi0EELi0ELi0ELi1ELi0EEEviiP15ncclDevWorkColl.has_dyn_sized_stack, .L_ZN12_GLOBAL__N_17runRingI12hip_bfloat1610FuncMinMaxIS1_E11ProtoSimpleILi2ELi2ELi0ELi1ELi0ELi0EELi0ELi0ELi1ELi0EEEviiP15ncclDevWorkColl.has_dyn_sized_stack)
	.set .L_Z51ncclDevFunc_AllReduce_RING_SIMPLE_MinMax_bf16_0_0_1v.has_recursion, or(1, .L_ZN12_GLOBAL__N_17runRingI12hip_bfloat1610FuncMinMaxIS1_E11ProtoSimpleILi1ELi4ELi0ELi1ELi0ELi0EELi0ELi0ELi1ELi0EEEviiP15ncclDevWorkColl.has_recursion, .L_ZN12_GLOBAL__N_17runRingI12hip_bfloat1610FuncMinMaxIS1_E11ProtoSimpleILi2ELi2ELi0ELi1ELi0ELi0EELi0ELi0ELi1ELi0EEEviiP15ncclDevWorkColl.has_recursion)
	.set .L_Z51ncclDevFunc_AllReduce_RING_SIMPLE_MinMax_bf16_0_0_1v.has_indirect_call, or(0, .L_ZN12_GLOBAL__N_17runRingI12hip_bfloat1610FuncMinMaxIS1_E11ProtoSimpleILi1ELi4ELi0ELi1ELi0ELi0EELi0ELi0ELi1ELi0EEEviiP15ncclDevWorkColl.has_indirect_call, .L_ZN12_GLOBAL__N_17runRingI12hip_bfloat1610FuncMinMaxIS1_E11ProtoSimpleILi2ELi2ELi0ELi1ELi0ELi0EELi0ELi0ELi1ELi0EEEviiP15ncclDevWorkColl.has_indirect_call)
	.section	.AMDGPU.csdata,"",@progbits
; Function info:
; codeLenInByte = 1296
; TotalNumSgprs: 106
; NumVgprs: 120
; NumAgprs: 0
; TotalNumVgprs: 120
; ScratchSize: 224
; MemoryBound: 0
	.text
	.p2align	2                               ; -- Begin function _ZN12_GLOBAL__N_17runRingI12hip_bfloat1610FuncMinMaxIS1_E11ProtoSimpleILi1ELi4ELi0ELi1ELi0ELi0EELi0ELi0ELi1ELi1EEEviiP15ncclDevWorkColl
	.type	_ZN12_GLOBAL__N_17runRingI12hip_bfloat1610FuncMinMaxIS1_E11ProtoSimpleILi1ELi4ELi0ELi1ELi0ELi0EELi0ELi0ELi1ELi1EEEviiP15ncclDevWorkColl,@function
_ZN12_GLOBAL__N_17runRingI12hip_bfloat1610FuncMinMaxIS1_E11ProtoSimpleILi1ELi4ELi0ELi1ELi0ELi0EELi0ELi0ELi1ELi1EEEviiP15ncclDevWorkColl: ; @_ZN12_GLOBAL__N_17runRingI12hip_bfloat1610FuncMinMaxIS1_E11ProtoSimpleILi1ELi4ELi0ELi1ELi0ELi0EELi0ELi0ELi1ELi1EEEviiP15ncclDevWorkColl
; %bb.0:
	s_waitcnt vmcnt(0) expcnt(0) lgkmcnt(0)
	s_mov_b32 s0, s33
	s_mov_b32 s33, s32
	s_or_saveexec_b64 s[2:3], -1
	scratch_store_dword off, v108, s33 offset:224 ; 4-byte Folded Spill
	scratch_store_dword off, v109, s33 offset:228 ; 4-byte Folded Spill
	s_mov_b64 exec, s[2:3]
	v_writelane_b32 v108, s0, 36
	s_addk_i32 s32, 0xf0
	scratch_store_dword off, v40, s33 offset:140 ; 4-byte Folded Spill
	scratch_store_dword off, v41, s33 offset:136 ; 4-byte Folded Spill
	;; [unrolled: 1-line block ×35, first 2 shown]
	scratch_store_dword off, v107, s33      ; 4-byte Folded Spill
	v_writelane_b32 v108, s34, 0
	v_writelane_b32 v108, s35, 1
	;; [unrolled: 1-line block ×35, first 2 shown]
	s_nop 1
	v_writelane_b32 v108, s31, 35
	s_trap 2
	flat_load_dword v9, v[2:3]
	ds_read_b32 v6, v0
                                        ; implicit-def: $vgpr14_vgpr15
                                        ; implicit-def: $vgpr24_vgpr25
                                        ; implicit-def: $vgpr4_vgpr5
	s_waitcnt lgkmcnt(0)
	v_readfirstlane_b32 s54, v6
	s_waitcnt vmcnt(0)
	v_cmp_ne_u32_sdwa s[0:1], v6, v9 src0_sel:DWORD src1_sel:BYTE_0
	s_and_saveexec_b64 s[2:3], s[0:1]
	s_xor_b64 s[0:1], exec, s[2:3]
	s_cbranch_execz .LBB5_6
; %bb.1:
	v_not_b32_sdwa v8, v9 dst_sel:DWORD dst_unused:UNUSED_PAD src0_sel:BYTE_0
	v_cmp_ne_u32_sdwa s[2:3], v6, v9 src0_sel:DWORD src1_sel:BYTE_1
                                        ; implicit-def: $vgpr14_vgpr15
                                        ; implicit-def: $vgpr24_vgpr25
                                        ; implicit-def: $vgpr4_vgpr5
	s_and_saveexec_b64 s[4:5], s[2:3]
	s_xor_b64 s[2:3], exec, s[4:5]
	s_cbranch_execz .LBB5_3
; %bb.2:
	flat_load_dwordx4 v[10:13], v[2:3] offset:72
	flat_load_dwordx2 v[4:5], v[2:3] offset:96
	v_add_u32_e32 v6, v6, v8
	v_ashrrev_i32_e32 v7, 31, v6
                                        ; implicit-def: $vgpr9
                                        ; implicit-def: $vgpr8
	s_waitcnt vmcnt(0) lgkmcnt(0)
	v_mul_lo_u32 v7, v12, v7
	v_mad_u64_u32 v[24:25], s[4:5], v12, v6, v[10:11]
	v_mul_lo_u32 v6, v13, v6
	v_lshrrev_b64 v[14:15], 13, v[4:5]
	v_add3_u32 v25, v6, v25, v7
	v_mov_b64_e32 v[4:5], v[12:13]
.LBB5_3:
	s_andn2_saveexec_b64 s[2:3], s[2:3]
	s_cbranch_execz .LBB5_5
; %bb.4:
	flat_load_dwordx4 v[10:13], v[2:3] offset:72
	flat_load_dwordx4 v[4:7], v[2:3] offset:88
	s_waitcnt vmcnt(0) lgkmcnt(0)
	v_add_u32_sdwa v6, v9, v8 dst_sel:DWORD dst_unused:UNUSED_PAD src0_sel:BYTE_1 src1_sel:DWORD
	v_ashrrev_i32_e32 v8, 31, v6
	v_mul_lo_u32 v8, v12, v8
	v_mad_u64_u32 v[24:25], s[4:5], v12, v6, v[10:11]
	v_mul_lo_u32 v6, v13, v6
	v_add3_u32 v25, v6, v25, v8
	v_lshrrev_b32_e32 v14, 2, v7
.LBB5_5:
	s_or_b64 exec, exec, s[2:3]
.LBB5_6:
	s_andn2_saveexec_b64 s[0:1], s[0:1]
	s_cbranch_execz .LBB5_8
; %bb.7:
	flat_load_dwordx2 v[6:7], v[2:3] offset:96
	flat_load_dwordx2 v[4:5], v[2:3] offset:72
	v_mov_b64_e32 v[24:25], 0
	s_waitcnt vmcnt(0) lgkmcnt(0)
	v_lshlrev_b64 v[14:15], 8, v[6:7]
.LBB5_8:
	s_or_b64 exec, exec, s[0:1]
	s_trap 2
	ds_read_b64 v[6:7], v0
	s_waitcnt lgkmcnt(0)
	v_cmp_ne_u32_e32 vcc, -1, v6
	s_nop 1
	v_cndmask_b32_e64 v15, 0, 1, vcc
	v_cmp_ne_u32_e32 vcc, -1, v7
	s_nop 1
	v_addc_co_u32_e64 v8, s[0:1], 0, v15, vcc
	v_lshlrev_b32_e32 v6, 1, v8
	v_cmp_le_u32_e64 s[0:1], v6, v1
	s_and_saveexec_b64 s[2:3], s[0:1]
	s_xor_b64 s[2:3], exec, s[2:3]
                                        ; implicit-def: $vgpr109 : SGPR spill to VGPR lane
	v_writelane_b32 v109, s2, 0
	s_nop 1
	v_writelane_b32 v109, s3, 1
	s_cbranch_execz .LBB5_2250
; %bb.9:
	flat_load_dwordx4 v[10:13], v[2:3] offset:16
	flat_load_dwordx2 v[16:17], v[2:3] offset:104
	flat_load_ushort v7, v[2:3] offset:8
	flat_load_dword v6, v[2:3] offset:4
	s_trap 2
	s_load_dword s0, s[8:9], 0x0
	v_mov_b32_e32 v9, 0
	v_mov_b32_e32 v58, 4
	s_waitcnt lgkmcnt(0)
	s_cmp_lt_u32 s12, s0
	s_cselect_b32 s0, 12, 18
	s_add_u32 s0, s8, s0
	s_addc_u32 s1, s9, 0
	global_load_ushort v50, v9, s[0:1]
	ds_read_b32 v9, v0
	v_cmp_ge_u32_e64 s[0:1], v0, v15
	s_waitcnt lgkmcnt(0)
	v_readfirstlane_b32 s22, v9
	s_and_saveexec_b64 s[2:3], s[0:1]
	s_cbranch_execz .LBB5_19
; %bb.10:
	v_cmp_ge_u32_e64 s[0:1], v0, v8
                                        ; implicit-def: $vgpr58
	s_and_saveexec_b64 s[4:5], s[0:1]
	s_xor_b64 s[0:1], exec, s[4:5]
	s_cbranch_execz .LBB5_16
; %bb.11:
	v_cndmask_b32_e64 v9, 0, 1, vcc
	v_sub_u32_e32 v9, v1, v9
	v_cmp_ge_u32_e32 vcc, v0, v9
	s_and_saveexec_b64 s[4:5], vcc
	s_xor_b64 s[4:5], exec, s[4:5]
; %bb.12:
                                        ; implicit-def: $vgpr8
; %bb.13:
	s_or_saveexec_b64 s[4:5], s[4:5]
	v_mov_b32_e32 v58, 16
	s_xor_b64 exec, exec, s[4:5]
; %bb.14:
	v_sub_u32_e32 v8, v1, v8
	v_cmp_lt_i32_e32 vcc, v0, v8
	s_nop 1
	v_cndmask_b32_e64 v58, 32, 0, vcc
; %bb.15:
	s_or_b64 exec, exec, s[4:5]
.LBB5_16:
	s_andn2_saveexec_b64 s[0:1], s[0:1]
; %bb.17:
	v_mov_b32_e32 v58, 8
; %bb.18:
	s_or_b64 exec, exec, s[0:1]
.LBB5_19:
	s_or_b64 exec, exec, s[2:3]
	v_and_b32_e32 v8, 36, v58
	v_cmp_ne_u32_e32 vcc, 0, v8
	v_mov_b32_e32 v8, -1
	s_and_saveexec_b64 s[0:1], vcc
	s_cbranch_execz .LBB5_21
; %bb.20:
	s_trap 2
	ds_read_b32 v8, v0
.LBB5_21:
	s_or_b64 exec, exec, s[0:1]
	v_and_b32_e32 v9, 24, v58
	v_cmp_ne_u32_e64 s[0:1], 0, v9
	s_and_saveexec_b64 s[2:3], s[0:1]
	s_cbranch_execz .LBB5_23
; %bb.22:
	s_trap 2
	s_waitcnt lgkmcnt(0)
	ds_read_b32 v8, v0
.LBB5_23:
	s_or_b64 exec, exec, s[2:3]
	s_waitcnt vmcnt(0)
	v_lshrrev_b64 v[6:7], 31, v[6:7]
	v_and_b32_e32 v20, 3, v6
	v_mov_b64_e32 v[28:29], 0
	v_mov_b64_e32 v[6:7], 0
                                        ; implicit-def: $vgpr26_vgpr27
                                        ; implicit-def: $vgpr30
                                        ; implicit-def: $vgpr112_vgpr113
                                        ; implicit-def: $vgpr34_vgpr35
                                        ; implicit-def: $vgpr48_vgpr49
                                        ; implicit-def: $vgpr32_vgpr33
	s_and_saveexec_b64 s[0:1], vcc
	s_cbranch_execz .LBB5_33
; %bb.24:
	s_trap 2
	ds_read_b64 v[6:7], v0
	s_waitcnt lgkmcnt(1)
	v_ashrrev_i32_e32 v9, 31, v8
	s_movk_i32 s2, 0xa8
                                        ; implicit-def: $vgpr26_vgpr27
	s_waitcnt lgkmcnt(0)
	v_lshl_add_u64 v[6:7], v[8:9], 3, v[6:7]
	flat_load_dwordx2 v[6:7], v[6:7]
	v_and_b32_e32 v9, 0xffff, v20
	s_waitcnt vmcnt(0) lgkmcnt(0)
	v_mad_u64_u32 v[18:19], s[2:3], v9, s2, v[6:7]
	flat_load_dword v6, v[18:19] offset:640
	s_waitcnt vmcnt(0) lgkmcnt(0)
	v_cmp_eq_u32_e32 vcc, 1, v6
	s_and_saveexec_b64 s[2:3], vcc
	s_cbranch_execz .LBB5_26
; %bb.25:
	flat_load_dwordx2 v[26:27], v[18:19] offset:648
	v_or_b32_e32 v58, 0x2000, v58
	s_waitcnt vmcnt(0) lgkmcnt(0)
	flat_load_dwordx2 v[6:7], v[26:27]
	s_trap 2
	s_waitcnt vmcnt(0) lgkmcnt(0)
	ds_write_b64 v0, v[6:7]
	flat_load_dwordx2 v[6:7], v[26:27] offset:8
	s_waitcnt vmcnt(0) lgkmcnt(0)
	ds_write_b64 v0, v[6:7]
	flat_load_dwordx2 v[6:7], v[26:27] offset:16
	s_waitcnt vmcnt(0) lgkmcnt(0)
	ds_write_b64 v0, v[6:7]
.LBB5_26:
	s_or_b64 exec, exec, s[2:3]
	flat_load_dwordx2 v[6:7], v[18:19] offset:608
	v_and_b32_e32 v9, 32, v58
	v_cmp_ne_u32_e32 vcc, 0, v9
                                        ; implicit-def: $vgpr32_vgpr33
	s_waitcnt vmcnt(0) lgkmcnt(0)
	v_lshl_add_u64 v[112:113], v[6:7], 0, 3
	v_and_b32_e32 v112, -4, v112
	s_and_saveexec_b64 s[2:3], vcc
	s_cbranch_execz .LBB5_28
; %bb.27:
	flat_load_dwordx2 v[32:33], v[18:19] offset:560
	s_waitcnt vmcnt(0) lgkmcnt(0)
	flat_store_dwordx2 v[32:33], v[112:113] sc0 sc1
.LBB5_28:
	s_or_b64 exec, exec, s[2:3]
	s_mov_b64 s[2:3], 0x1f8
	v_and_b32_e32 v6, 4, v58
	v_lshl_add_u64 v[28:29], v[18:19], 0, s[2:3]
	v_cmp_ne_u32_e32 vcc, 0, v6
	v_mov_b64_e32 v[6:7], 0
                                        ; implicit-def: $vgpr30
                                        ; implicit-def: $vgpr34_vgpr35
                                        ; implicit-def: $vgpr48_vgpr49
	s_and_saveexec_b64 s[2:3], vcc
	s_cbranch_execz .LBB5_32
; %bb.29:
	v_and_b32_e32 v6, 0x800, v58
	v_cmp_eq_u32_e32 vcc, 0, v6
	s_and_saveexec_b64 s[4:5], vcc
	s_cbranch_execz .LBB5_31
; %bb.30:
	s_trap 2
	ds_write_b64 v0, v[28:29]
.LBB5_31:
	s_or_b64 exec, exec, s[4:5]
	flat_load_dwordx2 v[32:33], v[18:19] offset:552
	s_waitcnt vmcnt(0) lgkmcnt(0)
	flat_load_dwordx2 v[48:49], v[32:33] sc0 sc1
	flat_load_dword v9, v[18:19] offset:576
	flat_load_dwordx2 v[6:7], v[18:19] offset:600
	flat_load_dwordx2 v[34:35], v[18:19] offset:520
	v_or_b32_e32 v18, 0x100, v58
	s_waitcnt vmcnt(0) lgkmcnt(0)
	v_ashrrev_i32_e32 v30, 1, v9
	v_cmp_eq_u64_e32 vcc, 0, v[6:7]
	s_nop 1
	v_cndmask_b32_e32 v58, v18, v58, vcc
.LBB5_32:
	s_or_b64 exec, exec, s[2:3]
.LBB5_33:
	s_or_b64 exec, exec, s[0:1]
	v_and_b32_e32 v9, 24, v58
	v_cmp_ne_u32_e32 vcc, 0, v9
                                        ; implicit-def: $vgpr36_vgpr37
	s_and_saveexec_b64 s[0:1], vcc
	s_cbranch_execz .LBB5_41
; %bb.34:
	s_trap 2
	ds_read_b64 v[6:7], v0
	s_waitcnt lgkmcnt(0)
	v_ashrrev_i32_e32 v9, 31, v8
	s_movk_i32 s2, 0xa8
	v_or_b32_e32 v18, 0x100, v58
                                        ; implicit-def: $vgpr36_vgpr37
	v_lshl_add_u64 v[6:7], v[8:9], 3, v[6:7]
	flat_load_dwordx2 v[6:7], v[6:7]
	v_and_b32_e32 v8, 0xffff, v20
	s_waitcnt vmcnt(0) lgkmcnt(0)
	v_mad_u64_u32 v[28:29], s[2:3], v8, s2, v[6:7]
	flat_load_dwordx4 v[6:9], v[28:29] offset:96
	s_waitcnt vmcnt(0) lgkmcnt(0)
	v_cmp_eq_u64_e32 vcc, 0, v[6:7]
	s_nop 1
	v_cndmask_b32_e32 v58, v18, v58, vcc
	v_and_b32_e32 v18, 16, v58
	v_cmp_ne_u32_e32 vcc, 0, v18
	s_and_saveexec_b64 s[2:3], vcc
	s_cbranch_execz .LBB5_36
; %bb.35:
	flat_load_dwordx2 v[32:33], v[28:29] offset:48
	flat_load_dwordx2 v[36:37], v[28:29] offset:120
	;; [unrolled: 1-line block ×3, first 2 shown]
.LBB5_36:
	s_or_b64 exec, exec, s[2:3]
	v_lshl_add_u64 v[112:113], v[8:9], 0, 3
	v_and_b32_e32 v8, 8, v58
	v_and_b32_e32 v112, -4, v112
	v_cmp_ne_u32_e32 vcc, 0, v8
	s_and_saveexec_b64 s[2:3], vcc
	s_cbranch_execz .LBB5_40
; %bb.37:
	v_and_b32_e32 v8, 0x800, v58
	v_cmp_eq_u32_e32 vcc, 0, v8
	s_and_saveexec_b64 s[4:5], vcc
	s_cbranch_execz .LBB5_39
; %bb.38:
	s_trap 2
	ds_write_b64 v0, v[28:29]
.LBB5_39:
	s_or_b64 exec, exec, s[4:5]
	s_waitcnt vmcnt(0) lgkmcnt(0)
	flat_load_dwordx2 v[32:33], v[28:29] offset:56
	s_waitcnt vmcnt(0) lgkmcnt(0)
	flat_load_dwordx2 v[48:49], v[32:33] sc0 sc1
	flat_load_dword v8, v[28:29] offset:72
	flat_load_dwordx2 v[34:35], v[28:29] offset:16
	s_waitcnt vmcnt(0) lgkmcnt(0)
	v_ashrrev_i32_e32 v30, 1, v8
.LBB5_40:
	s_or_b64 exec, exec, s[2:3]
.LBB5_41:
	s_or_b64 exec, exec, s[0:1]
	v_cmp_eq_u32_e64 s[0:1], 0, v0
	s_and_saveexec_b64 s[2:3], s[0:1]
	s_cbranch_execz .LBB5_43
; %bb.42:
	s_waitcnt lgkmcnt(0)
	flat_load_dwordx2 v[8:9], v[2:3] offset:32
	ds_write2_b64 v0, v[12:13], v[10:11] offset1:1
	s_trap 2
	s_waitcnt vmcnt(0) lgkmcnt(0)
	ds_write_b64 v0, v[8:9]
	ds_write_b64 v0, v[16:17]
.LBB5_43:
	s_or_b64 exec, exec, s[2:3]
	v_mov_b64_e32 v[38:39], 0
	v_cmp_lt_i64_e32 vcc, 0, v[4:5]
	s_trap 2
	s_and_saveexec_b64 s[4:5], vcc
	s_cbranch_execz .LBB5_2216
; %bb.44:
	s_waitcnt lgkmcnt(0)
	flat_load_dword v8, v[2:3] offset:4
	v_and_b32_e32 v2, 0x1fffff00, v14
	s_ashr_i32 s14, s22, 31
	v_mad_i64_i32 v[64:65], s[12:13], v2, s54, 0
	s_lshr_b32 s12, s14, 29
	s_add_i32 s22, s22, s12
	s_ashr_i32 s55, s54, 31
	s_ashr_i32 s12, s22, 4
	s_add_u32 s76, s54, -1
	s_addc_u32 s77, s55, -1
	s_add_i32 s64, s54, s54
	s_not_b32 s13, s54
	s_cmp_gt_i32 s54, 0
	s_cselect_b32 s13, s13, -1
	s_ashr_i32 s22, s22, 31
	s_add_i32 s65, s13, s64
	s_lshr_b32 s13, s22, 29
	s_add_i32 s12, s12, s13
	s_ashr_i32 s66, s65, 31
	s_ashr_i32 s67, s12, 3
	s_cmp_gt_i32 s54, 2
	v_lshrrev_b32_e32 v52, 6, v1
	s_cselect_b64 s[78:79], -1, 0
	s_add_i32 s68, s33, 0xd0
	s_add_i32 s69, s33, 0xb0
	;; [unrolled: 1-line block ×13, first 2 shown]
	v_writelane_b32 v109, s4, 2
	v_mov_b32_e32 v10, 0xfffff800
	v_mov_b32_e32 v11, 0xfffffe00
	v_lshlrev_b32_e32 v61, 10, v52
	v_lshlrev_b32_e32 v62, 7, v52
	v_writelane_b32 v109, s5, 3
	v_and_b32_e32 v9, 63, v31
	v_and_b32_e32 v59, 63, v0
	v_lshl_add_u32 v68, v52, 11, v10
	v_lshl_add_u32 v70, v52, 9, v11
	v_add_u32_e32 v80, 0xfffffc00, v61
	v_add_u32_e32 v82, 0xffffff80, v62
	v_writelane_b32 v109, s8, 4
	v_mov_b32_e32 v3, 0
	v_lshrrev_b32_e32 v60, 6, v0
	s_mov_b64 s[58:59], 0x800
	s_mov_b64 s[60:61], 0x400
	;; [unrolled: 1-line block ×4, first 2 shown]
	v_cmp_eq_u32_e64 s[14:15], 0, v9
	v_lshlrev_b32_e32 v9, 4, v59
	v_ashrrev_i32_e32 v69, 31, v68
	v_ashrrev_i32_e32 v71, 31, v70
	;; [unrolled: 1-line block ×4, first 2 shown]
	v_writelane_b32 v109, s9, 5
	v_cmp_ge_u32_e64 s[2:3], v0, v1
	v_ashrrev_i32_e32 v51, 31, v30
	v_cmp_eq_u32_e64 s[4:5], 64, v1
	v_cmp_ne_u32_e64 s[6:7], 64, v1
	v_cmp_ne_u32_sdwa s[56:57], v1, v50 src0_sel:DWORD src1_sel:WORD_0
	s_mov_b64 s[74:75], 0
	s_waitcnt vmcnt(0)
	v_cmp_eq_u64_e64 s[10:11], 0, v[36:37]
	v_cmp_ne_u64_e64 s[8:9], 0, v[36:37]
	v_lshlrev_b32_e32 v54, 4, v0
	v_mov_b32_e32 v53, v3
	v_cmp_eq_u32_e64 s[16:17], 0, v59
	v_cmp_lt_u32_e64 s[18:19], v59, v15
	v_mov_b32_e32 v67, v3
	v_cmp_le_u32_e64 s[20:21], v59, v15
	v_mov_b32_e32 v55, v3
	v_lshl_or_b32 v66, v60, 11, v9
	v_lshl_add_u64 v[84:85], v[68:69], 0, s[58:59]
	s_waitcnt lgkmcnt(0)
	v_and_b32_e32 v8, 1, v8
	v_cmp_eq_u32_e64 s[22:23], 1, v8
	s_xor_b64 s[88:89], s[22:23], -1
	s_cmp_ge_i32 s12, s54
	s_cselect_b32 s13, s54, 0
	s_sub_i32 s96, s12, s13
	v_lshl_add_u64 v[86:87], v[70:71], 0, s[62:63]
	v_lshl_add_u64 v[96:97], v[80:81], 0, s[60:61]
	;; [unrolled: 1-line block ×3, first 2 shown]
	s_ashr_i32 s97, s96, 31
	s_add_i32 s98, s54, -2
	v_mov_b64_e32 v[100:101], 0
	v_mov_b64_e32 v[38:39], 0
	v_mov_b32_e32 v63, 1
	s_movk_i32 s99, 0x108
	s_mov_b32 s46, 0x7f800000
	s_movk_i32 s47, 0x7fff
	s_mov_b32 s44, 0xffff0000
	v_mov_b32_e32 v106, v3
	v_mov_b32_e32 v107, v3
	;; [unrolled: 1-line block ×8, first 2 shown]
	v_mov_b64_e32 v[102:103], v[2:3]
	s_trap 2
	s_branch .LBB5_47
.LBB5_45:                               ;   in Loop: Header=BB5_47 Depth=1
	s_or_b64 exec, exec, s[24:25]
.LBB5_46:                               ;   in Loop: Header=BB5_47 Depth=1
	s_or_b64 exec, exec, s[28:29]
	v_lshl_add_u64 v[100:101], v[100:101], 0, v[64:65]
	v_cmp_ge_i64_e32 vcc, v[100:101], v[4:5]
	s_or_b64 s[74:75], vcc, s[74:75]
	s_andn2_b64 exec, exec, s[74:75]
	s_cbranch_execz .LBB5_2215
.LBB5_47:                               ; =>This Loop Header: Depth=1
                                        ;     Child Loop BB5_62 Depth 2
                                        ;     Child Loop BB5_86 Depth 2
	;; [unrolled: 1-line block ×13, first 2 shown]
                                        ;       Child Loop BB5_305 Depth 3
                                        ;       Child Loop BB5_333 Depth 3
	;; [unrolled: 1-line block ×4, first 2 shown]
                                        ;         Child Loop BB5_382 Depth 4
                                        ;         Child Loop BB5_419 Depth 4
                                        ;       Child Loop BB5_494 Depth 3
                                        ;         Child Loop BB5_495 Depth 4
                                        ;         Child Loop BB5_532 Depth 4
                                        ;       Child Loop BB5_609 Depth 3
                                        ;       Child Loop BB5_668 Depth 3
                                        ;         Child Loop BB5_669 Depth 4
                                        ;         Child Loop BB5_678 Depth 4
                                        ;       Child Loop BB5_697 Depth 3
                                        ;       Child Loop BB5_716 Depth 3
	;; [unrolled: 1-line block ×5, first 2 shown]
                                        ;     Child Loop BB5_818 Depth 2
                                        ;     Child Loop BB5_853 Depth 2
	;; [unrolled: 1-line block ×4, first 2 shown]
                                        ;       Child Loop BB5_947 Depth 3
                                        ;       Child Loop BB5_982 Depth 3
	;; [unrolled: 1-line block ×4, first 2 shown]
                                        ;     Child Loop BB5_1073 Depth 2
                                        ;     Child Loop BB5_1078 Depth 2
                                        ;       Child Loop BB5_1079 Depth 3
                                        ;       Child Loop BB5_1114 Depth 3
	;; [unrolled: 1-line block ×4, first 2 shown]
                                        ;     Child Loop BB5_1190 Depth 2
                                        ;     Child Loop BB5_1198 Depth 2
	;; [unrolled: 1-line block ×3, first 2 shown]
                                        ;       Child Loop BB5_1260 Depth 3
                                        ;       Child Loop BB5_1267 Depth 3
	;; [unrolled: 1-line block ×4, first 2 shown]
                                        ;     Child Loop BB5_1286 Depth 2
                                        ;     Child Loop BB5_1298 Depth 2
                                        ;       Child Loop BB5_1299 Depth 3
                                        ;       Child Loop BB5_1336 Depth 3
                                        ;     Child Loop BB5_1413 Depth 2
                                        ;       Child Loop BB5_1414 Depth 3
                                        ;       Child Loop BB5_1451 Depth 3
                                        ;     Child Loop BB5_1528 Depth 2
                                        ;     Child Loop BB5_1587 Depth 2
                                        ;       Child Loop BB5_1588 Depth 3
                                        ;       Child Loop BB5_1597 Depth 3
                                        ;     Child Loop BB5_1616 Depth 2
                                        ;     Child Loop BB5_1639 Depth 2
	;; [unrolled: 1-line block ×6, first 2 shown]
                                        ;       Child Loop BB5_1670 Depth 3
                                        ;       Child Loop BB5_1710 Depth 3
                                        ;       Child Loop BB5_1756 Depth 3
                                        ;       Child Loop BB5_1798 Depth 3
                                        ;         Child Loop BB5_1800 Depth 4
                                        ;         Child Loop BB5_1805 Depth 4
                                        ;       Child Loop BB5_1830 Depth 3
                                        ;       Child Loop BB5_1835 Depth 3
                                        ;         Child Loop BB5_1837 Depth 4
                                        ;         Child Loop BB5_1842 Depth 4
                                        ;       Child Loop BB5_1848 Depth 3
                                        ;       Child Loop BB5_1856 Depth 3
	;; [unrolled: 1-line block ×3, first 2 shown]
                                        ;         Child Loop BB5_1868 Depth 4
                                        ;         Child Loop BB5_1873 Depth 4
                                        ;       Child Loop BB5_1877 Depth 3
                                        ;       Child Loop BB5_1889 Depth 3
	;; [unrolled: 1-line block ×10, first 2 shown]
                                        ;     Child Loop BB5_1990 Depth 2
                                        ;     Child Loop BB5_2014 Depth 2
	;; [unrolled: 1-line block ×12, first 2 shown]
	v_sub_co_u32_e32 v114, vcc, v4, v100
	s_nop 1
	v_subb_co_u32_e32 v115, vcc, v5, v101, vcc
	v_cmp_lt_i64_e32 vcc, v[114:115], v[64:65]
	s_and_saveexec_b64 s[26:27], vcc
	s_cbranch_execz .LBB5_53
; %bb.48:                               ;   in Loop: Header=BB5_47 Depth=1
	v_lshl_add_u64 v[8:9], s[76:77], 0, v[114:115]
	v_or_b32_e32 v11, s55, v9
	v_mov_b32_e32 v10, v3
	v_cmp_ne_u64_e32 vcc, 0, v[10:11]
                                        ; implicit-def: $vgpr10_vgpr11
	s_and_saveexec_b64 s[12:13], vcc
	s_xor_b64 s[28:29], exec, s[12:13]
	s_cbranch_execz .LBB5_50
; %bb.49:                               ;   in Loop: Header=BB5_47 Depth=1
	s_ashr_i32 s40, s55, 31
	s_add_u32 s12, s54, s40
	s_mov_b32 s41, s40
	s_addc_u32 s13, s55, s40
	s_xor_b64 s[42:43], s[12:13], s[40:41]
	v_cvt_f32_u32_e32 v2, s42
	v_cvt_f32_u32_e32 v10, s43
	s_sub_u32 s24, 0, s42
	s_subb_u32 s25, 0, s43
	v_fmac_f32_e32 v2, 0x4f800000, v10
	v_rcp_f32_e32 v2, v2
	s_nop 0
	v_mul_f32_e32 v2, 0x5f7ffffc, v2
	v_mul_f32_e32 v10, 0x2f800000, v2
	v_trunc_f32_e32 v10, v10
	v_fmac_f32_e32 v2, 0xcf800000, v10
	v_cvt_u32_f32_e32 v10, v10
	v_cvt_u32_f32_e32 v2, v2
	v_readfirstlane_b32 s41, v10
	v_readfirstlane_b32 s12, v2
	s_mul_i32 s13, s24, s41
	s_mul_hi_u32 s90, s24, s12
	s_mul_i32 s45, s25, s12
	s_add_i32 s13, s90, s13
	s_add_i32 s13, s13, s45
	s_mul_i32 s91, s24, s12
	s_mul_i32 s90, s12, s13
	s_mul_hi_u32 s92, s12, s91
	s_mul_hi_u32 s45, s12, s13
	s_add_u32 s90, s92, s90
	s_addc_u32 s45, 0, s45
	s_mul_hi_u32 s93, s41, s91
	s_mul_i32 s91, s41, s91
	s_add_u32 s90, s90, s91
	s_mul_hi_u32 s92, s41, s13
	s_addc_u32 s45, s45, s93
	s_addc_u32 s90, s92, 0
	s_mul_i32 s13, s41, s13
	s_add_u32 s13, s45, s13
	s_addc_u32 s45, 0, s90
	s_add_u32 s90, s12, s13
	s_cselect_b64 s[12:13], -1, 0
	s_cmp_lg_u64 s[12:13], 0
	s_addc_u32 s41, s41, s45
	s_mul_i32 s12, s24, s41
	s_mul_hi_u32 s13, s24, s90
	s_add_i32 s12, s13, s12
	s_mul_i32 s25, s25, s90
	s_add_i32 s12, s12, s25
	s_mul_i32 s24, s24, s90
	s_mul_hi_u32 s25, s41, s24
	s_mul_i32 s45, s41, s24
	s_mul_i32 s92, s90, s12
	s_mul_hi_u32 s24, s90, s24
	s_mul_hi_u32 s91, s90, s12
	s_add_u32 s24, s24, s92
	s_addc_u32 s91, 0, s91
	s_add_u32 s24, s24, s45
	s_mul_hi_u32 s13, s41, s12
	s_addc_u32 s24, s91, s25
	s_addc_u32 s13, s13, 0
	s_mul_i32 s12, s41, s12
	s_add_u32 s12, s24, s12
	s_addc_u32 s24, 0, s13
	s_add_u32 s25, s90, s12
	v_ashrrev_i32_e32 v10, 31, v9
	s_cselect_b64 s[12:13], -1, 0
	v_mov_b32_e32 v11, v10
	s_cmp_lg_u64 s[12:13], 0
	v_lshl_add_u64 v[8:9], v[8:9], 0, v[10:11]
	s_addc_u32 s24, s41, s24
	v_xor_b32_e32 v16, v8, v10
	v_xor_b32_e32 v11, v9, v10
	v_mad_u64_u32 v[8:9], s[12:13], v16, s24, 0
	v_mul_hi_u32 v2, v16, s25
	v_lshl_add_u64 v[8:9], v[2:3], 0, v[8:9]
	v_mad_u64_u32 v[14:15], s[12:13], v11, s25, 0
	v_add_co_u32_e32 v2, vcc, v8, v14
	v_mad_u64_u32 v[12:13], s[12:13], v11, s24, 0
	s_nop 0
	v_addc_co_u32_e32 v2, vcc, v9, v15, vcc
	s_nop 1
	v_addc_co_u32_e32 v13, vcc, 0, v13, vcc
	v_lshl_add_u64 v[8:9], v[2:3], 0, v[12:13]
	v_mul_lo_u32 v2, s43, v8
	v_mul_lo_u32 v14, s42, v9
	v_mad_u64_u32 v[12:13], s[12:13], s42, v8, 0
	v_add3_u32 v2, v13, v14, v2
	v_sub_u32_e32 v13, v11, v2
	v_mov_b32_e32 v14, s43
	v_sub_co_u32_e32 v16, vcc, v16, v12
	s_nop 1
	v_subb_co_u32_e64 v12, s[24:25], v13, v14, vcc
	v_subrev_co_u32_e64 v13, s[24:25], s42, v16
	v_subb_co_u32_e32 v2, vcc, v11, v2, vcc
	s_nop 0
	v_subbrev_co_u32_e64 v12, s[24:25], 0, v12, s[24:25]
	v_cmp_le_u32_e64 s[24:25], s43, v12
	v_cmp_le_u32_e32 vcc, s43, v2
	s_nop 0
	v_cndmask_b32_e64 v14, 0, -1, s[24:25]
	v_cmp_le_u32_e64 s[24:25], s42, v13
	v_cndmask_b32_e64 v11, 0, -1, vcc
	v_cmp_le_u32_e32 vcc, s42, v16
	v_cndmask_b32_e64 v13, 0, -1, s[24:25]
	v_cmp_eq_u32_e64 s[24:25], s43, v12
	s_nop 1
	v_cndmask_b32_e64 v17, v14, v13, s[24:25]
	v_lshl_add_u64 v[12:13], v[8:9], 0, 2
	v_lshl_add_u64 v[14:15], v[8:9], 0, 1
	v_cmp_ne_u32_e64 s[24:25], 0, v17
	s_nop 1
	v_cndmask_b32_e64 v13, v15, v13, s[24:25]
	v_cndmask_b32_e64 v15, 0, -1, vcc
	v_cmp_eq_u32_e32 vcc, s43, v2
	s_nop 1
	v_cndmask_b32_e32 v2, v11, v15, vcc
	v_cmp_ne_u32_e32 vcc, 0, v2
	s_nop 1
	v_cndmask_b32_e32 v2, v9, v13, vcc
	v_cndmask_b32_e64 v9, v14, v12, s[24:25]
	v_cndmask_b32_e32 v8, v8, v9, vcc
	v_xor_b32_e32 v9, s40, v10
	v_xor_b32_e32 v8, v8, v9
	;; [unrolled: 1-line block ×3, first 2 shown]
	v_sub_co_u32_e32 v10, vcc, v8, v9
	s_nop 1
	v_subb_co_u32_e32 v11, vcc, v2, v9, vcc
                                        ; implicit-def: $vgpr8_vgpr9
.LBB5_50:                               ;   in Loop: Header=BB5_47 Depth=1
	s_andn2_saveexec_b64 s[24:25], s[28:29]
	s_cbranch_execz .LBB5_52
; %bb.51:                               ;   in Loop: Header=BB5_47 Depth=1
	v_cvt_f32_u32_e32 v2, s54
	s_sub_i32 s12, 0, s54
	v_rcp_iflag_f32_e32 v2, v2
	s_nop 0
	v_mul_f32_e32 v2, 0x4f7ffffe, v2
	v_cvt_u32_f32_e32 v2, v2
	v_mul_lo_u32 v9, s12, v2
	v_mul_hi_u32 v9, v2, v9
	v_add_u32_e32 v2, v2, v9
	v_mul_hi_u32 v2, v8, v2
	v_mul_lo_u32 v9, v2, s54
	v_sub_u32_e32 v8, v8, v9
	v_add_u32_e32 v10, 1, v2
	v_subrev_u32_e32 v9, s54, v8
	v_cmp_le_u32_e32 vcc, s54, v8
	s_nop 1
	v_cndmask_b32_e32 v8, v8, v9, vcc
	v_cndmask_b32_e32 v2, v2, v10, vcc
	v_add_u32_e32 v9, 1, v2
	v_cmp_le_u32_e32 vcc, s54, v8
	s_nop 1
	v_cndmask_b32_e32 v2, v2, v9, vcc
	v_mov_b64_e32 v[10:11], v[2:3]
.LBB5_52:                               ;   in Loop: Header=BB5_47 Depth=1
	s_or_b64 exec, exec, s[24:25]
	v_lshl_add_u64 v[102:103], v[10:11], 0, 7
	v_and_b32_e32 v102, -8, v102
.LBB5_53:                               ;   in Loop: Header=BB5_47 Depth=1
	s_or_b64 exec, exec, s[26:27]
	v_mul_lo_u32 v2, v103, s65
	v_mul_lo_u32 v10, v102, s66
	v_mad_u64_u32 v[8:9], s[12:13], v102, s65, 0
	v_add3_u32 v9, v9, v10, v2
	v_sub_co_u32_e32 v10, vcc, v114, v8
	v_lshl_add_u64 v[116:117], v[100:101], 0, v[24:25]
	s_nop 0
	v_subb_co_u32_e32 v11, vcc, v115, v9, vcc
	v_cmp_lt_i64_e32 vcc, v[102:103], v[10:11]
	v_mov_b32_e32 v2, 0
	s_nop 0
	v_cndmask_b32_e32 v10, v10, v102, vcc
	v_max_i32_e32 v78, 0, v10
	v_add_u32_e32 v11, 15, v78
	v_ashrrev_i32_e32 v12, 31, v11
	v_lshrrev_b32_e32 v12, 28, v12
	v_add_u32_e32 v11, v11, v12
	v_cmp_gt_i32_e32 vcc, 1, v10
	v_and_b32_e32 v11, -16, v11
	s_or_b64 s[26:27], s[2:3], vcc
	v_max_i32_e32 v118, s67, v11
	s_xor_b64 s[12:13], s[26:27], -1
	s_and_saveexec_b64 s[28:29], s[12:13]
	s_cbranch_execz .LBB5_222
; %bb.54:                               ;   in Loop: Header=BB5_47 Depth=1
	s_and_saveexec_b64 s[24:25], s[0:1]
	s_cbranch_execz .LBB5_56
; %bb.55:                               ;   in Loop: Header=BB5_47 Depth=1
	s_trap 2
	ds_read_b64 v[10:11], v0
	s_waitcnt lgkmcnt(0)
	v_lshl_add_u64 v[10:11], v[116:117], 1, v[10:11]
	v_lshl_add_u64 v[8:9], v[8:9], 1, v[10:11]
	ds_write_b64 v0, v[8:9]
	ds_write_b64 v0, v[106:107]
.LBB5_56:                               ;   in Loop: Header=BB5_47 Depth=1
	s_or_b64 exec, exec, s[24:25]
	v_and_b32_e32 v2, 8, v58
	v_min_i32_e32 v118, v118, v78
	v_cmp_ne_u32_e32 vcc, 0, v2
	s_and_saveexec_b64 s[40:41], vcc
	s_cbranch_execz .LBB5_78
; %bb.57:                               ;   in Loop: Header=BB5_47 Depth=1
	s_waitcnt vmcnt(0) lgkmcnt(0)
	v_lshl_add_u64 v[10:11], v[48:49], 0, 8
	v_lshl_add_u64 v[8:9], v[112:113], 0, 4
	v_cmp_lt_u64_e32 vcc, v[10:11], v[8:9]
	s_and_saveexec_b64 s[42:43], vcc
	s_cbranch_execz .LBB5_69
; %bb.58:                               ;   in Loop: Header=BB5_47 Depth=1
	v_and_b32_e32 v2, 64, v58
	s_mov_b32 s45, 0
	v_cmp_eq_u32_e32 vcc, 0, v2
	s_mov_b64 s[90:91], 0
                                        ; implicit-def: $sgpr92_sgpr93
                                        ; implicit-def: $sgpr94_sgpr95
                                        ; implicit-def: $sgpr30_sgpr31
	s_branch .LBB5_62
.LBB5_59:                               ;   in Loop: Header=BB5_62 Depth=2
	s_waitcnt vmcnt(0) lgkmcnt(0)
	v_lshl_add_u64 v[10:11], v[48:49], 0, 8
	v_cmp_ge_u64_e64 s[24:25], v[10:11], v[8:9]
	s_or_b64 s[38:39], s[38:39], exec
	s_orn2_b64 s[36:37], s[24:25], exec
.LBB5_60:                               ;   in Loop: Header=BB5_62 Depth=2
	s_or_b64 exec, exec, s[50:51]
	s_andn2_b64 s[12:13], s[30:31], exec
	s_and_b64 s[24:25], s[38:39], exec
	s_or_b64 s[30:31], s[12:13], s[24:25]
	s_andn2_b64 s[12:13], s[94:95], exec
	s_and_b64 s[24:25], s[36:37], exec
	s_or_b64 s[94:95], s[12:13], s[24:25]
.LBB5_61:                               ;   in Loop: Header=BB5_62 Depth=2
	s_or_b64 exec, exec, s[34:35]
	s_and_b64 s[12:13], exec, s[94:95]
	s_or_b64 s[90:91], s[12:13], s[90:91]
	s_andn2_b64 s[12:13], s[92:93], exec
	s_and_b64 s[24:25], s[30:31], exec
	s_or_b64 s[92:93], s[12:13], s[24:25]
	s_andn2_b64 exec, exec, s[90:91]
	s_cbranch_execz .LBB5_66
.LBB5_62:                               ;   Parent Loop BB5_47 Depth=1
                                        ; =>  This Inner Loop Header: Depth=2
	s_sleep 1
	s_waitcnt vmcnt(0) lgkmcnt(0)
	flat_load_dwordx2 v[48:49], v[32:33] sc0 sc1
	s_or_b64 s[30:31], s[30:31], exec
	s_or_b64 s[94:95], s[94:95], exec
                                        ; implicit-def: $vgpr2
	s_and_saveexec_b64 s[34:35], vcc
	s_cbranch_execz .LBB5_61
; %bb.63:                               ;   in Loop: Header=BB5_62 Depth=2
	s_cmpk_lt_i32 s45, 0x270f
	s_cselect_b64 s[48:49], -1, 0
	s_cmpk_gt_i32 s45, 0x270e
	s_mov_b64 s[36:37], -1
	s_cbranch_scc0 .LBB5_65
; %bb.64:                               ;   in Loop: Header=BB5_62 Depth=2
	s_trap 2
	ds_read_b64 v[10:11], v0
	s_andn2_b64 s[12:13], s[48:49], exec
	s_mov_b32 s45, 0
	s_mov_b64 s[38:39], 0
	s_waitcnt vmcnt(0) lgkmcnt(0)
	flat_load_dword v2, v[10:11] sc0 sc1
	s_waitcnt vmcnt(0) lgkmcnt(0)
	buffer_inv sc0 sc1
	v_cmp_eq_u32_e64 s[24:25], 0, v2
	s_and_b64 s[24:25], s[24:25], exec
	s_or_b64 s[48:49], s[12:13], s[24:25]
	s_and_saveexec_b64 s[50:51], s[48:49]
	s_cbranch_execz .LBB5_60
	s_branch .LBB5_59
.LBB5_65:                               ;   in Loop: Header=BB5_62 Depth=2
	s_add_i32 s45, s45, 1
	s_mov_b64 s[38:39], -1
                                        ; implicit-def: $vgpr2
	s_and_saveexec_b64 s[50:51], s[48:49]
	s_cbranch_execz .LBB5_60
	s_branch .LBB5_59
.LBB5_66:                               ;   in Loop: Header=BB5_47 Depth=1
	s_or_b64 exec, exec, s[90:91]
	s_xor_b64 s[12:13], s[92:93], -1
	s_and_saveexec_b64 s[24:25], s[12:13]
	s_xor_b64 s[24:25], exec, s[24:25]
	s_cbranch_execz .LBB5_68
; %bb.67:                               ;   in Loop: Header=BB5_47 Depth=1
	v_or_b32_e32 v58, 64, v58
	s_waitcnt lgkmcnt(0)
	ds_write_b32 v0, v2
	s_trap 2
.LBB5_68:                               ;   in Loop: Header=BB5_47 Depth=1
	s_or_b64 exec, exec, s[24:25]
.LBB5_69:                               ;   in Loop: Header=BB5_47 Depth=1
	s_or_b64 exec, exec, s[42:43]
	v_and_b32_e32 v2, 0x100, v58
	v_cmp_ne_u32_e32 vcc, 0, v2
	v_and_b32_e32 v2, 7, v112
	s_mov_b64 s[24:25], -1
	;;#ASMSTART
	s_wakeup
	;;#ASMEND
                                        ; implicit-def: $vgpr10_vgpr11
	s_and_saveexec_b64 s[42:43], vcc
	s_cbranch_execz .LBB5_73
; %bb.70:                               ;   in Loop: Header=BB5_47 Depth=1
	v_mad_u64_u32 v[12:13], s[12:13], v2, 24, v[6:7]
	flat_load_dword v14, v[12:13]
	v_ashrrev_i32_e32 v119, 31, v118
	v_lshlrev_b64 v[10:11], 1, v[118:119]
	flat_store_dwordx2 v[12:13], v[10:11] offset:8
                                        ; implicit-def: $vgpr10_vgpr11
	s_waitcnt vmcnt(0) lgkmcnt(0)
	v_cmp_ne_u32_e32 vcc, 1, v14
	v_cmp_eq_u32_e64 s[24:25], 1, v14
	s_and_saveexec_b64 s[90:91], s[24:25]
	s_cbranch_execz .LBB5_72
; %bb.71:                               ;   in Loop: Header=BB5_47 Depth=1
	flat_load_dword v10, v[12:13] offset:4 sc0 sc1
	s_waitcnt vmcnt(0) lgkmcnt(0)
	v_ashrrev_i32_e32 v11, 31, v10
	v_lshrrev_b64 v[10:11], 1, v[10:11]
.LBB5_72:                               ;   in Loop: Header=BB5_47 Depth=1
	s_or_b64 exec, exec, s[90:91]
	s_orn2_b64 s[24:25], vcc, exec
.LBB5_73:                               ;   in Loop: Header=BB5_47 Depth=1
	s_or_b64 exec, exec, s[42:43]
	s_and_saveexec_b64 s[42:43], s[24:25]
; %bb.74:                               ;   in Loop: Header=BB5_47 Depth=1
	v_mad_i64_i32 v[10:11], s[12:13], v2, v30, 0
; %bb.75:                               ;   in Loop: Header=BB5_47 Depth=1
	s_or_b64 exec, exec, s[42:43]
	v_and_b32_e32 v2, 0x2000, v58
	v_lshl_add_u64 v[10:11], v[10:11], 1, v[34:35]
	v_cmp_ne_u32_e32 vcc, 0, v2
	ds_write_b64 v0, v[10:11] offset:784
	s_and_saveexec_b64 s[24:25], vcc
	s_cbranch_execz .LBB5_77
; %bb.76:                               ;   in Loop: Header=BB5_47 Depth=1
	ds_read_b64 v[10:11], v0 offset:872
	s_waitcnt lgkmcnt(0)
	v_lshl_add_u64 v[10:11], v[10:11], 0, 1
	ds_write_b64 v0, v[10:11] offset:872
.LBB5_77:                               ;   in Loop: Header=BB5_47 Depth=1
	s_or_b64 exec, exec, s[24:25]
	v_mov_b64_e32 v[112:113], v[8:9]
.LBB5_78:                               ;   in Loop: Header=BB5_47 Depth=1
	s_or_b64 exec, exec, s[40:41]
	s_and_saveexec_b64 s[24:25], s[6:7]
	s_cbranch_execz .LBB5_97
; %bb.79:                               ;   in Loop: Header=BB5_47 Depth=1
	s_and_saveexec_b64 s[12:13], s[56:57]
	s_xor_b64 s[40:41], exec, s[12:13]
	s_cbranch_execz .LBB5_94
; %bb.80:                               ;   in Loop: Header=BB5_47 Depth=1
	s_and_saveexec_b64 s[42:43], s[14:15]
	s_cbranch_execz .LBB5_93
; %bb.81:                               ;   in Loop: Header=BB5_47 Depth=1
	s_mov_b64 s[92:93], exec
	v_mbcnt_lo_u32_b32 v2, s92, 0
	v_mbcnt_hi_u32_b32 v2, s93, v2
	v_cmp_eq_u32_e32 vcc, 0, v2
	s_waitcnt lgkmcnt(0)
	s_and_saveexec_b64 s[90:91], vcc
	s_cbranch_execz .LBB5_83
; %bb.82:                               ;   in Loop: Header=BB5_47 Depth=1
	s_bcnt1_i32_b64 s12, s[92:93]
	v_mov_b32_e32 v2, s12
	ds_add_u64 v0, v[2:3]
	s_trap 2
.LBB5_83:                               ;   in Loop: Header=BB5_47 Depth=1
	s_or_b64 exec, exec, s[90:91]
	s_trap 2
	ds_read_b64 v[8:9], v0
	s_waitcnt lgkmcnt(0)
	v_lshl_add_u64 v[38:39], v[38:39], 0, v[52:53]
	v_cmp_lt_u64_e32 vcc, v[8:9], v[38:39]
	s_and_saveexec_b64 s[90:91], vcc
	s_cbranch_execz .LBB5_92
; %bb.84:                               ;   in Loop: Header=BB5_47 Depth=1
	s_mov_b32 s12, 0
	s_mov_b64 s[92:93], 0
                                        ; implicit-def: $sgpr94_sgpr95
                                        ; implicit-def: $sgpr30_sgpr31
	s_branch .LBB5_86
.LBB5_85:                               ;   in Loop: Header=BB5_86 Depth=2
	s_or_b64 exec, exec, s[36:37]
	s_and_b64 vcc, exec, vcc
	s_or_b64 s[92:93], vcc, s[92:93]
	s_andn2_b64 s[94:95], s[94:95], exec
	s_and_b64 vcc, s[30:31], exec
	s_or_b64 s[94:95], s[94:95], vcc
	s_andn2_b64 exec, exec, s[92:93]
	s_cbranch_execz .LBB5_90
.LBB5_86:                               ;   Parent Loop BB5_47 Depth=1
                                        ; =>  This Inner Loop Header: Depth=2
	s_add_i32 s12, s12, 1
	s_cmpk_lg_i32 s12, 0x2710
	s_cselect_b64 s[34:35], -1, 0
	s_and_b64 vcc, exec, s[34:35]
	s_cbranch_vccz .LBB5_88
; %bb.87:                               ;   in Loop: Header=BB5_86 Depth=2
	s_mov_b64 vcc, -1
	s_or_b64 s[30:31], s[30:31], exec
	s_and_saveexec_b64 s[36:37], s[34:35]
	s_cbranch_execz .LBB5_85
	s_branch .LBB5_89
.LBB5_88:                               ;   in Loop: Header=BB5_86 Depth=2
	s_trap 2
	ds_read_b64 v[8:9], v0
	s_andn2_b64 s[34:35], s[34:35], exec
	s_mov_b32 s12, 0
	s_waitcnt vmcnt(0) lgkmcnt(0)
	flat_load_dword v2, v[8:9] sc0 sc1
	s_waitcnt vmcnt(0) lgkmcnt(0)
	buffer_inv sc0 sc1
	v_cmp_eq_u32_e32 vcc, 0, v2
	s_and_b64 vcc, vcc, exec
	s_or_b64 s[34:35], s[34:35], vcc
	s_mov_b64 vcc, -1
	s_or_b64 s[30:31], s[30:31], exec
	s_and_saveexec_b64 s[36:37], s[34:35]
	s_cbranch_execz .LBB5_85
.LBB5_89:                               ;   in Loop: Header=BB5_86 Depth=2
	s_sleep 1
	s_trap 2
	ds_read_b64 v[8:9], v0
	s_waitcnt lgkmcnt(0)
	s_andn2_b64 s[30:31], s[30:31], exec
	v_cmp_ge_u64_e32 vcc, v[8:9], v[38:39]
	s_orn2_b64 vcc, vcc, exec
	s_branch .LBB5_85
.LBB5_90:                               ;   in Loop: Header=BB5_47 Depth=1
	s_or_b64 exec, exec, s[92:93]
	s_and_saveexec_b64 s[12:13], s[94:95]
	s_xor_b64 s[12:13], exec, s[12:13]
	s_cbranch_execz .LBB5_92
; %bb.91:                               ;   in Loop: Header=BB5_47 Depth=1
	ds_write_b32 v0, v63
	s_trap 2
.LBB5_92:                               ;   in Loop: Header=BB5_47 Depth=1
	s_or_b64 exec, exec, s[90:91]
	;;#ASMSTART
	s_wakeup
	;;#ASMEND
.LBB5_93:                               ;   in Loop: Header=BB5_47 Depth=1
	s_or_b64 exec, exec, s[42:43]
.LBB5_94:                               ;   in Loop: Header=BB5_47 Depth=1
	s_andn2_saveexec_b64 s[40:41], s[40:41]
	s_cbranch_execz .LBB5_96
; %bb.95:                               ;   in Loop: Header=BB5_47 Depth=1
	s_waitcnt lgkmcnt(0)
	s_barrier
.LBB5_96:                               ;   in Loop: Header=BB5_47 Depth=1
	s_or_b64 exec, exec, s[40:41]
.LBB5_97:                               ;   in Loop: Header=BB5_47 Depth=1
	s_or_b64 exec, exec, s[24:25]
	s_trap 2
	ds_read_b32 v8, v0
	v_and_b32_e32 v2, 0x4000, v58
	v_cmp_ne_u32_e32 vcc, 0, v2
	s_xor_b64 s[12:13], s[4:5], -1
	s_and_b64 s[12:13], s[12:13], vcc
	s_and_saveexec_b64 s[24:25], s[12:13]
	s_cbranch_execz .LBB5_116
; %bb.98:                               ;   in Loop: Header=BB5_47 Depth=1
	s_and_saveexec_b64 s[12:13], s[56:57]
	s_xor_b64 s[40:41], exec, s[12:13]
	s_cbranch_execz .LBB5_113
; %bb.99:                               ;   in Loop: Header=BB5_47 Depth=1
	s_and_saveexec_b64 s[42:43], s[14:15]
	s_cbranch_execz .LBB5_112
; %bb.100:                              ;   in Loop: Header=BB5_47 Depth=1
	s_mov_b64 s[92:93], exec
	v_mbcnt_lo_u32_b32 v2, s92, 0
	v_mbcnt_hi_u32_b32 v2, s93, v2
	v_cmp_eq_u32_e32 vcc, 0, v2
	s_waitcnt lgkmcnt(0)
	s_and_saveexec_b64 s[90:91], vcc
	s_cbranch_execz .LBB5_102
; %bb.101:                              ;   in Loop: Header=BB5_47 Depth=1
	s_bcnt1_i32_b64 s12, s[92:93]
	v_mov_b32_e32 v2, s12
	ds_add_u64 v0, v[2:3]
	s_trap 2
.LBB5_102:                              ;   in Loop: Header=BB5_47 Depth=1
	s_or_b64 exec, exec, s[90:91]
	s_trap 2
	ds_read_b64 v[10:11], v0
	s_waitcnt lgkmcnt(0)
	v_lshl_add_u64 v[38:39], v[38:39], 0, v[52:53]
	v_cmp_lt_u64_e32 vcc, v[10:11], v[38:39]
	s_and_saveexec_b64 s[90:91], vcc
	s_cbranch_execz .LBB5_111
; %bb.103:                              ;   in Loop: Header=BB5_47 Depth=1
	s_mov_b32 s12, 0
	s_mov_b64 s[92:93], 0
                                        ; implicit-def: $sgpr94_sgpr95
                                        ; implicit-def: $sgpr30_sgpr31
	s_branch .LBB5_105
.LBB5_104:                              ;   in Loop: Header=BB5_105 Depth=2
	s_or_b64 exec, exec, s[36:37]
	s_and_b64 vcc, exec, vcc
	s_or_b64 s[92:93], vcc, s[92:93]
	s_andn2_b64 s[94:95], s[94:95], exec
	s_and_b64 vcc, s[30:31], exec
	s_or_b64 s[94:95], s[94:95], vcc
	s_andn2_b64 exec, exec, s[92:93]
	s_cbranch_execz .LBB5_109
.LBB5_105:                              ;   Parent Loop BB5_47 Depth=1
                                        ; =>  This Inner Loop Header: Depth=2
	s_add_i32 s12, s12, 1
	s_cmpk_lg_i32 s12, 0x2710
	s_cselect_b64 s[34:35], -1, 0
	s_and_b64 vcc, exec, s[34:35]
	s_cbranch_vccz .LBB5_107
; %bb.106:                              ;   in Loop: Header=BB5_105 Depth=2
	s_mov_b64 vcc, -1
	s_or_b64 s[30:31], s[30:31], exec
	s_and_saveexec_b64 s[36:37], s[34:35]
	s_cbranch_execz .LBB5_104
	s_branch .LBB5_108
.LBB5_107:                              ;   in Loop: Header=BB5_105 Depth=2
	s_trap 2
	ds_read_b64 v[10:11], v0
	s_andn2_b64 s[34:35], s[34:35], exec
	s_mov_b32 s12, 0
	s_waitcnt vmcnt(0) lgkmcnt(0)
	flat_load_dword v2, v[10:11] sc0 sc1
	s_waitcnt vmcnt(0) lgkmcnt(0)
	buffer_inv sc0 sc1
	v_cmp_eq_u32_e32 vcc, 0, v2
	s_and_b64 vcc, vcc, exec
	s_or_b64 s[34:35], s[34:35], vcc
	s_mov_b64 vcc, -1
	s_or_b64 s[30:31], s[30:31], exec
	s_and_saveexec_b64 s[36:37], s[34:35]
	s_cbranch_execz .LBB5_104
.LBB5_108:                              ;   in Loop: Header=BB5_105 Depth=2
	s_sleep 1
	s_trap 2
	ds_read_b64 v[10:11], v0
	s_waitcnt lgkmcnt(0)
	s_andn2_b64 s[30:31], s[30:31], exec
	v_cmp_ge_u64_e32 vcc, v[10:11], v[38:39]
	s_orn2_b64 vcc, vcc, exec
	s_branch .LBB5_104
.LBB5_109:                              ;   in Loop: Header=BB5_47 Depth=1
	s_or_b64 exec, exec, s[92:93]
	s_and_saveexec_b64 s[12:13], s[94:95]
	s_xor_b64 s[12:13], exec, s[12:13]
	s_cbranch_execz .LBB5_111
; %bb.110:                              ;   in Loop: Header=BB5_47 Depth=1
	ds_write_b32 v0, v63
	s_trap 2
.LBB5_111:                              ;   in Loop: Header=BB5_47 Depth=1
	s_or_b64 exec, exec, s[90:91]
	;;#ASMSTART
	s_wakeup
	;;#ASMEND
.LBB5_112:                              ;   in Loop: Header=BB5_47 Depth=1
	s_or_b64 exec, exec, s[42:43]
.LBB5_113:                              ;   in Loop: Header=BB5_47 Depth=1
	s_andn2_saveexec_b64 s[40:41], s[40:41]
	s_cbranch_execz .LBB5_115
; %bb.114:                              ;   in Loop: Header=BB5_47 Depth=1
	s_waitcnt lgkmcnt(0)
	s_barrier
.LBB5_115:                              ;   in Loop: Header=BB5_47 Depth=1
	s_or_b64 exec, exec, s[40:41]
.LBB5_116:                              ;   in Loop: Header=BB5_47 Depth=1
	s_or_b64 exec, exec, s[24:25]
	s_trap 2
	ds_read_b64 v[40:41], v0
	s_waitcnt lgkmcnt(0)
	v_cmp_eq_u64_e32 vcc, 0, v[40:41]
	s_cbranch_vccnz .LBB5_124
; %bb.117:                              ;   in Loop: Header=BB5_47 Depth=1
	s_trap 2
	ds_read_b64 v[42:43], v0
	s_waitcnt lgkmcnt(0)
	v_cmp_eq_u64_e32 vcc, 0, v[42:43]
	s_cbranch_vccnz .LBB5_124
; %bb.118:                              ;   in Loop: Header=BB5_47 Depth=1
	s_mov_b64 s[40:41], -1
	s_and_saveexec_b64 s[24:25], s[16:17]
	s_cbranch_execz .LBB5_120
; %bb.119:                              ;   in Loop: Header=BB5_47 Depth=1
	ds_read_b32 v2, v0 offset:720
	s_waitcnt lgkmcnt(0)
	v_and_b32_e32 v2, 15, v2
	v_cmp_eq_u32_e32 vcc, 0, v2
	s_orn2_b64 s[40:41], vcc, exec
.LBB5_120:                              ;   in Loop: Header=BB5_47 Depth=1
	s_or_b64 exec, exec, s[24:25]
	s_and_saveexec_b64 s[24:25], s[18:19]
	s_cbranch_execz .LBB5_122
; %bb.121:                              ;   in Loop: Header=BB5_47 Depth=1
	ds_read_b32 v2, v0 offset:784
	s_waitcnt lgkmcnt(0)
	v_and_b32_e32 v2, 15, v2
	v_cmp_eq_u32_e32 vcc, 0, v2
	s_and_b64 s[12:13], s[40:41], vcc
	s_andn2_b64 s[40:41], s[40:41], exec
	s_and_b64 s[12:13], s[12:13], exec
	s_or_b64 s[40:41], s[40:41], s[12:13]
.LBB5_122:                              ;   in Loop: Header=BB5_47 Depth=1
	s_or_b64 exec, exec, s[24:25]
	s_xor_b64 s[12:13], s[40:41], -1
	v_cndmask_b32_e64 v2, 0, 1, s[12:13]
	v_cmp_eq_u32_e64 s[24:25], 0, v8
	s_mov_b64 s[42:43], -1
	v_cmp_ne_u32_e32 vcc, 0, v2
	s_cbranch_vccz .LBB5_125
; %bb.123:                              ;   in Loop: Header=BB5_47 Depth=1
	s_mov_b64 s[42:43], 0
	s_mov_b64 s[40:41], -1
	s_branch .LBB5_126
.LBB5_124:                              ;   in Loop: Header=BB5_47 Depth=1
	s_mov_b64 s[24:25], 0
	s_and_saveexec_b64 s[40:41], s[6:7]
	s_cbranch_execnz .LBB5_176
	s_branch .LBB5_194
.LBB5_125:                              ;   in Loop: Header=BB5_47 Depth=1
	s_mov_b64 s[40:41], 0
.LBB5_126:                              ;   in Loop: Header=BB5_47 Depth=1
	v_cndmask_b32_e64 v2, 0, v118, s[24:25]
	v_lshlrev_b32_e32 v119, 1, v2
	s_andn2_b64 vcc, exec, s[42:43]
	v_mov_b32_e32 v14, 0
	s_cbranch_vccnz .LBB5_134
; %bb.127:                              ;   in Loop: Header=BB5_47 Depth=1
	v_ashrrev_i32_e32 v8, 31, v119
	v_lshrrev_b32_e32 v8, 21, v8
	v_add_u32_e32 v8, v119, v8
	v_ashrrev_i32_e32 v79, 11, v8
	v_sub_u32_e32 v56, v79, v60
	v_lshl_add_u64 v[44:45], v[42:43], 0, v[66:67]
	v_cmp_lt_i32_e32 vcc, 0, v56
	s_mov_b64 s[42:43], 0
                                        ; implicit-def: $vgpr8_vgpr9
                                        ; implicit-def: $vgpr12_vgpr13
	s_and_saveexec_b64 s[24:25], vcc
	s_cbranch_execz .LBB5_136
; %bb.128:                              ;   in Loop: Header=BB5_47 Depth=1
	v_lshl_add_u64 v[46:47], v[40:41], 0, v[66:67]
	s_mov_b64 s[92:93], 0
                                        ; implicit-def: $sgpr90_sgpr91
                                        ; implicit-def: $vgpr8_vgpr9
                                        ; implicit-def: $vgpr12_vgpr13
	s_branch .LBB5_130
.LBB5_129:                              ;   in Loop: Header=BB5_130 Depth=2
	s_or_b64 exec, exec, s[94:95]
	s_waitcnt vmcnt(0)
	global_store_dwordx4 v[44:45], v[16:19], off
	global_store_dwordx4 v[44:45], v[20:23], off offset:1024
	v_lshl_add_u64 v[46:47], v[46:47], 0, v[56:57]
	v_lshl_add_u64 v[16:17], v[44:45], 0, v[56:57]
	v_sub_u32_e32 v56, v88, v89
	v_cmp_gt_i32_e32 vcc, 1, v56
	s_or_b64 s[42:43], vcc, s[42:43]
	s_andn2_b64 s[12:13], s[90:91], exec
	s_and_b64 s[90:91], s[92:93], exec
	v_lshl_add_u64 v[44:45], v[16:17], 0, s[58:59]
	s_or_b64 s[90:91], s[12:13], s[90:91]
	s_andn2_b64 exec, exec, s[42:43]
	s_cbranch_execz .LBB5_135
.LBB5_130:                              ;   Parent Loop BB5_47 Depth=1
                                        ; =>  This Inner Loop Header: Depth=2
	global_load_dwordx4 v[16:19], v[46:47], off nt
	global_load_dwordx4 v[20:23], v[46:47], off offset:1024 nt
	s_and_saveexec_b64 s[94:95], s[92:93]
	s_cbranch_execz .LBB5_132
; %bb.131:                              ;   in Loop: Header=BB5_130 Depth=2
	v_lshl_add_u64 v[88:89], v[44:45], 0, v[84:85]
	global_store_dwordx4 v[44:45], v[8:11], off
	global_store_dwordx4 v[44:45], v[12:15], off offset:1024
	v_mov_b64_e32 v[44:45], v[88:89]
.LBB5_132:                              ;   in Loop: Header=BB5_130 Depth=2
	s_or_b64 exec, exec, s[94:95]
	v_sub_u32_e32 v88, v56, v52
	v_lshl_add_u64 v[46:47], v[46:47], 0, v[84:85]
	v_mov_b32_e32 v89, 0
	v_cmp_lt_i32_e64 s[92:93], 0, v88
	v_mov_b64_e32 v[56:57], 0
	s_and_saveexec_b64 s[94:95], s[92:93]
	s_cbranch_execz .LBB5_129
; %bb.133:                              ;   in Loop: Header=BB5_130 Depth=2
	global_load_dwordx4 v[8:11], v[46:47], off nt
	global_load_dwordx4 v[12:15], v[46:47], off offset:1024 nt
	v_lshl_add_u64 v[46:47], v[46:47], 0, s[58:59]
	v_mov_b32_e32 v89, v52
	v_mov_b64_e32 v[56:57], v[68:69]
	s_branch .LBB5_129
.LBB5_134:                              ;   in Loop: Header=BB5_47 Depth=1
	v_mov_b32_e32 v8, v0
	v_mov_b32_e32 v15, v59
	s_and_saveexec_b64 s[24:25], s[40:41]
	s_cbranch_execnz .LBB5_155
	s_branch .LBB5_175
.LBB5_135:                              ;   in Loop: Header=BB5_47 Depth=1
	s_or_b64 exec, exec, s[42:43]
	s_and_b64 s[42:43], s[90:91], exec
.LBB5_136:                              ;   in Loop: Header=BB5_47 Depth=1
	s_or_b64 exec, exec, s[24:25]
	s_and_saveexec_b64 s[24:25], s[42:43]
	s_cbranch_execz .LBB5_138
; %bb.137:                              ;   in Loop: Header=BB5_47 Depth=1
	global_store_dwordx4 v[44:45], v[8:11], off
	global_store_dwordx4 v[44:45], v[12:15], off offset:1024
.LBB5_138:                              ;   in Loop: Header=BB5_47 Depth=1
	s_or_b64 exec, exec, s[24:25]
	v_lshlrev_b32_e32 v20, 11, v79
	v_cmp_ne_u32_e32 vcc, v119, v20
                                        ; implicit-def: $vgpr14
                                        ; implicit-def: $vgpr8
                                        ; implicit-def: $vgpr15
	s_and_saveexec_b64 s[42:43], vcc
	s_cbranch_execz .LBB5_154
; %bb.139:                              ;   in Loop: Header=BB5_47 Depth=1
	v_lshlrev_b32_e32 v9, 6, v56
	v_sub_u32_e32 v9, v59, v9
	v_ashrrev_i32_e32 v10, 31, v9
	v_lshrrev_b32_e32 v10, 26, v10
	v_add_u32_e32 v10, v9, v10
	v_ashrrev_i32_e32 v11, 6, v10
	v_and_b32_e32 v10, 0xffffffc0, v10
	v_sub_u32_e32 v21, v9, v10
	v_lshlrev_b32_e32 v9, 4, v21
	v_sub_u32_e32 v8, v119, v20
	v_lshl_add_u32 v9, v11, 10, v9
	v_add_u32_e32 v10, v9, v20
	v_sub_u32_e32 v45, v8, v9
	v_ashrrev_i32_e32 v9, 31, v8
	v_lshrrev_b32_e32 v9, 22, v9
	v_add_u32_e32 v9, v8, v9
	v_and_b32_e32 v22, 0xfffffc00, v9
	v_sub_u32_e32 v44, v8, v22
	v_ashrrev_i32_e32 v12, 10, v9
	v_cmp_lt_i32_e32 vcc, 15, v44
	s_mov_b64 s[92:93], 0
	s_nop 0
	v_addc_co_u32_e64 v8, s[24:25], 0, v12, vcc
	v_sub_u32_e32 v23, v8, v11
	v_ashrrev_i32_e32 v11, 31, v10
	v_lshl_add_u64 v[16:17], v[10:11], 0, v[42:43]
	v_cmp_lt_i32_e64 s[24:25], 15, v45
                                        ; implicit-def: $vgpr8_vgpr9
	s_and_saveexec_b64 s[90:91], s[24:25]
	s_cbranch_execz .LBB5_149
; %bb.140:                              ;   in Loop: Header=BB5_47 Depth=1
	v_lshl_add_u64 v[18:19], v[10:11], 0, v[40:41]
	s_mov_b64 s[30:31], 0
                                        ; implicit-def: $sgpr94_sgpr95
                                        ; implicit-def: $vgpr8_vgpr9
	s_branch .LBB5_142
.LBB5_141:                              ;   in Loop: Header=BB5_142 Depth=2
	s_or_b64 exec, exec, s[24:25]
	v_cmp_gt_i32_e64 s[24:25], 16, v45
	s_or_b64 s[92:93], s[24:25], s[92:93]
	s_andn2_b64 s[12:13], s[94:95], exec
	s_and_b64 s[24:25], s[30:31], exec
	s_or_b64 s[94:95], s[12:13], s[24:25]
	s_andn2_b64 exec, exec, s[92:93]
	s_cbranch_execz .LBB5_148
.LBB5_142:                              ;   Parent Loop BB5_47 Depth=1
                                        ; =>  This Inner Loop Header: Depth=2
	global_load_dwordx4 v[12:15], v[18:19], off nt
	s_and_saveexec_b64 s[24:25], s[30:31]
	s_cbranch_execz .LBB5_144
; %bb.143:                              ;   in Loop: Header=BB5_142 Depth=2
	v_lshl_add_u64 v[46:47], v[16:17], 0, v[96:97]
	global_store_dwordx4 v[16:17], v[8:11], off
	v_mov_b64_e32 v[16:17], v[46:47]
.LBB5_144:                              ;   in Loop: Header=BB5_142 Depth=2
	s_or_b64 exec, exec, s[24:25]
	v_sub_u32_e32 v45, v45, v61
	v_lshl_add_u64 v[18:19], v[18:19], 0, v[96:97]
	v_cmp_lt_i32_e64 s[30:31], 15, v45
	s_and_saveexec_b64 s[24:25], s[30:31]
	s_cbranch_execz .LBB5_146
; %bb.145:                              ;   in Loop: Header=BB5_142 Depth=2
	global_load_dwordx4 v[8:11], v[18:19], off nt
	v_lshl_add_u64 v[18:19], v[18:19], 0, s[60:61]
.LBB5_146:                              ;   in Loop: Header=BB5_142 Depth=2
	s_or_b64 exec, exec, s[24:25]
	v_sub_u32_e32 v23, v23, v52
	s_waitcnt vmcnt(0)
	global_store_dwordx4 v[16:17], v[12:15], off
	v_lshl_add_u64 v[16:17], v[16:17], 0, s[60:61]
	s_and_saveexec_b64 s[24:25], s[30:31]
	s_cbranch_execz .LBB5_141
; %bb.147:                              ;   in Loop: Header=BB5_142 Depth=2
	v_sub_u32_e32 v23, v23, v52
	v_sub_u32_e32 v45, v45, v61
	v_lshl_add_u64 v[18:19], v[18:19], 0, v[80:81]
	v_lshl_add_u64 v[16:17], v[16:17], 0, v[80:81]
	s_branch .LBB5_141
.LBB5_148:                              ;   in Loop: Header=BB5_47 Depth=1
	s_or_b64 exec, exec, s[92:93]
	s_and_b64 s[92:93], s[94:95], exec
.LBB5_149:                              ;   in Loop: Header=BB5_47 Depth=1
	s_or_b64 exec, exec, s[90:91]
	s_and_saveexec_b64 s[24:25], s[92:93]
	s_cbranch_execz .LBB5_151
; %bb.150:                              ;   in Loop: Header=BB5_47 Depth=1
	global_store_dwordx4 v[16:17], v[8:11], off
.LBB5_151:                              ;   in Loop: Header=BB5_47 Depth=1
	s_or_b64 exec, exec, s[24:25]
	s_nop 0
	v_and_b32_e32 v9, 14, v119
	v_cndmask_b32_e32 v119, v44, v9, vcc
	v_cmp_ne_u32_e64 s[24:25], 0, v119
	s_mov_b64 s[92:93], s[40:41]
                                        ; implicit-def: $vgpr14
                                        ; implicit-def: $vgpr8
                                        ; implicit-def: $vgpr15
	s_and_saveexec_b64 s[90:91], s[24:25]
	s_cbranch_execz .LBB5_153
; %bb.152:                              ;   in Loop: Header=BB5_47 Depth=1
	v_sub_u32_e32 v8, v44, v9
	v_cndmask_b32_e32 v8, 0, v8, vcc
	v_cmp_lt_i32_e32 vcc, 0, v23
	v_add3_u32 v14, v22, v20, v8
	s_or_b64 s[92:93], s[40:41], exec
	v_cndmask_b32_e32 v8, 0, v52, vcc
	v_sub_u32_e32 v8, v8, v23
	v_lshl_add_u32 v8, v8, 6, v21
	v_ashrrev_i32_e32 v9, 31, v8
	v_lshrrev_b32_e32 v9, 26, v9
	v_add_u32_e32 v9, v8, v9
	v_and_b32_e32 v9, 0xffffffc0, v9
	v_sub_u32_e32 v15, v8, v9
.LBB5_153:                              ;   in Loop: Header=BB5_47 Depth=1
	s_or_b64 exec, exec, s[90:91]
	s_andn2_b64 s[12:13], s[40:41], exec
	s_and_b64 s[24:25], s[92:93], exec
	s_or_b64 s[40:41], s[12:13], s[24:25]
.LBB5_154:                              ;   in Loop: Header=BB5_47 Depth=1
	s_or_b64 exec, exec, s[42:43]
	s_and_saveexec_b64 s[24:25], s[40:41]
	s_cbranch_execz .LBB5_175
.LBB5_155:                              ;   in Loop: Header=BB5_47 Depth=1
	v_ashrrev_i32_e32 v9, 31, v8
	v_lshrrev_b32_e32 v9, 26, v9
	v_add_u32_e32 v8, v8, v9
	v_ashrrev_i32_e32 v8, 6, v8
	v_lshlrev_b32_e32 v9, 9, v8
	v_lshlrev_b32_e32 v10, 1, v15
	v_add3_u32 v10, v14, v10, v9
	v_ashrrev_i32_e32 v9, 31, v119
	v_lshrrev_b32_e32 v9, 23, v9
	v_add_u32_e32 v9, v119, v9
	v_ashrrev_i32_e32 v16, 9, v9
	v_sub_u32_e32 v12, v16, v8
	v_ashrrev_i32_e32 v11, 31, v10
	v_lshl_add_u64 v[8:9], v[42:43], 0, v[10:11]
	v_cmp_lt_i32_e32 vcc, 0, v12
	s_mov_b64 s[42:43], 0
                                        ; implicit-def: $vgpr17
                                        ; implicit-def: $vgpr18
                                        ; implicit-def: $vgpr19
                                        ; implicit-def: $vgpr20
	s_and_saveexec_b64 s[40:41], vcc
	s_cbranch_execz .LBB5_163
; %bb.156:                              ;   in Loop: Header=BB5_47 Depth=1
	v_lshl_add_u64 v[10:11], v[10:11], 0, v[40:41]
	s_mov_b64 s[92:93], 0
                                        ; implicit-def: $sgpr90_sgpr91
                                        ; implicit-def: $vgpr17
                                        ; implicit-def: $vgpr18
                                        ; implicit-def: $vgpr19
                                        ; implicit-def: $vgpr20
	s_branch .LBB5_158
.LBB5_157:                              ;   in Loop: Header=BB5_158 Depth=2
	s_or_b64 exec, exec, s[94:95]
	s_waitcnt vmcnt(0) lgkmcnt(0)
	flat_store_short v[8:9], v21 nt
	flat_store_short v[8:9], v22 offset:128 nt
	flat_store_short v[8:9], v23 offset:256 nt
	;; [unrolled: 1-line block ×3, first 2 shown]
	v_lshl_add_u64 v[8:9], v[8:9], 0, v[12:13]
	v_lshl_add_u64 v[10:11], v[10:11], 0, v[12:13]
	v_sub_u32_e32 v12, v45, v46
	v_cmp_gt_i32_e32 vcc, 1, v12
	s_or_b64 s[42:43], vcc, s[42:43]
	s_andn2_b64 s[12:13], s[90:91], exec
	s_and_b64 s[90:91], s[92:93], exec
	v_lshl_add_u64 v[8:9], v[8:9], 0, s[62:63]
	s_or_b64 s[90:91], s[12:13], s[90:91]
	s_andn2_b64 exec, exec, s[42:43]
	s_cbranch_execz .LBB5_162
.LBB5_158:                              ;   Parent Loop BB5_47 Depth=1
                                        ; =>  This Inner Loop Header: Depth=2
	flat_load_ushort v21, v[10:11] nt
	flat_load_ushort v22, v[10:11] offset:128 nt
	flat_load_ushort v23, v[10:11] offset:256 nt
	;; [unrolled: 1-line block ×3, first 2 shown]
	s_and_saveexec_b64 s[94:95], s[92:93]
	s_cbranch_execz .LBB5_160
; %bb.159:                              ;   in Loop: Header=BB5_158 Depth=2
	flat_store_short v[8:9], v17 nt
	flat_store_short v[8:9], v18 offset:128 nt
	flat_store_short v[8:9], v19 offset:256 nt
	;; [unrolled: 1-line block ×3, first 2 shown]
	v_lshl_add_u64 v[8:9], v[8:9], 0, v[86:87]
.LBB5_160:                              ;   in Loop: Header=BB5_158 Depth=2
	s_or_b64 exec, exec, s[94:95]
	v_sub_u32_e32 v45, v12, v52
	v_lshl_add_u64 v[10:11], v[10:11], 0, v[86:87]
	v_mov_b32_e32 v46, 0
	v_cmp_lt_i32_e64 s[92:93], 0, v45
	v_mov_b64_e32 v[12:13], 0
	s_and_saveexec_b64 s[94:95], s[92:93]
	s_cbranch_execz .LBB5_157
; %bb.161:                              ;   in Loop: Header=BB5_158 Depth=2
	flat_load_ushort v17, v[10:11] nt
	flat_load_ushort v18, v[10:11] offset:128 nt
	flat_load_ushort v19, v[10:11] offset:256 nt
	flat_load_ushort v20, v[10:11] offset:384 nt
	v_lshl_add_u64 v[10:11], v[10:11], 0, s[62:63]
	v_mov_b32_e32 v46, v52
	v_mov_b64_e32 v[12:13], v[70:71]
	s_branch .LBB5_157
.LBB5_162:                              ;   in Loop: Header=BB5_47 Depth=1
	s_or_b64 exec, exec, s[42:43]
	s_and_b64 s[42:43], s[90:91], exec
.LBB5_163:                              ;   in Loop: Header=BB5_47 Depth=1
	s_or_b64 exec, exec, s[40:41]
	s_and_saveexec_b64 s[40:41], s[42:43]
	s_cbranch_execz .LBB5_165
; %bb.164:                              ;   in Loop: Header=BB5_47 Depth=1
	flat_store_short v[8:9], v17 nt
	flat_store_short v[8:9], v18 offset:128 nt
	flat_store_short v[8:9], v19 offset:256 nt
	;; [unrolled: 1-line block ×3, first 2 shown]
.LBB5_165:                              ;   in Loop: Header=BB5_47 Depth=1
	s_or_b64 exec, exec, s[40:41]
	v_lshlrev_b32_e32 v8, 9, v16
	v_cmp_ne_u32_e32 vcc, v119, v8
	s_and_b64 exec, exec, vcc
	s_cbranch_execz .LBB5_175
; %bb.166:                              ;   in Loop: Header=BB5_47 Depth=1
	v_lshlrev_b32_e32 v9, 6, v12
	v_sub_u32_e32 v9, v15, v9
	v_ashrrev_i32_e32 v10, 31, v9
	v_lshrrev_b32_e32 v10, 26, v10
	v_add_u32_e32 v10, v9, v10
	v_and_b32_e32 v11, 0x7fffffc0, v10
	v_sub_u32_e32 v9, v9, v11
	v_lshlrev_b32_e32 v10, 1, v10
	v_and_b32_e32 v10, 0xffffff80, v10
	v_lshlrev_b32_e32 v9, 1, v9
	v_add3_u32 v8, v10, v9, v8
	v_sub_u32_e32 v12, v119, v8
	v_cmp_lt_i32_e32 vcc, 1, v12
	s_and_b64 exec, exec, vcc
	s_cbranch_execz .LBB5_175
; %bb.167:                              ;   in Loop: Header=BB5_47 Depth=1
	v_add_u32_e32 v10, v8, v14
	v_ashrrev_i32_e32 v11, 31, v10
	v_lshl_add_u64 v[8:9], v[42:43], 0, v[10:11]
	v_lshl_add_u64 v[10:11], v[10:11], 0, v[40:41]
	s_mov_b64 s[90:91], 0
	s_mov_b64 s[40:41], 0
                                        ; implicit-def: $sgpr42_sgpr43
                                        ; implicit-def: $vgpr14
	s_branch .LBB5_169
.LBB5_168:                              ;   in Loop: Header=BB5_169 Depth=2
	s_or_b64 exec, exec, s[92:93]
	s_waitcnt vmcnt(0) lgkmcnt(0)
	flat_store_short v[8:9], v15 nt
	v_lshl_add_u64 v[8:9], v[8:9], 0, v[12:13]
	v_lshl_add_u64 v[10:11], v[10:11], 0, v[12:13]
	v_sub_u32_e32 v12, v16, v17
	v_cmp_gt_i32_e32 vcc, 2, v12
	s_or_b64 s[40:41], vcc, s[40:41]
	s_andn2_b64 s[12:13], s[42:43], exec
	s_and_b64 s[42:43], s[90:91], exec
	v_lshl_add_u64 v[8:9], v[8:9], 0, s[72:73]
	s_or_b64 s[42:43], s[12:13], s[42:43]
	s_andn2_b64 exec, exec, s[40:41]
	s_cbranch_execz .LBB5_173
.LBB5_169:                              ;   Parent Loop BB5_47 Depth=1
                                        ; =>  This Inner Loop Header: Depth=2
	flat_load_ushort v15, v[10:11] nt
	s_and_saveexec_b64 s[92:93], s[90:91]
	s_cbranch_execz .LBB5_171
; %bb.170:                              ;   in Loop: Header=BB5_169 Depth=2
	v_lshl_add_u64 v[16:17], v[8:9], 0, v[98:99]
	flat_store_short v[8:9], v14 nt
	v_mov_b64_e32 v[8:9], v[16:17]
.LBB5_171:                              ;   in Loop: Header=BB5_169 Depth=2
	s_or_b64 exec, exec, s[92:93]
	v_sub_u32_e32 v16, v12, v62
	v_lshl_add_u64 v[10:11], v[10:11], 0, v[98:99]
	v_cmp_lt_i32_e64 s[90:91], 1, v16
	v_mov_b64_e32 v[12:13], 0
	v_mov_b32_e32 v17, 0
	s_and_saveexec_b64 s[92:93], s[90:91]
	s_cbranch_execz .LBB5_168
; %bb.172:                              ;   in Loop: Header=BB5_169 Depth=2
	flat_load_ushort v14, v[10:11] nt
	v_lshl_add_u64 v[10:11], v[10:11], 0, s[72:73]
	v_mov_b32_e32 v17, v62
	v_mov_b64_e32 v[12:13], v[82:83]
	s_branch .LBB5_168
.LBB5_173:                              ;   in Loop: Header=BB5_47 Depth=1
	s_or_b64 exec, exec, s[40:41]
	s_and_b64 exec, exec, s[42:43]
	s_cbranch_execz .LBB5_175
; %bb.174:                              ;   in Loop: Header=BB5_47 Depth=1
	flat_store_short v[8:9], v14 nt
.LBB5_175:                              ;   in Loop: Header=BB5_47 Depth=1
	s_or_b64 exec, exec, s[24:25]
	v_cmp_lt_i32_e64 s[24:25], 0, v2
	s_and_saveexec_b64 s[40:41], s[6:7]
	s_cbranch_execz .LBB5_194
.LBB5_176:                              ;   in Loop: Header=BB5_47 Depth=1
	s_and_saveexec_b64 s[12:13], s[56:57]
	s_xor_b64 s[42:43], exec, s[12:13]
	s_cbranch_execz .LBB5_191
; %bb.177:                              ;   in Loop: Header=BB5_47 Depth=1
	s_and_saveexec_b64 s[90:91], s[14:15]
	s_cbranch_execz .LBB5_190
; %bb.178:                              ;   in Loop: Header=BB5_47 Depth=1
	s_mov_b64 s[94:95], exec
	v_mbcnt_lo_u32_b32 v2, s94, 0
	v_mbcnt_hi_u32_b32 v2, s95, v2
	v_cmp_eq_u32_e32 vcc, 0, v2
	s_waitcnt lgkmcnt(0)
	s_and_saveexec_b64 s[92:93], vcc
	s_cbranch_execz .LBB5_180
; %bb.179:                              ;   in Loop: Header=BB5_47 Depth=1
	s_bcnt1_i32_b64 s12, s[94:95]
	v_mov_b32_e32 v2, s12
	ds_add_u64 v0, v[2:3]
	s_trap 2
.LBB5_180:                              ;   in Loop: Header=BB5_47 Depth=1
	s_or_b64 exec, exec, s[92:93]
	s_trap 2
	ds_read_b64 v[8:9], v0
	s_waitcnt lgkmcnt(0)
	v_lshl_add_u64 v[38:39], v[38:39], 0, v[52:53]
	v_cmp_lt_u64_e32 vcc, v[8:9], v[38:39]
	s_and_saveexec_b64 s[92:93], vcc
	s_cbranch_execz .LBB5_189
; %bb.181:                              ;   in Loop: Header=BB5_47 Depth=1
	s_mov_b32 s12, 0
	s_mov_b64 s[94:95], 0
                                        ; implicit-def: $sgpr30_sgpr31
                                        ; implicit-def: $sgpr34_sgpr35
	s_branch .LBB5_183
.LBB5_182:                              ;   in Loop: Header=BB5_183 Depth=2
	s_or_b64 exec, exec, s[38:39]
	s_and_b64 vcc, exec, vcc
	s_or_b64 s[94:95], vcc, s[94:95]
	s_andn2_b64 vcc, s[30:31], exec
	s_and_b64 s[30:31], s[34:35], exec
	s_or_b64 s[30:31], vcc, s[30:31]
	s_andn2_b64 exec, exec, s[94:95]
	s_cbranch_execz .LBB5_187
.LBB5_183:                              ;   Parent Loop BB5_47 Depth=1
                                        ; =>  This Inner Loop Header: Depth=2
	s_add_i32 s12, s12, 1
	s_cmpk_lg_i32 s12, 0x2710
	s_cselect_b64 s[36:37], -1, 0
	s_and_b64 vcc, exec, s[36:37]
	s_cbranch_vccz .LBB5_185
; %bb.184:                              ;   in Loop: Header=BB5_183 Depth=2
	s_mov_b64 vcc, -1
	s_or_b64 s[34:35], s[34:35], exec
	s_and_saveexec_b64 s[38:39], s[36:37]
	s_cbranch_execz .LBB5_182
	s_branch .LBB5_186
.LBB5_185:                              ;   in Loop: Header=BB5_183 Depth=2
	s_trap 2
	ds_read_b64 v[8:9], v0
	s_andn2_b64 s[36:37], s[36:37], exec
	s_mov_b32 s12, 0
	s_waitcnt vmcnt(0) lgkmcnt(0)
	flat_load_dword v2, v[8:9] sc0 sc1
	s_waitcnt vmcnt(0) lgkmcnt(0)
	buffer_inv sc0 sc1
	v_cmp_eq_u32_e32 vcc, 0, v2
	s_and_b64 vcc, vcc, exec
	s_or_b64 s[36:37], s[36:37], vcc
	s_mov_b64 vcc, -1
	s_or_b64 s[34:35], s[34:35], exec
	s_and_saveexec_b64 s[38:39], s[36:37]
	s_cbranch_execz .LBB5_182
.LBB5_186:                              ;   in Loop: Header=BB5_183 Depth=2
	s_sleep 1
	s_trap 2
	ds_read_b64 v[8:9], v0
	s_waitcnt lgkmcnt(0)
	s_andn2_b64 s[34:35], s[34:35], exec
	v_cmp_ge_u64_e32 vcc, v[8:9], v[38:39]
	s_orn2_b64 vcc, vcc, exec
	s_branch .LBB5_182
.LBB5_187:                              ;   in Loop: Header=BB5_47 Depth=1
	s_or_b64 exec, exec, s[94:95]
	s_and_saveexec_b64 s[12:13], s[30:31]
	s_xor_b64 s[12:13], exec, s[12:13]
	s_cbranch_execz .LBB5_189
; %bb.188:                              ;   in Loop: Header=BB5_47 Depth=1
	ds_write_b32 v0, v63
	s_trap 2
.LBB5_189:                              ;   in Loop: Header=BB5_47 Depth=1
	s_or_b64 exec, exec, s[92:93]
	;;#ASMSTART
	s_wakeup
	;;#ASMEND
.LBB5_190:                              ;   in Loop: Header=BB5_47 Depth=1
	s_or_b64 exec, exec, s[90:91]
.LBB5_191:                              ;   in Loop: Header=BB5_47 Depth=1
	s_andn2_saveexec_b64 s[42:43], s[42:43]
	s_cbranch_execz .LBB5_193
; %bb.192:                              ;   in Loop: Header=BB5_47 Depth=1
	s_waitcnt lgkmcnt(0)
	s_barrier
.LBB5_193:                              ;   in Loop: Header=BB5_47 Depth=1
	s_or_b64 exec, exec, s[42:43]
.LBB5_194:                              ;   in Loop: Header=BB5_47 Depth=1
	s_or_b64 exec, exec, s[40:41]
	v_and_b32_e32 v8, 16, v58
	s_and_saveexec_b64 s[12:13], s[22:23]
	s_xor_b64 s[40:41], exec, s[12:13]
	s_cbranch_execz .LBB5_199
; %bb.195:                              ;   in Loop: Header=BB5_47 Depth=1
	v_and_b32_e32 v2, 16, v58
	v_cmp_ne_u32_e32 vcc, 0, v2
	v_and_b32_e32 v8, 16, v58
	s_and_b64 s[12:13], vcc, s[24:25]
	s_and_saveexec_b64 s[24:25], s[12:13]
	s_cbranch_execz .LBB5_197
; %bb.196:                              ;   in Loop: Header=BB5_47 Depth=1
	v_mov_b32_e32 v8, 1
	buffer_wbl2 sc1
	s_waitcnt vmcnt(0) lgkmcnt(0)
	buffer_inv sc1
.LBB5_197:                              ;   in Loop: Header=BB5_47 Depth=1
	s_or_b64 exec, exec, s[24:25]
	s_andn2_saveexec_b64 s[24:25], s[40:41]
	s_cbranch_execnz .LBB5_200
.LBB5_198:                              ;   in Loop: Header=BB5_47 Depth=1
	s_or_b64 exec, exec, s[24:25]
	v_cmp_ne_u32_e32 vcc, 0, v8
	s_and_saveexec_b64 s[24:25], vcc
	s_cbranch_execnz .LBB5_218
	s_branch .LBB5_221
.LBB5_199:                              ;   in Loop: Header=BB5_47 Depth=1
	s_andn2_saveexec_b64 s[24:25], s[40:41]
	s_cbranch_execz .LBB5_198
.LBB5_200:                              ;   in Loop: Header=BB5_47 Depth=1
	s_and_saveexec_b64 s[12:13], s[56:57]
	s_xor_b64 s[40:41], exec, s[12:13]
	s_cbranch_execz .LBB5_215
; %bb.201:                              ;   in Loop: Header=BB5_47 Depth=1
	s_and_saveexec_b64 s[42:43], s[14:15]
	s_cbranch_execz .LBB5_214
; %bb.202:                              ;   in Loop: Header=BB5_47 Depth=1
	s_mov_b64 s[92:93], exec
	v_mbcnt_lo_u32_b32 v2, s92, 0
	v_mbcnt_hi_u32_b32 v2, s93, v2
	v_cmp_eq_u32_e32 vcc, 0, v2
	;;#ASMSTART
	s_waitcnt lgkmcnt(0) vmcnt(0)
	;;#ASMEND
	s_and_saveexec_b64 s[90:91], vcc
	s_cbranch_execz .LBB5_204
; %bb.203:                              ;   in Loop: Header=BB5_47 Depth=1
	s_bcnt1_i32_b64 s12, s[92:93]
	v_mov_b32_e32 v2, s12
	s_waitcnt lgkmcnt(0)
	ds_add_u64 v0, v[2:3]
	s_trap 2
.LBB5_204:                              ;   in Loop: Header=BB5_47 Depth=1
	s_or_b64 exec, exec, s[90:91]
	s_trap 2
	ds_read_b64 v[10:11], v0
	s_waitcnt lgkmcnt(0)
	v_lshl_add_u64 v[38:39], v[38:39], 0, v[52:53]
	v_cmp_lt_u64_e32 vcc, v[10:11], v[38:39]
	s_and_saveexec_b64 s[90:91], vcc
	s_cbranch_execz .LBB5_213
; %bb.205:                              ;   in Loop: Header=BB5_47 Depth=1
	s_mov_b32 s12, 0
	s_mov_b64 s[92:93], 0
                                        ; implicit-def: $sgpr94_sgpr95
                                        ; implicit-def: $sgpr30_sgpr31
	s_branch .LBB5_207
.LBB5_206:                              ;   in Loop: Header=BB5_207 Depth=2
	s_or_b64 exec, exec, s[36:37]
	s_and_b64 vcc, exec, vcc
	s_or_b64 s[92:93], vcc, s[92:93]
	s_andn2_b64 s[94:95], s[94:95], exec
	s_and_b64 vcc, s[30:31], exec
	s_or_b64 s[94:95], s[94:95], vcc
	s_andn2_b64 exec, exec, s[92:93]
	s_cbranch_execz .LBB5_211
.LBB5_207:                              ;   Parent Loop BB5_47 Depth=1
                                        ; =>  This Inner Loop Header: Depth=2
	s_add_i32 s12, s12, 1
	s_cmpk_lg_i32 s12, 0x2710
	s_cselect_b64 s[34:35], -1, 0
	s_and_b64 vcc, exec, s[34:35]
	s_cbranch_vccz .LBB5_209
; %bb.208:                              ;   in Loop: Header=BB5_207 Depth=2
	s_mov_b64 vcc, -1
	s_or_b64 s[30:31], s[30:31], exec
	s_and_saveexec_b64 s[36:37], s[34:35]
	s_cbranch_execz .LBB5_206
	s_branch .LBB5_210
.LBB5_209:                              ;   in Loop: Header=BB5_207 Depth=2
	s_trap 2
	ds_read_b64 v[10:11], v0
	s_andn2_b64 s[34:35], s[34:35], exec
	s_mov_b32 s12, 0
	s_waitcnt vmcnt(0) lgkmcnt(0)
	flat_load_dword v2, v[10:11] sc0 sc1
	s_waitcnt vmcnt(0) lgkmcnt(0)
	buffer_inv sc0 sc1
	v_cmp_eq_u32_e32 vcc, 0, v2
	s_and_b64 vcc, vcc, exec
	s_or_b64 s[34:35], s[34:35], vcc
	s_mov_b64 vcc, -1
	s_or_b64 s[30:31], s[30:31], exec
	s_and_saveexec_b64 s[36:37], s[34:35]
	s_cbranch_execz .LBB5_206
.LBB5_210:                              ;   in Loop: Header=BB5_207 Depth=2
	s_sleep 1
	s_trap 2
	ds_read_b64 v[10:11], v0
	s_waitcnt lgkmcnt(0)
	s_andn2_b64 s[30:31], s[30:31], exec
	v_cmp_ge_u64_e32 vcc, v[10:11], v[38:39]
	s_orn2_b64 vcc, vcc, exec
	s_branch .LBB5_206
.LBB5_211:                              ;   in Loop: Header=BB5_47 Depth=1
	s_or_b64 exec, exec, s[92:93]
	s_and_saveexec_b64 s[12:13], s[94:95]
	s_xor_b64 s[12:13], exec, s[12:13]
	s_cbranch_execz .LBB5_213
; %bb.212:                              ;   in Loop: Header=BB5_47 Depth=1
	ds_write_b32 v0, v63
	s_trap 2
.LBB5_213:                              ;   in Loop: Header=BB5_47 Depth=1
	s_or_b64 exec, exec, s[90:91]
	;;#ASMSTART
	s_wakeup
	;;#ASMEND
.LBB5_214:                              ;   in Loop: Header=BB5_47 Depth=1
	s_or_b64 exec, exec, s[42:43]
.LBB5_215:                              ;   in Loop: Header=BB5_47 Depth=1
	s_andn2_saveexec_b64 s[40:41], s[40:41]
	s_cbranch_execz .LBB5_217
; %bb.216:                              ;   in Loop: Header=BB5_47 Depth=1
	;;#ASMSTART
	s_waitcnt lgkmcnt(0) vmcnt(0)
	;;#ASMEND
	s_barrier
.LBB5_217:                              ;   in Loop: Header=BB5_47 Depth=1
	s_or_b64 exec, exec, s[40:41]
	s_or_b64 exec, exec, s[24:25]
	v_cmp_ne_u32_e32 vcc, 0, v8
	s_and_saveexec_b64 s[24:25], vcc
	s_cbranch_execz .LBB5_221
.LBB5_218:                              ;   in Loop: Header=BB5_47 Depth=1
	s_and_saveexec_b64 s[40:41], s[8:9]
	s_cbranch_execz .LBB5_220
; %bb.219:                              ;   in Loop: Header=BB5_47 Depth=1
	flat_store_dword v[36:37], v63 sc0 sc1
.LBB5_220:                              ;   in Loop: Header=BB5_47 Depth=1
	s_or_b64 exec, exec, s[40:41]
	v_lshl_add_u64 v[112:113], v[112:113], 0, 4
	flat_store_dwordx2 v[32:33], v[112:113] sc0 sc1
.LBB5_221:                              ;   in Loop: Header=BB5_47 Depth=1
	s_or_b64 exec, exec, s[24:25]
	v_mov_b32_e32 v2, v118
.LBB5_222:                              ;   in Loop: Header=BB5_47 Depth=1
	s_or_b64 exec, exec, s[28:29]
	s_and_saveexec_b64 s[28:29], s[26:27]
	s_cbranch_execz .LBB5_292
; %bb.223:                              ;   in Loop: Header=BB5_47 Depth=1
	v_sub_u32_e32 v2, v78, v2
	v_min_i32_e32 v8, v118, v2
	v_and_b32_e32 v2, 8, v58
	v_cmp_ne_u32_e32 vcc, 0, v2
	s_and_saveexec_b64 s[26:27], vcc
	s_cbranch_execz .LBB5_245
; %bb.224:                              ;   in Loop: Header=BB5_47 Depth=1
	s_waitcnt vmcnt(0) lgkmcnt(0)
	v_lshl_add_u64 v[12:13], v[48:49], 0, 8
	v_lshl_add_u64 v[10:11], v[112:113], 0, 4
	v_cmp_lt_u64_e32 vcc, v[12:13], v[10:11]
	s_and_saveexec_b64 s[40:41], vcc
	s_cbranch_execz .LBB5_236
; %bb.225:                              ;   in Loop: Header=BB5_47 Depth=1
	v_and_b32_e32 v2, 64, v58
	s_mov_b32 s45, 0
	v_cmp_eq_u32_e32 vcc, 0, v2
	s_mov_b64 s[42:43], 0
                                        ; implicit-def: $sgpr90_sgpr91
                                        ; implicit-def: $sgpr92_sgpr93
                                        ; implicit-def: $sgpr94_sgpr95
	s_branch .LBB5_229
.LBB5_226:                              ;   in Loop: Header=BB5_229 Depth=2
	s_waitcnt vmcnt(0) lgkmcnt(0)
	v_lshl_add_u64 v[12:13], v[48:49], 0, 8
	v_cmp_ge_u64_e64 s[24:25], v[12:13], v[10:11]
	s_or_b64 s[36:37], s[36:37], exec
	s_orn2_b64 s[34:35], s[24:25], exec
.LBB5_227:                              ;   in Loop: Header=BB5_229 Depth=2
	s_or_b64 exec, exec, s[48:49]
	s_andn2_b64 s[12:13], s[94:95], exec
	s_and_b64 s[24:25], s[36:37], exec
	s_or_b64 s[94:95], s[12:13], s[24:25]
	s_andn2_b64 s[12:13], s[92:93], exec
	s_and_b64 s[24:25], s[34:35], exec
	s_or_b64 s[92:93], s[12:13], s[24:25]
.LBB5_228:                              ;   in Loop: Header=BB5_229 Depth=2
	s_or_b64 exec, exec, s[30:31]
	s_and_b64 s[12:13], exec, s[92:93]
	s_or_b64 s[42:43], s[12:13], s[42:43]
	s_andn2_b64 s[12:13], s[90:91], exec
	s_and_b64 s[24:25], s[94:95], exec
	s_or_b64 s[90:91], s[12:13], s[24:25]
	s_andn2_b64 exec, exec, s[42:43]
	s_cbranch_execz .LBB5_233
.LBB5_229:                              ;   Parent Loop BB5_47 Depth=1
                                        ; =>  This Inner Loop Header: Depth=2
	s_sleep 1
	s_waitcnt vmcnt(0) lgkmcnt(0)
	flat_load_dwordx2 v[48:49], v[32:33] sc0 sc1
	s_or_b64 s[94:95], s[94:95], exec
	s_or_b64 s[92:93], s[92:93], exec
                                        ; implicit-def: $vgpr2
	s_and_saveexec_b64 s[30:31], vcc
	s_cbranch_execz .LBB5_228
; %bb.230:                              ;   in Loop: Header=BB5_229 Depth=2
	s_cmpk_lt_i32 s45, 0x270f
	s_cselect_b64 s[38:39], -1, 0
	s_cmpk_gt_i32 s45, 0x270e
	s_mov_b64 s[34:35], -1
	s_cbranch_scc0 .LBB5_232
; %bb.231:                              ;   in Loop: Header=BB5_229 Depth=2
	s_trap 2
	ds_read_b64 v[12:13], v0
	s_andn2_b64 s[12:13], s[38:39], exec
	s_mov_b32 s45, 0
	s_mov_b64 s[36:37], 0
	s_waitcnt vmcnt(0) lgkmcnt(0)
	flat_load_dword v2, v[12:13] sc0 sc1
	s_waitcnt vmcnt(0) lgkmcnt(0)
	buffer_inv sc0 sc1
	v_cmp_eq_u32_e64 s[24:25], 0, v2
	s_and_b64 s[24:25], s[24:25], exec
	s_or_b64 s[38:39], s[12:13], s[24:25]
	s_and_saveexec_b64 s[48:49], s[38:39]
	s_cbranch_execz .LBB5_227
	s_branch .LBB5_226
.LBB5_232:                              ;   in Loop: Header=BB5_229 Depth=2
	s_add_i32 s45, s45, 1
	s_mov_b64 s[36:37], -1
                                        ; implicit-def: $vgpr2
	s_and_saveexec_b64 s[48:49], s[38:39]
	s_cbranch_execz .LBB5_227
	s_branch .LBB5_226
.LBB5_233:                              ;   in Loop: Header=BB5_47 Depth=1
	s_or_b64 exec, exec, s[42:43]
	s_xor_b64 s[12:13], s[90:91], -1
	s_and_saveexec_b64 s[24:25], s[12:13]
	s_xor_b64 s[24:25], exec, s[24:25]
	s_cbranch_execz .LBB5_235
; %bb.234:                              ;   in Loop: Header=BB5_47 Depth=1
	v_or_b32_e32 v58, 64, v58
	s_waitcnt lgkmcnt(0)
	ds_write_b32 v0, v2
	s_trap 2
.LBB5_235:                              ;   in Loop: Header=BB5_47 Depth=1
	s_or_b64 exec, exec, s[24:25]
.LBB5_236:                              ;   in Loop: Header=BB5_47 Depth=1
	s_or_b64 exec, exec, s[40:41]
	v_and_b32_e32 v2, 0x100, v58
	v_cmp_ne_u32_e32 vcc, 0, v2
	v_and_b32_e32 v2, 7, v112
	s_mov_b64 s[24:25], -1
	;;#ASMSTART
	s_wakeup
	;;#ASMEND
                                        ; implicit-def: $vgpr12_vgpr13
	s_and_saveexec_b64 s[40:41], vcc
	s_cbranch_execz .LBB5_240
; %bb.237:                              ;   in Loop: Header=BB5_47 Depth=1
	v_mad_u64_u32 v[14:15], s[12:13], v2, 24, v[6:7]
	flat_load_dword v16, v[14:15]
	v_ashrrev_i32_e32 v9, 31, v8
	v_lshlrev_b64 v[12:13], 1, v[8:9]
	flat_store_dwordx2 v[14:15], v[12:13] offset:8
                                        ; implicit-def: $vgpr12_vgpr13
	s_waitcnt vmcnt(0) lgkmcnt(0)
	v_cmp_ne_u32_e32 vcc, 1, v16
	v_cmp_eq_u32_e64 s[24:25], 1, v16
	s_and_saveexec_b64 s[42:43], s[24:25]
	s_cbranch_execz .LBB5_239
; %bb.238:                              ;   in Loop: Header=BB5_47 Depth=1
	flat_load_dword v12, v[14:15] offset:4 sc0 sc1
	s_waitcnt vmcnt(0) lgkmcnt(0)
	v_ashrrev_i32_e32 v13, 31, v12
	v_lshrrev_b64 v[12:13], 1, v[12:13]
.LBB5_239:                              ;   in Loop: Header=BB5_47 Depth=1
	s_or_b64 exec, exec, s[42:43]
	s_orn2_b64 s[24:25], vcc, exec
.LBB5_240:                              ;   in Loop: Header=BB5_47 Depth=1
	s_or_b64 exec, exec, s[40:41]
	s_and_saveexec_b64 s[40:41], s[24:25]
; %bb.241:                              ;   in Loop: Header=BB5_47 Depth=1
	v_mad_i64_i32 v[12:13], s[12:13], v2, v30, 0
; %bb.242:                              ;   in Loop: Header=BB5_47 Depth=1
	s_or_b64 exec, exec, s[40:41]
	v_and_b32_e32 v2, 0x2000, v58
	v_lshl_add_u64 v[12:13], v[12:13], 1, v[34:35]
	v_cmp_ne_u32_e32 vcc, 0, v2
	ds_write_b64 v0, v[12:13] offset:784
	s_and_saveexec_b64 s[24:25], vcc
	s_cbranch_execz .LBB5_244
; %bb.243:                              ;   in Loop: Header=BB5_47 Depth=1
	ds_read_b64 v[12:13], v0 offset:872
	s_waitcnt lgkmcnt(0)
	v_lshl_add_u64 v[12:13], v[12:13], 0, 1
	ds_write_b64 v0, v[12:13] offset:872
.LBB5_244:                              ;   in Loop: Header=BB5_47 Depth=1
	s_or_b64 exec, exec, s[24:25]
	v_mov_b64_e32 v[112:113], v[10:11]
.LBB5_245:                              ;   in Loop: Header=BB5_47 Depth=1
	s_or_b64 exec, exec, s[26:27]
	s_and_saveexec_b64 s[24:25], s[6:7]
	s_cbranch_execz .LBB5_264
; %bb.246:                              ;   in Loop: Header=BB5_47 Depth=1
	s_and_saveexec_b64 s[12:13], s[56:57]
	s_xor_b64 s[26:27], exec, s[12:13]
	s_cbranch_execz .LBB5_261
; %bb.247:                              ;   in Loop: Header=BB5_47 Depth=1
	s_and_saveexec_b64 s[40:41], s[14:15]
	s_cbranch_execz .LBB5_260
; %bb.248:                              ;   in Loop: Header=BB5_47 Depth=1
	s_mov_b64 s[90:91], exec
	v_mbcnt_lo_u32_b32 v2, s90, 0
	v_mbcnt_hi_u32_b32 v2, s91, v2
	v_cmp_eq_u32_e32 vcc, 0, v2
	s_waitcnt lgkmcnt(0)
	s_and_saveexec_b64 s[42:43], vcc
	s_cbranch_execz .LBB5_250
; %bb.249:                              ;   in Loop: Header=BB5_47 Depth=1
	s_bcnt1_i32_b64 s12, s[90:91]
	v_mov_b32_e32 v2, s12
	ds_add_u64 v0, v[2:3]
	s_trap 2
.LBB5_250:                              ;   in Loop: Header=BB5_47 Depth=1
	s_or_b64 exec, exec, s[42:43]
	s_trap 2
	ds_read_b64 v[10:11], v0
	s_waitcnt lgkmcnt(0)
	v_lshl_add_u64 v[38:39], v[38:39], 0, v[52:53]
	v_cmp_lt_u64_e32 vcc, v[10:11], v[38:39]
	s_and_saveexec_b64 s[42:43], vcc
	s_cbranch_execz .LBB5_259
; %bb.251:                              ;   in Loop: Header=BB5_47 Depth=1
	s_mov_b32 s12, 0
	s_mov_b64 s[90:91], 0
                                        ; implicit-def: $sgpr92_sgpr93
                                        ; implicit-def: $sgpr94_sgpr95
	s_branch .LBB5_253
.LBB5_252:                              ;   in Loop: Header=BB5_253 Depth=2
	s_or_b64 exec, exec, s[34:35]
	s_and_b64 vcc, exec, vcc
	s_or_b64 s[90:91], vcc, s[90:91]
	s_andn2_b64 s[92:93], s[92:93], exec
	s_and_b64 vcc, s[94:95], exec
	s_or_b64 s[92:93], s[92:93], vcc
	s_andn2_b64 exec, exec, s[90:91]
	s_cbranch_execz .LBB5_257
.LBB5_253:                              ;   Parent Loop BB5_47 Depth=1
                                        ; =>  This Inner Loop Header: Depth=2
	s_add_i32 s12, s12, 1
	s_cmpk_lg_i32 s12, 0x2710
	s_cselect_b64 s[30:31], -1, 0
	s_and_b64 vcc, exec, s[30:31]
	s_cbranch_vccz .LBB5_255
; %bb.254:                              ;   in Loop: Header=BB5_253 Depth=2
	s_mov_b64 vcc, -1
	s_or_b64 s[94:95], s[94:95], exec
	s_and_saveexec_b64 s[34:35], s[30:31]
	s_cbranch_execz .LBB5_252
	s_branch .LBB5_256
.LBB5_255:                              ;   in Loop: Header=BB5_253 Depth=2
	s_trap 2
	ds_read_b64 v[10:11], v0
	s_andn2_b64 s[30:31], s[30:31], exec
	s_mov_b32 s12, 0
	s_waitcnt vmcnt(0) lgkmcnt(0)
	flat_load_dword v2, v[10:11] sc0 sc1
	s_waitcnt vmcnt(0) lgkmcnt(0)
	buffer_inv sc0 sc1
	v_cmp_eq_u32_e32 vcc, 0, v2
	s_and_b64 vcc, vcc, exec
	s_or_b64 s[30:31], s[30:31], vcc
	s_mov_b64 vcc, -1
	s_or_b64 s[94:95], s[94:95], exec
	s_and_saveexec_b64 s[34:35], s[30:31]
	s_cbranch_execz .LBB5_252
.LBB5_256:                              ;   in Loop: Header=BB5_253 Depth=2
	s_sleep 1
	s_trap 2
	ds_read_b64 v[10:11], v0
	s_waitcnt lgkmcnt(0)
	s_andn2_b64 s[94:95], s[94:95], exec
	v_cmp_ge_u64_e32 vcc, v[10:11], v[38:39]
	s_orn2_b64 vcc, vcc, exec
	s_branch .LBB5_252
.LBB5_257:                              ;   in Loop: Header=BB5_47 Depth=1
	s_or_b64 exec, exec, s[90:91]
	s_and_saveexec_b64 s[12:13], s[92:93]
	s_xor_b64 s[12:13], exec, s[12:13]
	s_cbranch_execz .LBB5_259
; %bb.258:                              ;   in Loop: Header=BB5_47 Depth=1
	ds_write_b32 v0, v63
	s_trap 2
.LBB5_259:                              ;   in Loop: Header=BB5_47 Depth=1
	s_or_b64 exec, exec, s[42:43]
	;;#ASMSTART
	s_wakeup
	;;#ASMEND
.LBB5_260:                              ;   in Loop: Header=BB5_47 Depth=1
	s_or_b64 exec, exec, s[40:41]
.LBB5_261:                              ;   in Loop: Header=BB5_47 Depth=1
	s_andn2_saveexec_b64 s[26:27], s[26:27]
	s_cbranch_execz .LBB5_263
; %bb.262:                              ;   in Loop: Header=BB5_47 Depth=1
	s_waitcnt lgkmcnt(0)
	s_barrier
.LBB5_263:                              ;   in Loop: Header=BB5_47 Depth=1
	s_or_b64 exec, exec, s[26:27]
.LBB5_264:                              ;   in Loop: Header=BB5_47 Depth=1
	s_or_b64 exec, exec, s[24:25]
	v_and_b32_e32 v9, 16, v58
	s_and_saveexec_b64 s[12:13], s[22:23]
	s_xor_b64 s[24:25], exec, s[12:13]
	s_cbranch_execz .LBB5_269
; %bb.265:                              ;   in Loop: Header=BB5_47 Depth=1
	s_trap 2
	ds_read_b32 v2, v0
	v_cmp_lt_i32_e32 vcc, 0, v8
	v_and_b32_e32 v8, 16, v58
	v_and_b32_e32 v9, 16, v58
	s_waitcnt lgkmcnt(0)
	v_readfirstlane_b32 s12, v2
	s_cmp_eq_u32 s12, 0
	s_cselect_b64 s[12:13], -1, 0
	s_and_b64 s[12:13], vcc, s[12:13]
	v_cmp_ne_u32_e32 vcc, 0, v8
	s_and_b64 s[12:13], vcc, s[12:13]
	s_and_saveexec_b64 s[26:27], s[12:13]
	s_cbranch_execz .LBB5_267
; %bb.266:                              ;   in Loop: Header=BB5_47 Depth=1
	v_mov_b32_e32 v9, 1
	buffer_wbl2 sc1
	s_waitcnt vmcnt(0)
	buffer_inv sc1
.LBB5_267:                              ;   in Loop: Header=BB5_47 Depth=1
	s_or_b64 exec, exec, s[26:27]
	s_andn2_saveexec_b64 s[24:25], s[24:25]
	s_cbranch_execnz .LBB5_270
.LBB5_268:                              ;   in Loop: Header=BB5_47 Depth=1
	s_or_b64 exec, exec, s[24:25]
	v_cmp_ne_u32_e32 vcc, 0, v9
	s_and_saveexec_b64 s[24:25], vcc
	s_cbranch_execnz .LBB5_288
	s_branch .LBB5_291
.LBB5_269:                              ;   in Loop: Header=BB5_47 Depth=1
	s_andn2_saveexec_b64 s[24:25], s[24:25]
	s_cbranch_execz .LBB5_268
.LBB5_270:                              ;   in Loop: Header=BB5_47 Depth=1
	s_and_saveexec_b64 s[12:13], s[56:57]
	s_xor_b64 s[26:27], exec, s[12:13]
	s_cbranch_execz .LBB5_285
; %bb.271:                              ;   in Loop: Header=BB5_47 Depth=1
	s_and_saveexec_b64 s[40:41], s[14:15]
	s_cbranch_execz .LBB5_284
; %bb.272:                              ;   in Loop: Header=BB5_47 Depth=1
	s_mov_b64 s[90:91], exec
	v_mbcnt_lo_u32_b32 v2, s90, 0
	v_mbcnt_hi_u32_b32 v2, s91, v2
	v_cmp_eq_u32_e32 vcc, 0, v2
	;;#ASMSTART
	s_waitcnt lgkmcnt(0) vmcnt(0)
	;;#ASMEND
	s_and_saveexec_b64 s[42:43], vcc
	s_cbranch_execz .LBB5_274
; %bb.273:                              ;   in Loop: Header=BB5_47 Depth=1
	s_bcnt1_i32_b64 s12, s[90:91]
	v_mov_b32_e32 v2, s12
	s_waitcnt lgkmcnt(0)
	ds_add_u64 v0, v[2:3]
	s_trap 2
.LBB5_274:                              ;   in Loop: Header=BB5_47 Depth=1
	s_or_b64 exec, exec, s[42:43]
	s_trap 2
	ds_read_b64 v[10:11], v0
	s_waitcnt lgkmcnt(0)
	v_lshl_add_u64 v[38:39], v[38:39], 0, v[52:53]
	v_cmp_lt_u64_e32 vcc, v[10:11], v[38:39]
	s_and_saveexec_b64 s[42:43], vcc
	s_cbranch_execz .LBB5_283
; %bb.275:                              ;   in Loop: Header=BB5_47 Depth=1
	s_mov_b32 s12, 0
	s_mov_b64 s[90:91], 0
                                        ; implicit-def: $sgpr92_sgpr93
                                        ; implicit-def: $sgpr94_sgpr95
	s_branch .LBB5_277
.LBB5_276:                              ;   in Loop: Header=BB5_277 Depth=2
	s_or_b64 exec, exec, s[34:35]
	s_and_b64 vcc, exec, vcc
	s_or_b64 s[90:91], vcc, s[90:91]
	s_andn2_b64 s[92:93], s[92:93], exec
	s_and_b64 vcc, s[94:95], exec
	s_or_b64 s[92:93], s[92:93], vcc
	s_andn2_b64 exec, exec, s[90:91]
	s_cbranch_execz .LBB5_281
.LBB5_277:                              ;   Parent Loop BB5_47 Depth=1
                                        ; =>  This Inner Loop Header: Depth=2
	s_add_i32 s12, s12, 1
	s_cmpk_lg_i32 s12, 0x2710
	s_cselect_b64 s[30:31], -1, 0
	s_and_b64 vcc, exec, s[30:31]
	s_cbranch_vccz .LBB5_279
; %bb.278:                              ;   in Loop: Header=BB5_277 Depth=2
	s_mov_b64 vcc, -1
	s_or_b64 s[94:95], s[94:95], exec
	s_and_saveexec_b64 s[34:35], s[30:31]
	s_cbranch_execz .LBB5_276
	s_branch .LBB5_280
.LBB5_279:                              ;   in Loop: Header=BB5_277 Depth=2
	s_trap 2
	ds_read_b64 v[10:11], v0
	s_andn2_b64 s[30:31], s[30:31], exec
	s_mov_b32 s12, 0
	s_waitcnt vmcnt(0) lgkmcnt(0)
	flat_load_dword v2, v[10:11] sc0 sc1
	s_waitcnt vmcnt(0) lgkmcnt(0)
	buffer_inv sc0 sc1
	v_cmp_eq_u32_e32 vcc, 0, v2
	s_and_b64 vcc, vcc, exec
	s_or_b64 s[30:31], s[30:31], vcc
	s_mov_b64 vcc, -1
	s_or_b64 s[94:95], s[94:95], exec
	s_and_saveexec_b64 s[34:35], s[30:31]
	s_cbranch_execz .LBB5_276
.LBB5_280:                              ;   in Loop: Header=BB5_277 Depth=2
	s_sleep 1
	s_trap 2
	ds_read_b64 v[10:11], v0
	s_waitcnt lgkmcnt(0)
	s_andn2_b64 s[94:95], s[94:95], exec
	v_cmp_ge_u64_e32 vcc, v[10:11], v[38:39]
	s_orn2_b64 vcc, vcc, exec
	s_branch .LBB5_276
.LBB5_281:                              ;   in Loop: Header=BB5_47 Depth=1
	s_or_b64 exec, exec, s[90:91]
	s_and_saveexec_b64 s[12:13], s[92:93]
	s_xor_b64 s[12:13], exec, s[12:13]
	s_cbranch_execz .LBB5_283
; %bb.282:                              ;   in Loop: Header=BB5_47 Depth=1
	ds_write_b32 v0, v63
	s_trap 2
.LBB5_283:                              ;   in Loop: Header=BB5_47 Depth=1
	s_or_b64 exec, exec, s[42:43]
	;;#ASMSTART
	s_wakeup
	;;#ASMEND
.LBB5_284:                              ;   in Loop: Header=BB5_47 Depth=1
	s_or_b64 exec, exec, s[40:41]
.LBB5_285:                              ;   in Loop: Header=BB5_47 Depth=1
	s_andn2_saveexec_b64 s[26:27], s[26:27]
	s_cbranch_execz .LBB5_287
; %bb.286:                              ;   in Loop: Header=BB5_47 Depth=1
	;;#ASMSTART
	s_waitcnt lgkmcnt(0) vmcnt(0)
	;;#ASMEND
	s_barrier
.LBB5_287:                              ;   in Loop: Header=BB5_47 Depth=1
	s_or_b64 exec, exec, s[26:27]
	s_or_b64 exec, exec, s[24:25]
	v_cmp_ne_u32_e32 vcc, 0, v9
	s_and_saveexec_b64 s[24:25], vcc
	s_cbranch_execz .LBB5_291
.LBB5_288:                              ;   in Loop: Header=BB5_47 Depth=1
	s_and_saveexec_b64 s[26:27], s[8:9]
	s_cbranch_execz .LBB5_290
; %bb.289:                              ;   in Loop: Header=BB5_47 Depth=1
	flat_store_dword v[36:37], v63 sc0 sc1
.LBB5_290:                              ;   in Loop: Header=BB5_47 Depth=1
	s_or_b64 exec, exec, s[26:27]
	v_lshl_add_u64 v[112:113], v[112:113], 0, 4
	flat_store_dwordx2 v[32:33], v[112:113] sc0 sc1
.LBB5_291:                              ;   in Loop: Header=BB5_47 Depth=1
	s_or_b64 exec, exec, s[24:25]
.LBB5_292:                              ;   in Loop: Header=BB5_47 Depth=1
	s_or_b64 exec, exec, s[28:29]
	v_cndmask_b32_e64 v2, 0, 1, s[78:79]
	v_cmp_ne_u32_e64 s[24:25], 1, v2
	s_andn2_b64 vcc, exec, s[78:79]
	s_cbranch_vccnz .LBB5_805
; %bb.293:                              ;   in Loop: Header=BB5_47 Depth=1
	s_mov_b32 s45, 2
	s_branch .LBB5_296
.LBB5_294:                              ;   in Loop: Header=BB5_296 Depth=2
	s_or_b64 exec, exec, s[26:27]
.LBB5_295:                              ;   in Loop: Header=BB5_296 Depth=2
	s_or_b64 exec, exec, s[28:29]
	s_add_i32 s45, s45, 1
	s_cmp_eq_u32 s45, s54
	s_cbranch_scc1 .LBB5_805
.LBB5_296:                              ;   Parent Loop BB5_47 Depth=1
                                        ; =>  This Loop Header: Depth=2
                                        ;       Child Loop BB5_305 Depth 3
                                        ;       Child Loop BB5_333 Depth 3
	;; [unrolled: 1-line block ×4, first 2 shown]
                                        ;         Child Loop BB5_382 Depth 4
                                        ;         Child Loop BB5_419 Depth 4
                                        ;       Child Loop BB5_494 Depth 3
                                        ;         Child Loop BB5_495 Depth 4
                                        ;         Child Loop BB5_532 Depth 4
                                        ;       Child Loop BB5_609 Depth 3
                                        ;       Child Loop BB5_668 Depth 3
                                        ;         Child Loop BB5_669 Depth 4
                                        ;         Child Loop BB5_678 Depth 4
                                        ;       Child Loop BB5_697 Depth 3
                                        ;       Child Loop BB5_716 Depth 3
	;; [unrolled: 1-line block ×5, first 2 shown]
	s_sub_i32 s12, s64, s45
	s_cmp_ge_i32 s12, s54
	s_cselect_b32 s13, s54, 0
	s_sub_i32 s12, s12, s13
	s_ashr_i32 s13, s12, 31
	v_mul_lo_u32 v2, v102, s13
	v_mul_lo_u32 v10, v103, s12
	v_mad_u64_u32 v[8:9], s[12:13], v102, s12, 0
	v_add3_u32 v9, v9, v2, v10
	v_sub_co_u32_e32 v10, vcc, v114, v8
	s_nop 1
	v_subb_co_u32_e32 v11, vcc, v115, v9, vcc
	v_cmp_lt_i64_e32 vcc, v[102:103], v[10:11]
	s_nop 1
	v_cndmask_b32_e32 v2, v10, v102, vcc
	v_max_i32_e32 v44, 0, v2
	v_add_u32_e32 v10, 15, v44
	v_ashrrev_i32_e32 v11, 31, v10
	v_lshrrev_b32_e32 v11, 28, v11
	v_add_u32_e32 v10, v10, v11
	v_cmp_gt_i32_e32 vcc, 1, v2
	v_and_b32_e32 v10, -16, v10
	s_or_b64 s[42:43], s[2:3], vcc
	v_max_i32_e32 v16, s67, v10
	s_xor_b64 s[12:13], s[42:43], -1
	v_mov_b32_e32 v2, 0
	s_and_saveexec_b64 s[90:91], s[12:13]
	s_cbranch_execz .LBB5_732
; %bb.297:                              ;   in Loop: Header=BB5_296 Depth=2
	s_and_saveexec_b64 s[26:27], s[0:1]
	s_cbranch_execz .LBB5_299
; %bb.298:                              ;   in Loop: Header=BB5_296 Depth=2
	s_trap 2
	ds_read_b64 v[10:11], v0
	s_waitcnt lgkmcnt(0)
	v_lshl_add_u64 v[10:11], v[116:117], 1, v[10:11]
	v_lshl_add_u64 v[8:9], v[8:9], 1, v[10:11]
	ds_write_b64 v0, v[8:9]
	ds_write_b64 v0, v[106:107]
.LBB5_299:                              ;   in Loop: Header=BB5_296 Depth=2
	s_or_b64 exec, exec, s[26:27]
	v_and_b32_e32 v2, 12, v58
	v_min_i32_e32 v16, v16, v44
	v_cmp_ne_u32_e32 vcc, 0, v2
	s_and_saveexec_b64 s[28:29], vcc
	s_cbranch_execz .LBB5_325
; %bb.300:                              ;   in Loop: Header=BB5_296 Depth=2
	v_and_b32_e32 v2, 8, v58
	s_waitcnt vmcnt(0) lgkmcnt(0)
	v_lshl_add_u64 v[10:11], v[48:49], 0, v[2:3]
	v_lshl_add_u64 v[8:9], v[112:113], 0, 4
	v_cmp_lt_u64_e32 vcc, v[10:11], v[8:9]
	s_and_saveexec_b64 s[40:41], vcc
	s_cbranch_execz .LBB5_312
; %bb.301:                              ;   in Loop: Header=BB5_296 Depth=2
	v_and_b32_e32 v10, 64, v58
	s_mov_b32 s12, 0
	v_cmp_eq_u32_e32 vcc, 0, v10
	s_mov_b64 s[92:93], 0
                                        ; implicit-def: $sgpr94_sgpr95
                                        ; implicit-def: $sgpr30_sgpr31
                                        ; implicit-def: $sgpr34_sgpr35
	s_branch .LBB5_305
.LBB5_302:                              ;   in Loop: Header=BB5_305 Depth=3
	s_waitcnt vmcnt(0) lgkmcnt(0)
	v_lshl_add_u64 v[12:13], v[48:49], 0, v[2:3]
	v_cmp_ge_u64_e64 s[26:27], v[12:13], v[8:9]
	s_or_b64 s[48:49], s[48:49], exec
	s_orn2_b64 s[38:39], s[26:27], exec
.LBB5_303:                              ;   in Loop: Header=BB5_305 Depth=3
	s_or_b64 exec, exec, s[52:53]
	s_andn2_b64 s[26:27], s[34:35], exec
	s_and_b64 s[34:35], s[48:49], exec
	s_or_b64 s[34:35], s[26:27], s[34:35]
	s_andn2_b64 s[26:27], s[30:31], exec
	s_and_b64 s[30:31], s[38:39], exec
	s_or_b64 s[30:31], s[26:27], s[30:31]
.LBB5_304:                              ;   in Loop: Header=BB5_305 Depth=3
	s_or_b64 exec, exec, s[36:37]
	s_and_b64 s[26:27], exec, s[30:31]
	s_or_b64 s[92:93], s[26:27], s[92:93]
	s_andn2_b64 s[26:27], s[94:95], exec
	s_and_b64 s[94:95], s[34:35], exec
	s_or_b64 s[94:95], s[26:27], s[94:95]
	s_andn2_b64 exec, exec, s[92:93]
	s_cbranch_execz .LBB5_309
.LBB5_305:                              ;   Parent Loop BB5_47 Depth=1
                                        ;     Parent Loop BB5_296 Depth=2
                                        ; =>    This Inner Loop Header: Depth=3
	s_sleep 1
	s_waitcnt vmcnt(0) lgkmcnt(0)
	flat_load_dwordx2 v[48:49], v[32:33] sc0 sc1
	s_or_b64 s[34:35], s[34:35], exec
	s_or_b64 s[30:31], s[30:31], exec
                                        ; implicit-def: $vgpr10
	s_and_saveexec_b64 s[36:37], vcc
	s_cbranch_execz .LBB5_304
; %bb.306:                              ;   in Loop: Header=BB5_305 Depth=3
	s_cmpk_lt_i32 s12, 0x270f
	s_cselect_b64 s[50:51], -1, 0
	s_cmpk_gt_i32 s12, 0x270e
	s_mov_b64 s[38:39], -1
	s_cbranch_scc0 .LBB5_308
; %bb.307:                              ;   in Loop: Header=BB5_305 Depth=3
	s_trap 2
	ds_read_b64 v[10:11], v0
	s_andn2_b64 s[50:51], s[50:51], exec
	s_mov_b32 s12, 0
	s_mov_b64 s[48:49], 0
	s_waitcnt vmcnt(0) lgkmcnt(0)
	flat_load_dword v10, v[10:11] sc0 sc1
	s_waitcnt vmcnt(0) lgkmcnt(0)
	buffer_inv sc0 sc1
	v_cmp_eq_u32_e64 s[26:27], 0, v10
	s_and_b64 s[26:27], s[26:27], exec
	s_or_b64 s[50:51], s[50:51], s[26:27]
	s_and_saveexec_b64 s[52:53], s[50:51]
	s_cbranch_execz .LBB5_303
	s_branch .LBB5_302
.LBB5_308:                              ;   in Loop: Header=BB5_305 Depth=3
	s_add_i32 s12, s12, 1
	s_mov_b64 s[48:49], -1
                                        ; implicit-def: $vgpr10
	s_and_saveexec_b64 s[52:53], s[50:51]
	s_cbranch_execz .LBB5_303
	s_branch .LBB5_302
.LBB5_309:                              ;   in Loop: Header=BB5_296 Depth=2
	s_or_b64 exec, exec, s[92:93]
	s_xor_b64 s[12:13], s[94:95], -1
	s_and_saveexec_b64 s[26:27], s[12:13]
	s_xor_b64 s[26:27], exec, s[26:27]
	s_cbranch_execz .LBB5_311
; %bb.310:                              ;   in Loop: Header=BB5_296 Depth=2
	v_or_b32_e32 v58, 64, v58
	s_waitcnt lgkmcnt(0)
	ds_write_b32 v0, v10
	s_trap 2
.LBB5_311:                              ;   in Loop: Header=BB5_296 Depth=2
	s_or_b64 exec, exec, s[26:27]
.LBB5_312:                              ;   in Loop: Header=BB5_296 Depth=2
	s_or_b64 exec, exec, s[40:41]
	v_and_b32_e32 v10, 0x108, v58
	v_cmp_ne_u32_e32 vcc, s99, v10
	;;#ASMSTART
	s_wakeup
	;;#ASMEND
                                        ; implicit-def: $vgpr10_vgpr11
	s_and_saveexec_b64 s[12:13], vcc
	s_xor_b64 s[26:27], exec, s[12:13]
; %bb.313:                              ;   in Loop: Header=BB5_296 Depth=2
	v_and_b32_e32 v10, 7, v112
	v_mov_b32_e32 v11, v3
                                        ; implicit-def: $vgpr112_vgpr113
; %bb.314:                              ;   in Loop: Header=BB5_296 Depth=2
	s_andn2_saveexec_b64 s[26:27], s[26:27]
	s_cbranch_execz .LBB5_316
; %bb.315:                              ;   in Loop: Header=BB5_296 Depth=2
	v_and_b32_e32 v10, 7, v112
	v_ashrrev_i32_e32 v17, 31, v16
	v_mov_b32_e32 v11, v3
	v_mad_u64_u32 v[12:13], s[12:13], v10, 24, v[6:7]
	v_lshlrev_b64 v[14:15], 1, v[16:17]
	flat_store_dwordx2 v[12:13], v[14:15] offset:8
.LBB5_316:                              ;   in Loop: Header=BB5_296 Depth=2
	s_or_b64 exec, exec, s[26:27]
	v_and_b32_e32 v12, 0x100, v58
	v_cmp_ne_u32_e32 vcc, 0, v12
	s_mov_b64 s[26:27], -1
                                        ; implicit-def: $vgpr12_vgpr13
	s_and_saveexec_b64 s[40:41], vcc
	s_cbranch_execz .LBB5_320
; %bb.317:                              ;   in Loop: Header=BB5_296 Depth=2
	v_mad_u64_u32 v[14:15], s[12:13], v10, 24, v[6:7]
	v_mov_b32_e32 v12, v15
	v_mad_u64_u32 v[12:13], s[12:13], v11, 24, v[12:13]
	v_mov_b32_e32 v15, v12
	flat_load_dword v12, v[14:15]
	s_waitcnt vmcnt(0) lgkmcnt(0)
	v_cmp_ne_u32_e32 vcc, 1, v12
	v_cmp_eq_u32_e64 s[26:27], 1, v12
                                        ; implicit-def: $vgpr12_vgpr13
	s_and_saveexec_b64 s[92:93], s[26:27]
	s_cbranch_execz .LBB5_319
; %bb.318:                              ;   in Loop: Header=BB5_296 Depth=2
	flat_load_dword v12, v[14:15] offset:4 sc0 sc1
	s_waitcnt vmcnt(0) lgkmcnt(0)
	v_ashrrev_i32_e32 v13, 31, v12
	v_lshrrev_b64 v[12:13], 1, v[12:13]
.LBB5_319:                              ;   in Loop: Header=BB5_296 Depth=2
	s_or_b64 exec, exec, s[92:93]
	s_orn2_b64 s[26:27], vcc, exec
.LBB5_320:                              ;   in Loop: Header=BB5_296 Depth=2
	s_or_b64 exec, exec, s[40:41]
	s_and_saveexec_b64 s[40:41], s[26:27]
; %bb.321:                              ;   in Loop: Header=BB5_296 Depth=2
	v_mul_lo_u32 v11, v11, v30
	v_mul_lo_u32 v14, v10, v51
	v_mad_u64_u32 v[12:13], s[12:13], v10, v30, 0
	v_add3_u32 v13, v13, v14, v11
; %bb.322:                              ;   in Loop: Header=BB5_296 Depth=2
	s_or_b64 exec, exec, s[40:41]
	v_cmp_eq_u32_e32 vcc, 0, v2
	v_lshl_add_u64 v[10:11], v[12:13], 1, v[34:35]
	s_nop 0
	v_cndmask_b32_e32 v2, v72, v73, vcc
	v_add_u32_e32 v2, v0, v2
	ds_write_b64 v2, v[10:11] offset:584
	v_and_b32_e32 v2, 0x2000, v58
	v_cmp_ne_u32_e32 vcc, 0, v2
	s_and_saveexec_b64 s[26:27], vcc
	s_cbranch_execz .LBB5_324
; %bb.323:                              ;   in Loop: Header=BB5_296 Depth=2
	ds_read_b64 v[10:11], v0 offset:872
	s_waitcnt lgkmcnt(0)
	v_lshl_add_u64 v[10:11], v[10:11], 0, 1
	ds_write_b64 v0, v[10:11] offset:872
.LBB5_324:                              ;   in Loop: Header=BB5_296 Depth=2
	s_or_b64 exec, exec, s[26:27]
	v_mov_b64_e32 v[112:113], v[8:9]
.LBB5_325:                              ;   in Loop: Header=BB5_296 Depth=2
	s_or_b64 exec, exec, s[28:29]
	s_and_saveexec_b64 s[26:27], s[6:7]
	s_cbranch_execz .LBB5_344
; %bb.326:                              ;   in Loop: Header=BB5_296 Depth=2
	s_and_saveexec_b64 s[12:13], s[56:57]
	s_xor_b64 s[28:29], exec, s[12:13]
	s_cbranch_execz .LBB5_341
; %bb.327:                              ;   in Loop: Header=BB5_296 Depth=2
	s_and_saveexec_b64 s[40:41], s[14:15]
	s_cbranch_execz .LBB5_340
; %bb.328:                              ;   in Loop: Header=BB5_296 Depth=2
	s_mov_b64 s[94:95], exec
	v_mbcnt_lo_u32_b32 v2, s94, 0
	v_mbcnt_hi_u32_b32 v2, s95, v2
	v_cmp_eq_u32_e32 vcc, 0, v2
	s_waitcnt lgkmcnt(0)
	s_and_saveexec_b64 s[92:93], vcc
	s_cbranch_execz .LBB5_330
; %bb.329:                              ;   in Loop: Header=BB5_296 Depth=2
	s_bcnt1_i32_b64 s12, s[94:95]
	v_mov_b32_e32 v2, s12
	ds_add_u64 v0, v[2:3]
	s_trap 2
.LBB5_330:                              ;   in Loop: Header=BB5_296 Depth=2
	s_or_b64 exec, exec, s[92:93]
	s_trap 2
	ds_read_b64 v[8:9], v0
	s_waitcnt lgkmcnt(0)
	v_lshl_add_u64 v[38:39], v[38:39], 0, v[52:53]
	v_cmp_lt_u64_e32 vcc, v[8:9], v[38:39]
	s_and_saveexec_b64 s[92:93], vcc
	s_cbranch_execz .LBB5_339
; %bb.331:                              ;   in Loop: Header=BB5_296 Depth=2
	s_mov_b32 s12, 0
	s_mov_b64 s[94:95], 0
                                        ; implicit-def: $sgpr30_sgpr31
                                        ; implicit-def: $sgpr34_sgpr35
	s_branch .LBB5_333
.LBB5_332:                              ;   in Loop: Header=BB5_333 Depth=3
	s_or_b64 exec, exec, s[38:39]
	s_and_b64 vcc, exec, vcc
	s_or_b64 s[94:95], vcc, s[94:95]
	s_andn2_b64 vcc, s[30:31], exec
	s_and_b64 s[30:31], s[34:35], exec
	s_or_b64 s[30:31], vcc, s[30:31]
	s_andn2_b64 exec, exec, s[94:95]
	s_cbranch_execz .LBB5_337
.LBB5_333:                              ;   Parent Loop BB5_47 Depth=1
                                        ;     Parent Loop BB5_296 Depth=2
                                        ; =>    This Inner Loop Header: Depth=3
	s_add_i32 s12, s12, 1
	s_cmpk_lg_i32 s12, 0x2710
	s_cselect_b64 s[36:37], -1, 0
	s_and_b64 vcc, exec, s[36:37]
	s_cbranch_vccz .LBB5_335
; %bb.334:                              ;   in Loop: Header=BB5_333 Depth=3
	s_mov_b64 vcc, -1
	s_or_b64 s[34:35], s[34:35], exec
	s_and_saveexec_b64 s[38:39], s[36:37]
	s_cbranch_execz .LBB5_332
	s_branch .LBB5_336
.LBB5_335:                              ;   in Loop: Header=BB5_333 Depth=3
	s_trap 2
	ds_read_b64 v[8:9], v0
	s_andn2_b64 s[36:37], s[36:37], exec
	s_mov_b32 s12, 0
	s_waitcnt vmcnt(0) lgkmcnt(0)
	flat_load_dword v2, v[8:9] sc0 sc1
	s_waitcnt vmcnt(0) lgkmcnt(0)
	buffer_inv sc0 sc1
	v_cmp_eq_u32_e32 vcc, 0, v2
	s_and_b64 vcc, vcc, exec
	s_or_b64 s[36:37], s[36:37], vcc
	s_mov_b64 vcc, -1
	s_or_b64 s[34:35], s[34:35], exec
	s_and_saveexec_b64 s[38:39], s[36:37]
	s_cbranch_execz .LBB5_332
.LBB5_336:                              ;   in Loop: Header=BB5_333 Depth=3
	s_sleep 1
	s_trap 2
	ds_read_b64 v[8:9], v0
	s_waitcnt lgkmcnt(0)
	s_andn2_b64 s[34:35], s[34:35], exec
	v_cmp_ge_u64_e32 vcc, v[8:9], v[38:39]
	s_orn2_b64 vcc, vcc, exec
	s_branch .LBB5_332
.LBB5_337:                              ;   in Loop: Header=BB5_296 Depth=2
	s_or_b64 exec, exec, s[94:95]
	s_and_saveexec_b64 s[12:13], s[30:31]
	s_xor_b64 s[12:13], exec, s[12:13]
	s_cbranch_execz .LBB5_339
; %bb.338:                              ;   in Loop: Header=BB5_296 Depth=2
	ds_write_b32 v0, v63
	s_trap 2
.LBB5_339:                              ;   in Loop: Header=BB5_296 Depth=2
	s_or_b64 exec, exec, s[92:93]
	;;#ASMSTART
	s_wakeup
	;;#ASMEND
.LBB5_340:                              ;   in Loop: Header=BB5_296 Depth=2
	s_or_b64 exec, exec, s[40:41]
.LBB5_341:                              ;   in Loop: Header=BB5_296 Depth=2
	s_andn2_saveexec_b64 s[28:29], s[28:29]
	s_cbranch_execz .LBB5_343
; %bb.342:                              ;   in Loop: Header=BB5_296 Depth=2
	s_waitcnt lgkmcnt(0)
	s_barrier
.LBB5_343:                              ;   in Loop: Header=BB5_296 Depth=2
	s_or_b64 exec, exec, s[28:29]
.LBB5_344:                              ;   in Loop: Header=BB5_296 Depth=2
	s_or_b64 exec, exec, s[26:27]
	s_trap 2
	ds_read_b32 v8, v0
	v_and_b32_e32 v2, 0x4000, v58
	v_cmp_ne_u32_e32 vcc, 0, v2
	s_xor_b64 s[12:13], s[4:5], -1
	s_and_b64 s[12:13], s[12:13], vcc
	s_and_saveexec_b64 s[26:27], s[12:13]
	s_cbranch_execz .LBB5_363
; %bb.345:                              ;   in Loop: Header=BB5_296 Depth=2
	s_and_saveexec_b64 s[12:13], s[56:57]
	s_xor_b64 s[28:29], exec, s[12:13]
	s_cbranch_execz .LBB5_360
; %bb.346:                              ;   in Loop: Header=BB5_296 Depth=2
	s_and_saveexec_b64 s[40:41], s[14:15]
	s_cbranch_execz .LBB5_359
; %bb.347:                              ;   in Loop: Header=BB5_296 Depth=2
	s_mov_b64 s[94:95], exec
	v_mbcnt_lo_u32_b32 v2, s94, 0
	v_mbcnt_hi_u32_b32 v2, s95, v2
	v_cmp_eq_u32_e32 vcc, 0, v2
	s_waitcnt lgkmcnt(0)
	s_and_saveexec_b64 s[92:93], vcc
	s_cbranch_execz .LBB5_349
; %bb.348:                              ;   in Loop: Header=BB5_296 Depth=2
	s_bcnt1_i32_b64 s12, s[94:95]
	v_mov_b32_e32 v2, s12
	ds_add_u64 v0, v[2:3]
	s_trap 2
.LBB5_349:                              ;   in Loop: Header=BB5_296 Depth=2
	s_or_b64 exec, exec, s[92:93]
	s_trap 2
	ds_read_b64 v[10:11], v0
	s_waitcnt lgkmcnt(0)
	v_lshl_add_u64 v[38:39], v[38:39], 0, v[52:53]
	v_cmp_lt_u64_e32 vcc, v[10:11], v[38:39]
	s_and_saveexec_b64 s[92:93], vcc
	s_cbranch_execz .LBB5_358
; %bb.350:                              ;   in Loop: Header=BB5_296 Depth=2
	s_mov_b32 s12, 0
	s_mov_b64 s[94:95], 0
                                        ; implicit-def: $sgpr30_sgpr31
                                        ; implicit-def: $sgpr34_sgpr35
	s_branch .LBB5_352
.LBB5_351:                              ;   in Loop: Header=BB5_352 Depth=3
	s_or_b64 exec, exec, s[38:39]
	s_and_b64 vcc, exec, vcc
	s_or_b64 s[94:95], vcc, s[94:95]
	s_andn2_b64 vcc, s[30:31], exec
	s_and_b64 s[30:31], s[34:35], exec
	s_or_b64 s[30:31], vcc, s[30:31]
	s_andn2_b64 exec, exec, s[94:95]
	s_cbranch_execz .LBB5_356
.LBB5_352:                              ;   Parent Loop BB5_47 Depth=1
                                        ;     Parent Loop BB5_296 Depth=2
                                        ; =>    This Inner Loop Header: Depth=3
	s_add_i32 s12, s12, 1
	s_cmpk_lg_i32 s12, 0x2710
	s_cselect_b64 s[36:37], -1, 0
	s_and_b64 vcc, exec, s[36:37]
	s_cbranch_vccz .LBB5_354
; %bb.353:                              ;   in Loop: Header=BB5_352 Depth=3
	s_mov_b64 vcc, -1
	s_or_b64 s[34:35], s[34:35], exec
	s_and_saveexec_b64 s[38:39], s[36:37]
	s_cbranch_execz .LBB5_351
	s_branch .LBB5_355
.LBB5_354:                              ;   in Loop: Header=BB5_352 Depth=3
	s_trap 2
	ds_read_b64 v[10:11], v0
	s_andn2_b64 s[36:37], s[36:37], exec
	s_mov_b32 s12, 0
	s_waitcnt vmcnt(0) lgkmcnt(0)
	flat_load_dword v2, v[10:11] sc0 sc1
	s_waitcnt vmcnt(0) lgkmcnt(0)
	buffer_inv sc0 sc1
	v_cmp_eq_u32_e32 vcc, 0, v2
	s_and_b64 vcc, vcc, exec
	s_or_b64 s[36:37], s[36:37], vcc
	s_mov_b64 vcc, -1
	s_or_b64 s[34:35], s[34:35], exec
	s_and_saveexec_b64 s[38:39], s[36:37]
	s_cbranch_execz .LBB5_351
.LBB5_355:                              ;   in Loop: Header=BB5_352 Depth=3
	s_sleep 1
	s_trap 2
	ds_read_b64 v[10:11], v0
	s_waitcnt lgkmcnt(0)
	s_andn2_b64 s[34:35], s[34:35], exec
	v_cmp_ge_u64_e32 vcc, v[10:11], v[38:39]
	s_orn2_b64 vcc, vcc, exec
	s_branch .LBB5_351
.LBB5_356:                              ;   in Loop: Header=BB5_296 Depth=2
	s_or_b64 exec, exec, s[94:95]
	s_and_saveexec_b64 s[12:13], s[30:31]
	s_xor_b64 s[12:13], exec, s[12:13]
	s_cbranch_execz .LBB5_358
; %bb.357:                              ;   in Loop: Header=BB5_296 Depth=2
	ds_write_b32 v0, v63
	s_trap 2
.LBB5_358:                              ;   in Loop: Header=BB5_296 Depth=2
	s_or_b64 exec, exec, s[92:93]
	;;#ASMSTART
	s_wakeup
	;;#ASMEND
.LBB5_359:                              ;   in Loop: Header=BB5_296 Depth=2
	s_or_b64 exec, exec, s[40:41]
.LBB5_360:                              ;   in Loop: Header=BB5_296 Depth=2
	s_andn2_saveexec_b64 s[28:29], s[28:29]
	s_cbranch_execz .LBB5_362
; %bb.361:                              ;   in Loop: Header=BB5_296 Depth=2
	s_waitcnt lgkmcnt(0)
	s_barrier
.LBB5_362:                              ;   in Loop: Header=BB5_296 Depth=2
	s_or_b64 exec, exec, s[28:29]
.LBB5_363:                              ;   in Loop: Header=BB5_296 Depth=2
	s_or_b64 exec, exec, s[26:27]
	s_trap 2
	ds_read_b64 v[18:19], v0
	s_waitcnt lgkmcnt(0)
	v_cmp_eq_u64_e32 vcc, 0, v[18:19]
	s_cbranch_vccnz .LBB5_371
; %bb.364:                              ;   in Loop: Header=BB5_296 Depth=2
	s_trap 2
	ds_read_b64 v[20:21], v0
	s_waitcnt lgkmcnt(0)
	v_cmp_eq_u64_e32 vcc, 0, v[20:21]
	s_cbranch_vccnz .LBB5_371
; %bb.365:                              ;   in Loop: Header=BB5_296 Depth=2
	s_trap 2
	ds_read_b64 v[10:11], v0
	s_mov_b64 s[28:29], -1
	s_waitcnt lgkmcnt(0)
	v_readfirstlane_b32 s12, v10
	s_and_saveexec_b64 s[26:27], s[20:21]
	s_cbranch_execz .LBB5_367
; %bb.366:                              ;   in Loop: Header=BB5_296 Depth=2
	ds_read_b32 v2, v0 offset:720
	s_waitcnt lgkmcnt(0)
	v_and_b32_e32 v2, 15, v2
	v_cmp_eq_u32_e32 vcc, 0, v2
	s_orn2_b64 s[28:29], vcc, exec
.LBB5_367:                              ;   in Loop: Header=BB5_296 Depth=2
	s_or_b64 exec, exec, s[26:27]
	s_and_saveexec_b64 s[26:27], s[18:19]
	s_cbranch_execz .LBB5_369
; %bb.368:                              ;   in Loop: Header=BB5_296 Depth=2
	ds_read_b32 v2, v0 offset:784
	s_waitcnt lgkmcnt(0)
	v_and_b32_e32 v2, 15, v2
	v_cmp_eq_u32_e32 vcc, 0, v2
	s_and_b64 s[40:41], s[28:29], vcc
	s_andn2_b64 s[28:29], s[28:29], exec
	s_and_b64 s[40:41], s[40:41], exec
	s_or_b64 s[28:29], s[28:29], s[40:41]
.LBB5_369:                              ;   in Loop: Header=BB5_296 Depth=2
	s_or_b64 exec, exec, s[26:27]
	s_xor_b64 s[28:29], s[28:29], -1
	v_cndmask_b32_e64 v2, 0, 1, s[28:29]
	v_cmp_eq_u32_e64 s[26:27], 0, v8
	s_mov_b64 s[40:41], -1
	v_cmp_ne_u32_e32 vcc, 0, v2
	s_cbranch_vccz .LBB5_376
; %bb.370:                              ;   in Loop: Header=BB5_296 Depth=2
	s_and_b32 s52, s12, 1
	s_mov_b64 s[40:41], 0
	s_mov_b64 s[92:93], -1
	s_branch .LBB5_377
.LBB5_371:                              ;   in Loop: Header=BB5_296 Depth=2
	s_mov_b64 s[26:27], 0
	s_and_saveexec_b64 s[28:29], s[6:7]
	s_cbranch_execnz .LBB5_690
.LBB5_372:                              ;   in Loop: Header=BB5_296 Depth=2
	s_or_b64 exec, exec, s[28:29]
                                        ; implicit-def: $vgpr2
	s_and_saveexec_b64 s[12:13], s[22:23]
	s_xor_b64 s[28:29], exec, s[12:13]
	s_cbranch_execz .LBB5_708
.LBB5_373:                              ;   in Loop: Header=BB5_296 Depth=2
	v_and_b32_e32 v8, 16, v58
	v_cmp_ne_u32_e32 vcc, 0, v8
	v_and_b32_e32 v2, 16, v58
	s_and_b64 s[12:13], vcc, s[26:27]
	s_and_saveexec_b64 s[26:27], s[12:13]
	s_cbranch_execz .LBB5_375
; %bb.374:                              ;   in Loop: Header=BB5_296 Depth=2
	v_mov_b32_e32 v2, 1
	buffer_wbl2 sc1
	s_waitcnt vmcnt(0) lgkmcnt(0)
	buffer_inv sc1
.LBB5_375:                              ;   in Loop: Header=BB5_296 Depth=2
	s_or_b64 exec, exec, s[26:27]
	s_andn2_saveexec_b64 s[26:27], s[28:29]
	s_cbranch_execz .LBB5_727
	s_branch .LBB5_709
.LBB5_376:                              ;   in Loop: Header=BB5_296 Depth=2
	s_mov_b64 s[92:93], 0
                                        ; implicit-def: $sgpr52
.LBB5_377:                              ;   in Loop: Header=BB5_296 Depth=2
	v_cndmask_b32_e64 v2, 0, v16, s[26:27]
	v_lshlrev_b32_e32 v17, 1, v2
	s_andn2_b64 vcc, exec, s[40:41]
	v_mov_b32_e32 v14, 0
	s_cbranch_vccnz .LBB5_454
; %bb.378:                              ;   in Loop: Header=BB5_296 Depth=2
	v_ashrrev_i32_e32 v8, 31, v17
	v_lshrrev_b32_e32 v8, 22, v8
	v_add_u32_e32 v8, v17, v8
	v_and_b32_e32 v45, 0xfffffc00, v8
	s_trap 2
	ds_read_b64 v[22:23], v0
	v_ashrrev_i32_e32 v9, 10, v8
	v_sub_u32_e32 v46, v17, v45
	v_sub_u32_e32 v8, v9, v60
	v_cmp_lt_i32_e64 s[26:27], 15, v46
	v_sub_u32_e32 v56, v17, v54
	s_and_b32 s52, s12, 1
	v_addc_co_u32_e64 v47, vcc, 0, v8, s[26:27]
	v_lshl_add_u64 v[118:119], v[20:21], 0, v[54:55]
	v_cmp_lt_i32_e32 vcc, 15, v56
	s_mov_b64 s[28:29], 0
	s_and_saveexec_b64 s[94:95], vcc
	s_cbranch_execz .LBB5_456
; %bb.379:                              ;   in Loop: Header=BB5_296 Depth=2
	s_and_b32 s12, 0xffff, s52
	s_cmp_eq_u32 s12, 0
	v_lshl_add_u64 v[40:41], v[18:19], 0, v[54:55]
	s_waitcnt lgkmcnt(0)
	v_lshl_add_u64 v[42:43], v[22:23], 0, v[54:55]
	s_mov_b64 s[36:37], 0
	s_mov_b64 s[30:31], 0
	s_cselect_b64 s[28:29], -1, 0
                                        ; implicit-def: $sgpr34_sgpr35
	s_branch .LBB5_381
.LBB5_380:                              ;   in Loop: Header=BB5_381 Depth=3
	s_or_b64 exec, exec, s[40:41]
	v_cmp_gt_i32_e32 vcc, 16, v56
	s_or_b64 s[30:31], vcc, s[30:31]
	s_andn2_b64 s[12:13], s[34:35], exec
	s_and_b64 s[40:41], s[36:37], exec
	s_or_b64 s[34:35], s[12:13], s[40:41]
	s_andn2_b64 exec, exec, s[30:31]
	s_cbranch_execz .LBB5_455
.LBB5_381:                              ;   Parent Loop BB5_47 Depth=1
                                        ;     Parent Loop BB5_296 Depth=2
                                        ; =>    This Loop Header: Depth=3
                                        ;         Child Loop BB5_382 Depth 4
                                        ;         Child Loop BB5_419 Depth 4
	s_add_i32 s13, s33, 0xa0
	s_mov_b32 s12, s13
	s_mov_b64 s[38:39], -1
	s_mov_b64 s[40:41], 0
.LBB5_382:                              ;   Parent Loop BB5_47 Depth=1
                                        ;     Parent Loop BB5_296 Depth=2
                                        ;       Parent Loop BB5_381 Depth=3
                                        ; =>      This Inner Loop Header: Depth=4
	s_cmp_eq_u32 s40, 1
	s_cselect_b64 vcc, -1, 0
	v_cndmask_b32_e32 v13, v41, v43, vcc
	v_cndmask_b32_e32 v12, v40, v42, vcc
	global_load_dwordx4 v[8:11], v[12:13], off nt
	s_cmp_eq_u32 s40, 0
	s_cselect_b64 s[40:41], -1, 0
	s_waitcnt vmcnt(0)
	scratch_store_dwordx4 off, v[8:11], s12
	s_nop 1
	v_lshl_add_u64 v[8:9], v[12:13], 0, s[60:61]
	v_cndmask_b32_e64 v41, v41, v9, s[40:41]
	v_cndmask_b32_e64 v40, v40, v8, s[40:41]
	v_cndmask_b32_e32 v43, v43, v9, vcc
	v_cndmask_b32_e32 v42, v42, v8, vcc
	s_mov_b64 s[40:41], 1
	s_and_b64 vcc, exec, s[38:39]
	s_mov_b64 s[38:39], 0
	s_mov_b32 s12, s69
	s_cbranch_vccnz .LBB5_382
; %bb.383:                              ;   in Loop: Header=BB5_381 Depth=3
	s_and_saveexec_b64 s[40:41], s[36:37]
	s_cbranch_execz .LBB5_417
; %bb.384:                              ;   in Loop: Header=BB5_381 Depth=3
	scratch_load_dwordx4 v[8:11], off, s33 offset:192
	scratch_load_dwordx4 v[12:15], off, s33 offset:208
	s_waitcnt vmcnt(1)
	v_lshlrev_b32_e32 v57, 16, v8
	s_waitcnt vmcnt(0)
	v_lshlrev_b32_e32 v78, 16, v12
	v_max_f32_e32 v78, v78, v78
	v_max_f32_e32 v57, v57, v57
	v_min_f32_e32 v79, v57, v78
	v_max_f32_e32 v57, v57, v78
	v_cndmask_b32_e64 v78, v57, v79, s[28:29]
	v_and_b32_e32 v57, 0x7f800000, v78
	v_cmp_ne_u32_e32 vcc, s46, v57
                                        ; implicit-def: $vgpr57
	s_and_saveexec_b64 s[12:13], vcc
	s_xor_b64 vcc, exec, s[12:13]
; %bb.385:                              ;   in Loop: Header=BB5_381 Depth=3
	v_bfe_u32 v57, v78, 16, 1
	v_add3_u32 v57, v78, v57, s47
                                        ; implicit-def: $vgpr78
; %bb.386:                              ;   in Loop: Header=BB5_381 Depth=3
	s_andn2_saveexec_b64 s[36:37], vcc
; %bb.387:                              ;   in Loop: Header=BB5_381 Depth=3
	v_or_b32_e32 v57, 0x10000, v78
	v_cmp_eq_u32_sdwa vcc, v78, v3 src0_sel:WORD_0 src1_sel:DWORD
	s_nop 1
	v_cndmask_b32_e32 v57, v57, v78, vcc
; %bb.388:                              ;   in Loop: Header=BB5_381 Depth=3
	s_or_b64 exec, exec, s[36:37]
	v_and_b32_e32 v8, 0xffff0000, v8
	v_and_b32_e32 v12, 0xffff0000, v12
	v_max_f32_e32 v12, v12, v12
	v_max_f32_e32 v8, v8, v8
	v_min_f32_e32 v78, v8, v12
	v_max_f32_e32 v8, v8, v12
	v_cndmask_b32_e64 v12, v8, v78, s[28:29]
	v_and_b32_e32 v8, 0x7f800000, v12
	v_cmp_ne_u32_e32 vcc, s46, v8
                                        ; implicit-def: $vgpr8
	s_and_saveexec_b64 s[12:13], vcc
	s_xor_b64 vcc, exec, s[12:13]
; %bb.389:                              ;   in Loop: Header=BB5_381 Depth=3
	v_bfe_u32 v8, v12, 16, 1
	v_add3_u32 v8, v12, v8, s47
                                        ; implicit-def: $vgpr12
; %bb.390:                              ;   in Loop: Header=BB5_381 Depth=3
	s_andn2_saveexec_b64 s[36:37], vcc
; %bb.391:                              ;   in Loop: Header=BB5_381 Depth=3
	v_or_b32_e32 v8, 0x10000, v12
	v_cmp_eq_u32_sdwa vcc, v12, v3 src0_sel:WORD_0 src1_sel:DWORD
	s_nop 1
	v_cndmask_b32_e32 v8, v8, v12, vcc
; %bb.392:                              ;   in Loop: Header=BB5_381 Depth=3
	s_or_b64 exec, exec, s[36:37]
	v_lshlrev_b32_e32 v12, 16, v9
	v_lshlrev_b32_e32 v78, 16, v13
	v_max_f32_e32 v78, v78, v78
	v_max_f32_e32 v12, v12, v12
	v_min_f32_e32 v79, v12, v78
	v_max_f32_e32 v12, v12, v78
	v_cndmask_b32_e64 v78, v12, v79, s[28:29]
	v_and_b32_e32 v12, 0x7f800000, v78
	v_cmp_ne_u32_e32 vcc, s46, v12
                                        ; implicit-def: $vgpr12
	s_and_saveexec_b64 s[12:13], vcc
	s_xor_b64 vcc, exec, s[12:13]
; %bb.393:                              ;   in Loop: Header=BB5_381 Depth=3
	v_bfe_u32 v12, v78, 16, 1
	v_add3_u32 v12, v78, v12, s47
                                        ; implicit-def: $vgpr78
; %bb.394:                              ;   in Loop: Header=BB5_381 Depth=3
	s_andn2_saveexec_b64 s[36:37], vcc
; %bb.395:                              ;   in Loop: Header=BB5_381 Depth=3
	v_or_b32_e32 v12, 0x10000, v78
	v_cmp_eq_u32_sdwa vcc, v78, v3 src0_sel:WORD_0 src1_sel:DWORD
	s_nop 1
	v_cndmask_b32_e32 v12, v12, v78, vcc
; %bb.396:                              ;   in Loop: Header=BB5_381 Depth=3
	s_or_b64 exec, exec, s[36:37]
	v_and_b32_e32 v9, 0xffff0000, v9
	v_and_b32_e32 v13, 0xffff0000, v13
	v_max_f32_e32 v13, v13, v13
	v_max_f32_e32 v9, v9, v9
	v_min_f32_e32 v78, v9, v13
	v_max_f32_e32 v9, v9, v13
	v_cndmask_b32_e64 v13, v9, v78, s[28:29]
	v_and_b32_e32 v9, 0x7f800000, v13
	v_cmp_ne_u32_e32 vcc, s46, v9
                                        ; implicit-def: $vgpr9
	s_and_saveexec_b64 s[12:13], vcc
	s_xor_b64 vcc, exec, s[12:13]
; %bb.397:                              ;   in Loop: Header=BB5_381 Depth=3
	v_bfe_u32 v9, v13, 16, 1
	v_add3_u32 v9, v13, v9, s47
                                        ; implicit-def: $vgpr13
; %bb.398:                              ;   in Loop: Header=BB5_381 Depth=3
	s_andn2_saveexec_b64 s[36:37], vcc
; %bb.399:                              ;   in Loop: Header=BB5_381 Depth=3
	v_or_b32_e32 v9, 0x10000, v13
	v_cmp_eq_u32_sdwa vcc, v13, v3 src0_sel:WORD_0 src1_sel:DWORD
	s_nop 1
	v_cndmask_b32_e32 v9, v9, v13, vcc
; %bb.400:                              ;   in Loop: Header=BB5_381 Depth=3
	s_or_b64 exec, exec, s[36:37]
	v_lshlrev_b32_e32 v13, 16, v10
	v_lshlrev_b32_e32 v78, 16, v14
	v_max_f32_e32 v78, v78, v78
	v_max_f32_e32 v13, v13, v13
	v_min_f32_e32 v79, v13, v78
	v_max_f32_e32 v13, v13, v78
	v_cndmask_b32_e64 v78, v13, v79, s[28:29]
	v_and_b32_e32 v13, 0x7f800000, v78
	v_cmp_ne_u32_e32 vcc, s46, v13
                                        ; implicit-def: $vgpr13
	s_and_saveexec_b64 s[12:13], vcc
	s_xor_b64 vcc, exec, s[12:13]
; %bb.401:                              ;   in Loop: Header=BB5_381 Depth=3
	v_bfe_u32 v13, v78, 16, 1
	v_add3_u32 v13, v78, v13, s47
                                        ; implicit-def: $vgpr78
; %bb.402:                              ;   in Loop: Header=BB5_381 Depth=3
	s_andn2_saveexec_b64 s[36:37], vcc
; %bb.403:                              ;   in Loop: Header=BB5_381 Depth=3
	v_or_b32_e32 v13, 0x10000, v78
	v_cmp_eq_u32_sdwa vcc, v78, v3 src0_sel:WORD_0 src1_sel:DWORD
	s_nop 1
	v_cndmask_b32_e32 v13, v13, v78, vcc
; %bb.404:                              ;   in Loop: Header=BB5_381 Depth=3
	s_or_b64 exec, exec, s[36:37]
	v_and_b32_e32 v10, 0xffff0000, v10
	v_and_b32_e32 v14, 0xffff0000, v14
	v_max_f32_e32 v14, v14, v14
	v_max_f32_e32 v10, v10, v10
	v_min_f32_e32 v78, v10, v14
	v_max_f32_e32 v10, v10, v14
	v_cndmask_b32_e64 v14, v10, v78, s[28:29]
	v_and_b32_e32 v10, 0x7f800000, v14
	v_cmp_ne_u32_e32 vcc, s46, v10
                                        ; implicit-def: $vgpr10
	s_and_saveexec_b64 s[12:13], vcc
	s_xor_b64 vcc, exec, s[12:13]
; %bb.405:                              ;   in Loop: Header=BB5_381 Depth=3
	v_bfe_u32 v10, v14, 16, 1
	v_add3_u32 v10, v14, v10, s47
                                        ; implicit-def: $vgpr14
; %bb.406:                              ;   in Loop: Header=BB5_381 Depth=3
	s_andn2_saveexec_b64 s[36:37], vcc
; %bb.407:                              ;   in Loop: Header=BB5_381 Depth=3
	v_or_b32_e32 v10, 0x10000, v14
	v_cmp_eq_u32_sdwa vcc, v14, v3 src0_sel:WORD_0 src1_sel:DWORD
	s_nop 1
	v_cndmask_b32_e32 v10, v10, v14, vcc
; %bb.408:                              ;   in Loop: Header=BB5_381 Depth=3
	s_or_b64 exec, exec, s[36:37]
	v_lshlrev_b32_e32 v14, 16, v11
	v_lshlrev_b32_e32 v78, 16, v15
	v_max_f32_e32 v78, v78, v78
	v_max_f32_e32 v14, v14, v14
	v_min_f32_e32 v79, v14, v78
	v_max_f32_e32 v14, v14, v78
	v_cndmask_b32_e64 v78, v14, v79, s[28:29]
	v_and_b32_e32 v14, 0x7f800000, v78
	v_cmp_ne_u32_e32 vcc, s46, v14
                                        ; implicit-def: $vgpr14
	s_and_saveexec_b64 s[12:13], vcc
	s_xor_b64 vcc, exec, s[12:13]
; %bb.409:                              ;   in Loop: Header=BB5_381 Depth=3
	v_bfe_u32 v14, v78, 16, 1
	v_add3_u32 v14, v78, v14, s47
                                        ; implicit-def: $vgpr78
; %bb.410:                              ;   in Loop: Header=BB5_381 Depth=3
	s_andn2_saveexec_b64 s[36:37], vcc
; %bb.411:                              ;   in Loop: Header=BB5_381 Depth=3
	v_or_b32_e32 v14, 0x10000, v78
	v_cmp_eq_u32_sdwa vcc, v78, v3 src0_sel:WORD_0 src1_sel:DWORD
	s_nop 1
	v_cndmask_b32_e32 v14, v14, v78, vcc
; %bb.412:                              ;   in Loop: Header=BB5_381 Depth=3
	s_or_b64 exec, exec, s[36:37]
	v_and_b32_e32 v11, 0xffff0000, v11
	v_and_b32_e32 v15, 0xffff0000, v15
	v_max_f32_e32 v15, v15, v15
	v_max_f32_e32 v11, v11, v11
	v_min_f32_e32 v78, v11, v15
	v_max_f32_e32 v11, v11, v15
	v_cndmask_b32_e64 v15, v11, v78, s[28:29]
	v_and_b32_e32 v11, 0x7f800000, v15
	v_cmp_ne_u32_e32 vcc, s46, v11
                                        ; implicit-def: $vgpr11
	s_and_saveexec_b64 s[12:13], vcc
	s_xor_b64 vcc, exec, s[12:13]
; %bb.413:                              ;   in Loop: Header=BB5_381 Depth=3
	v_bfe_u32 v11, v15, 16, 1
	v_add3_u32 v11, v15, v11, s47
                                        ; implicit-def: $vgpr15
; %bb.414:                              ;   in Loop: Header=BB5_381 Depth=3
	s_andn2_saveexec_b64 s[36:37], vcc
; %bb.415:                              ;   in Loop: Header=BB5_381 Depth=3
	v_or_b32_e32 v11, 0x10000, v15
	v_cmp_eq_u32_sdwa vcc, v15, v3 src0_sel:WORD_0 src1_sel:DWORD
	s_nop 1
	v_cndmask_b32_e32 v11, v11, v15, vcc
; %bb.416:                              ;   in Loop: Header=BB5_381 Depth=3
	s_or_b64 exec, exec, s[36:37]
	v_lshrrev_b32_e32 v12, 16, v12
	v_and_or_b32 v9, v9, s44, v12
	v_lshrrev_b32_e32 v12, 16, v57
	v_and_or_b32 v8, v8, s44, v12
	;; [unrolled: 2-line block ×4, first 2 shown]
	scratch_store_dwordx4 off, v[8:11], s33 offset:192
	global_store_dwordx4 v[118:119], v[8:11], off
	v_lshl_add_u64 v[118:119], v[96:97], 0, v[118:119]
.LBB5_417:                              ;   in Loop: Header=BB5_381 Depth=3
	s_or_b64 exec, exec, s[40:41]
	v_sub_u32_e32 v56, v56, v61
	v_lshl_add_u64 v[40:41], v[40:41], 0, v[80:81]
	v_lshl_add_u64 v[42:43], v[42:43], 0, v[80:81]
	v_cmp_lt_i32_e64 s[36:37], 15, v56
	s_and_saveexec_b64 s[38:39], s[36:37]
	s_cbranch_execz .LBB5_420
; %bb.418:                              ;   in Loop: Header=BB5_381 Depth=3
	s_add_i32 s13, s33, 0xc0
	s_mov_b32 s12, s13
	s_mov_b64 s[40:41], 0
	s_mov_b64 s[48:49], -1
.LBB5_419:                              ;   Parent Loop BB5_47 Depth=1
                                        ;     Parent Loop BB5_296 Depth=2
                                        ;       Parent Loop BB5_381 Depth=3
                                        ; =>      This Inner Loop Header: Depth=4
	s_cmp_eq_u32 s40, 1
	s_cselect_b64 vcc, -1, 0
	v_cndmask_b32_e32 v13, v41, v43, vcc
	v_cndmask_b32_e32 v12, v40, v42, vcc
	global_load_dwordx4 v[8:11], v[12:13], off nt
	s_cmp_eq_u32 s40, 0
	s_cselect_b64 s[40:41], -1, 0
	s_waitcnt vmcnt(0)
	scratch_store_dwordx4 off, v[8:11], s12
	s_nop 1
	v_lshl_add_u64 v[8:9], v[12:13], 0, s[60:61]
	v_cndmask_b32_e64 v41, v41, v9, s[40:41]
	v_cndmask_b32_e64 v40, v40, v8, s[40:41]
	v_cndmask_b32_e32 v43, v43, v9, vcc
	v_cndmask_b32_e32 v42, v42, v8, vcc
	s_mov_b64 s[40:41], 1
	s_and_b64 vcc, exec, s[48:49]
	s_mov_b64 s[48:49], 0
	s_mov_b32 s12, s68
	s_cbranch_vccnz .LBB5_419
.LBB5_420:                              ;   in Loop: Header=BB5_381 Depth=3
	s_or_b64 exec, exec, s[38:39]
	scratch_load_dwordx4 v[8:11], off, s33 offset:160
	scratch_load_dwordx4 v[12:15], off, s33 offset:176
	s_waitcnt vmcnt(1)
	v_lshlrev_b32_e32 v57, 16, v8
	s_waitcnt vmcnt(0)
	v_lshlrev_b32_e32 v78, 16, v12
	v_max_f32_e32 v78, v78, v78
	v_max_f32_e32 v57, v57, v57
	v_min_f32_e32 v79, v57, v78
	v_max_f32_e32 v57, v57, v78
	v_cndmask_b32_e64 v78, v57, v79, s[28:29]
	v_and_b32_e32 v57, 0x7f800000, v78
	v_cmp_ne_u32_e32 vcc, s46, v57
                                        ; implicit-def: $vgpr57
	s_and_saveexec_b64 s[12:13], vcc
	s_xor_b64 s[40:41], exec, s[12:13]
; %bb.421:                              ;   in Loop: Header=BB5_381 Depth=3
	v_bfe_u32 v57, v78, 16, 1
	v_add3_u32 v57, v78, v57, s47
                                        ; implicit-def: $vgpr78
; %bb.422:                              ;   in Loop: Header=BB5_381 Depth=3
	s_andn2_saveexec_b64 s[40:41], s[40:41]
; %bb.423:                              ;   in Loop: Header=BB5_381 Depth=3
	v_or_b32_e32 v57, 0x10000, v78
	v_cmp_eq_u32_sdwa vcc, v78, v3 src0_sel:WORD_0 src1_sel:DWORD
	s_nop 1
	v_cndmask_b32_e32 v57, v57, v78, vcc
; %bb.424:                              ;   in Loop: Header=BB5_381 Depth=3
	s_or_b64 exec, exec, s[40:41]
	v_and_b32_e32 v8, 0xffff0000, v8
	v_and_b32_e32 v12, 0xffff0000, v12
	v_max_f32_e32 v12, v12, v12
	v_max_f32_e32 v8, v8, v8
	v_min_f32_e32 v78, v8, v12
	v_max_f32_e32 v8, v8, v12
	v_cndmask_b32_e64 v12, v8, v78, s[28:29]
	v_and_b32_e32 v8, 0x7f800000, v12
	v_cmp_ne_u32_e32 vcc, s46, v8
                                        ; implicit-def: $vgpr8
	s_and_saveexec_b64 s[12:13], vcc
	s_xor_b64 s[40:41], exec, s[12:13]
; %bb.425:                              ;   in Loop: Header=BB5_381 Depth=3
	v_bfe_u32 v8, v12, 16, 1
	v_add3_u32 v8, v12, v8, s47
                                        ; implicit-def: $vgpr12
; %bb.426:                              ;   in Loop: Header=BB5_381 Depth=3
	s_andn2_saveexec_b64 s[40:41], s[40:41]
; %bb.427:                              ;   in Loop: Header=BB5_381 Depth=3
	v_or_b32_e32 v8, 0x10000, v12
	v_cmp_eq_u32_sdwa vcc, v12, v3 src0_sel:WORD_0 src1_sel:DWORD
	s_nop 1
	v_cndmask_b32_e32 v8, v8, v12, vcc
; %bb.428:                              ;   in Loop: Header=BB5_381 Depth=3
	s_or_b64 exec, exec, s[40:41]
	v_lshlrev_b32_e32 v12, 16, v9
	v_lshlrev_b32_e32 v78, 16, v13
	v_max_f32_e32 v78, v78, v78
	v_max_f32_e32 v12, v12, v12
	v_min_f32_e32 v79, v12, v78
	v_max_f32_e32 v12, v12, v78
	v_cndmask_b32_e64 v78, v12, v79, s[28:29]
	v_and_b32_e32 v12, 0x7f800000, v78
	v_cmp_ne_u32_e32 vcc, s46, v12
                                        ; implicit-def: $vgpr12
	s_and_saveexec_b64 s[12:13], vcc
	s_xor_b64 s[40:41], exec, s[12:13]
; %bb.429:                              ;   in Loop: Header=BB5_381 Depth=3
	v_bfe_u32 v12, v78, 16, 1
	v_add3_u32 v12, v78, v12, s47
                                        ; implicit-def: $vgpr78
; %bb.430:                              ;   in Loop: Header=BB5_381 Depth=3
	s_andn2_saveexec_b64 s[40:41], s[40:41]
; %bb.431:                              ;   in Loop: Header=BB5_381 Depth=3
	v_or_b32_e32 v12, 0x10000, v78
	v_cmp_eq_u32_sdwa vcc, v78, v3 src0_sel:WORD_0 src1_sel:DWORD
	s_nop 1
	v_cndmask_b32_e32 v12, v12, v78, vcc
; %bb.432:                              ;   in Loop: Header=BB5_381 Depth=3
	s_or_b64 exec, exec, s[40:41]
	v_and_b32_e32 v9, 0xffff0000, v9
	v_and_b32_e32 v13, 0xffff0000, v13
	v_max_f32_e32 v13, v13, v13
	v_max_f32_e32 v9, v9, v9
	v_min_f32_e32 v78, v9, v13
	v_max_f32_e32 v9, v9, v13
	v_cndmask_b32_e64 v13, v9, v78, s[28:29]
	v_and_b32_e32 v9, 0x7f800000, v13
	v_cmp_ne_u32_e32 vcc, s46, v9
                                        ; implicit-def: $vgpr9
	s_and_saveexec_b64 s[12:13], vcc
	s_xor_b64 s[40:41], exec, s[12:13]
; %bb.433:                              ;   in Loop: Header=BB5_381 Depth=3
	v_bfe_u32 v9, v13, 16, 1
	v_add3_u32 v9, v13, v9, s47
                                        ; implicit-def: $vgpr13
; %bb.434:                              ;   in Loop: Header=BB5_381 Depth=3
	s_andn2_saveexec_b64 s[40:41], s[40:41]
; %bb.435:                              ;   in Loop: Header=BB5_381 Depth=3
	v_or_b32_e32 v9, 0x10000, v13
	v_cmp_eq_u32_sdwa vcc, v13, v3 src0_sel:WORD_0 src1_sel:DWORD
	s_nop 1
	v_cndmask_b32_e32 v9, v9, v13, vcc
; %bb.436:                              ;   in Loop: Header=BB5_381 Depth=3
	s_or_b64 exec, exec, s[40:41]
	v_lshlrev_b32_e32 v13, 16, v10
	v_lshlrev_b32_e32 v78, 16, v14
	v_max_f32_e32 v78, v78, v78
	v_max_f32_e32 v13, v13, v13
	v_min_f32_e32 v79, v13, v78
	v_max_f32_e32 v13, v13, v78
	v_cndmask_b32_e64 v78, v13, v79, s[28:29]
	v_and_b32_e32 v13, 0x7f800000, v78
	v_cmp_ne_u32_e32 vcc, s46, v13
                                        ; implicit-def: $vgpr13
	s_and_saveexec_b64 s[12:13], vcc
	s_xor_b64 s[40:41], exec, s[12:13]
; %bb.437:                              ;   in Loop: Header=BB5_381 Depth=3
	v_bfe_u32 v13, v78, 16, 1
	v_add3_u32 v13, v78, v13, s47
                                        ; implicit-def: $vgpr78
; %bb.438:                              ;   in Loop: Header=BB5_381 Depth=3
	s_andn2_saveexec_b64 s[40:41], s[40:41]
; %bb.439:                              ;   in Loop: Header=BB5_381 Depth=3
	v_or_b32_e32 v13, 0x10000, v78
	v_cmp_eq_u32_sdwa vcc, v78, v3 src0_sel:WORD_0 src1_sel:DWORD
	s_nop 1
	v_cndmask_b32_e32 v13, v13, v78, vcc
; %bb.440:                              ;   in Loop: Header=BB5_381 Depth=3
	s_or_b64 exec, exec, s[40:41]
	v_and_b32_e32 v10, 0xffff0000, v10
	v_and_b32_e32 v14, 0xffff0000, v14
	v_max_f32_e32 v14, v14, v14
	v_max_f32_e32 v10, v10, v10
	v_min_f32_e32 v78, v10, v14
	v_max_f32_e32 v10, v10, v14
	v_cndmask_b32_e64 v14, v10, v78, s[28:29]
	v_and_b32_e32 v10, 0x7f800000, v14
	v_cmp_ne_u32_e32 vcc, s46, v10
                                        ; implicit-def: $vgpr10
	s_and_saveexec_b64 s[12:13], vcc
	s_xor_b64 s[40:41], exec, s[12:13]
; %bb.441:                              ;   in Loop: Header=BB5_381 Depth=3
	v_bfe_u32 v10, v14, 16, 1
	v_add3_u32 v10, v14, v10, s47
                                        ; implicit-def: $vgpr14
; %bb.442:                              ;   in Loop: Header=BB5_381 Depth=3
	s_andn2_saveexec_b64 s[40:41], s[40:41]
; %bb.443:                              ;   in Loop: Header=BB5_381 Depth=3
	v_or_b32_e32 v10, 0x10000, v14
	v_cmp_eq_u32_sdwa vcc, v14, v3 src0_sel:WORD_0 src1_sel:DWORD
	s_nop 1
	v_cndmask_b32_e32 v10, v10, v14, vcc
; %bb.444:                              ;   in Loop: Header=BB5_381 Depth=3
	s_or_b64 exec, exec, s[40:41]
	v_lshlrev_b32_e32 v14, 16, v11
	v_lshlrev_b32_e32 v78, 16, v15
	v_max_f32_e32 v78, v78, v78
	v_max_f32_e32 v14, v14, v14
	v_min_f32_e32 v79, v14, v78
	v_max_f32_e32 v14, v14, v78
	v_cndmask_b32_e64 v78, v14, v79, s[28:29]
	v_and_b32_e32 v14, 0x7f800000, v78
	v_cmp_ne_u32_e32 vcc, s46, v14
                                        ; implicit-def: $vgpr14
	s_and_saveexec_b64 s[12:13], vcc
	s_xor_b64 s[40:41], exec, s[12:13]
; %bb.445:                              ;   in Loop: Header=BB5_381 Depth=3
	v_bfe_u32 v14, v78, 16, 1
	v_add3_u32 v14, v78, v14, s47
                                        ; implicit-def: $vgpr78
; %bb.446:                              ;   in Loop: Header=BB5_381 Depth=3
	s_andn2_saveexec_b64 s[40:41], s[40:41]
; %bb.447:                              ;   in Loop: Header=BB5_381 Depth=3
	v_or_b32_e32 v14, 0x10000, v78
	v_cmp_eq_u32_sdwa vcc, v78, v3 src0_sel:WORD_0 src1_sel:DWORD
	s_nop 1
	v_cndmask_b32_e32 v14, v14, v78, vcc
; %bb.448:                              ;   in Loop: Header=BB5_381 Depth=3
	s_or_b64 exec, exec, s[40:41]
	v_and_b32_e32 v11, 0xffff0000, v11
	v_and_b32_e32 v15, 0xffff0000, v15
	v_max_f32_e32 v15, v15, v15
	v_max_f32_e32 v11, v11, v11
	v_min_f32_e32 v78, v11, v15
	v_max_f32_e32 v11, v11, v15
	v_cndmask_b32_e64 v15, v11, v78, s[28:29]
	v_and_b32_e32 v11, 0x7f800000, v15
	v_cmp_ne_u32_e32 vcc, s46, v11
                                        ; implicit-def: $vgpr11
	s_and_saveexec_b64 s[12:13], vcc
	s_xor_b64 s[40:41], exec, s[12:13]
; %bb.449:                              ;   in Loop: Header=BB5_381 Depth=3
	v_bfe_u32 v11, v15, 16, 1
	v_add3_u32 v11, v15, v11, s47
                                        ; implicit-def: $vgpr15
; %bb.450:                              ;   in Loop: Header=BB5_381 Depth=3
	s_andn2_saveexec_b64 s[40:41], s[40:41]
; %bb.451:                              ;   in Loop: Header=BB5_381 Depth=3
	v_or_b32_e32 v11, 0x10000, v15
	v_cmp_eq_u32_sdwa vcc, v15, v3 src0_sel:WORD_0 src1_sel:DWORD
	s_nop 1
	v_cndmask_b32_e32 v11, v11, v15, vcc
; %bb.452:                              ;   in Loop: Header=BB5_381 Depth=3
	s_or_b64 exec, exec, s[40:41]
	v_lshrrev_b32_e32 v12, 16, v12
	v_and_or_b32 v9, v9, s44, v12
	v_lshrrev_b32_e32 v12, 16, v57
	v_and_or_b32 v8, v8, s44, v12
	;; [unrolled: 2-line block ×4, first 2 shown]
	v_sub_u32_e32 v47, v47, v52
	scratch_store_dwordx4 off, v[8:11], s33 offset:160
	global_store_dwordx4 v[118:119], v[8:11], off
	v_lshl_add_u64 v[118:119], v[118:119], 0, s[60:61]
	s_and_saveexec_b64 s[40:41], s[36:37]
	s_cbranch_execz .LBB5_380
; %bb.453:                              ;   in Loop: Header=BB5_381 Depth=3
	v_lshl_add_u64 v[40:41], v[40:41], 0, v[80:81]
	v_lshl_add_u64 v[42:43], v[42:43], 0, v[80:81]
	;; [unrolled: 1-line block ×3, first 2 shown]
	v_sub_u32_e32 v56, v56, v61
	v_sub_u32_e32 v47, v47, v52
	s_branch .LBB5_380
.LBB5_454:                              ;   in Loop: Header=BB5_296 Depth=2
	v_mov_b32_e32 v8, v0
	v_mov_b32_e32 v15, v59
	s_and_saveexec_b64 s[94:95], s[92:93]
	s_cbranch_execnz .LBB5_606
	s_branch .LBB5_689
.LBB5_455:                              ;   in Loop: Header=BB5_296 Depth=2
	s_or_b64 exec, exec, s[30:31]
	s_and_b64 s[28:29], s[34:35], exec
.LBB5_456:                              ;   in Loop: Header=BB5_296 Depth=2
	s_or_b64 exec, exec, s[94:95]
	s_and_saveexec_b64 s[40:41], s[28:29]
	s_cbranch_execz .LBB5_490
; %bb.457:                              ;   in Loop: Header=BB5_296 Depth=2
	scratch_load_dwordx4 v[8:11], off, s33 offset:192
	scratch_load_dwordx4 v[12:15], off, s33 offset:208
	s_and_b32 s12, 0xffff, s52
	s_cmp_eq_u32 s12, 0
	s_cselect_b64 vcc, -1, 0
	s_waitcnt vmcnt(0)
	v_lshlrev_b32_e32 v40, 16, v8
	v_lshlrev_b32_e32 v41, 16, v12
	v_max_f32_e32 v41, v41, v41
	v_max_f32_e32 v40, v40, v40
	v_min_f32_e32 v42, v40, v41
	v_max_f32_e32 v40, v40, v41
	v_cndmask_b32_e32 v41, v40, v42, vcc
	v_and_b32_e32 v40, 0x7f800000, v41
	v_cmp_ne_u32_e64 s[28:29], s46, v40
                                        ; implicit-def: $vgpr40
	s_and_saveexec_b64 s[12:13], s[28:29]
	s_xor_b64 s[28:29], exec, s[12:13]
; %bb.458:                              ;   in Loop: Header=BB5_296 Depth=2
	v_bfe_u32 v40, v41, 16, 1
	v_add3_u32 v40, v41, v40, s47
                                        ; implicit-def: $vgpr41
; %bb.459:                              ;   in Loop: Header=BB5_296 Depth=2
	s_andn2_saveexec_b64 s[94:95], s[28:29]
; %bb.460:                              ;   in Loop: Header=BB5_296 Depth=2
	v_or_b32_e32 v40, 0x10000, v41
	v_cmp_eq_u32_sdwa s[28:29], v41, v3 src0_sel:WORD_0 src1_sel:DWORD
	s_nop 1
	v_cndmask_b32_e64 v40, v40, v41, s[28:29]
; %bb.461:                              ;   in Loop: Header=BB5_296 Depth=2
	s_or_b64 exec, exec, s[94:95]
	v_and_b32_e32 v8, 0xffff0000, v8
	v_and_b32_e32 v12, 0xffff0000, v12
	v_max_f32_e32 v12, v12, v12
	v_max_f32_e32 v8, v8, v8
	v_min_f32_e32 v41, v8, v12
	v_max_f32_e32 v8, v8, v12
	v_cndmask_b32_e32 v12, v8, v41, vcc
	v_and_b32_e32 v8, 0x7f800000, v12
	v_cmp_ne_u32_e64 s[28:29], s46, v8
                                        ; implicit-def: $vgpr8
	s_and_saveexec_b64 s[12:13], s[28:29]
	s_xor_b64 s[28:29], exec, s[12:13]
; %bb.462:                              ;   in Loop: Header=BB5_296 Depth=2
	v_bfe_u32 v8, v12, 16, 1
	v_add3_u32 v8, v12, v8, s47
                                        ; implicit-def: $vgpr12
; %bb.463:                              ;   in Loop: Header=BB5_296 Depth=2
	s_andn2_saveexec_b64 s[94:95], s[28:29]
; %bb.464:                              ;   in Loop: Header=BB5_296 Depth=2
	v_or_b32_e32 v8, 0x10000, v12
	v_cmp_eq_u32_sdwa s[28:29], v12, v3 src0_sel:WORD_0 src1_sel:DWORD
	s_nop 1
	v_cndmask_b32_e64 v8, v8, v12, s[28:29]
; %bb.465:                              ;   in Loop: Header=BB5_296 Depth=2
	s_or_b64 exec, exec, s[94:95]
	v_lshlrev_b32_e32 v12, 16, v9
	v_lshlrev_b32_e32 v41, 16, v13
	v_max_f32_e32 v41, v41, v41
	v_max_f32_e32 v12, v12, v12
	v_min_f32_e32 v42, v12, v41
	v_max_f32_e32 v12, v12, v41
	v_cndmask_b32_e32 v41, v12, v42, vcc
	v_and_b32_e32 v12, 0x7f800000, v41
	v_cmp_ne_u32_e64 s[28:29], s46, v12
                                        ; implicit-def: $vgpr12
	s_and_saveexec_b64 s[12:13], s[28:29]
	s_xor_b64 s[28:29], exec, s[12:13]
; %bb.466:                              ;   in Loop: Header=BB5_296 Depth=2
	v_bfe_u32 v12, v41, 16, 1
	v_add3_u32 v12, v41, v12, s47
                                        ; implicit-def: $vgpr41
; %bb.467:                              ;   in Loop: Header=BB5_296 Depth=2
	s_andn2_saveexec_b64 s[94:95], s[28:29]
; %bb.468:                              ;   in Loop: Header=BB5_296 Depth=2
	v_or_b32_e32 v12, 0x10000, v41
	v_cmp_eq_u32_sdwa s[28:29], v41, v3 src0_sel:WORD_0 src1_sel:DWORD
	s_nop 1
	v_cndmask_b32_e64 v12, v12, v41, s[28:29]
; %bb.469:                              ;   in Loop: Header=BB5_296 Depth=2
	s_or_b64 exec, exec, s[94:95]
	v_and_b32_e32 v9, 0xffff0000, v9
	v_and_b32_e32 v13, 0xffff0000, v13
	v_max_f32_e32 v13, v13, v13
	v_max_f32_e32 v9, v9, v9
	v_min_f32_e32 v41, v9, v13
	v_max_f32_e32 v9, v9, v13
	v_cndmask_b32_e32 v13, v9, v41, vcc
	v_and_b32_e32 v9, 0x7f800000, v13
	v_cmp_ne_u32_e64 s[28:29], s46, v9
                                        ; implicit-def: $vgpr9
	s_and_saveexec_b64 s[12:13], s[28:29]
	s_xor_b64 s[28:29], exec, s[12:13]
; %bb.470:                              ;   in Loop: Header=BB5_296 Depth=2
	v_bfe_u32 v9, v13, 16, 1
	v_add3_u32 v9, v13, v9, s47
                                        ; implicit-def: $vgpr13
; %bb.471:                              ;   in Loop: Header=BB5_296 Depth=2
	s_andn2_saveexec_b64 s[94:95], s[28:29]
; %bb.472:                              ;   in Loop: Header=BB5_296 Depth=2
	v_or_b32_e32 v9, 0x10000, v13
	v_cmp_eq_u32_sdwa s[28:29], v13, v3 src0_sel:WORD_0 src1_sel:DWORD
	s_nop 1
	v_cndmask_b32_e64 v9, v9, v13, s[28:29]
; %bb.473:                              ;   in Loop: Header=BB5_296 Depth=2
	s_or_b64 exec, exec, s[94:95]
	v_lshlrev_b32_e32 v13, 16, v10
	v_lshlrev_b32_e32 v41, 16, v14
	v_max_f32_e32 v41, v41, v41
	v_max_f32_e32 v13, v13, v13
	v_min_f32_e32 v42, v13, v41
	v_max_f32_e32 v13, v13, v41
	v_cndmask_b32_e32 v41, v13, v42, vcc
	v_and_b32_e32 v13, 0x7f800000, v41
	v_cmp_ne_u32_e64 s[28:29], s46, v13
                                        ; implicit-def: $vgpr13
	s_and_saveexec_b64 s[12:13], s[28:29]
	s_xor_b64 s[28:29], exec, s[12:13]
; %bb.474:                              ;   in Loop: Header=BB5_296 Depth=2
	v_bfe_u32 v13, v41, 16, 1
	v_add3_u32 v13, v41, v13, s47
                                        ; implicit-def: $vgpr41
; %bb.475:                              ;   in Loop: Header=BB5_296 Depth=2
	s_andn2_saveexec_b64 s[94:95], s[28:29]
; %bb.476:                              ;   in Loop: Header=BB5_296 Depth=2
	v_or_b32_e32 v13, 0x10000, v41
	v_cmp_eq_u32_sdwa s[28:29], v41, v3 src0_sel:WORD_0 src1_sel:DWORD
	s_nop 1
	v_cndmask_b32_e64 v13, v13, v41, s[28:29]
; %bb.477:                              ;   in Loop: Header=BB5_296 Depth=2
	s_or_b64 exec, exec, s[94:95]
	v_and_b32_e32 v10, 0xffff0000, v10
	v_and_b32_e32 v14, 0xffff0000, v14
	v_max_f32_e32 v14, v14, v14
	v_max_f32_e32 v10, v10, v10
	v_min_f32_e32 v41, v10, v14
	v_max_f32_e32 v10, v10, v14
	v_cndmask_b32_e32 v14, v10, v41, vcc
	v_and_b32_e32 v10, 0x7f800000, v14
	v_cmp_ne_u32_e64 s[28:29], s46, v10
                                        ; implicit-def: $vgpr10
	s_and_saveexec_b64 s[12:13], s[28:29]
	s_xor_b64 s[28:29], exec, s[12:13]
; %bb.478:                              ;   in Loop: Header=BB5_296 Depth=2
	v_bfe_u32 v10, v14, 16, 1
	v_add3_u32 v10, v14, v10, s47
                                        ; implicit-def: $vgpr14
; %bb.479:                              ;   in Loop: Header=BB5_296 Depth=2
	s_andn2_saveexec_b64 s[94:95], s[28:29]
; %bb.480:                              ;   in Loop: Header=BB5_296 Depth=2
	v_or_b32_e32 v10, 0x10000, v14
	v_cmp_eq_u32_sdwa s[28:29], v14, v3 src0_sel:WORD_0 src1_sel:DWORD
	s_nop 1
	v_cndmask_b32_e64 v10, v10, v14, s[28:29]
; %bb.481:                              ;   in Loop: Header=BB5_296 Depth=2
	s_or_b64 exec, exec, s[94:95]
	v_lshlrev_b32_e32 v14, 16, v11
	v_lshlrev_b32_e32 v41, 16, v15
	v_max_f32_e32 v41, v41, v41
	v_max_f32_e32 v14, v14, v14
	v_min_f32_e32 v42, v14, v41
	v_max_f32_e32 v14, v14, v41
	v_cndmask_b32_e32 v41, v14, v42, vcc
	v_and_b32_e32 v14, 0x7f800000, v41
	v_cmp_ne_u32_e64 s[28:29], s46, v14
                                        ; implicit-def: $vgpr14
	s_and_saveexec_b64 s[12:13], s[28:29]
	s_xor_b64 s[28:29], exec, s[12:13]
; %bb.482:                              ;   in Loop: Header=BB5_296 Depth=2
	v_bfe_u32 v14, v41, 16, 1
	v_add3_u32 v14, v41, v14, s47
                                        ; implicit-def: $vgpr41
; %bb.483:                              ;   in Loop: Header=BB5_296 Depth=2
	s_andn2_saveexec_b64 s[94:95], s[28:29]
; %bb.484:                              ;   in Loop: Header=BB5_296 Depth=2
	v_or_b32_e32 v14, 0x10000, v41
	v_cmp_eq_u32_sdwa s[28:29], v41, v3 src0_sel:WORD_0 src1_sel:DWORD
	s_nop 1
	v_cndmask_b32_e64 v14, v14, v41, s[28:29]
; %bb.485:                              ;   in Loop: Header=BB5_296 Depth=2
	s_or_b64 exec, exec, s[94:95]
	v_and_b32_e32 v11, 0xffff0000, v11
	v_and_b32_e32 v15, 0xffff0000, v15
	v_max_f32_e32 v15, v15, v15
	v_max_f32_e32 v11, v11, v11
	v_min_f32_e32 v41, v11, v15
	v_max_f32_e32 v11, v11, v15
	v_cndmask_b32_e32 v15, v11, v41, vcc
	v_and_b32_e32 v11, 0x7f800000, v15
	v_cmp_ne_u32_e32 vcc, s46, v11
                                        ; implicit-def: $vgpr11
	s_and_saveexec_b64 s[12:13], vcc
	s_xor_b64 s[28:29], exec, s[12:13]
; %bb.486:                              ;   in Loop: Header=BB5_296 Depth=2
	v_bfe_u32 v11, v15, 16, 1
	v_add3_u32 v11, v15, v11, s47
                                        ; implicit-def: $vgpr15
; %bb.487:                              ;   in Loop: Header=BB5_296 Depth=2
	s_andn2_saveexec_b64 s[28:29], s[28:29]
; %bb.488:                              ;   in Loop: Header=BB5_296 Depth=2
	v_or_b32_e32 v11, 0x10000, v15
	v_cmp_eq_u32_sdwa vcc, v15, v3 src0_sel:WORD_0 src1_sel:DWORD
	s_nop 1
	v_cndmask_b32_e32 v11, v11, v15, vcc
; %bb.489:                              ;   in Loop: Header=BB5_296 Depth=2
	s_or_b64 exec, exec, s[28:29]
	v_lshrrev_b32_e32 v12, 16, v12
	v_and_or_b32 v9, v9, s44, v12
	v_lshrrev_b32_e32 v12, 16, v40
	v_and_or_b32 v8, v8, s44, v12
	;; [unrolled: 2-line block ×4, first 2 shown]
	global_store_dwordx4 v[118:119], v[8:11], off
.LBB5_490:                              ;   in Loop: Header=BB5_296 Depth=2
	s_or_b64 exec, exec, s[40:41]
	s_nop 0
	v_and_b32_e32 v9, 14, v17
	v_cndmask_b32_e64 v42, v46, v9, s[26:27]
	v_cmp_ne_u32_e32 vcc, 0, v42
                                        ; implicit-def: $vgpr17
                                        ; implicit-def: $vgpr14
                                        ; implicit-def: $vgpr8
                                        ; implicit-def: $vgpr15
	s_and_saveexec_b64 s[94:95], vcc
	s_cbranch_execz .LBB5_605
; %bb.491:                              ;   in Loop: Header=BB5_296 Depth=2
	v_sub_u32_e32 v8, v46, v9
	v_cndmask_b32_e64 v8, 0, v8, s[26:27]
	v_cmp_lt_i32_e32 vcc, 0, v47
	v_add_u32_e32 v43, v8, v45
	s_mov_b64 s[28:29], 0
	v_cndmask_b32_e32 v8, 0, v52, vcc
	v_sub_u32_e32 v8, v8, v47
	v_lshl_or_b32 v8, v8, 6, v59
	v_ashrrev_i32_e32 v9, 31, v8
	v_lshrrev_b32_e32 v9, 26, v9
	v_add_u32_e32 v9, v8, v9
	v_ashrrev_i32_e32 v10, 6, v9
	v_and_b32_e32 v9, 0xffffffc0, v9
	v_sub_u32_e32 v45, v8, v9
	v_lshlrev_b32_e32 v8, 4, v45
	v_lshl_add_u32 v9, v10, 10, v8
	v_add_u32_e32 v8, v9, v43
	v_sub_u32_e32 v17, v42, v9
	v_ashrrev_i32_e32 v9, 31, v42
	v_lshrrev_b32_e32 v9, 22, v9
	v_add_u32_e32 v9, v42, v9
	v_and_b32_e32 v46, 0xfffffc00, v9
	v_sub_u32_e32 v47, v42, v46
	v_ashrrev_i32_e32 v11, 10, v9
	v_cmp_lt_i32_e64 s[26:27], 15, v47
	v_ashrrev_i32_e32 v9, 31, v8
	v_lshl_add_u64 v[118:119], v[8:9], 0, v[20:21]
	v_addc_co_u32_e64 v11, vcc, 0, v11, s[26:27]
	v_sub_u32_e32 v56, v11, v10
	v_cmp_lt_i32_e32 vcc, 15, v17
	s_and_saveexec_b64 s[30:31], vcc
	s_cbranch_execz .LBB5_568
; %bb.492:                              ;   in Loop: Header=BB5_296 Depth=2
	s_and_b32 s12, 0xffff, s52
	s_cmp_eq_u32 s12, 0
	v_lshl_add_u64 v[40:41], v[8:9], 0, v[18:19]
	s_waitcnt lgkmcnt(0)
	v_lshl_add_u64 v[22:23], v[8:9], 0, v[22:23]
	s_mov_b64 s[38:39], 0
	s_mov_b64 s[34:35], 0
	s_cselect_b64 s[28:29], -1, 0
                                        ; implicit-def: $sgpr36_sgpr37
	s_branch .LBB5_494
.LBB5_493:                              ;   in Loop: Header=BB5_494 Depth=3
	s_or_b64 exec, exec, s[40:41]
	v_cmp_gt_i32_e32 vcc, 16, v17
	s_or_b64 s[34:35], vcc, s[34:35]
	s_andn2_b64 s[12:13], s[36:37], exec
	s_and_b64 s[40:41], s[38:39], exec
	s_or_b64 s[36:37], s[12:13], s[40:41]
	s_andn2_b64 exec, exec, s[34:35]
	s_cbranch_execz .LBB5_567
.LBB5_494:                              ;   Parent Loop BB5_47 Depth=1
                                        ;     Parent Loop BB5_296 Depth=2
                                        ; =>    This Loop Header: Depth=3
                                        ;         Child Loop BB5_495 Depth 4
                                        ;         Child Loop BB5_532 Depth 4
	s_add_i32 s13, s33, 0xa0
	s_mov_b32 s12, s13
	s_mov_b64 s[48:49], -1
	s_mov_b64 s[40:41], 0
.LBB5_495:                              ;   Parent Loop BB5_47 Depth=1
                                        ;     Parent Loop BB5_296 Depth=2
                                        ;       Parent Loop BB5_494 Depth=3
                                        ; =>      This Inner Loop Header: Depth=4
	s_cmp_eq_u32 s40, 1
	s_cselect_b64 vcc, -1, 0
	v_cndmask_b32_e32 v13, v41, v23, vcc
	v_cndmask_b32_e32 v12, v40, v22, vcc
	global_load_dwordx4 v[8:11], v[12:13], off nt
	s_cmp_eq_u32 s40, 0
	s_cselect_b64 s[40:41], -1, 0
	s_waitcnt vmcnt(0)
	scratch_store_dwordx4 off, v[8:11], s12
	s_nop 1
	v_lshl_add_u64 v[8:9], v[12:13], 0, s[60:61]
	v_cndmask_b32_e64 v41, v41, v9, s[40:41]
	v_cndmask_b32_e64 v40, v40, v8, s[40:41]
	v_cndmask_b32_e32 v23, v23, v9, vcc
	v_cndmask_b32_e32 v22, v22, v8, vcc
	s_mov_b64 s[40:41], 1
	s_and_b64 vcc, exec, s[48:49]
	s_mov_b64 s[48:49], 0
	s_mov_b32 s12, s71
	s_cbranch_vccnz .LBB5_495
; %bb.496:                              ;   in Loop: Header=BB5_494 Depth=3
	s_and_saveexec_b64 s[40:41], s[38:39]
	s_cbranch_execz .LBB5_530
; %bb.497:                              ;   in Loop: Header=BB5_494 Depth=3
	scratch_load_dwordx4 v[8:11], off, s33 offset:192
	scratch_load_dwordx4 v[12:15], off, s33 offset:208
	s_waitcnt vmcnt(1)
	v_lshlrev_b32_e32 v57, 16, v8
	s_waitcnt vmcnt(0)
	v_lshlrev_b32_e32 v78, 16, v12
	v_max_f32_e32 v78, v78, v78
	v_max_f32_e32 v57, v57, v57
	v_min_f32_e32 v79, v57, v78
	v_max_f32_e32 v57, v57, v78
	v_cndmask_b32_e64 v78, v57, v79, s[28:29]
	v_and_b32_e32 v57, 0x7f800000, v78
	v_cmp_ne_u32_e32 vcc, s46, v57
                                        ; implicit-def: $vgpr57
	s_and_saveexec_b64 s[12:13], vcc
	s_xor_b64 vcc, exec, s[12:13]
; %bb.498:                              ;   in Loop: Header=BB5_494 Depth=3
	v_bfe_u32 v57, v78, 16, 1
	v_add3_u32 v57, v78, v57, s47
                                        ; implicit-def: $vgpr78
; %bb.499:                              ;   in Loop: Header=BB5_494 Depth=3
	s_andn2_saveexec_b64 s[38:39], vcc
; %bb.500:                              ;   in Loop: Header=BB5_494 Depth=3
	v_or_b32_e32 v57, 0x10000, v78
	v_cmp_eq_u32_sdwa vcc, v78, v3 src0_sel:WORD_0 src1_sel:DWORD
	s_nop 1
	v_cndmask_b32_e32 v57, v57, v78, vcc
; %bb.501:                              ;   in Loop: Header=BB5_494 Depth=3
	s_or_b64 exec, exec, s[38:39]
	v_and_b32_e32 v8, 0xffff0000, v8
	v_and_b32_e32 v12, 0xffff0000, v12
	v_max_f32_e32 v12, v12, v12
	v_max_f32_e32 v8, v8, v8
	v_min_f32_e32 v78, v8, v12
	v_max_f32_e32 v8, v8, v12
	v_cndmask_b32_e64 v12, v8, v78, s[28:29]
	v_and_b32_e32 v8, 0x7f800000, v12
	v_cmp_ne_u32_e32 vcc, s46, v8
                                        ; implicit-def: $vgpr8
	s_and_saveexec_b64 s[12:13], vcc
	s_xor_b64 vcc, exec, s[12:13]
; %bb.502:                              ;   in Loop: Header=BB5_494 Depth=3
	v_bfe_u32 v8, v12, 16, 1
	v_add3_u32 v8, v12, v8, s47
                                        ; implicit-def: $vgpr12
; %bb.503:                              ;   in Loop: Header=BB5_494 Depth=3
	s_andn2_saveexec_b64 s[38:39], vcc
; %bb.504:                              ;   in Loop: Header=BB5_494 Depth=3
	v_or_b32_e32 v8, 0x10000, v12
	v_cmp_eq_u32_sdwa vcc, v12, v3 src0_sel:WORD_0 src1_sel:DWORD
	s_nop 1
	v_cndmask_b32_e32 v8, v8, v12, vcc
; %bb.505:                              ;   in Loop: Header=BB5_494 Depth=3
	s_or_b64 exec, exec, s[38:39]
	v_lshlrev_b32_e32 v12, 16, v9
	v_lshlrev_b32_e32 v78, 16, v13
	v_max_f32_e32 v78, v78, v78
	v_max_f32_e32 v12, v12, v12
	v_min_f32_e32 v79, v12, v78
	v_max_f32_e32 v12, v12, v78
	v_cndmask_b32_e64 v78, v12, v79, s[28:29]
	v_and_b32_e32 v12, 0x7f800000, v78
	v_cmp_ne_u32_e32 vcc, s46, v12
                                        ; implicit-def: $vgpr12
	s_and_saveexec_b64 s[12:13], vcc
	s_xor_b64 vcc, exec, s[12:13]
; %bb.506:                              ;   in Loop: Header=BB5_494 Depth=3
	v_bfe_u32 v12, v78, 16, 1
	v_add3_u32 v12, v78, v12, s47
                                        ; implicit-def: $vgpr78
; %bb.507:                              ;   in Loop: Header=BB5_494 Depth=3
	s_andn2_saveexec_b64 s[38:39], vcc
; %bb.508:                              ;   in Loop: Header=BB5_494 Depth=3
	v_or_b32_e32 v12, 0x10000, v78
	v_cmp_eq_u32_sdwa vcc, v78, v3 src0_sel:WORD_0 src1_sel:DWORD
	s_nop 1
	v_cndmask_b32_e32 v12, v12, v78, vcc
; %bb.509:                              ;   in Loop: Header=BB5_494 Depth=3
	s_or_b64 exec, exec, s[38:39]
	v_and_b32_e32 v9, 0xffff0000, v9
	v_and_b32_e32 v13, 0xffff0000, v13
	v_max_f32_e32 v13, v13, v13
	v_max_f32_e32 v9, v9, v9
	v_min_f32_e32 v78, v9, v13
	v_max_f32_e32 v9, v9, v13
	v_cndmask_b32_e64 v13, v9, v78, s[28:29]
	v_and_b32_e32 v9, 0x7f800000, v13
	v_cmp_ne_u32_e32 vcc, s46, v9
                                        ; implicit-def: $vgpr9
	s_and_saveexec_b64 s[12:13], vcc
	s_xor_b64 vcc, exec, s[12:13]
; %bb.510:                              ;   in Loop: Header=BB5_494 Depth=3
	v_bfe_u32 v9, v13, 16, 1
	v_add3_u32 v9, v13, v9, s47
                                        ; implicit-def: $vgpr13
; %bb.511:                              ;   in Loop: Header=BB5_494 Depth=3
	s_andn2_saveexec_b64 s[38:39], vcc
; %bb.512:                              ;   in Loop: Header=BB5_494 Depth=3
	v_or_b32_e32 v9, 0x10000, v13
	v_cmp_eq_u32_sdwa vcc, v13, v3 src0_sel:WORD_0 src1_sel:DWORD
	s_nop 1
	v_cndmask_b32_e32 v9, v9, v13, vcc
; %bb.513:                              ;   in Loop: Header=BB5_494 Depth=3
	s_or_b64 exec, exec, s[38:39]
	v_lshlrev_b32_e32 v13, 16, v10
	v_lshlrev_b32_e32 v78, 16, v14
	v_max_f32_e32 v78, v78, v78
	v_max_f32_e32 v13, v13, v13
	v_min_f32_e32 v79, v13, v78
	v_max_f32_e32 v13, v13, v78
	v_cndmask_b32_e64 v78, v13, v79, s[28:29]
	v_and_b32_e32 v13, 0x7f800000, v78
	v_cmp_ne_u32_e32 vcc, s46, v13
                                        ; implicit-def: $vgpr13
	s_and_saveexec_b64 s[12:13], vcc
	s_xor_b64 vcc, exec, s[12:13]
; %bb.514:                              ;   in Loop: Header=BB5_494 Depth=3
	v_bfe_u32 v13, v78, 16, 1
	v_add3_u32 v13, v78, v13, s47
                                        ; implicit-def: $vgpr78
; %bb.515:                              ;   in Loop: Header=BB5_494 Depth=3
	s_andn2_saveexec_b64 s[38:39], vcc
; %bb.516:                              ;   in Loop: Header=BB5_494 Depth=3
	v_or_b32_e32 v13, 0x10000, v78
	v_cmp_eq_u32_sdwa vcc, v78, v3 src0_sel:WORD_0 src1_sel:DWORD
	s_nop 1
	v_cndmask_b32_e32 v13, v13, v78, vcc
; %bb.517:                              ;   in Loop: Header=BB5_494 Depth=3
	s_or_b64 exec, exec, s[38:39]
	v_and_b32_e32 v10, 0xffff0000, v10
	v_and_b32_e32 v14, 0xffff0000, v14
	v_max_f32_e32 v14, v14, v14
	v_max_f32_e32 v10, v10, v10
	v_min_f32_e32 v78, v10, v14
	v_max_f32_e32 v10, v10, v14
	v_cndmask_b32_e64 v14, v10, v78, s[28:29]
	v_and_b32_e32 v10, 0x7f800000, v14
	v_cmp_ne_u32_e32 vcc, s46, v10
                                        ; implicit-def: $vgpr10
	s_and_saveexec_b64 s[12:13], vcc
	s_xor_b64 vcc, exec, s[12:13]
; %bb.518:                              ;   in Loop: Header=BB5_494 Depth=3
	v_bfe_u32 v10, v14, 16, 1
	v_add3_u32 v10, v14, v10, s47
                                        ; implicit-def: $vgpr14
; %bb.519:                              ;   in Loop: Header=BB5_494 Depth=3
	s_andn2_saveexec_b64 s[38:39], vcc
; %bb.520:                              ;   in Loop: Header=BB5_494 Depth=3
	v_or_b32_e32 v10, 0x10000, v14
	v_cmp_eq_u32_sdwa vcc, v14, v3 src0_sel:WORD_0 src1_sel:DWORD
	s_nop 1
	v_cndmask_b32_e32 v10, v10, v14, vcc
; %bb.521:                              ;   in Loop: Header=BB5_494 Depth=3
	s_or_b64 exec, exec, s[38:39]
	v_lshlrev_b32_e32 v14, 16, v11
	v_lshlrev_b32_e32 v78, 16, v15
	v_max_f32_e32 v78, v78, v78
	v_max_f32_e32 v14, v14, v14
	v_min_f32_e32 v79, v14, v78
	v_max_f32_e32 v14, v14, v78
	v_cndmask_b32_e64 v78, v14, v79, s[28:29]
	v_and_b32_e32 v14, 0x7f800000, v78
	v_cmp_ne_u32_e32 vcc, s46, v14
                                        ; implicit-def: $vgpr14
	s_and_saveexec_b64 s[12:13], vcc
	s_xor_b64 vcc, exec, s[12:13]
; %bb.522:                              ;   in Loop: Header=BB5_494 Depth=3
	v_bfe_u32 v14, v78, 16, 1
	v_add3_u32 v14, v78, v14, s47
                                        ; implicit-def: $vgpr78
; %bb.523:                              ;   in Loop: Header=BB5_494 Depth=3
	s_andn2_saveexec_b64 s[38:39], vcc
; %bb.524:                              ;   in Loop: Header=BB5_494 Depth=3
	v_or_b32_e32 v14, 0x10000, v78
	v_cmp_eq_u32_sdwa vcc, v78, v3 src0_sel:WORD_0 src1_sel:DWORD
	s_nop 1
	v_cndmask_b32_e32 v14, v14, v78, vcc
; %bb.525:                              ;   in Loop: Header=BB5_494 Depth=3
	s_or_b64 exec, exec, s[38:39]
	v_and_b32_e32 v11, 0xffff0000, v11
	v_and_b32_e32 v15, 0xffff0000, v15
	v_max_f32_e32 v15, v15, v15
	v_max_f32_e32 v11, v11, v11
	v_min_f32_e32 v78, v11, v15
	v_max_f32_e32 v11, v11, v15
	v_cndmask_b32_e64 v15, v11, v78, s[28:29]
	v_and_b32_e32 v11, 0x7f800000, v15
	v_cmp_ne_u32_e32 vcc, s46, v11
                                        ; implicit-def: $vgpr11
	s_and_saveexec_b64 s[12:13], vcc
	s_xor_b64 vcc, exec, s[12:13]
; %bb.526:                              ;   in Loop: Header=BB5_494 Depth=3
	v_bfe_u32 v11, v15, 16, 1
	v_add3_u32 v11, v15, v11, s47
                                        ; implicit-def: $vgpr15
; %bb.527:                              ;   in Loop: Header=BB5_494 Depth=3
	s_andn2_saveexec_b64 s[38:39], vcc
; %bb.528:                              ;   in Loop: Header=BB5_494 Depth=3
	v_or_b32_e32 v11, 0x10000, v15
	v_cmp_eq_u32_sdwa vcc, v15, v3 src0_sel:WORD_0 src1_sel:DWORD
	s_nop 1
	v_cndmask_b32_e32 v11, v11, v15, vcc
; %bb.529:                              ;   in Loop: Header=BB5_494 Depth=3
	s_or_b64 exec, exec, s[38:39]
	v_lshrrev_b32_e32 v12, 16, v12
	v_and_or_b32 v9, v9, s44, v12
	v_lshrrev_b32_e32 v12, 16, v57
	v_and_or_b32 v8, v8, s44, v12
	;; [unrolled: 2-line block ×4, first 2 shown]
	scratch_store_dwordx4 off, v[8:11], s33 offset:192
	global_store_dwordx4 v[118:119], v[8:11], off
	v_lshl_add_u64 v[118:119], v[96:97], 0, v[118:119]
.LBB5_530:                              ;   in Loop: Header=BB5_494 Depth=3
	s_or_b64 exec, exec, s[40:41]
	v_sub_u32_e32 v17, v17, v61
	v_lshl_add_u64 v[40:41], v[40:41], 0, v[80:81]
	v_lshl_add_u64 v[22:23], v[22:23], 0, v[80:81]
	v_cmp_lt_i32_e64 s[38:39], 15, v17
	s_and_saveexec_b64 s[48:49], s[38:39]
	s_cbranch_execz .LBB5_533
; %bb.531:                              ;   in Loop: Header=BB5_494 Depth=3
	s_add_i32 s13, s33, 0xc0
	s_mov_b32 s12, s13
	s_mov_b64 s[40:41], 0
	s_mov_b64 s[50:51], -1
.LBB5_532:                              ;   Parent Loop BB5_47 Depth=1
                                        ;     Parent Loop BB5_296 Depth=2
                                        ;       Parent Loop BB5_494 Depth=3
                                        ; =>      This Inner Loop Header: Depth=4
	s_cmp_eq_u32 s40, 1
	s_cselect_b64 vcc, -1, 0
	v_cndmask_b32_e32 v13, v41, v23, vcc
	v_cndmask_b32_e32 v12, v40, v22, vcc
	global_load_dwordx4 v[8:11], v[12:13], off nt
	s_cmp_eq_u32 s40, 0
	s_cselect_b64 s[40:41], -1, 0
	s_waitcnt vmcnt(0)
	scratch_store_dwordx4 off, v[8:11], s12
	s_nop 1
	v_lshl_add_u64 v[8:9], v[12:13], 0, s[60:61]
	v_cndmask_b32_e64 v41, v41, v9, s[40:41]
	v_cndmask_b32_e64 v40, v40, v8, s[40:41]
	v_cndmask_b32_e32 v23, v23, v9, vcc
	v_cndmask_b32_e32 v22, v22, v8, vcc
	s_mov_b64 s[40:41], 1
	s_and_b64 vcc, exec, s[50:51]
	s_mov_b64 s[50:51], 0
	s_mov_b32 s12, s70
	s_cbranch_vccnz .LBB5_532
.LBB5_533:                              ;   in Loop: Header=BB5_494 Depth=3
	s_or_b64 exec, exec, s[48:49]
	scratch_load_dwordx4 v[8:11], off, s33 offset:160
	scratch_load_dwordx4 v[12:15], off, s33 offset:176
	s_waitcnt vmcnt(1)
	v_lshlrev_b32_e32 v57, 16, v8
	s_waitcnt vmcnt(0)
	v_lshlrev_b32_e32 v78, 16, v12
	v_max_f32_e32 v78, v78, v78
	v_max_f32_e32 v57, v57, v57
	v_min_f32_e32 v79, v57, v78
	v_max_f32_e32 v57, v57, v78
	v_cndmask_b32_e64 v78, v57, v79, s[28:29]
	v_and_b32_e32 v57, 0x7f800000, v78
	v_cmp_ne_u32_e32 vcc, s46, v57
                                        ; implicit-def: $vgpr57
	s_and_saveexec_b64 s[12:13], vcc
	s_xor_b64 s[40:41], exec, s[12:13]
; %bb.534:                              ;   in Loop: Header=BB5_494 Depth=3
	v_bfe_u32 v57, v78, 16, 1
	v_add3_u32 v57, v78, v57, s47
                                        ; implicit-def: $vgpr78
; %bb.535:                              ;   in Loop: Header=BB5_494 Depth=3
	s_andn2_saveexec_b64 s[40:41], s[40:41]
; %bb.536:                              ;   in Loop: Header=BB5_494 Depth=3
	v_or_b32_e32 v57, 0x10000, v78
	v_cmp_eq_u32_sdwa vcc, v78, v3 src0_sel:WORD_0 src1_sel:DWORD
	s_nop 1
	v_cndmask_b32_e32 v57, v57, v78, vcc
; %bb.537:                              ;   in Loop: Header=BB5_494 Depth=3
	s_or_b64 exec, exec, s[40:41]
	v_and_b32_e32 v8, 0xffff0000, v8
	v_and_b32_e32 v12, 0xffff0000, v12
	v_max_f32_e32 v12, v12, v12
	v_max_f32_e32 v8, v8, v8
	v_min_f32_e32 v78, v8, v12
	v_max_f32_e32 v8, v8, v12
	v_cndmask_b32_e64 v12, v8, v78, s[28:29]
	v_and_b32_e32 v8, 0x7f800000, v12
	v_cmp_ne_u32_e32 vcc, s46, v8
                                        ; implicit-def: $vgpr8
	s_and_saveexec_b64 s[12:13], vcc
	s_xor_b64 s[40:41], exec, s[12:13]
; %bb.538:                              ;   in Loop: Header=BB5_494 Depth=3
	v_bfe_u32 v8, v12, 16, 1
	v_add3_u32 v8, v12, v8, s47
                                        ; implicit-def: $vgpr12
; %bb.539:                              ;   in Loop: Header=BB5_494 Depth=3
	s_andn2_saveexec_b64 s[40:41], s[40:41]
; %bb.540:                              ;   in Loop: Header=BB5_494 Depth=3
	v_or_b32_e32 v8, 0x10000, v12
	v_cmp_eq_u32_sdwa vcc, v12, v3 src0_sel:WORD_0 src1_sel:DWORD
	s_nop 1
	v_cndmask_b32_e32 v8, v8, v12, vcc
; %bb.541:                              ;   in Loop: Header=BB5_494 Depth=3
	s_or_b64 exec, exec, s[40:41]
	v_lshlrev_b32_e32 v12, 16, v9
	v_lshlrev_b32_e32 v78, 16, v13
	v_max_f32_e32 v78, v78, v78
	v_max_f32_e32 v12, v12, v12
	v_min_f32_e32 v79, v12, v78
	v_max_f32_e32 v12, v12, v78
	v_cndmask_b32_e64 v78, v12, v79, s[28:29]
	v_and_b32_e32 v12, 0x7f800000, v78
	v_cmp_ne_u32_e32 vcc, s46, v12
                                        ; implicit-def: $vgpr12
	s_and_saveexec_b64 s[12:13], vcc
	s_xor_b64 s[40:41], exec, s[12:13]
; %bb.542:                              ;   in Loop: Header=BB5_494 Depth=3
	v_bfe_u32 v12, v78, 16, 1
	v_add3_u32 v12, v78, v12, s47
                                        ; implicit-def: $vgpr78
; %bb.543:                              ;   in Loop: Header=BB5_494 Depth=3
	s_andn2_saveexec_b64 s[40:41], s[40:41]
; %bb.544:                              ;   in Loop: Header=BB5_494 Depth=3
	v_or_b32_e32 v12, 0x10000, v78
	v_cmp_eq_u32_sdwa vcc, v78, v3 src0_sel:WORD_0 src1_sel:DWORD
	s_nop 1
	v_cndmask_b32_e32 v12, v12, v78, vcc
; %bb.545:                              ;   in Loop: Header=BB5_494 Depth=3
	s_or_b64 exec, exec, s[40:41]
	v_and_b32_e32 v9, 0xffff0000, v9
	v_and_b32_e32 v13, 0xffff0000, v13
	v_max_f32_e32 v13, v13, v13
	v_max_f32_e32 v9, v9, v9
	v_min_f32_e32 v78, v9, v13
	v_max_f32_e32 v9, v9, v13
	v_cndmask_b32_e64 v13, v9, v78, s[28:29]
	v_and_b32_e32 v9, 0x7f800000, v13
	v_cmp_ne_u32_e32 vcc, s46, v9
                                        ; implicit-def: $vgpr9
	s_and_saveexec_b64 s[12:13], vcc
	s_xor_b64 s[40:41], exec, s[12:13]
; %bb.546:                              ;   in Loop: Header=BB5_494 Depth=3
	v_bfe_u32 v9, v13, 16, 1
	v_add3_u32 v9, v13, v9, s47
                                        ; implicit-def: $vgpr13
; %bb.547:                              ;   in Loop: Header=BB5_494 Depth=3
	s_andn2_saveexec_b64 s[40:41], s[40:41]
; %bb.548:                              ;   in Loop: Header=BB5_494 Depth=3
	v_or_b32_e32 v9, 0x10000, v13
	v_cmp_eq_u32_sdwa vcc, v13, v3 src0_sel:WORD_0 src1_sel:DWORD
	s_nop 1
	v_cndmask_b32_e32 v9, v9, v13, vcc
; %bb.549:                              ;   in Loop: Header=BB5_494 Depth=3
	s_or_b64 exec, exec, s[40:41]
	v_lshlrev_b32_e32 v13, 16, v10
	v_lshlrev_b32_e32 v78, 16, v14
	v_max_f32_e32 v78, v78, v78
	v_max_f32_e32 v13, v13, v13
	v_min_f32_e32 v79, v13, v78
	v_max_f32_e32 v13, v13, v78
	v_cndmask_b32_e64 v78, v13, v79, s[28:29]
	v_and_b32_e32 v13, 0x7f800000, v78
	v_cmp_ne_u32_e32 vcc, s46, v13
                                        ; implicit-def: $vgpr13
	s_and_saveexec_b64 s[12:13], vcc
	s_xor_b64 s[40:41], exec, s[12:13]
; %bb.550:                              ;   in Loop: Header=BB5_494 Depth=3
	v_bfe_u32 v13, v78, 16, 1
	v_add3_u32 v13, v78, v13, s47
                                        ; implicit-def: $vgpr78
; %bb.551:                              ;   in Loop: Header=BB5_494 Depth=3
	s_andn2_saveexec_b64 s[40:41], s[40:41]
; %bb.552:                              ;   in Loop: Header=BB5_494 Depth=3
	v_or_b32_e32 v13, 0x10000, v78
	v_cmp_eq_u32_sdwa vcc, v78, v3 src0_sel:WORD_0 src1_sel:DWORD
	s_nop 1
	v_cndmask_b32_e32 v13, v13, v78, vcc
; %bb.553:                              ;   in Loop: Header=BB5_494 Depth=3
	s_or_b64 exec, exec, s[40:41]
	v_and_b32_e32 v10, 0xffff0000, v10
	v_and_b32_e32 v14, 0xffff0000, v14
	v_max_f32_e32 v14, v14, v14
	v_max_f32_e32 v10, v10, v10
	v_min_f32_e32 v78, v10, v14
	v_max_f32_e32 v10, v10, v14
	v_cndmask_b32_e64 v14, v10, v78, s[28:29]
	v_and_b32_e32 v10, 0x7f800000, v14
	v_cmp_ne_u32_e32 vcc, s46, v10
                                        ; implicit-def: $vgpr10
	s_and_saveexec_b64 s[12:13], vcc
	s_xor_b64 s[40:41], exec, s[12:13]
; %bb.554:                              ;   in Loop: Header=BB5_494 Depth=3
	v_bfe_u32 v10, v14, 16, 1
	v_add3_u32 v10, v14, v10, s47
                                        ; implicit-def: $vgpr14
; %bb.555:                              ;   in Loop: Header=BB5_494 Depth=3
	s_andn2_saveexec_b64 s[40:41], s[40:41]
; %bb.556:                              ;   in Loop: Header=BB5_494 Depth=3
	v_or_b32_e32 v10, 0x10000, v14
	v_cmp_eq_u32_sdwa vcc, v14, v3 src0_sel:WORD_0 src1_sel:DWORD
	s_nop 1
	v_cndmask_b32_e32 v10, v10, v14, vcc
; %bb.557:                              ;   in Loop: Header=BB5_494 Depth=3
	s_or_b64 exec, exec, s[40:41]
	v_lshlrev_b32_e32 v14, 16, v11
	v_lshlrev_b32_e32 v78, 16, v15
	v_max_f32_e32 v78, v78, v78
	v_max_f32_e32 v14, v14, v14
	v_min_f32_e32 v79, v14, v78
	v_max_f32_e32 v14, v14, v78
	v_cndmask_b32_e64 v78, v14, v79, s[28:29]
	v_and_b32_e32 v14, 0x7f800000, v78
	v_cmp_ne_u32_e32 vcc, s46, v14
                                        ; implicit-def: $vgpr14
	s_and_saveexec_b64 s[12:13], vcc
	s_xor_b64 s[40:41], exec, s[12:13]
; %bb.558:                              ;   in Loop: Header=BB5_494 Depth=3
	v_bfe_u32 v14, v78, 16, 1
	v_add3_u32 v14, v78, v14, s47
                                        ; implicit-def: $vgpr78
; %bb.559:                              ;   in Loop: Header=BB5_494 Depth=3
	s_andn2_saveexec_b64 s[40:41], s[40:41]
; %bb.560:                              ;   in Loop: Header=BB5_494 Depth=3
	v_or_b32_e32 v14, 0x10000, v78
	v_cmp_eq_u32_sdwa vcc, v78, v3 src0_sel:WORD_0 src1_sel:DWORD
	s_nop 1
	v_cndmask_b32_e32 v14, v14, v78, vcc
; %bb.561:                              ;   in Loop: Header=BB5_494 Depth=3
	s_or_b64 exec, exec, s[40:41]
	v_and_b32_e32 v11, 0xffff0000, v11
	v_and_b32_e32 v15, 0xffff0000, v15
	v_max_f32_e32 v15, v15, v15
	v_max_f32_e32 v11, v11, v11
	v_min_f32_e32 v78, v11, v15
	v_max_f32_e32 v11, v11, v15
	v_cndmask_b32_e64 v15, v11, v78, s[28:29]
	v_and_b32_e32 v11, 0x7f800000, v15
	v_cmp_ne_u32_e32 vcc, s46, v11
                                        ; implicit-def: $vgpr11
	s_and_saveexec_b64 s[12:13], vcc
	s_xor_b64 s[40:41], exec, s[12:13]
; %bb.562:                              ;   in Loop: Header=BB5_494 Depth=3
	v_bfe_u32 v11, v15, 16, 1
	v_add3_u32 v11, v15, v11, s47
                                        ; implicit-def: $vgpr15
; %bb.563:                              ;   in Loop: Header=BB5_494 Depth=3
	s_andn2_saveexec_b64 s[40:41], s[40:41]
; %bb.564:                              ;   in Loop: Header=BB5_494 Depth=3
	v_or_b32_e32 v11, 0x10000, v15
	v_cmp_eq_u32_sdwa vcc, v15, v3 src0_sel:WORD_0 src1_sel:DWORD
	s_nop 1
	v_cndmask_b32_e32 v11, v11, v15, vcc
; %bb.565:                              ;   in Loop: Header=BB5_494 Depth=3
	s_or_b64 exec, exec, s[40:41]
	v_lshrrev_b32_e32 v12, 16, v12
	v_and_or_b32 v9, v9, s44, v12
	v_lshrrev_b32_e32 v12, 16, v57
	v_and_or_b32 v8, v8, s44, v12
	;; [unrolled: 2-line block ×4, first 2 shown]
	v_sub_u32_e32 v56, v56, v52
	scratch_store_dwordx4 off, v[8:11], s33 offset:160
	global_store_dwordx4 v[118:119], v[8:11], off
	v_lshl_add_u64 v[118:119], v[118:119], 0, s[60:61]
	s_and_saveexec_b64 s[40:41], s[38:39]
	s_cbranch_execz .LBB5_493
; %bb.566:                              ;   in Loop: Header=BB5_494 Depth=3
	v_lshl_add_u64 v[40:41], v[40:41], 0, v[80:81]
	v_lshl_add_u64 v[22:23], v[22:23], 0, v[80:81]
	;; [unrolled: 1-line block ×3, first 2 shown]
	v_sub_u32_e32 v17, v17, v61
	v_sub_u32_e32 v56, v56, v52
	s_branch .LBB5_493
.LBB5_567:                              ;   in Loop: Header=BB5_296 Depth=2
	s_or_b64 exec, exec, s[34:35]
	s_and_b64 s[28:29], s[36:37], exec
.LBB5_568:                              ;   in Loop: Header=BB5_296 Depth=2
	s_or_b64 exec, exec, s[30:31]
	s_and_saveexec_b64 s[40:41], s[28:29]
	s_cbranch_execz .LBB5_602
; %bb.569:                              ;   in Loop: Header=BB5_296 Depth=2
	scratch_load_dwordx4 v[8:11], off, s33 offset:192
	scratch_load_dwordx4 v[12:15], off, s33 offset:208
	s_and_b32 s12, 0xffff, s52
	s_cmp_eq_u32 s12, 0
	s_cselect_b64 vcc, -1, 0
	s_waitcnt vmcnt(0)
	v_lshlrev_b32_e32 v17, 16, v8
	s_waitcnt lgkmcnt(0)
	v_lshlrev_b32_e32 v22, 16, v12
	v_max_f32_e32 v22, v22, v22
	v_max_f32_e32 v17, v17, v17
	v_min_f32_e32 v23, v17, v22
	v_max_f32_e32 v17, v17, v22
	v_cndmask_b32_e32 v22, v17, v23, vcc
	v_and_b32_e32 v17, 0x7f800000, v22
	v_cmp_ne_u32_e64 s[28:29], s46, v17
                                        ; implicit-def: $vgpr17
	s_and_saveexec_b64 s[12:13], s[28:29]
	s_xor_b64 s[28:29], exec, s[12:13]
; %bb.570:                              ;   in Loop: Header=BB5_296 Depth=2
	v_bfe_u32 v17, v22, 16, 1
	v_add3_u32 v17, v22, v17, s47
                                        ; implicit-def: $vgpr22
; %bb.571:                              ;   in Loop: Header=BB5_296 Depth=2
	s_andn2_saveexec_b64 s[30:31], s[28:29]
; %bb.572:                              ;   in Loop: Header=BB5_296 Depth=2
	v_or_b32_e32 v17, 0x10000, v22
	v_cmp_eq_u32_sdwa s[28:29], v22, v3 src0_sel:WORD_0 src1_sel:DWORD
	s_nop 1
	v_cndmask_b32_e64 v17, v17, v22, s[28:29]
; %bb.573:                              ;   in Loop: Header=BB5_296 Depth=2
	s_or_b64 exec, exec, s[30:31]
	v_and_b32_e32 v8, 0xffff0000, v8
	v_and_b32_e32 v12, 0xffff0000, v12
	v_max_f32_e32 v12, v12, v12
	v_max_f32_e32 v8, v8, v8
	v_min_f32_e32 v22, v8, v12
	v_max_f32_e32 v8, v8, v12
	v_cndmask_b32_e32 v12, v8, v22, vcc
	v_and_b32_e32 v8, 0x7f800000, v12
	v_cmp_ne_u32_e64 s[28:29], s46, v8
                                        ; implicit-def: $vgpr8
	s_and_saveexec_b64 s[12:13], s[28:29]
	s_xor_b64 s[28:29], exec, s[12:13]
; %bb.574:                              ;   in Loop: Header=BB5_296 Depth=2
	v_bfe_u32 v8, v12, 16, 1
	v_add3_u32 v8, v12, v8, s47
                                        ; implicit-def: $vgpr12
; %bb.575:                              ;   in Loop: Header=BB5_296 Depth=2
	s_andn2_saveexec_b64 s[30:31], s[28:29]
; %bb.576:                              ;   in Loop: Header=BB5_296 Depth=2
	v_or_b32_e32 v8, 0x10000, v12
	v_cmp_eq_u32_sdwa s[28:29], v12, v3 src0_sel:WORD_0 src1_sel:DWORD
	s_nop 1
	v_cndmask_b32_e64 v8, v8, v12, s[28:29]
; %bb.577:                              ;   in Loop: Header=BB5_296 Depth=2
	s_or_b64 exec, exec, s[30:31]
	v_lshlrev_b32_e32 v12, 16, v9
	v_lshlrev_b32_e32 v22, 16, v13
	v_max_f32_e32 v22, v22, v22
	v_max_f32_e32 v12, v12, v12
	v_min_f32_e32 v23, v12, v22
	v_max_f32_e32 v12, v12, v22
	v_cndmask_b32_e32 v22, v12, v23, vcc
	v_and_b32_e32 v12, 0x7f800000, v22
	v_cmp_ne_u32_e64 s[28:29], s46, v12
                                        ; implicit-def: $vgpr12
	s_and_saveexec_b64 s[12:13], s[28:29]
	s_xor_b64 s[28:29], exec, s[12:13]
; %bb.578:                              ;   in Loop: Header=BB5_296 Depth=2
	v_bfe_u32 v12, v22, 16, 1
	v_add3_u32 v12, v22, v12, s47
                                        ; implicit-def: $vgpr22
; %bb.579:                              ;   in Loop: Header=BB5_296 Depth=2
	s_andn2_saveexec_b64 s[30:31], s[28:29]
; %bb.580:                              ;   in Loop: Header=BB5_296 Depth=2
	v_or_b32_e32 v12, 0x10000, v22
	v_cmp_eq_u32_sdwa s[28:29], v22, v3 src0_sel:WORD_0 src1_sel:DWORD
	s_nop 1
	v_cndmask_b32_e64 v12, v12, v22, s[28:29]
; %bb.581:                              ;   in Loop: Header=BB5_296 Depth=2
	s_or_b64 exec, exec, s[30:31]
	v_and_b32_e32 v9, 0xffff0000, v9
	v_and_b32_e32 v13, 0xffff0000, v13
	v_max_f32_e32 v13, v13, v13
	v_max_f32_e32 v9, v9, v9
	v_min_f32_e32 v22, v9, v13
	v_max_f32_e32 v9, v9, v13
	v_cndmask_b32_e32 v13, v9, v22, vcc
	v_and_b32_e32 v9, 0x7f800000, v13
	v_cmp_ne_u32_e64 s[28:29], s46, v9
                                        ; implicit-def: $vgpr9
	s_and_saveexec_b64 s[12:13], s[28:29]
	s_xor_b64 s[28:29], exec, s[12:13]
; %bb.582:                              ;   in Loop: Header=BB5_296 Depth=2
	v_bfe_u32 v9, v13, 16, 1
	v_add3_u32 v9, v13, v9, s47
                                        ; implicit-def: $vgpr13
; %bb.583:                              ;   in Loop: Header=BB5_296 Depth=2
	s_andn2_saveexec_b64 s[30:31], s[28:29]
; %bb.584:                              ;   in Loop: Header=BB5_296 Depth=2
	v_or_b32_e32 v9, 0x10000, v13
	v_cmp_eq_u32_sdwa s[28:29], v13, v3 src0_sel:WORD_0 src1_sel:DWORD
	s_nop 1
	v_cndmask_b32_e64 v9, v9, v13, s[28:29]
; %bb.585:                              ;   in Loop: Header=BB5_296 Depth=2
	s_or_b64 exec, exec, s[30:31]
	v_lshlrev_b32_e32 v13, 16, v10
	v_lshlrev_b32_e32 v22, 16, v14
	v_max_f32_e32 v22, v22, v22
	v_max_f32_e32 v13, v13, v13
	v_min_f32_e32 v23, v13, v22
	v_max_f32_e32 v13, v13, v22
	v_cndmask_b32_e32 v22, v13, v23, vcc
	v_and_b32_e32 v13, 0x7f800000, v22
	v_cmp_ne_u32_e64 s[28:29], s46, v13
                                        ; implicit-def: $vgpr13
	s_and_saveexec_b64 s[12:13], s[28:29]
	s_xor_b64 s[28:29], exec, s[12:13]
; %bb.586:                              ;   in Loop: Header=BB5_296 Depth=2
	v_bfe_u32 v13, v22, 16, 1
	v_add3_u32 v13, v22, v13, s47
                                        ; implicit-def: $vgpr22
; %bb.587:                              ;   in Loop: Header=BB5_296 Depth=2
	s_andn2_saveexec_b64 s[30:31], s[28:29]
; %bb.588:                              ;   in Loop: Header=BB5_296 Depth=2
	v_or_b32_e32 v13, 0x10000, v22
	v_cmp_eq_u32_sdwa s[28:29], v22, v3 src0_sel:WORD_0 src1_sel:DWORD
	s_nop 1
	v_cndmask_b32_e64 v13, v13, v22, s[28:29]
; %bb.589:                              ;   in Loop: Header=BB5_296 Depth=2
	s_or_b64 exec, exec, s[30:31]
	v_and_b32_e32 v10, 0xffff0000, v10
	v_and_b32_e32 v14, 0xffff0000, v14
	v_max_f32_e32 v14, v14, v14
	v_max_f32_e32 v10, v10, v10
	v_min_f32_e32 v22, v10, v14
	v_max_f32_e32 v10, v10, v14
	v_cndmask_b32_e32 v14, v10, v22, vcc
	v_and_b32_e32 v10, 0x7f800000, v14
	v_cmp_ne_u32_e64 s[28:29], s46, v10
                                        ; implicit-def: $vgpr10
	s_and_saveexec_b64 s[12:13], s[28:29]
	s_xor_b64 s[28:29], exec, s[12:13]
; %bb.590:                              ;   in Loop: Header=BB5_296 Depth=2
	v_bfe_u32 v10, v14, 16, 1
	v_add3_u32 v10, v14, v10, s47
                                        ; implicit-def: $vgpr14
; %bb.591:                              ;   in Loop: Header=BB5_296 Depth=2
	s_andn2_saveexec_b64 s[30:31], s[28:29]
; %bb.592:                              ;   in Loop: Header=BB5_296 Depth=2
	v_or_b32_e32 v10, 0x10000, v14
	v_cmp_eq_u32_sdwa s[28:29], v14, v3 src0_sel:WORD_0 src1_sel:DWORD
	s_nop 1
	v_cndmask_b32_e64 v10, v10, v14, s[28:29]
; %bb.593:                              ;   in Loop: Header=BB5_296 Depth=2
	s_or_b64 exec, exec, s[30:31]
	v_lshlrev_b32_e32 v14, 16, v11
	v_lshlrev_b32_e32 v22, 16, v15
	v_max_f32_e32 v22, v22, v22
	v_max_f32_e32 v14, v14, v14
	v_min_f32_e32 v23, v14, v22
	v_max_f32_e32 v14, v14, v22
	v_cndmask_b32_e32 v22, v14, v23, vcc
	v_and_b32_e32 v14, 0x7f800000, v22
	v_cmp_ne_u32_e64 s[28:29], s46, v14
                                        ; implicit-def: $vgpr14
	s_and_saveexec_b64 s[12:13], s[28:29]
	s_xor_b64 s[28:29], exec, s[12:13]
; %bb.594:                              ;   in Loop: Header=BB5_296 Depth=2
	v_bfe_u32 v14, v22, 16, 1
	v_add3_u32 v14, v22, v14, s47
                                        ; implicit-def: $vgpr22
; %bb.595:                              ;   in Loop: Header=BB5_296 Depth=2
	s_andn2_saveexec_b64 s[30:31], s[28:29]
; %bb.596:                              ;   in Loop: Header=BB5_296 Depth=2
	v_or_b32_e32 v14, 0x10000, v22
	v_cmp_eq_u32_sdwa s[28:29], v22, v3 src0_sel:WORD_0 src1_sel:DWORD
	s_nop 1
	v_cndmask_b32_e64 v14, v14, v22, s[28:29]
; %bb.597:                              ;   in Loop: Header=BB5_296 Depth=2
	s_or_b64 exec, exec, s[30:31]
	v_and_b32_e32 v11, 0xffff0000, v11
	v_and_b32_e32 v15, 0xffff0000, v15
	v_max_f32_e32 v15, v15, v15
	v_max_f32_e32 v11, v11, v11
	v_min_f32_e32 v22, v11, v15
	v_max_f32_e32 v11, v11, v15
	v_cndmask_b32_e32 v15, v11, v22, vcc
	v_and_b32_e32 v11, 0x7f800000, v15
	v_cmp_ne_u32_e32 vcc, s46, v11
                                        ; implicit-def: $vgpr11
	s_and_saveexec_b64 s[12:13], vcc
	s_xor_b64 s[28:29], exec, s[12:13]
; %bb.598:                              ;   in Loop: Header=BB5_296 Depth=2
	v_bfe_u32 v11, v15, 16, 1
	v_add3_u32 v11, v15, v11, s47
                                        ; implicit-def: $vgpr15
; %bb.599:                              ;   in Loop: Header=BB5_296 Depth=2
	s_andn2_saveexec_b64 s[28:29], s[28:29]
; %bb.600:                              ;   in Loop: Header=BB5_296 Depth=2
	v_or_b32_e32 v11, 0x10000, v15
	v_cmp_eq_u32_sdwa vcc, v15, v3 src0_sel:WORD_0 src1_sel:DWORD
	s_nop 1
	v_cndmask_b32_e32 v11, v11, v15, vcc
; %bb.601:                              ;   in Loop: Header=BB5_296 Depth=2
	s_or_b64 exec, exec, s[28:29]
	v_lshrrev_b32_e32 v12, 16, v12
	v_and_or_b32 v9, v9, s44, v12
	v_lshrrev_b32_e32 v12, 16, v17
	v_and_or_b32 v8, v8, s44, v12
	;; [unrolled: 2-line block ×4, first 2 shown]
	global_store_dwordx4 v[118:119], v[8:11], off
.LBB5_602:                              ;   in Loop: Header=BB5_296 Depth=2
	s_or_b64 exec, exec, s[40:41]
	s_nop 0
	v_and_b32_e32 v9, 14, v42
	v_cndmask_b32_e64 v17, v47, v9, s[26:27]
	v_cmp_ne_u32_e32 vcc, 0, v17
	s_mov_b64 s[40:41], s[92:93]
                                        ; implicit-def: $vgpr14
                                        ; implicit-def: $vgpr8
                                        ; implicit-def: $vgpr15
	s_and_saveexec_b64 s[28:29], vcc
	s_cbranch_execz .LBB5_604
; %bb.603:                              ;   in Loop: Header=BB5_296 Depth=2
	v_sub_u32_e32 v8, v47, v9
	v_cndmask_b32_e64 v8, 0, v8, s[26:27]
	v_cmp_lt_i32_e32 vcc, 0, v56
	v_add3_u32 v14, v46, v43, v8
	s_or_b64 s[40:41], s[92:93], exec
	v_cndmask_b32_e32 v8, 0, v52, vcc
	v_sub_u32_e32 v8, v8, v56
	v_lshl_add_u32 v8, v8, 6, v45
	v_ashrrev_i32_e32 v9, 31, v8
	v_lshrrev_b32_e32 v9, 26, v9
	v_add_u32_e32 v9, v8, v9
	v_and_b32_e32 v9, 0xffffffc0, v9
	v_sub_u32_e32 v15, v8, v9
.LBB5_604:                              ;   in Loop: Header=BB5_296 Depth=2
	s_or_b64 exec, exec, s[28:29]
	s_andn2_b64 s[12:13], s[92:93], exec
	s_and_b64 s[26:27], s[40:41], exec
	s_or_b64 s[92:93], s[12:13], s[26:27]
.LBB5_605:                              ;   in Loop: Header=BB5_296 Depth=2
	s_or_b64 exec, exec, s[94:95]
	s_and_saveexec_b64 s[94:95], s[92:93]
	s_cbranch_execz .LBB5_689
.LBB5_606:                              ;   in Loop: Header=BB5_296 Depth=2
	v_ashrrev_i32_e32 v9, 31, v8
	v_lshrrev_b32_e32 v9, 26, v9
	v_add_u32_e32 v8, v8, v9
	v_ashrrev_i32_e32 v8, 6, v8
	v_lshlrev_b32_e32 v9, 9, v8
	v_lshlrev_b32_e32 v10, 1, v15
	v_add3_u32 v12, v14, v10, v9
	v_ashrrev_i32_e32 v9, 31, v17
	v_lshrrev_b32_e32 v9, 23, v9
	v_add_u32_e32 v9, v17, v9
	s_waitcnt lgkmcnt(0)
	v_ashrrev_i32_e32 v22, 9, v9
	v_ashrrev_i32_e32 v13, 31, v12
	v_sub_u32_e32 v23, v22, v8
	v_lshl_add_u64 v[8:9], v[20:21], 0, v[12:13]
	v_cmp_lt_i32_e32 vcc, 0, v23
	v_mov_b32_e32 v56, 0
	s_mov_b64 s[26:27], 0
	v_mov_b32_e32 v45, 0
	v_mov_b32_e32 v118, 0
	;; [unrolled: 1-line block ×7, first 2 shown]
	s_and_saveexec_b64 s[28:29], vcc
	s_cbranch_execz .LBB5_646
; %bb.607:                              ;   in Loop: Header=BB5_296 Depth=2
	s_trap 2
	ds_read_b64 v[118:119], v0
	s_and_b32 s12, s52, 0xff
	s_cmp_eq_u32 s12, 0
	v_lshl_add_u64 v[10:11], v[12:13], 0, v[18:19]
	s_mov_b64 s[30:31], 0
	s_waitcnt lgkmcnt(0)
	v_lshl_add_u64 v[12:13], v[118:119], 0, v[12:13]
	s_mov_b64 s[92:93], 0
	s_cselect_b64 vcc, -1, 0
                                        ; implicit-def: $sgpr40_sgpr41
                                        ; implicit-def: $vgpr78
                                        ; implicit-def: $vgpr47
                                        ; implicit-def: $vgpr43
                                        ; implicit-def: $vgpr42
                                        ; implicit-def: $vgpr118
                                        ; implicit-def: $vgpr119
                                        ; implicit-def: $vgpr40
                                        ; implicit-def: $vgpr41
	s_branch .LBB5_609
.LBB5_608:                              ;   in Loop: Header=BB5_609 Depth=3
	s_or_b64 exec, exec, s[34:35]
	flat_store_short_d16_hi v[8:9], v89 nt
	flat_store_short_d16_hi v[8:9], v79 offset:128 nt
	flat_store_short_d16_hi v[8:9], v56 offset:256 nt
	;; [unrolled: 1-line block ×3, first 2 shown]
	v_cndmask_b32_e64 v45, 0, v52, s[30:31]
	v_sub_u32_e32 v23, v23, v45
	v_cmp_gt_i32_e64 s[26:27], 1, v23
	s_or_b64 s[92:93], s[26:27], s[92:93]
	v_lshl_add_u64 v[56:57], v[10:11], 0, v[70:71]
	v_lshl_add_u64 v[88:89], v[12:13], 0, v[70:71]
	v_cndmask_b32_e64 v91, 0, v87, s[30:31]
	v_cndmask_b32_e64 v90, v74, v86, s[30:31]
	s_andn2_b64 s[12:13], s[40:41], exec
	s_and_b64 s[26:27], s[30:31], exec
	v_lshl_add_u64 v[8:9], v[8:9], 0, v[90:91]
	v_cndmask_b32_e64 v11, v11, v57, s[30:31]
	v_cndmask_b32_e64 v10, v10, v56, s[30:31]
	;; [unrolled: 1-line block ×4, first 2 shown]
	s_or_b64 s[40:41], s[12:13], s[26:27]
	s_andn2_b64 exec, exec, s[92:93]
	s_cbranch_execz .LBB5_645
.LBB5_609:                              ;   Parent Loop BB5_47 Depth=1
                                        ;     Parent Loop BB5_296 Depth=2
                                        ; =>    This Inner Loop Header: Depth=3
	flat_load_ushort v89, v[10:11] nt
	flat_load_ushort v79, v[10:11] offset:128 nt
	flat_load_ushort v56, v[10:11] offset:256 nt
	;; [unrolled: 1-line block ×3, first 2 shown]
	flat_load_ushort v90, v[12:13] nt
	flat_load_ushort v88, v[12:13] offset:128 nt
	flat_load_ushort v57, v[12:13] offset:256 nt
	;; [unrolled: 1-line block ×3, first 2 shown]
	s_and_saveexec_b64 s[34:35], s[30:31]
	s_cbranch_execz .LBB5_627
; %bb.610:                              ;   in Loop: Header=BB5_609 Depth=3
	v_lshlrev_b32_e32 v78, 16, v78
	v_lshlrev_b32_e32 v91, 16, v118
	v_max_f32_e32 v91, v91, v91
	v_max_f32_e32 v78, v78, v78
	v_min_f32_e32 v92, v78, v91
	v_max_f32_e32 v78, v78, v91
	v_cndmask_b32_e32 v91, v78, v92, vcc
	v_and_b32_e32 v78, 0x7f800000, v91
	v_cmp_ne_u32_e64 s[26:27], s46, v78
                                        ; implicit-def: $vgpr78
	s_and_saveexec_b64 s[12:13], s[26:27]
	s_xor_b64 s[26:27], exec, s[12:13]
; %bb.611:                              ;   in Loop: Header=BB5_609 Depth=3
	v_bfe_u32 v78, v91, 16, 1
	v_add3_u32 v78, v91, v78, s47
                                        ; implicit-def: $vgpr91
; %bb.612:                              ;   in Loop: Header=BB5_609 Depth=3
	s_andn2_saveexec_b64 s[30:31], s[26:27]
; %bb.613:                              ;   in Loop: Header=BB5_609 Depth=3
	v_or_b32_e32 v78, 0x10000, v91
	v_cmp_eq_u32_sdwa s[26:27], v91, v3 src0_sel:WORD_0 src1_sel:DWORD
	s_nop 1
	v_cndmask_b32_e64 v78, v78, v91, s[26:27]
; %bb.614:                              ;   in Loop: Header=BB5_609 Depth=3
	s_or_b64 exec, exec, s[30:31]
	v_lshlrev_b32_e32 v47, 16, v47
	v_lshlrev_b32_e32 v91, 16, v119
	v_max_f32_e32 v91, v91, v91
	v_max_f32_e32 v47, v47, v47
	v_min_f32_e32 v92, v47, v91
	v_max_f32_e32 v47, v47, v91
	v_cndmask_b32_e32 v91, v47, v92, vcc
	v_and_b32_e32 v47, 0x7f800000, v91
	v_cmp_ne_u32_e64 s[26:27], s46, v47
                                        ; implicit-def: $vgpr47
	s_and_saveexec_b64 s[12:13], s[26:27]
	s_xor_b64 s[26:27], exec, s[12:13]
; %bb.615:                              ;   in Loop: Header=BB5_609 Depth=3
	v_bfe_u32 v47, v91, 16, 1
	v_add3_u32 v47, v91, v47, s47
                                        ; implicit-def: $vgpr91
; %bb.616:                              ;   in Loop: Header=BB5_609 Depth=3
	s_andn2_saveexec_b64 s[30:31], s[26:27]
; %bb.617:                              ;   in Loop: Header=BB5_609 Depth=3
	v_or_b32_e32 v47, 0x10000, v91
	v_cmp_eq_u32_sdwa s[26:27], v91, v3 src0_sel:WORD_0 src1_sel:DWORD
	s_nop 1
	v_cndmask_b32_e64 v47, v47, v91, s[26:27]
; %bb.618:                              ;   in Loop: Header=BB5_609 Depth=3
	s_or_b64 exec, exec, s[30:31]
	v_lshlrev_b32_e32 v43, 16, v43
	v_lshlrev_b32_e32 v91, 16, v40
	v_max_f32_e32 v91, v91, v91
	v_max_f32_e32 v43, v43, v43
	v_min_f32_e32 v92, v43, v91
	v_max_f32_e32 v43, v43, v91
	v_cndmask_b32_e32 v91, v43, v92, vcc
	v_and_b32_e32 v43, 0x7f800000, v91
	v_cmp_ne_u32_e64 s[26:27], s46, v43
                                        ; implicit-def: $vgpr43
	s_and_saveexec_b64 s[12:13], s[26:27]
	s_xor_b64 s[26:27], exec, s[12:13]
; %bb.619:                              ;   in Loop: Header=BB5_609 Depth=3
	v_bfe_u32 v43, v91, 16, 1
	v_add3_u32 v43, v91, v43, s47
                                        ; implicit-def: $vgpr91
; %bb.620:                              ;   in Loop: Header=BB5_609 Depth=3
	s_andn2_saveexec_b64 s[30:31], s[26:27]
; %bb.621:                              ;   in Loop: Header=BB5_609 Depth=3
	v_or_b32_e32 v43, 0x10000, v91
	v_cmp_eq_u32_sdwa s[26:27], v91, v3 src0_sel:WORD_0 src1_sel:DWORD
	s_nop 1
	v_cndmask_b32_e64 v43, v43, v91, s[26:27]
; %bb.622:                              ;   in Loop: Header=BB5_609 Depth=3
	s_or_b64 exec, exec, s[30:31]
	v_lshlrev_b32_e32 v42, 16, v42
	v_lshlrev_b32_e32 v91, 16, v41
	v_max_f32_e32 v91, v91, v91
	v_max_f32_e32 v42, v42, v42
	v_min_f32_e32 v92, v42, v91
	v_max_f32_e32 v42, v42, v91
	v_cndmask_b32_e32 v91, v42, v92, vcc
	v_and_b32_e32 v42, 0x7f800000, v91
	v_cmp_ne_u32_e64 s[26:27], s46, v42
                                        ; implicit-def: $vgpr42
	s_and_saveexec_b64 s[12:13], s[26:27]
	s_xor_b64 s[26:27], exec, s[12:13]
; %bb.623:                              ;   in Loop: Header=BB5_609 Depth=3
	v_bfe_u32 v42, v91, 16, 1
	v_add3_u32 v42, v91, v42, s47
                                        ; implicit-def: $vgpr91
; %bb.624:                              ;   in Loop: Header=BB5_609 Depth=3
	s_andn2_saveexec_b64 s[30:31], s[26:27]
; %bb.625:                              ;   in Loop: Header=BB5_609 Depth=3
	v_or_b32_e32 v42, 0x10000, v91
	v_cmp_eq_u32_sdwa s[26:27], v91, v3 src0_sel:WORD_0 src1_sel:DWORD
	s_nop 1
	v_cndmask_b32_e64 v42, v42, v91, s[26:27]
; %bb.626:                              ;   in Loop: Header=BB5_609 Depth=3
	s_or_b64 exec, exec, s[30:31]
	v_lshrrev_b32_e32 v78, 16, v78
	v_lshrrev_b32_e32 v43, 16, v43
	;; [unrolled: 1-line block ×4, first 2 shown]
	flat_store_short v[8:9], v78 nt
	flat_store_short v[8:9], v47 offset:128 nt
	flat_store_short v[8:9], v43 offset:256 nt
	;; [unrolled: 1-line block ×3, first 2 shown]
	v_lshl_add_u64 v[8:9], v[8:9], 0, v[86:87]
.LBB5_627:                              ;   in Loop: Header=BB5_609 Depth=3
	s_or_b64 exec, exec, s[34:35]
	v_sub_u32_e32 v23, v23, v52
	v_lshl_add_u64 v[10:11], v[10:11], 0, v[86:87]
	v_lshl_add_u64 v[12:13], v[12:13], 0, v[86:87]
	v_cmp_lt_i32_e64 s[30:31], 0, v23
	s_and_saveexec_b64 s[26:27], s[30:31]
	s_cbranch_execz .LBB5_629
; %bb.628:                              ;   in Loop: Header=BB5_609 Depth=3
	flat_load_ushort v78, v[10:11] nt
	flat_load_ushort v47, v[10:11] offset:128 nt
	flat_load_ushort v43, v[10:11] offset:256 nt
	;; [unrolled: 1-line block ×3, first 2 shown]
	flat_load_ushort v118, v[12:13] nt
	flat_load_ushort v119, v[12:13] offset:128 nt
	flat_load_ushort v40, v[12:13] offset:256 nt
	;; [unrolled: 1-line block ×3, first 2 shown]
	v_lshl_add_u64 v[10:11], v[10:11], 0, s[62:63]
	v_lshl_add_u64 v[12:13], v[12:13], 0, s[62:63]
.LBB5_629:                              ;   in Loop: Header=BB5_609 Depth=3
	s_or_b64 exec, exec, s[26:27]
	s_waitcnt vmcnt(0) lgkmcnt(0)
	v_lshlrev_b32_e32 v89, 16, v89
	v_lshlrev_b32_e32 v90, 16, v90
	v_max_f32_e32 v90, v90, v90
	v_max_f32_e32 v89, v89, v89
	v_min_f32_e32 v91, v89, v90
	v_max_f32_e32 v89, v89, v90
	v_cndmask_b32_e32 v90, v89, v91, vcc
	v_and_b32_e32 v89, 0x7f800000, v90
	v_cmp_ne_u32_e64 s[26:27], s46, v89
                                        ; implicit-def: $vgpr89
	s_and_saveexec_b64 s[12:13], s[26:27]
	s_xor_b64 s[26:27], exec, s[12:13]
; %bb.630:                              ;   in Loop: Header=BB5_609 Depth=3
	v_bfe_u32 v89, v90, 16, 1
	v_add3_u32 v89, v90, v89, s47
                                        ; implicit-def: $vgpr90
; %bb.631:                              ;   in Loop: Header=BB5_609 Depth=3
	s_andn2_saveexec_b64 s[34:35], s[26:27]
; %bb.632:                              ;   in Loop: Header=BB5_609 Depth=3
	v_or_b32_e32 v89, 0x10000, v90
	v_cmp_eq_u32_sdwa s[26:27], v90, v3 src0_sel:WORD_0 src1_sel:DWORD
	s_nop 1
	v_cndmask_b32_e64 v89, v89, v90, s[26:27]
; %bb.633:                              ;   in Loop: Header=BB5_609 Depth=3
	s_or_b64 exec, exec, s[34:35]
	v_lshlrev_b32_e32 v79, 16, v79
	v_lshlrev_b32_e32 v88, 16, v88
	v_max_f32_e32 v88, v88, v88
	v_max_f32_e32 v79, v79, v79
	v_min_f32_e32 v90, v79, v88
	v_max_f32_e32 v79, v79, v88
	v_cndmask_b32_e32 v88, v79, v90, vcc
	v_and_b32_e32 v79, 0x7f800000, v88
	v_cmp_ne_u32_e64 s[26:27], s46, v79
                                        ; implicit-def: $vgpr79
	s_and_saveexec_b64 s[12:13], s[26:27]
	s_xor_b64 s[26:27], exec, s[12:13]
; %bb.634:                              ;   in Loop: Header=BB5_609 Depth=3
	v_bfe_u32 v79, v88, 16, 1
	v_add3_u32 v79, v88, v79, s47
                                        ; implicit-def: $vgpr88
; %bb.635:                              ;   in Loop: Header=BB5_609 Depth=3
	s_andn2_saveexec_b64 s[34:35], s[26:27]
; %bb.636:                              ;   in Loop: Header=BB5_609 Depth=3
	v_or_b32_e32 v79, 0x10000, v88
	v_cmp_eq_u32_sdwa s[26:27], v88, v3 src0_sel:WORD_0 src1_sel:DWORD
	s_nop 1
	v_cndmask_b32_e64 v79, v79, v88, s[26:27]
; %bb.637:                              ;   in Loop: Header=BB5_609 Depth=3
	s_or_b64 exec, exec, s[34:35]
	v_lshlrev_b32_e32 v56, 16, v56
	v_lshlrev_b32_e32 v57, 16, v57
	v_max_f32_e32 v57, v57, v57
	v_max_f32_e32 v56, v56, v56
	v_min_f32_e32 v88, v56, v57
	v_max_f32_e32 v56, v56, v57
	v_cndmask_b32_e32 v57, v56, v88, vcc
	v_and_b32_e32 v56, 0x7f800000, v57
	v_cmp_ne_u32_e64 s[26:27], s46, v56
                                        ; implicit-def: $vgpr56
	s_and_saveexec_b64 s[12:13], s[26:27]
	s_xor_b64 s[26:27], exec, s[12:13]
; %bb.638:                              ;   in Loop: Header=BB5_609 Depth=3
	v_bfe_u32 v56, v57, 16, 1
	v_add3_u32 v56, v57, v56, s47
                                        ; implicit-def: $vgpr57
; %bb.639:                              ;   in Loop: Header=BB5_609 Depth=3
	s_andn2_saveexec_b64 s[34:35], s[26:27]
; %bb.640:                              ;   in Loop: Header=BB5_609 Depth=3
	v_or_b32_e32 v56, 0x10000, v57
	v_cmp_eq_u32_sdwa s[26:27], v57, v3 src0_sel:WORD_0 src1_sel:DWORD
	s_nop 1
	v_cndmask_b32_e64 v56, v56, v57, s[26:27]
; %bb.641:                              ;   in Loop: Header=BB5_609 Depth=3
	s_or_b64 exec, exec, s[34:35]
	v_lshlrev_b32_e32 v45, 16, v45
	v_lshlrev_b32_e32 v46, 16, v46
	v_max_f32_e32 v46, v46, v46
	v_max_f32_e32 v45, v45, v45
	v_min_f32_e32 v57, v45, v46
	v_max_f32_e32 v45, v45, v46
	v_cndmask_b32_e32 v46, v45, v57, vcc
	v_and_b32_e32 v45, 0x7f800000, v46
	v_cmp_ne_u32_e64 s[26:27], s46, v45
                                        ; implicit-def: $vgpr45
	s_and_saveexec_b64 s[12:13], s[26:27]
	s_xor_b64 s[26:27], exec, s[12:13]
; %bb.642:                              ;   in Loop: Header=BB5_609 Depth=3
	v_bfe_u32 v45, v46, 16, 1
	v_add3_u32 v45, v46, v45, s47
                                        ; implicit-def: $vgpr46
; %bb.643:                              ;   in Loop: Header=BB5_609 Depth=3
	s_andn2_saveexec_b64 s[34:35], s[26:27]
	s_cbranch_execz .LBB5_608
; %bb.644:                              ;   in Loop: Header=BB5_609 Depth=3
	v_or_b32_e32 v45, 0x10000, v46
	v_cmp_eq_u32_sdwa s[26:27], v46, v3 src0_sel:WORD_0 src1_sel:DWORD
	s_nop 1
	v_cndmask_b32_e64 v45, v45, v46, s[26:27]
	s_branch .LBB5_608
.LBB5_645:                              ;   in Loop: Header=BB5_296 Depth=2
	s_or_b64 exec, exec, s[92:93]
	v_lshlrev_b32_e32 v56, 16, v78
	v_lshlrev_b32_e32 v57, 16, v118
	;; [unrolled: 1-line block ×8, first 2 shown]
	s_and_b64 s[26:27], s[40:41], exec
.LBB5_646:                              ;   in Loop: Header=BB5_296 Depth=2
	s_or_b64 exec, exec, s[28:29]
	s_and_saveexec_b64 s[28:29], s[26:27]
	s_cbranch_execz .LBB5_664
; %bb.647:                              ;   in Loop: Header=BB5_296 Depth=2
	s_and_b32 s12, s52, 0xff
	s_cmp_eq_u32 s12, 0
	v_max_f32_e32 v12, v57, v57
	v_max_f32_e32 v13, v56, v56
	v_min_f32_e32 v40, v13, v12
	v_max_f32_e32 v12, v13, v12
	s_cselect_b64 vcc, -1, 0
	v_cndmask_b32_e32 v13, v12, v40, vcc
	v_and_b32_e32 v12, 0x7f800000, v13
	v_cmp_ne_u32_e64 s[26:27], s46, v12
                                        ; implicit-def: $vgpr12
	s_and_saveexec_b64 s[12:13], s[26:27]
	s_xor_b64 s[26:27], exec, s[12:13]
; %bb.648:                              ;   in Loop: Header=BB5_296 Depth=2
	v_bfe_u32 v12, v13, 16, 1
	v_add3_u32 v12, v13, v12, s47
                                        ; implicit-def: $vgpr13
; %bb.649:                              ;   in Loop: Header=BB5_296 Depth=2
	s_andn2_saveexec_b64 s[40:41], s[26:27]
; %bb.650:                              ;   in Loop: Header=BB5_296 Depth=2
	v_or_b32_e32 v12, 0x10000, v13
	v_cmp_eq_u32_sdwa s[26:27], v13, v3 src0_sel:WORD_0 src1_sel:DWORD
	s_nop 1
	v_cndmask_b32_e64 v12, v12, v13, s[26:27]
; %bb.651:                              ;   in Loop: Header=BB5_296 Depth=2
	s_or_b64 exec, exec, s[40:41]
	v_max_f32_e32 v13, v46, v46
	v_max_f32_e32 v40, v45, v45
	v_min_f32_e32 v41, v40, v13
	v_max_f32_e32 v13, v40, v13
	v_cndmask_b32_e32 v40, v13, v41, vcc
	v_and_b32_e32 v13, 0x7f800000, v40
	v_cmp_ne_u32_e64 s[26:27], s46, v13
                                        ; implicit-def: $vgpr13
	s_and_saveexec_b64 s[12:13], s[26:27]
	s_xor_b64 s[26:27], exec, s[12:13]
; %bb.652:                              ;   in Loop: Header=BB5_296 Depth=2
	v_bfe_u32 v13, v40, 16, 1
	v_add3_u32 v13, v40, v13, s47
                                        ; implicit-def: $vgpr40
; %bb.653:                              ;   in Loop: Header=BB5_296 Depth=2
	s_andn2_saveexec_b64 s[40:41], s[26:27]
; %bb.654:                              ;   in Loop: Header=BB5_296 Depth=2
	v_or_b32_e32 v13, 0x10000, v40
	v_cmp_eq_u32_sdwa s[26:27], v40, v3 src0_sel:WORD_0 src1_sel:DWORD
	s_nop 1
	v_cndmask_b32_e64 v13, v13, v40, s[26:27]
; %bb.655:                              ;   in Loop: Header=BB5_296 Depth=2
	s_or_b64 exec, exec, s[40:41]
	v_max_f32_e32 v119, v119, v119
	v_max_f32_e32 v118, v118, v118
	v_min_f32_e32 v40, v118, v119
	v_max_f32_e32 v118, v118, v119
	v_cndmask_b32_e32 v119, v118, v40, vcc
	v_and_b32_e32 v118, 0x7f800000, v119
	v_cmp_ne_u32_e64 s[26:27], s46, v118
                                        ; implicit-def: $vgpr118
	s_and_saveexec_b64 s[12:13], s[26:27]
	s_xor_b64 s[26:27], exec, s[12:13]
; %bb.656:                              ;   in Loop: Header=BB5_296 Depth=2
	v_bfe_u32 v118, v119, 16, 1
	v_add3_u32 v118, v119, v118, s47
                                        ; implicit-def: $vgpr119
; %bb.657:                              ;   in Loop: Header=BB5_296 Depth=2
	s_andn2_saveexec_b64 s[40:41], s[26:27]
; %bb.658:                              ;   in Loop: Header=BB5_296 Depth=2
	v_or_b32_e32 v118, 0x10000, v119
	v_cmp_eq_u32_sdwa s[26:27], v119, v3 src0_sel:WORD_0 src1_sel:DWORD
	s_nop 1
	v_cndmask_b32_e64 v118, v118, v119, s[26:27]
; %bb.659:                              ;   in Loop: Header=BB5_296 Depth=2
	s_or_b64 exec, exec, s[40:41]
	v_max_f32_e32 v11, v11, v11
	v_max_f32_e32 v10, v10, v10
	v_min_f32_e32 v119, v10, v11
	v_max_f32_e32 v10, v10, v11
	v_cndmask_b32_e32 v11, v10, v119, vcc
	v_and_b32_e32 v10, 0x7f800000, v11
	v_cmp_ne_u32_e32 vcc, s46, v10
                                        ; implicit-def: $vgpr10
	s_and_saveexec_b64 s[12:13], vcc
	s_xor_b64 s[26:27], exec, s[12:13]
; %bb.660:                              ;   in Loop: Header=BB5_296 Depth=2
	v_bfe_u32 v10, v11, 16, 1
	v_add3_u32 v10, v11, v10, s47
                                        ; implicit-def: $vgpr11
; %bb.661:                              ;   in Loop: Header=BB5_296 Depth=2
	s_andn2_saveexec_b64 s[26:27], s[26:27]
; %bb.662:                              ;   in Loop: Header=BB5_296 Depth=2
	v_or_b32_e32 v10, 0x10000, v11
	v_cmp_eq_u32_sdwa vcc, v11, v3 src0_sel:WORD_0 src1_sel:DWORD
	s_nop 1
	v_cndmask_b32_e32 v10, v10, v11, vcc
; %bb.663:                              ;   in Loop: Header=BB5_296 Depth=2
	s_or_b64 exec, exec, s[26:27]
	flat_store_short_d16_hi v[8:9], v12 nt
	flat_store_short_d16_hi v[8:9], v13 offset:128 nt
	flat_store_short_d16_hi v[8:9], v118 offset:256 nt
	;; [unrolled: 1-line block ×3, first 2 shown]
.LBB5_664:                              ;   in Loop: Header=BB5_296 Depth=2
	s_or_b64 exec, exec, s[28:29]
	v_lshlrev_b32_e32 v8, 9, v22
	v_cmp_ne_u32_e32 vcc, v17, v8
	s_and_b64 exec, exec, vcc
	s_cbranch_execz .LBB5_689
; %bb.665:                              ;   in Loop: Header=BB5_296 Depth=2
	v_lshlrev_b32_e32 v9, 6, v23
	v_sub_u32_e32 v9, v15, v9
	v_ashrrev_i32_e32 v10, 31, v9
	v_lshrrev_b32_e32 v10, 26, v10
	v_add_u32_e32 v10, v9, v10
	v_and_b32_e32 v11, 0x7fffffc0, v10
	v_sub_u32_e32 v9, v9, v11
	v_lshlrev_b32_e32 v10, 1, v10
	v_and_b32_e32 v10, 0xffffff80, v10
	v_lshlrev_b32_e32 v9, 1, v9
	v_add3_u32 v8, v10, v9, v8
	v_sub_u32_e32 v15, v17, v8
	v_cmp_lt_i32_e32 vcc, 1, v15
	s_and_b64 exec, exec, vcc
	s_cbranch_execz .LBB5_689
; %bb.666:                              ;   in Loop: Header=BB5_296 Depth=2
	s_trap 2
	ds_read_b64 v[10:11], v0
	v_add_u32_e32 v22, v8, v14
	s_and_b32 s12, s52, 0xff
	v_ashrrev_i32_e32 v23, 31, v22
	s_cmp_eq_u32 s12, 0
	v_lshl_add_u64 v[8:9], v[20:21], 0, v[22:23]
	v_lshl_add_u64 v[12:13], v[22:23], 0, v[18:19]
	s_waitcnt lgkmcnt(0)
	v_lshl_add_u64 v[10:11], v[10:11], 0, v[22:23]
	s_mov_b64 s[34:35], 0
	s_mov_b64 s[92:93], 0
	s_cselect_b64 s[26:27], -1, 0
                                        ; implicit-def: $sgpr30_sgpr31
	s_branch .LBB5_668
.LBB5_667:                              ;   in Loop: Header=BB5_668 Depth=3
	s_or_b64 exec, exec, s[28:29]
	v_lshrrev_b32_e32 v15, 16, v17
	scratch_store_short off, v15, s33 offset:160
	flat_store_short v[8:9], v15 nt
	v_cndmask_b32_e64 v15, 0, v62, s[34:35]
	v_sub_u32_e32 v15, v14, v15
	v_cmp_gt_i32_e32 vcc, 2, v15
	s_or_b64 s[92:93], vcc, s[92:93]
	v_lshl_add_u64 v[18:19], v[12:13], 0, v[82:83]
	v_lshl_add_u64 v[20:21], v[10:11], 0, v[82:83]
	v_cndmask_b32_e64 v23, 0, v99, s[34:35]
	v_cndmask_b32_e64 v22, v75, v98, s[34:35]
	s_andn2_b64 s[12:13], s[30:31], exec
	s_and_b64 s[28:29], s[34:35], exec
	v_lshl_add_u64 v[8:9], v[8:9], 0, v[22:23]
	v_cndmask_b32_e64 v11, v11, v21, s[34:35]
	v_cndmask_b32_e64 v10, v10, v20, s[34:35]
	;; [unrolled: 1-line block ×4, first 2 shown]
	s_or_b64 s[30:31], s[12:13], s[28:29]
	s_andn2_b64 exec, exec, s[92:93]
	s_cbranch_execz .LBB5_683
.LBB5_668:                              ;   Parent Loop BB5_47 Depth=1
                                        ;     Parent Loop BB5_296 Depth=2
                                        ; =>    This Loop Header: Depth=3
                                        ;         Child Loop BB5_669 Depth 4
                                        ;         Child Loop BB5_678 Depth 4
	s_add_i32 s13, s33, 0xa0
	s_mov_b32 s12, s13
	s_mov_b64 s[36:37], -1
	s_mov_b64 s[38:39], 0
.LBB5_669:                              ;   Parent Loop BB5_47 Depth=1
                                        ;     Parent Loop BB5_296 Depth=2
                                        ;       Parent Loop BB5_668 Depth=3
                                        ; =>      This Inner Loop Header: Depth=4
	s_cmp_eq_u32 s38, 1
	s_cselect_b64 vcc, -1, 0
	v_cndmask_b32_e32 v19, v13, v11, vcc
	v_cndmask_b32_e32 v18, v12, v10, vcc
	flat_load_ushort v14, v[18:19] nt
	s_cmp_eq_u32 s38, 0
	s_cselect_b64 s[28:29], -1, 0
	s_and_b64 s[40:41], exec, s[36:37]
	v_lshl_add_u64 v[18:19], v[18:19], 0, s[72:73]
	s_add_i32 s13, s33, 0xc0
	s_mov_b64 s[38:39], 1
	s_mov_b64 s[36:37], 0
	v_cndmask_b32_e32 v11, v11, v19, vcc
	v_cndmask_b32_e32 v10, v10, v18, vcc
	v_cndmask_b32_e64 v13, v13, v19, s[28:29]
	v_cndmask_b32_e64 v12, v12, v18, s[28:29]
	s_mov_b64 vcc, s[40:41]
	s_waitcnt vmcnt(0) lgkmcnt(0)
	scratch_store_short off, v14, s12
	s_mov_b32 s12, s13
	s_cbranch_vccnz .LBB5_669
; %bb.670:                              ;   in Loop: Header=BB5_668 Depth=3
	s_and_saveexec_b64 s[28:29], s[34:35]
	s_cbranch_execz .LBB5_676
; %bb.671:                              ;   in Loop: Header=BB5_668 Depth=3
	scratch_load_ushort v14, off, s33 offset:144
	scratch_load_ushort v17, off, s33 offset:146
	s_waitcnt vmcnt(1)
	v_lshlrev_b32_e32 v14, 16, v14
	s_waitcnt vmcnt(0)
	v_lshlrev_b32_e32 v17, 16, v17
	v_max_f32_e32 v17, v17, v17
	v_max_f32_e32 v14, v14, v14
	v_min_f32_e32 v18, v14, v17
	v_max_f32_e32 v14, v14, v17
	v_cndmask_b32_e64 v14, v14, v18, s[26:27]
	v_and_b32_e32 v17, 0x7f800000, v14
	v_cmp_ne_u32_e32 vcc, s46, v17
                                        ; implicit-def: $vgpr17
	s_and_saveexec_b64 s[12:13], vcc
	s_xor_b64 s[40:41], exec, s[12:13]
; %bb.672:                              ;   in Loop: Header=BB5_668 Depth=3
	v_bfe_u32 v17, v14, 16, 1
	v_add3_u32 v17, v14, v17, s47
                                        ; implicit-def: $vgpr14
; %bb.673:                              ;   in Loop: Header=BB5_668 Depth=3
	s_andn2_saveexec_b64 s[40:41], s[40:41]
; %bb.674:                              ;   in Loop: Header=BB5_668 Depth=3
	v_or_b32_e32 v17, 0x10000, v14
	v_cmp_eq_u32_sdwa vcc, v14, v3 src0_sel:WORD_0 src1_sel:DWORD
	s_nop 1
	v_cndmask_b32_e32 v17, v17, v14, vcc
; %bb.675:                              ;   in Loop: Header=BB5_668 Depth=3
	s_or_b64 exec, exec, s[40:41]
	v_lshrrev_b32_e32 v14, 16, v17
	scratch_store_short off, v14, s33 offset:144
	flat_store_short v[8:9], v14 nt
	v_lshl_add_u64 v[8:9], v[8:9], 0, v[98:99]
.LBB5_676:                              ;   in Loop: Header=BB5_668 Depth=3
	s_or_b64 exec, exec, s[28:29]
	v_sub_u32_e32 v14, v15, v62
	v_lshl_add_u64 v[12:13], v[12:13], 0, v[82:83]
	v_lshl_add_u64 v[10:11], v[10:11], 0, v[82:83]
	v_cmp_lt_i32_e64 s[34:35], 1, v14
	s_and_saveexec_b64 s[36:37], s[34:35]
	s_cbranch_execz .LBB5_679
; %bb.677:                              ;   in Loop: Header=BB5_668 Depth=3
	s_add_i32 s13, s33, 0x90
	s_mov_b32 s12, s13
	s_mov_b64 s[48:49], 0
	s_mov_b64 s[38:39], -1
.LBB5_678:                              ;   Parent Loop BB5_47 Depth=1
                                        ;     Parent Loop BB5_296 Depth=2
                                        ;       Parent Loop BB5_668 Depth=3
                                        ; =>      This Inner Loop Header: Depth=4
	s_cmp_eq_u32 s48, 1
	s_cselect_b64 vcc, -1, 0
	v_cndmask_b32_e32 v19, v13, v11, vcc
	v_cndmask_b32_e32 v18, v12, v10, vcc
	flat_load_ushort v15, v[18:19] nt
	s_cmp_eq_u32 s48, 0
	s_cselect_b64 s[28:29], -1, 0
	s_and_b64 s[40:41], exec, s[38:39]
	v_lshl_add_u64 v[18:19], v[18:19], 0, s[72:73]
	s_add_i32 s13, s33, 0x92
	s_mov_b64 s[48:49], 1
	s_mov_b64 s[38:39], 0
	v_cndmask_b32_e64 v13, v13, v19, s[28:29]
	v_cndmask_b32_e64 v12, v12, v18, s[28:29]
	v_cndmask_b32_e32 v11, v11, v19, vcc
	v_cndmask_b32_e32 v10, v10, v18, vcc
	s_mov_b64 vcc, s[40:41]
	s_waitcnt vmcnt(0) lgkmcnt(0)
	scratch_store_short off, v15, s12
	s_mov_b32 s12, s13
	s_cbranch_vccnz .LBB5_678
.LBB5_679:                              ;   in Loop: Header=BB5_668 Depth=3
	s_or_b64 exec, exec, s[36:37]
	scratch_load_ushort v15, off, s33 offset:160
	scratch_load_ushort v17, off, s33 offset:192
	s_waitcnt vmcnt(0)
	v_lshlrev_b32_e32 v15, 16, v15
	v_lshlrev_b32_e32 v17, 16, v17
	v_max_f32_e32 v17, v17, v17
	v_max_f32_e32 v15, v15, v15
	v_min_f32_e32 v18, v15, v17
	v_max_f32_e32 v15, v15, v17
	v_cndmask_b32_e64 v15, v15, v18, s[26:27]
	v_and_b32_e32 v17, 0x7f800000, v15
	v_cmp_ne_u32_e32 vcc, s46, v17
                                        ; implicit-def: $vgpr17
	s_and_saveexec_b64 s[12:13], vcc
	s_xor_b64 s[28:29], exec, s[12:13]
; %bb.680:                              ;   in Loop: Header=BB5_668 Depth=3
	v_bfe_u32 v17, v15, 16, 1
	v_add3_u32 v17, v15, v17, s47
                                        ; implicit-def: $vgpr15
; %bb.681:                              ;   in Loop: Header=BB5_668 Depth=3
	s_andn2_saveexec_b64 s[28:29], s[28:29]
	s_cbranch_execz .LBB5_667
; %bb.682:                              ;   in Loop: Header=BB5_668 Depth=3
	v_or_b32_e32 v17, 0x10000, v15
	v_cmp_eq_u32_sdwa vcc, v15, v3 src0_sel:WORD_0 src1_sel:DWORD
	s_nop 1
	v_cndmask_b32_e32 v17, v17, v15, vcc
	s_branch .LBB5_667
.LBB5_683:                              ;   in Loop: Header=BB5_296 Depth=2
	s_or_b64 exec, exec, s[92:93]
	s_and_b64 exec, exec, s[30:31]
	s_cbranch_execz .LBB5_689
; %bb.684:                              ;   in Loop: Header=BB5_296 Depth=2
	scratch_load_ushort v10, off, s33 offset:144
	scratch_load_ushort v11, off, s33 offset:146
	s_waitcnt vmcnt(0)
	v_lshlrev_b32_e32 v10, 16, v10
	v_lshlrev_b32_e32 v11, 16, v11
	v_max_f32_e32 v11, v11, v11
	v_max_f32_e32 v10, v10, v10
	v_min_f32_e32 v12, v10, v11
	v_max_f32_e32 v10, v10, v11
	v_cndmask_b32_e64 v10, v10, v12, s[26:27]
	v_and_b32_e32 v11, 0x7f800000, v10
	v_cmp_ne_u32_e32 vcc, s46, v11
                                        ; implicit-def: $vgpr11
	s_and_saveexec_b64 s[12:13], vcc
	s_xor_b64 s[26:27], exec, s[12:13]
; %bb.685:                              ;   in Loop: Header=BB5_296 Depth=2
	v_bfe_u32 v11, v10, 16, 1
	v_add3_u32 v11, v10, v11, s47
                                        ; implicit-def: $vgpr10
; %bb.686:                              ;   in Loop: Header=BB5_296 Depth=2
	s_andn2_saveexec_b64 s[26:27], s[26:27]
; %bb.687:                              ;   in Loop: Header=BB5_296 Depth=2
	v_or_b32_e32 v11, 0x10000, v10
	v_cmp_eq_u32_sdwa vcc, v10, v3 src0_sel:WORD_0 src1_sel:DWORD
	s_nop 1
	v_cndmask_b32_e32 v11, v11, v10, vcc
; %bb.688:                              ;   in Loop: Header=BB5_296 Depth=2
	s_or_b64 exec, exec, s[26:27]
	flat_store_short_d16_hi v[8:9], v11 nt
.LBB5_689:                              ;   in Loop: Header=BB5_296 Depth=2
	s_or_b64 exec, exec, s[94:95]
	v_cmp_lt_i32_e64 s[26:27], 0, v2
	s_and_saveexec_b64 s[28:29], s[6:7]
	s_cbranch_execz .LBB5_372
.LBB5_690:                              ;   in Loop: Header=BB5_296 Depth=2
	s_and_saveexec_b64 s[12:13], s[56:57]
	s_xor_b64 s[40:41], exec, s[12:13]
	s_cbranch_execz .LBB5_705
; %bb.691:                              ;   in Loop: Header=BB5_296 Depth=2
	s_and_saveexec_b64 s[92:93], s[14:15]
	s_cbranch_execz .LBB5_704
; %bb.692:                              ;   in Loop: Header=BB5_296 Depth=2
	s_mov_b64 s[30:31], exec
	v_mbcnt_lo_u32_b32 v2, s30, 0
	v_mbcnt_hi_u32_b32 v2, s31, v2
	v_cmp_eq_u32_e32 vcc, 0, v2
	s_waitcnt lgkmcnt(0)
	s_and_saveexec_b64 s[94:95], vcc
	s_cbranch_execz .LBB5_694
; %bb.693:                              ;   in Loop: Header=BB5_296 Depth=2
	s_bcnt1_i32_b64 s12, s[30:31]
	v_mov_b32_e32 v2, s12
	ds_add_u64 v0, v[2:3]
	s_trap 2
.LBB5_694:                              ;   in Loop: Header=BB5_296 Depth=2
	s_or_b64 exec, exec, s[94:95]
	s_trap 2
	ds_read_b64 v[8:9], v0
	s_waitcnt lgkmcnt(0)
	v_lshl_add_u64 v[38:39], v[38:39], 0, v[52:53]
	v_cmp_lt_u64_e32 vcc, v[8:9], v[38:39]
	s_and_saveexec_b64 s[94:95], vcc
	s_cbranch_execz .LBB5_703
; %bb.695:                              ;   in Loop: Header=BB5_296 Depth=2
	s_mov_b32 s12, 0
	s_mov_b64 s[30:31], 0
                                        ; implicit-def: $sgpr34_sgpr35
                                        ; implicit-def: $sgpr36_sgpr37
	s_branch .LBB5_697
.LBB5_696:                              ;   in Loop: Header=BB5_697 Depth=3
	s_or_b64 exec, exec, s[48:49]
	s_and_b64 vcc, exec, vcc
	s_or_b64 s[30:31], vcc, s[30:31]
	s_andn2_b64 vcc, s[34:35], exec
	s_and_b64 s[34:35], s[36:37], exec
	s_or_b64 s[34:35], vcc, s[34:35]
	s_andn2_b64 exec, exec, s[30:31]
	s_cbranch_execz .LBB5_701
.LBB5_697:                              ;   Parent Loop BB5_47 Depth=1
                                        ;     Parent Loop BB5_296 Depth=2
                                        ; =>    This Inner Loop Header: Depth=3
	s_add_i32 s12, s12, 1
	s_cmpk_lg_i32 s12, 0x2710
	s_cselect_b64 s[38:39], -1, 0
	s_and_b64 vcc, exec, s[38:39]
	s_cbranch_vccz .LBB5_699
; %bb.698:                              ;   in Loop: Header=BB5_697 Depth=3
	s_mov_b64 vcc, -1
	s_or_b64 s[36:37], s[36:37], exec
	s_and_saveexec_b64 s[48:49], s[38:39]
	s_cbranch_execz .LBB5_696
	s_branch .LBB5_700
.LBB5_699:                              ;   in Loop: Header=BB5_697 Depth=3
	s_trap 2
	ds_read_b64 v[8:9], v0
	s_andn2_b64 s[38:39], s[38:39], exec
	s_mov_b32 s12, 0
	s_waitcnt vmcnt(0) lgkmcnt(0)
	flat_load_dword v2, v[8:9] sc0 sc1
	s_waitcnt vmcnt(0) lgkmcnt(0)
	buffer_inv sc0 sc1
	v_cmp_eq_u32_e32 vcc, 0, v2
	s_and_b64 vcc, vcc, exec
	s_or_b64 s[38:39], s[38:39], vcc
	s_mov_b64 vcc, -1
	s_or_b64 s[36:37], s[36:37], exec
	s_and_saveexec_b64 s[48:49], s[38:39]
	s_cbranch_execz .LBB5_696
.LBB5_700:                              ;   in Loop: Header=BB5_697 Depth=3
	s_sleep 1
	s_trap 2
	ds_read_b64 v[8:9], v0
	s_waitcnt lgkmcnt(0)
	s_andn2_b64 s[36:37], s[36:37], exec
	v_cmp_ge_u64_e32 vcc, v[8:9], v[38:39]
	s_orn2_b64 vcc, vcc, exec
	s_branch .LBB5_696
.LBB5_701:                              ;   in Loop: Header=BB5_296 Depth=2
	s_or_b64 exec, exec, s[30:31]
	s_and_saveexec_b64 s[12:13], s[34:35]
	s_xor_b64 s[12:13], exec, s[12:13]
	s_cbranch_execz .LBB5_703
; %bb.702:                              ;   in Loop: Header=BB5_296 Depth=2
	ds_write_b32 v0, v63
	s_trap 2
.LBB5_703:                              ;   in Loop: Header=BB5_296 Depth=2
	s_or_b64 exec, exec, s[94:95]
	;;#ASMSTART
	s_wakeup
	;;#ASMEND
.LBB5_704:                              ;   in Loop: Header=BB5_296 Depth=2
	s_or_b64 exec, exec, s[92:93]
.LBB5_705:                              ;   in Loop: Header=BB5_296 Depth=2
	s_andn2_saveexec_b64 s[40:41], s[40:41]
	s_cbranch_execz .LBB5_707
; %bb.706:                              ;   in Loop: Header=BB5_296 Depth=2
	s_waitcnt lgkmcnt(0)
	s_barrier
.LBB5_707:                              ;   in Loop: Header=BB5_296 Depth=2
	s_or_b64 exec, exec, s[40:41]
	s_or_b64 exec, exec, s[28:29]
                                        ; implicit-def: $vgpr2
	s_and_saveexec_b64 s[12:13], s[22:23]
	s_xor_b64 s[28:29], exec, s[12:13]
	s_cbranch_execnz .LBB5_373
.LBB5_708:                              ;   in Loop: Header=BB5_296 Depth=2
	s_andn2_saveexec_b64 s[26:27], s[28:29]
	s_cbranch_execz .LBB5_727
.LBB5_709:                              ;   in Loop: Header=BB5_296 Depth=2
	s_and_saveexec_b64 s[12:13], s[56:57]
	s_xor_b64 s[28:29], exec, s[12:13]
	s_cbranch_execz .LBB5_724
; %bb.710:                              ;   in Loop: Header=BB5_296 Depth=2
	s_and_saveexec_b64 s[40:41], s[14:15]
	s_cbranch_execz .LBB5_723
; %bb.711:                              ;   in Loop: Header=BB5_296 Depth=2
	s_mov_b64 s[94:95], exec
	v_mbcnt_lo_u32_b32 v2, s94, 0
	v_mbcnt_hi_u32_b32 v2, s95, v2
	v_cmp_eq_u32_e32 vcc, 0, v2
	;;#ASMSTART
	s_waitcnt lgkmcnt(0) vmcnt(0)
	;;#ASMEND
	s_and_saveexec_b64 s[92:93], vcc
	s_cbranch_execz .LBB5_713
; %bb.712:                              ;   in Loop: Header=BB5_296 Depth=2
	s_bcnt1_i32_b64 s12, s[94:95]
	v_mov_b32_e32 v2, s12
	s_waitcnt lgkmcnt(0)
	ds_add_u64 v0, v[2:3]
	s_trap 2
.LBB5_713:                              ;   in Loop: Header=BB5_296 Depth=2
	s_or_b64 exec, exec, s[92:93]
	s_trap 2
	ds_read_b64 v[8:9], v0
	s_waitcnt lgkmcnt(0)
	v_lshl_add_u64 v[38:39], v[38:39], 0, v[52:53]
	v_cmp_lt_u64_e32 vcc, v[8:9], v[38:39]
	s_and_saveexec_b64 s[92:93], vcc
	s_cbranch_execz .LBB5_722
; %bb.714:                              ;   in Loop: Header=BB5_296 Depth=2
	s_mov_b32 s12, 0
	s_mov_b64 s[94:95], 0
                                        ; implicit-def: $sgpr30_sgpr31
                                        ; implicit-def: $sgpr34_sgpr35
	s_branch .LBB5_716
.LBB5_715:                              ;   in Loop: Header=BB5_716 Depth=3
	s_or_b64 exec, exec, s[38:39]
	s_and_b64 vcc, exec, vcc
	s_or_b64 s[94:95], vcc, s[94:95]
	s_andn2_b64 vcc, s[30:31], exec
	s_and_b64 s[30:31], s[34:35], exec
	s_or_b64 s[30:31], vcc, s[30:31]
	s_andn2_b64 exec, exec, s[94:95]
	s_cbranch_execz .LBB5_720
.LBB5_716:                              ;   Parent Loop BB5_47 Depth=1
                                        ;     Parent Loop BB5_296 Depth=2
                                        ; =>    This Inner Loop Header: Depth=3
	s_add_i32 s12, s12, 1
	s_cmpk_lg_i32 s12, 0x2710
	s_cselect_b64 s[36:37], -1, 0
	s_and_b64 vcc, exec, s[36:37]
	s_cbranch_vccz .LBB5_718
; %bb.717:                              ;   in Loop: Header=BB5_716 Depth=3
	s_mov_b64 vcc, -1
	s_or_b64 s[34:35], s[34:35], exec
	s_and_saveexec_b64 s[38:39], s[36:37]
	s_cbranch_execz .LBB5_715
	s_branch .LBB5_719
.LBB5_718:                              ;   in Loop: Header=BB5_716 Depth=3
	s_trap 2
	ds_read_b64 v[8:9], v0
	s_andn2_b64 s[36:37], s[36:37], exec
	s_mov_b32 s12, 0
	s_waitcnt vmcnt(0) lgkmcnt(0)
	flat_load_dword v2, v[8:9] sc0 sc1
	s_waitcnt vmcnt(0) lgkmcnt(0)
	buffer_inv sc0 sc1
	v_cmp_eq_u32_e32 vcc, 0, v2
	s_and_b64 vcc, vcc, exec
	s_or_b64 s[36:37], s[36:37], vcc
	s_mov_b64 vcc, -1
	s_or_b64 s[34:35], s[34:35], exec
	s_and_saveexec_b64 s[38:39], s[36:37]
	s_cbranch_execz .LBB5_715
.LBB5_719:                              ;   in Loop: Header=BB5_716 Depth=3
	s_sleep 1
	s_trap 2
	ds_read_b64 v[8:9], v0
	s_waitcnt lgkmcnt(0)
	s_andn2_b64 s[34:35], s[34:35], exec
	v_cmp_ge_u64_e32 vcc, v[8:9], v[38:39]
	s_orn2_b64 vcc, vcc, exec
	s_branch .LBB5_715
.LBB5_720:                              ;   in Loop: Header=BB5_296 Depth=2
	s_or_b64 exec, exec, s[94:95]
	s_and_saveexec_b64 s[12:13], s[30:31]
	s_xor_b64 s[12:13], exec, s[12:13]
	s_cbranch_execz .LBB5_722
; %bb.721:                              ;   in Loop: Header=BB5_296 Depth=2
	ds_write_b32 v0, v63
	s_trap 2
.LBB5_722:                              ;   in Loop: Header=BB5_296 Depth=2
	s_or_b64 exec, exec, s[92:93]
	;;#ASMSTART
	s_wakeup
	;;#ASMEND
.LBB5_723:                              ;   in Loop: Header=BB5_296 Depth=2
	s_or_b64 exec, exec, s[40:41]
.LBB5_724:                              ;   in Loop: Header=BB5_296 Depth=2
	s_andn2_saveexec_b64 s[28:29], s[28:29]
	s_cbranch_execz .LBB5_726
; %bb.725:                              ;   in Loop: Header=BB5_296 Depth=2
	;;#ASMSTART
	s_waitcnt lgkmcnt(0) vmcnt(0)
	;;#ASMEND
	s_barrier
.LBB5_726:                              ;   in Loop: Header=BB5_296 Depth=2
	s_or_b64 exec, exec, s[28:29]
	v_and_b32_e32 v2, 16, v58
.LBB5_727:                              ;   in Loop: Header=BB5_296 Depth=2
	s_or_b64 exec, exec, s[26:27]
	v_cmp_ne_u32_e32 vcc, 0, v2
	s_xor_b64 s[12:13], s[10:11], -1
	s_and_b64 s[12:13], vcc, s[12:13]
	s_and_saveexec_b64 s[26:27], s[12:13]
	s_cbranch_execz .LBB5_729
; %bb.728:                              ;   in Loop: Header=BB5_296 Depth=2
	flat_store_dword v[36:37], v63 sc0 sc1
.LBB5_729:                              ;   in Loop: Header=BB5_296 Depth=2
	s_or_b64 exec, exec, s[26:27]
	v_and_b32_e32 v2, 48, v58
	v_cmp_ne_u32_e32 vcc, 0, v2
	s_and_saveexec_b64 s[26:27], vcc
	s_cbranch_execz .LBB5_731
; %bb.730:                              ;   in Loop: Header=BB5_296 Depth=2
	v_lshl_add_u64 v[112:113], v[112:113], 0, 4
	flat_store_dwordx2 v[32:33], v[112:113] sc0 sc1
.LBB5_731:                              ;   in Loop: Header=BB5_296 Depth=2
	s_or_b64 exec, exec, s[26:27]
	v_mov_b32_e32 v2, v16
.LBB5_732:                              ;   in Loop: Header=BB5_296 Depth=2
	s_or_b64 exec, exec, s[90:91]
	s_and_saveexec_b64 s[28:29], s[42:43]
	s_cbranch_execz .LBB5_295
; %bb.733:                              ;   in Loop: Header=BB5_296 Depth=2
	v_sub_u32_e32 v2, v44, v2
	v_min_i32_e32 v8, v16, v2
	v_and_b32_e32 v2, 12, v58
	v_cmp_ne_u32_e32 vcc, 0, v2
	s_and_saveexec_b64 s[40:41], vcc
	s_cbranch_execz .LBB5_743
; %bb.734:                              ;   in Loop: Header=BB5_296 Depth=2
	v_and_b32_e32 v2, 8, v58
	s_waitcnt vmcnt(0) lgkmcnt(0)
	v_lshl_add_u64 v[12:13], v[48:49], 0, v[2:3]
	v_lshl_add_u64 v[10:11], v[112:113], 0, 4
	v_cmp_lt_u64_e32 vcc, v[12:13], v[10:11]
	s_and_saveexec_b64 s[42:43], vcc
	s_cbranch_execz .LBB5_759
; %bb.735:                              ;   in Loop: Header=BB5_296 Depth=2
	v_and_b32_e32 v9, 64, v58
	s_mov_b32 s12, 0
	v_cmp_eq_u32_e32 vcc, 0, v9
	s_mov_b64 s[90:91], 0
                                        ; implicit-def: $sgpr92_sgpr93
                                        ; implicit-def: $sgpr94_sgpr95
                                        ; implicit-def: $sgpr30_sgpr31
	s_branch .LBB5_739
.LBB5_736:                              ;   in Loop: Header=BB5_739 Depth=3
	s_waitcnt vmcnt(0) lgkmcnt(0)
	v_lshl_add_u64 v[12:13], v[48:49], 0, v[2:3]
	v_cmp_ge_u64_e64 s[26:27], v[12:13], v[10:11]
	s_or_b64 s[38:39], s[38:39], exec
	s_orn2_b64 s[36:37], s[26:27], exec
.LBB5_737:                              ;   in Loop: Header=BB5_739 Depth=3
	s_or_b64 exec, exec, s[50:51]
	s_andn2_b64 s[26:27], s[30:31], exec
	s_and_b64 s[30:31], s[38:39], exec
	s_or_b64 s[30:31], s[26:27], s[30:31]
	s_andn2_b64 s[26:27], s[94:95], exec
	s_and_b64 s[94:95], s[36:37], exec
	s_or_b64 s[94:95], s[26:27], s[94:95]
.LBB5_738:                              ;   in Loop: Header=BB5_739 Depth=3
	s_or_b64 exec, exec, s[34:35]
	s_and_b64 s[26:27], exec, s[94:95]
	s_or_b64 s[90:91], s[26:27], s[90:91]
	s_andn2_b64 s[26:27], s[92:93], exec
	s_and_b64 s[92:93], s[30:31], exec
	s_or_b64 s[92:93], s[26:27], s[92:93]
	s_andn2_b64 exec, exec, s[90:91]
	s_cbranch_execz .LBB5_756
.LBB5_739:                              ;   Parent Loop BB5_47 Depth=1
                                        ;     Parent Loop BB5_296 Depth=2
                                        ; =>    This Inner Loop Header: Depth=3
	s_sleep 1
	s_waitcnt vmcnt(0) lgkmcnt(0)
	flat_load_dwordx2 v[48:49], v[32:33] sc0 sc1
	s_or_b64 s[30:31], s[30:31], exec
	s_or_b64 s[94:95], s[94:95], exec
                                        ; implicit-def: $vgpr9
	s_and_saveexec_b64 s[34:35], vcc
	s_cbranch_execz .LBB5_738
; %bb.740:                              ;   in Loop: Header=BB5_739 Depth=3
	s_cmpk_lt_i32 s12, 0x270f
	s_cselect_b64 s[48:49], -1, 0
	s_cmpk_gt_i32 s12, 0x270e
	s_mov_b64 s[36:37], -1
	s_cbranch_scc0 .LBB5_742
; %bb.741:                              ;   in Loop: Header=BB5_739 Depth=3
	s_trap 2
	ds_read_b64 v[12:13], v0
	s_andn2_b64 s[48:49], s[48:49], exec
	s_mov_b32 s12, 0
	s_mov_b64 s[38:39], 0
	s_waitcnt vmcnt(0) lgkmcnt(0)
	flat_load_dword v9, v[12:13] sc0 sc1
	s_waitcnt vmcnt(0) lgkmcnt(0)
	buffer_inv sc0 sc1
	v_cmp_eq_u32_e64 s[26:27], 0, v9
	s_and_b64 s[26:27], s[26:27], exec
	s_or_b64 s[48:49], s[48:49], s[26:27]
	s_and_saveexec_b64 s[50:51], s[48:49]
	s_cbranch_execz .LBB5_737
	s_branch .LBB5_736
.LBB5_742:                              ;   in Loop: Header=BB5_739 Depth=3
	s_add_i32 s12, s12, 1
	s_mov_b64 s[38:39], -1
                                        ; implicit-def: $vgpr9
	s_and_saveexec_b64 s[50:51], s[48:49]
	s_cbranch_execz .LBB5_737
	s_branch .LBB5_736
.LBB5_743:                              ;   in Loop: Header=BB5_296 Depth=2
	s_or_b64 exec, exec, s[40:41]
	s_and_saveexec_b64 s[26:27], s[6:7]
	s_cbranch_execnz .LBB5_772
.LBB5_744:                              ;   in Loop: Header=BB5_296 Depth=2
	s_or_b64 exec, exec, s[26:27]
                                        ; implicit-def: $vgpr2
	s_and_saveexec_b64 s[12:13], s[88:89]
	s_xor_b64 s[26:27], exec, s[12:13]
	s_cbranch_execz .LBB5_797
.LBB5_745:                              ;   in Loop: Header=BB5_296 Depth=2
	s_and_saveexec_b64 s[12:13], s[56:57]
	s_xor_b64 s[40:41], exec, s[12:13]
	s_cbranch_execz .LBB5_787
; %bb.746:                              ;   in Loop: Header=BB5_296 Depth=2
	s_and_saveexec_b64 s[42:43], s[14:15]
	s_cbranch_execz .LBB5_786
; %bb.747:                              ;   in Loop: Header=BB5_296 Depth=2
	s_mov_b64 s[92:93], exec
	v_mbcnt_lo_u32_b32 v2, s92, 0
	v_mbcnt_hi_u32_b32 v2, s93, v2
	v_cmp_eq_u32_e32 vcc, 0, v2
	;;#ASMSTART
	s_waitcnt lgkmcnt(0) vmcnt(0)
	;;#ASMEND
	s_and_saveexec_b64 s[90:91], vcc
	s_cbranch_execz .LBB5_749
; %bb.748:                              ;   in Loop: Header=BB5_296 Depth=2
	s_bcnt1_i32_b64 s12, s[92:93]
	v_mov_b32_e32 v2, s12
	s_waitcnt lgkmcnt(0)
	ds_add_u64 v0, v[2:3]
	s_trap 2
.LBB5_749:                              ;   in Loop: Header=BB5_296 Depth=2
	s_or_b64 exec, exec, s[90:91]
	s_trap 2
	ds_read_b64 v[8:9], v0
	s_waitcnt lgkmcnt(0)
	v_lshl_add_u64 v[38:39], v[38:39], 0, v[52:53]
	v_cmp_lt_u64_e32 vcc, v[8:9], v[38:39]
	s_and_saveexec_b64 s[90:91], vcc
	s_cbranch_execz .LBB5_785
; %bb.750:                              ;   in Loop: Header=BB5_296 Depth=2
	s_mov_b32 s12, 0
	s_mov_b64 s[92:93], 0
                                        ; implicit-def: $sgpr94_sgpr95
                                        ; implicit-def: $sgpr30_sgpr31
	s_branch .LBB5_752
.LBB5_751:                              ;   in Loop: Header=BB5_752 Depth=3
	s_or_b64 exec, exec, s[36:37]
	s_and_b64 vcc, exec, vcc
	s_or_b64 s[92:93], vcc, s[92:93]
	s_andn2_b64 s[94:95], s[94:95], exec
	s_and_b64 vcc, s[30:31], exec
	s_or_b64 s[94:95], s[94:95], vcc
	s_andn2_b64 exec, exec, s[92:93]
	s_cbranch_execz .LBB5_783
.LBB5_752:                              ;   Parent Loop BB5_47 Depth=1
                                        ;     Parent Loop BB5_296 Depth=2
                                        ; =>    This Inner Loop Header: Depth=3
	s_add_i32 s12, s12, 1
	s_cmpk_lg_i32 s12, 0x2710
	s_cselect_b64 s[34:35], -1, 0
	s_and_b64 vcc, exec, s[34:35]
	s_cbranch_vccz .LBB5_754
; %bb.753:                              ;   in Loop: Header=BB5_752 Depth=3
	s_mov_b64 vcc, -1
	s_or_b64 s[30:31], s[30:31], exec
	s_and_saveexec_b64 s[36:37], s[34:35]
	s_cbranch_execz .LBB5_751
	s_branch .LBB5_755
.LBB5_754:                              ;   in Loop: Header=BB5_752 Depth=3
	s_trap 2
	ds_read_b64 v[8:9], v0
	s_andn2_b64 s[34:35], s[34:35], exec
	s_mov_b32 s12, 0
	s_waitcnt vmcnt(0) lgkmcnt(0)
	flat_load_dword v2, v[8:9] sc0 sc1
	s_waitcnt vmcnt(0) lgkmcnt(0)
	buffer_inv sc0 sc1
	v_cmp_eq_u32_e32 vcc, 0, v2
	s_and_b64 vcc, vcc, exec
	s_or_b64 s[34:35], s[34:35], vcc
	s_mov_b64 vcc, -1
	s_or_b64 s[30:31], s[30:31], exec
	s_and_saveexec_b64 s[36:37], s[34:35]
	s_cbranch_execz .LBB5_751
.LBB5_755:                              ;   in Loop: Header=BB5_752 Depth=3
	s_sleep 1
	s_trap 2
	ds_read_b64 v[8:9], v0
	s_waitcnt lgkmcnt(0)
	s_andn2_b64 s[30:31], s[30:31], exec
	v_cmp_ge_u64_e32 vcc, v[8:9], v[38:39]
	s_orn2_b64 vcc, vcc, exec
	s_branch .LBB5_751
.LBB5_756:                              ;   in Loop: Header=BB5_296 Depth=2
	s_or_b64 exec, exec, s[90:91]
	s_xor_b64 s[12:13], s[92:93], -1
	s_and_saveexec_b64 s[26:27], s[12:13]
	s_xor_b64 s[26:27], exec, s[26:27]
	s_cbranch_execz .LBB5_758
; %bb.757:                              ;   in Loop: Header=BB5_296 Depth=2
	v_or_b32_e32 v58, 64, v58
	s_waitcnt lgkmcnt(0)
	ds_write_b32 v0, v9
	s_trap 2
.LBB5_758:                              ;   in Loop: Header=BB5_296 Depth=2
	s_or_b64 exec, exec, s[26:27]
.LBB5_759:                              ;   in Loop: Header=BB5_296 Depth=2
	s_or_b64 exec, exec, s[42:43]
	v_and_b32_e32 v9, 0x108, v58
	v_cmp_ne_u32_e32 vcc, s99, v9
	;;#ASMSTART
	s_wakeup
	;;#ASMEND
                                        ; implicit-def: $vgpr12_vgpr13
	s_and_saveexec_b64 s[12:13], vcc
	s_xor_b64 s[26:27], exec, s[12:13]
; %bb.760:                              ;   in Loop: Header=BB5_296 Depth=2
	v_and_b32_e32 v12, 7, v112
	v_mov_b32_e32 v13, v3
                                        ; implicit-def: $vgpr112_vgpr113
; %bb.761:                              ;   in Loop: Header=BB5_296 Depth=2
	s_andn2_saveexec_b64 s[26:27], s[26:27]
	s_cbranch_execz .LBB5_763
; %bb.762:                              ;   in Loop: Header=BB5_296 Depth=2
	v_and_b32_e32 v12, 7, v112
	v_ashrrev_i32_e32 v9, 31, v8
	v_mov_b32_e32 v13, v3
	v_mad_u64_u32 v[14:15], s[12:13], v12, 24, v[6:7]
	v_lshlrev_b64 v[16:17], 1, v[8:9]
	flat_store_dwordx2 v[14:15], v[16:17] offset:8
.LBB5_763:                              ;   in Loop: Header=BB5_296 Depth=2
	s_or_b64 exec, exec, s[26:27]
	v_and_b32_e32 v9, 0x100, v58
	v_cmp_ne_u32_e32 vcc, 0, v9
	s_mov_b64 s[26:27], -1
                                        ; implicit-def: $vgpr14_vgpr15
	s_and_saveexec_b64 s[42:43], vcc
	s_cbranch_execz .LBB5_767
; %bb.764:                              ;   in Loop: Header=BB5_296 Depth=2
	v_mad_u64_u32 v[16:17], s[12:13], v12, 24, v[6:7]
	v_mov_b32_e32 v14, v17
	v_mad_u64_u32 v[14:15], s[12:13], v13, 24, v[14:15]
	v_mov_b32_e32 v17, v14
	flat_load_dword v9, v[16:17]
                                        ; implicit-def: $vgpr14_vgpr15
	s_waitcnt vmcnt(0) lgkmcnt(0)
	v_cmp_ne_u32_e32 vcc, 1, v9
	v_cmp_eq_u32_e64 s[26:27], 1, v9
	s_and_saveexec_b64 s[90:91], s[26:27]
	s_cbranch_execz .LBB5_766
; %bb.765:                              ;   in Loop: Header=BB5_296 Depth=2
	flat_load_dword v14, v[16:17] offset:4 sc0 sc1
	s_waitcnt vmcnt(0) lgkmcnt(0)
	v_ashrrev_i32_e32 v15, 31, v14
	v_lshrrev_b64 v[14:15], 1, v[14:15]
.LBB5_766:                              ;   in Loop: Header=BB5_296 Depth=2
	s_or_b64 exec, exec, s[90:91]
	s_orn2_b64 s[26:27], vcc, exec
.LBB5_767:                              ;   in Loop: Header=BB5_296 Depth=2
	s_or_b64 exec, exec, s[42:43]
	s_and_saveexec_b64 s[42:43], s[26:27]
; %bb.768:                              ;   in Loop: Header=BB5_296 Depth=2
	v_mul_lo_u32 v9, v13, v30
	v_mul_lo_u32 v13, v12, v51
	v_mad_u64_u32 v[14:15], s[12:13], v12, v30, 0
	v_add3_u32 v15, v15, v13, v9
; %bb.769:                              ;   in Loop: Header=BB5_296 Depth=2
	s_or_b64 exec, exec, s[42:43]
	v_cmp_eq_u32_e32 vcc, 0, v2
	v_lshl_add_u64 v[12:13], v[14:15], 1, v[34:35]
	s_nop 0
	v_cndmask_b32_e32 v2, v72, v73, vcc
	v_add_u32_e32 v2, v0, v2
	ds_write_b64 v2, v[12:13] offset:584
	v_and_b32_e32 v2, 0x2000, v58
	v_cmp_ne_u32_e32 vcc, 0, v2
	s_and_saveexec_b64 s[26:27], vcc
	s_cbranch_execz .LBB5_771
; %bb.770:                              ;   in Loop: Header=BB5_296 Depth=2
	ds_read_b64 v[12:13], v0 offset:872
	s_waitcnt lgkmcnt(0)
	v_lshl_add_u64 v[12:13], v[12:13], 0, 1
	ds_write_b64 v0, v[12:13] offset:872
.LBB5_771:                              ;   in Loop: Header=BB5_296 Depth=2
	s_or_b64 exec, exec, s[26:27]
	v_mov_b64_e32 v[112:113], v[10:11]
	s_or_b64 exec, exec, s[40:41]
	s_and_saveexec_b64 s[26:27], s[6:7]
	s_cbranch_execz .LBB5_744
.LBB5_772:                              ;   in Loop: Header=BB5_296 Depth=2
	s_and_saveexec_b64 s[12:13], s[56:57]
	s_xor_b64 s[40:41], exec, s[12:13]
	s_cbranch_execz .LBB5_794
; %bb.773:                              ;   in Loop: Header=BB5_296 Depth=2
	s_and_saveexec_b64 s[42:43], s[14:15]
	s_cbranch_execz .LBB5_793
; %bb.774:                              ;   in Loop: Header=BB5_296 Depth=2
	s_mov_b64 s[92:93], exec
	v_mbcnt_lo_u32_b32 v2, s92, 0
	v_mbcnt_hi_u32_b32 v2, s93, v2
	v_cmp_eq_u32_e32 vcc, 0, v2
	s_waitcnt lgkmcnt(0)
	s_and_saveexec_b64 s[90:91], vcc
	s_cbranch_execz .LBB5_776
; %bb.775:                              ;   in Loop: Header=BB5_296 Depth=2
	s_bcnt1_i32_b64 s12, s[92:93]
	v_mov_b32_e32 v2, s12
	ds_add_u64 v0, v[2:3]
	s_trap 2
.LBB5_776:                              ;   in Loop: Header=BB5_296 Depth=2
	s_or_b64 exec, exec, s[90:91]
	s_trap 2
	ds_read_b64 v[10:11], v0
	s_waitcnt lgkmcnt(0)
	v_lshl_add_u64 v[38:39], v[38:39], 0, v[52:53]
	v_cmp_lt_u64_e32 vcc, v[10:11], v[38:39]
	s_and_saveexec_b64 s[90:91], vcc
	s_cbranch_execz .LBB5_792
; %bb.777:                              ;   in Loop: Header=BB5_296 Depth=2
	s_mov_b32 s12, 0
	s_mov_b64 s[92:93], 0
                                        ; implicit-def: $sgpr94_sgpr95
                                        ; implicit-def: $sgpr30_sgpr31
	s_branch .LBB5_779
.LBB5_778:                              ;   in Loop: Header=BB5_779 Depth=3
	s_or_b64 exec, exec, s[36:37]
	s_and_b64 vcc, exec, vcc
	s_or_b64 s[92:93], vcc, s[92:93]
	s_andn2_b64 s[94:95], s[94:95], exec
	s_and_b64 vcc, s[30:31], exec
	s_or_b64 s[94:95], s[94:95], vcc
	s_andn2_b64 exec, exec, s[92:93]
	s_cbranch_execz .LBB5_790
.LBB5_779:                              ;   Parent Loop BB5_47 Depth=1
                                        ;     Parent Loop BB5_296 Depth=2
                                        ; =>    This Inner Loop Header: Depth=3
	s_add_i32 s12, s12, 1
	s_cmpk_lg_i32 s12, 0x2710
	s_cselect_b64 s[34:35], -1, 0
	s_and_b64 vcc, exec, s[34:35]
	s_cbranch_vccz .LBB5_781
; %bb.780:                              ;   in Loop: Header=BB5_779 Depth=3
	s_mov_b64 vcc, -1
	s_or_b64 s[30:31], s[30:31], exec
	s_and_saveexec_b64 s[36:37], s[34:35]
	s_cbranch_execz .LBB5_778
	s_branch .LBB5_782
.LBB5_781:                              ;   in Loop: Header=BB5_779 Depth=3
	s_trap 2
	ds_read_b64 v[10:11], v0
	s_andn2_b64 s[34:35], s[34:35], exec
	s_mov_b32 s12, 0
	s_waitcnt vmcnt(0) lgkmcnt(0)
	flat_load_dword v2, v[10:11] sc0 sc1
	s_waitcnt vmcnt(0) lgkmcnt(0)
	buffer_inv sc0 sc1
	v_cmp_eq_u32_e32 vcc, 0, v2
	s_and_b64 vcc, vcc, exec
	s_or_b64 s[34:35], s[34:35], vcc
	s_mov_b64 vcc, -1
	s_or_b64 s[30:31], s[30:31], exec
	s_and_saveexec_b64 s[36:37], s[34:35]
	s_cbranch_execz .LBB5_778
.LBB5_782:                              ;   in Loop: Header=BB5_779 Depth=3
	s_sleep 1
	s_trap 2
	ds_read_b64 v[10:11], v0
	s_waitcnt lgkmcnt(0)
	s_andn2_b64 s[30:31], s[30:31], exec
	v_cmp_ge_u64_e32 vcc, v[10:11], v[38:39]
	s_orn2_b64 vcc, vcc, exec
	s_branch .LBB5_778
.LBB5_783:                              ;   in Loop: Header=BB5_296 Depth=2
	s_or_b64 exec, exec, s[92:93]
	s_and_saveexec_b64 s[12:13], s[94:95]
	s_xor_b64 s[12:13], exec, s[12:13]
	s_cbranch_execz .LBB5_785
; %bb.784:                              ;   in Loop: Header=BB5_296 Depth=2
	ds_write_b32 v0, v63
	s_trap 2
.LBB5_785:                              ;   in Loop: Header=BB5_296 Depth=2
	s_or_b64 exec, exec, s[90:91]
	;;#ASMSTART
	s_wakeup
	;;#ASMEND
.LBB5_786:                              ;   in Loop: Header=BB5_296 Depth=2
	s_or_b64 exec, exec, s[42:43]
.LBB5_787:                              ;   in Loop: Header=BB5_296 Depth=2
	s_andn2_saveexec_b64 s[40:41], s[40:41]
	s_cbranch_execz .LBB5_789
; %bb.788:                              ;   in Loop: Header=BB5_296 Depth=2
	;;#ASMSTART
	s_waitcnt lgkmcnt(0) vmcnt(0)
	;;#ASMEND
	s_barrier
.LBB5_789:                              ;   in Loop: Header=BB5_296 Depth=2
	s_or_b64 exec, exec, s[40:41]
	v_and_b32_e32 v2, 16, v58
                                        ; implicit-def: $vgpr8
	s_andn2_saveexec_b64 s[26:27], s[26:27]
	s_cbranch_execz .LBB5_801
	s_branch .LBB5_798
.LBB5_790:                              ;   in Loop: Header=BB5_296 Depth=2
	s_or_b64 exec, exec, s[92:93]
	s_and_saveexec_b64 s[12:13], s[94:95]
	s_xor_b64 s[12:13], exec, s[12:13]
	s_cbranch_execz .LBB5_792
; %bb.791:                              ;   in Loop: Header=BB5_296 Depth=2
	ds_write_b32 v0, v63
	s_trap 2
.LBB5_792:                              ;   in Loop: Header=BB5_296 Depth=2
	s_or_b64 exec, exec, s[90:91]
	;;#ASMSTART
	s_wakeup
	;;#ASMEND
.LBB5_793:                              ;   in Loop: Header=BB5_296 Depth=2
	s_or_b64 exec, exec, s[42:43]
.LBB5_794:                              ;   in Loop: Header=BB5_296 Depth=2
	s_andn2_saveexec_b64 s[40:41], s[40:41]
	s_cbranch_execz .LBB5_796
; %bb.795:                              ;   in Loop: Header=BB5_296 Depth=2
	s_waitcnt lgkmcnt(0)
	s_barrier
.LBB5_796:                              ;   in Loop: Header=BB5_296 Depth=2
	s_or_b64 exec, exec, s[40:41]
	s_or_b64 exec, exec, s[26:27]
                                        ; implicit-def: $vgpr2
	s_and_saveexec_b64 s[12:13], s[88:89]
	s_xor_b64 s[26:27], exec, s[12:13]
	s_cbranch_execnz .LBB5_745
.LBB5_797:                              ;   in Loop: Header=BB5_296 Depth=2
	s_andn2_saveexec_b64 s[26:27], s[26:27]
	s_cbranch_execz .LBB5_801
.LBB5_798:                              ;   in Loop: Header=BB5_296 Depth=2
	s_trap 2
	ds_read_b32 v9, v0
	v_cmp_lt_i32_e32 vcc, 0, v8
	v_and_b32_e32 v8, 16, v58
	v_and_b32_e32 v2, 16, v58
	s_waitcnt lgkmcnt(0)
	v_readfirstlane_b32 s12, v9
	s_cmp_eq_u32 s12, 0
	s_cselect_b64 s[12:13], -1, 0
	s_and_b64 s[12:13], vcc, s[12:13]
	v_cmp_ne_u32_e32 vcc, 0, v8
	s_and_b64 s[12:13], vcc, s[12:13]
	s_and_saveexec_b64 s[40:41], s[12:13]
	s_cbranch_execz .LBB5_800
; %bb.799:                              ;   in Loop: Header=BB5_296 Depth=2
	v_mov_b32_e32 v2, 1
	buffer_wbl2 sc1
	s_waitcnt vmcnt(0)
	buffer_inv sc1
.LBB5_800:                              ;   in Loop: Header=BB5_296 Depth=2
	s_or_b64 exec, exec, s[40:41]
.LBB5_801:                              ;   in Loop: Header=BB5_296 Depth=2
	s_or_b64 exec, exec, s[26:27]
	v_cmp_ne_u32_e32 vcc, 0, v2
	s_xor_b64 s[12:13], s[10:11], -1
	s_and_b64 s[12:13], vcc, s[12:13]
	s_and_saveexec_b64 s[26:27], s[12:13]
	s_cbranch_execz .LBB5_803
; %bb.802:                              ;   in Loop: Header=BB5_296 Depth=2
	flat_store_dword v[36:37], v63 sc0 sc1
.LBB5_803:                              ;   in Loop: Header=BB5_296 Depth=2
	s_or_b64 exec, exec, s[26:27]
	v_and_b32_e32 v2, 48, v58
	v_cmp_ne_u32_e32 vcc, 0, v2
	s_and_saveexec_b64 s[26:27], vcc
	s_cbranch_execz .LBB5_294
; %bb.804:                              ;   in Loop: Header=BB5_296 Depth=2
	v_lshl_add_u64 v[112:113], v[112:113], 0, 4
	flat_store_dwordx2 v[32:33], v[112:113] sc0 sc1
	s_branch .LBB5_294
.LBB5_805:                              ;   in Loop: Header=BB5_47 Depth=1
	v_mul_lo_u32 v2, v103, s54
	v_mul_lo_u32 v10, v102, s55
	v_mad_u64_u32 v[8:9], s[12:13], v102, s54, 0
	v_add3_u32 v9, v9, v10, v2
	v_sub_co_u32_e32 v10, vcc, v114, v8
	v_mov_b32_e32 v2, 0
	s_nop 0
	v_subb_co_u32_e32 v11, vcc, v115, v9, vcc
	v_cmp_lt_i64_e32 vcc, v[102:103], v[10:11]
	s_nop 1
	v_cndmask_b32_e32 v10, v10, v102, vcc
	v_max_i32_e32 v56, 0, v10
	v_add_u32_e32 v11, 15, v56
	v_ashrrev_i32_e32 v12, 31, v11
	v_lshrrev_b32_e32 v12, 28, v12
	v_add_u32_e32 v11, v11, v12
	v_cmp_gt_i32_e32 vcc, 1, v10
	v_and_b32_e32 v11, -16, v11
	s_or_b64 s[90:91], s[2:3], vcc
	v_max_i32_e32 v16, s67, v11
	s_xor_b64 s[12:13], s[90:91], -1
	s_and_saveexec_b64 s[92:93], s[12:13]
	s_cbranch_execz .LBB5_811
; %bb.806:                              ;   in Loop: Header=BB5_47 Depth=1
	s_and_saveexec_b64 s[26:27], s[0:1]
	s_cbranch_execz .LBB5_808
; %bb.807:                              ;   in Loop: Header=BB5_47 Depth=1
	s_trap 2
	ds_read2_b64 v[10:13], v0 offset1:1
	ds_read_b64 v[14:15], v0
	v_lshl_add_u64 v[8:9], v[8:9], 0, v[116:117]
	v_lshlrev_b64 v[8:9], 1, v[8:9]
	s_waitcnt lgkmcnt(0)
	v_lshl_add_u64 v[10:11], v[10:11], 0, v[8:9]
	ds_write_b64 v0, v[10:11]
	v_lshl_add_u64 v[10:11], v[12:13], 0, v[8:9]
	v_lshl_add_u64 v[8:9], v[14:15], 0, v[8:9]
	v_cmp_ne_u64_e32 vcc, 0, v[14:15]
	ds_write_b64 v0, v[10:11]
	s_nop 0
	v_cndmask_b32_e32 v9, 0, v9, vcc
	v_cndmask_b32_e32 v8, 0, v8, vcc
	ds_write_b64 v0, v[8:9]
.LBB5_808:                              ;   in Loop: Header=BB5_47 Depth=1
	s_or_b64 exec, exec, s[26:27]
	v_and_b32_e32 v2, 12, v58
	v_min_i32_e32 v16, v16, v56
	v_cmp_ne_u32_e32 vcc, 0, v2
	s_and_saveexec_b64 s[28:29], vcc
	s_cbranch_execz .LBB5_845
; %bb.809:                              ;   in Loop: Header=BB5_47 Depth=1
	v_and_b32_e32 v2, 8, v58
	s_waitcnt vmcnt(0) lgkmcnt(0)
	v_lshl_add_u64 v[10:11], v[48:49], 0, v[2:3]
	v_lshl_add_u64 v[8:9], v[112:113], 0, 4
	v_cmp_lt_u64_e32 vcc, v[10:11], v[8:9]
	s_and_saveexec_b64 s[40:41], vcc
	s_cbranch_execz .LBB5_832
; %bb.810:                              ;   in Loop: Header=BB5_47 Depth=1
	v_and_b32_e32 v10, 64, v58
	s_mov_b32 s45, 0
	v_cmp_eq_u32_e32 vcc, 0, v10
	s_mov_b64 s[42:43], 0
                                        ; implicit-def: $sgpr94_sgpr95
                                        ; implicit-def: $sgpr30_sgpr31
                                        ; implicit-def: $sgpr34_sgpr35
	s_branch .LBB5_818
.LBB5_811:                              ;   in Loop: Header=BB5_47 Depth=1
	s_or_b64 exec, exec, s[92:93]
	s_and_saveexec_b64 s[28:29], s[90:91]
	s_cbranch_execz .LBB5_1655
.LBB5_812:                              ;   in Loop: Header=BB5_47 Depth=1
	v_sub_u32_e32 v2, v56, v2
	v_min_i32_e32 v8, v16, v2
	v_and_b32_e32 v2, 12, v58
	v_cmp_ne_u32_e32 vcc, 0, v2
	s_and_saveexec_b64 s[40:41], vcc
	s_cbranch_execz .LBB5_873
; %bb.813:                              ;   in Loop: Header=BB5_47 Depth=1
	v_and_b32_e32 v2, 8, v58
	s_waitcnt vmcnt(0) lgkmcnt(0)
	v_lshl_add_u64 v[12:13], v[48:49], 0, v[2:3]
	v_lshl_add_u64 v[10:11], v[112:113], 0, 4
	v_cmp_lt_u64_e32 vcc, v[12:13], v[10:11]
	s_and_saveexec_b64 s[42:43], vcc
	s_cbranch_execz .LBB5_860
; %bb.814:                              ;   in Loop: Header=BB5_47 Depth=1
	v_and_b32_e32 v9, 64, v58
	s_mov_b32 s45, 0
	v_cmp_eq_u32_e32 vcc, 0, v9
	s_mov_b64 s[90:91], 0
                                        ; implicit-def: $sgpr92_sgpr93
                                        ; implicit-def: $sgpr94_sgpr95
                                        ; implicit-def: $sgpr30_sgpr31
	s_branch .LBB5_825
.LBB5_815:                              ;   in Loop: Header=BB5_818 Depth=2
	s_waitcnt vmcnt(0) lgkmcnt(0)
	v_lshl_add_u64 v[12:13], v[48:49], 0, v[2:3]
	v_cmp_ge_u64_e64 s[26:27], v[12:13], v[8:9]
	s_or_b64 s[48:49], s[48:49], exec
	s_orn2_b64 s[38:39], s[26:27], exec
.LBB5_816:                              ;   in Loop: Header=BB5_818 Depth=2
	s_or_b64 exec, exec, s[52:53]
	s_andn2_b64 s[12:13], s[34:35], exec
	s_and_b64 s[26:27], s[48:49], exec
	s_or_b64 s[34:35], s[12:13], s[26:27]
	s_andn2_b64 s[12:13], s[30:31], exec
	s_and_b64 s[26:27], s[38:39], exec
	s_or_b64 s[30:31], s[12:13], s[26:27]
.LBB5_817:                              ;   in Loop: Header=BB5_818 Depth=2
	s_or_b64 exec, exec, s[36:37]
	s_and_b64 s[12:13], exec, s[30:31]
	s_or_b64 s[42:43], s[12:13], s[42:43]
	s_andn2_b64 s[12:13], s[94:95], exec
	s_and_b64 s[26:27], s[34:35], exec
	s_or_b64 s[94:95], s[12:13], s[26:27]
	s_andn2_b64 exec, exec, s[42:43]
	s_cbranch_execz .LBB5_829
.LBB5_818:                              ;   Parent Loop BB5_47 Depth=1
                                        ; =>  This Inner Loop Header: Depth=2
	s_sleep 1
	s_waitcnt vmcnt(0) lgkmcnt(0)
	flat_load_dwordx2 v[48:49], v[32:33] sc0 sc1
	s_or_b64 s[34:35], s[34:35], exec
	s_or_b64 s[30:31], s[30:31], exec
                                        ; implicit-def: $vgpr10
	s_and_saveexec_b64 s[36:37], vcc
	s_cbranch_execz .LBB5_817
; %bb.819:                              ;   in Loop: Header=BB5_818 Depth=2
	s_cmpk_lt_i32 s45, 0x270f
	s_cselect_b64 s[50:51], -1, 0
	s_cmpk_gt_i32 s45, 0x270e
	s_mov_b64 s[38:39], -1
	s_cbranch_scc0 .LBB5_821
; %bb.820:                              ;   in Loop: Header=BB5_818 Depth=2
	s_trap 2
	ds_read_b64 v[10:11], v0
	s_andn2_b64 s[12:13], s[50:51], exec
	s_mov_b32 s45, 0
	s_mov_b64 s[48:49], 0
	s_waitcnt vmcnt(0) lgkmcnt(0)
	flat_load_dword v10, v[10:11] sc0 sc1
	s_waitcnt vmcnt(0) lgkmcnt(0)
	buffer_inv sc0 sc1
	v_cmp_eq_u32_e64 s[26:27], 0, v10
	s_and_b64 s[26:27], s[26:27], exec
	s_or_b64 s[50:51], s[12:13], s[26:27]
	s_and_saveexec_b64 s[52:53], s[50:51]
	s_cbranch_execz .LBB5_816
	s_branch .LBB5_815
.LBB5_821:                              ;   in Loop: Header=BB5_818 Depth=2
	s_add_i32 s45, s45, 1
	s_mov_b64 s[48:49], -1
                                        ; implicit-def: $vgpr10
	s_and_saveexec_b64 s[52:53], s[50:51]
	s_cbranch_execz .LBB5_816
	s_branch .LBB5_815
.LBB5_822:                              ;   in Loop: Header=BB5_825 Depth=2
	s_waitcnt vmcnt(0) lgkmcnt(0)
	v_lshl_add_u64 v[12:13], v[48:49], 0, v[2:3]
	v_cmp_ge_u64_e64 s[26:27], v[12:13], v[10:11]
	s_or_b64 s[38:39], s[38:39], exec
	s_orn2_b64 s[36:37], s[26:27], exec
.LBB5_823:                              ;   in Loop: Header=BB5_825 Depth=2
	s_or_b64 exec, exec, s[50:51]
	s_andn2_b64 s[12:13], s[30:31], exec
	s_and_b64 s[26:27], s[38:39], exec
	s_or_b64 s[30:31], s[12:13], s[26:27]
	s_andn2_b64 s[12:13], s[94:95], exec
	s_and_b64 s[26:27], s[36:37], exec
	s_or_b64 s[94:95], s[12:13], s[26:27]
.LBB5_824:                              ;   in Loop: Header=BB5_825 Depth=2
	s_or_b64 exec, exec, s[34:35]
	s_and_b64 s[12:13], exec, s[94:95]
	s_or_b64 s[90:91], s[12:13], s[90:91]
	s_andn2_b64 s[12:13], s[92:93], exec
	s_and_b64 s[26:27], s[30:31], exec
	s_or_b64 s[92:93], s[12:13], s[26:27]
	s_andn2_b64 exec, exec, s[90:91]
	s_cbranch_execz .LBB5_857
.LBB5_825:                              ;   Parent Loop BB5_47 Depth=1
                                        ; =>  This Inner Loop Header: Depth=2
	s_sleep 1
	s_waitcnt vmcnt(0) lgkmcnt(0)
	flat_load_dwordx2 v[48:49], v[32:33] sc0 sc1
	s_or_b64 s[30:31], s[30:31], exec
	s_or_b64 s[94:95], s[94:95], exec
                                        ; implicit-def: $vgpr9
	s_and_saveexec_b64 s[34:35], vcc
	s_cbranch_execz .LBB5_824
; %bb.826:                              ;   in Loop: Header=BB5_825 Depth=2
	s_cmpk_lt_i32 s45, 0x270f
	s_cselect_b64 s[48:49], -1, 0
	s_cmpk_gt_i32 s45, 0x270e
	s_mov_b64 s[36:37], -1
	s_cbranch_scc0 .LBB5_828
; %bb.827:                              ;   in Loop: Header=BB5_825 Depth=2
	s_trap 2
	ds_read_b64 v[12:13], v0
	s_andn2_b64 s[12:13], s[48:49], exec
	s_mov_b32 s45, 0
	s_mov_b64 s[38:39], 0
	s_waitcnt vmcnt(0) lgkmcnt(0)
	flat_load_dword v9, v[12:13] sc0 sc1
	s_waitcnt vmcnt(0) lgkmcnt(0)
	buffer_inv sc0 sc1
	v_cmp_eq_u32_e64 s[26:27], 0, v9
	s_and_b64 s[26:27], s[26:27], exec
	s_or_b64 s[48:49], s[12:13], s[26:27]
	s_and_saveexec_b64 s[50:51], s[48:49]
	s_cbranch_execz .LBB5_823
	s_branch .LBB5_822
.LBB5_828:                              ;   in Loop: Header=BB5_825 Depth=2
	s_add_i32 s45, s45, 1
	s_mov_b64 s[38:39], -1
                                        ; implicit-def: $vgpr9
	s_and_saveexec_b64 s[50:51], s[48:49]
	s_cbranch_execz .LBB5_823
	s_branch .LBB5_822
.LBB5_829:                              ;   in Loop: Header=BB5_47 Depth=1
	s_or_b64 exec, exec, s[42:43]
	s_xor_b64 s[12:13], s[94:95], -1
	s_and_saveexec_b64 s[26:27], s[12:13]
	s_xor_b64 s[26:27], exec, s[26:27]
	s_cbranch_execz .LBB5_831
; %bb.830:                              ;   in Loop: Header=BB5_47 Depth=1
	v_or_b32_e32 v58, 64, v58
	s_waitcnt lgkmcnt(0)
	ds_write_b32 v0, v10
	s_trap 2
.LBB5_831:                              ;   in Loop: Header=BB5_47 Depth=1
	s_or_b64 exec, exec, s[26:27]
.LBB5_832:                              ;   in Loop: Header=BB5_47 Depth=1
	s_or_b64 exec, exec, s[40:41]
	v_and_b32_e32 v10, 0x108, v58
	v_cmp_ne_u32_e32 vcc, s99, v10
	;;#ASMSTART
	s_wakeup
	;;#ASMEND
                                        ; implicit-def: $vgpr10_vgpr11
	s_and_saveexec_b64 s[12:13], vcc
	s_xor_b64 s[26:27], exec, s[12:13]
; %bb.833:                              ;   in Loop: Header=BB5_47 Depth=1
	v_and_b32_e32 v10, 7, v112
	v_mov_b32_e32 v11, v3
                                        ; implicit-def: $vgpr112_vgpr113
; %bb.834:                              ;   in Loop: Header=BB5_47 Depth=1
	s_andn2_saveexec_b64 s[26:27], s[26:27]
	s_cbranch_execz .LBB5_836
; %bb.835:                              ;   in Loop: Header=BB5_47 Depth=1
	v_and_b32_e32 v10, 7, v112
	v_ashrrev_i32_e32 v17, 31, v16
	v_mov_b32_e32 v11, v3
	v_mad_u64_u32 v[12:13], s[12:13], v10, 24, v[6:7]
	v_lshlrev_b64 v[14:15], 1, v[16:17]
	flat_store_dwordx2 v[12:13], v[14:15] offset:8
.LBB5_836:                              ;   in Loop: Header=BB5_47 Depth=1
	s_or_b64 exec, exec, s[26:27]
	v_and_b32_e32 v12, 0x100, v58
	v_cmp_ne_u32_e32 vcc, 0, v12
	s_mov_b64 s[26:27], -1
                                        ; implicit-def: $vgpr12_vgpr13
	s_and_saveexec_b64 s[40:41], vcc
	s_cbranch_execz .LBB5_840
; %bb.837:                              ;   in Loop: Header=BB5_47 Depth=1
	v_mad_u64_u32 v[14:15], s[12:13], v10, 24, v[6:7]
	v_mov_b32_e32 v12, v15
	v_mad_u64_u32 v[12:13], s[12:13], v11, 24, v[12:13]
	v_mov_b32_e32 v15, v12
	flat_load_dword v12, v[14:15]
	s_waitcnt vmcnt(0) lgkmcnt(0)
	v_cmp_ne_u32_e32 vcc, 1, v12
	v_cmp_eq_u32_e64 s[26:27], 1, v12
                                        ; implicit-def: $vgpr12_vgpr13
	s_and_saveexec_b64 s[42:43], s[26:27]
	s_cbranch_execz .LBB5_839
; %bb.838:                              ;   in Loop: Header=BB5_47 Depth=1
	flat_load_dword v12, v[14:15] offset:4 sc0 sc1
	s_waitcnt vmcnt(0) lgkmcnt(0)
	v_ashrrev_i32_e32 v13, 31, v12
	v_lshrrev_b64 v[12:13], 1, v[12:13]
.LBB5_839:                              ;   in Loop: Header=BB5_47 Depth=1
	s_or_b64 exec, exec, s[42:43]
	s_orn2_b64 s[26:27], vcc, exec
.LBB5_840:                              ;   in Loop: Header=BB5_47 Depth=1
	s_or_b64 exec, exec, s[40:41]
	s_and_saveexec_b64 s[40:41], s[26:27]
; %bb.841:                              ;   in Loop: Header=BB5_47 Depth=1
	v_mul_lo_u32 v11, v11, v30
	v_mul_lo_u32 v14, v10, v51
	v_mad_u64_u32 v[12:13], s[12:13], v10, v30, 0
	v_add3_u32 v13, v13, v14, v11
; %bb.842:                              ;   in Loop: Header=BB5_47 Depth=1
	s_or_b64 exec, exec, s[40:41]
	v_cmp_eq_u32_e32 vcc, 0, v2
	v_lshl_add_u64 v[10:11], v[12:13], 1, v[34:35]
	s_nop 0
	v_cndmask_b32_e32 v2, v76, v73, vcc
	v_add_u32_e32 v2, v0, v2
	ds_write_b64 v2, v[10:11] offset:584
	v_and_b32_e32 v2, 0x2000, v58
	v_cmp_ne_u32_e32 vcc, 0, v2
	s_and_saveexec_b64 s[26:27], vcc
	s_cbranch_execz .LBB5_844
; %bb.843:                              ;   in Loop: Header=BB5_47 Depth=1
	ds_read_b64 v[10:11], v0 offset:872
	s_waitcnt lgkmcnt(0)
	v_lshl_add_u64 v[10:11], v[10:11], 0, 1
	ds_write_b64 v0, v[10:11] offset:872
.LBB5_844:                              ;   in Loop: Header=BB5_47 Depth=1
	s_or_b64 exec, exec, s[26:27]
	v_mov_b64_e32 v[112:113], v[8:9]
.LBB5_845:                              ;   in Loop: Header=BB5_47 Depth=1
	s_or_b64 exec, exec, s[28:29]
	s_and_saveexec_b64 s[26:27], s[6:7]
	s_cbranch_execz .LBB5_892
; %bb.846:                              ;   in Loop: Header=BB5_47 Depth=1
	s_and_saveexec_b64 s[12:13], s[56:57]
	s_xor_b64 s[28:29], exec, s[12:13]
	s_cbranch_execz .LBB5_889
; %bb.847:                              ;   in Loop: Header=BB5_47 Depth=1
	s_and_saveexec_b64 s[40:41], s[14:15]
	s_cbranch_execz .LBB5_888
; %bb.848:                              ;   in Loop: Header=BB5_47 Depth=1
	s_mov_b64 s[94:95], exec
	v_mbcnt_lo_u32_b32 v2, s94, 0
	v_mbcnt_hi_u32_b32 v2, s95, v2
	v_cmp_eq_u32_e32 vcc, 0, v2
	s_waitcnt lgkmcnt(0)
	s_and_saveexec_b64 s[42:43], vcc
	s_cbranch_execz .LBB5_850
; %bb.849:                              ;   in Loop: Header=BB5_47 Depth=1
	s_bcnt1_i32_b64 s12, s[94:95]
	v_mov_b32_e32 v2, s12
	ds_add_u64 v0, v[2:3]
	s_trap 2
.LBB5_850:                              ;   in Loop: Header=BB5_47 Depth=1
	s_or_b64 exec, exec, s[42:43]
	s_trap 2
	ds_read_b64 v[8:9], v0
	s_waitcnt lgkmcnt(0)
	v_lshl_add_u64 v[38:39], v[38:39], 0, v[52:53]
	v_cmp_lt_u64_e32 vcc, v[8:9], v[38:39]
	s_and_saveexec_b64 s[42:43], vcc
	s_cbranch_execz .LBB5_887
; %bb.851:                              ;   in Loop: Header=BB5_47 Depth=1
	s_mov_b32 s12, 0
	s_mov_b64 s[94:95], 0
                                        ; implicit-def: $sgpr30_sgpr31
                                        ; implicit-def: $sgpr34_sgpr35
	s_branch .LBB5_853
.LBB5_852:                              ;   in Loop: Header=BB5_853 Depth=2
	s_or_b64 exec, exec, s[38:39]
	s_and_b64 vcc, exec, vcc
	s_or_b64 s[94:95], vcc, s[94:95]
	s_andn2_b64 vcc, s[30:31], exec
	s_and_b64 s[30:31], s[34:35], exec
	s_or_b64 s[30:31], vcc, s[30:31]
	s_andn2_b64 exec, exec, s[94:95]
	s_cbranch_execz .LBB5_885
.LBB5_853:                              ;   Parent Loop BB5_47 Depth=1
                                        ; =>  This Inner Loop Header: Depth=2
	s_add_i32 s12, s12, 1
	s_cmpk_lg_i32 s12, 0x2710
	s_cselect_b64 s[36:37], -1, 0
	s_and_b64 vcc, exec, s[36:37]
	s_cbranch_vccz .LBB5_855
; %bb.854:                              ;   in Loop: Header=BB5_853 Depth=2
	s_mov_b64 vcc, -1
	s_or_b64 s[34:35], s[34:35], exec
	s_and_saveexec_b64 s[38:39], s[36:37]
	s_cbranch_execz .LBB5_852
	s_branch .LBB5_856
.LBB5_855:                              ;   in Loop: Header=BB5_853 Depth=2
	s_trap 2
	ds_read_b64 v[8:9], v0
	s_andn2_b64 s[36:37], s[36:37], exec
	s_mov_b32 s12, 0
	s_waitcnt vmcnt(0) lgkmcnt(0)
	flat_load_dword v2, v[8:9] sc0 sc1
	s_waitcnt vmcnt(0) lgkmcnt(0)
	buffer_inv sc0 sc1
	v_cmp_eq_u32_e32 vcc, 0, v2
	s_and_b64 vcc, vcc, exec
	s_or_b64 s[36:37], s[36:37], vcc
	s_mov_b64 vcc, -1
	s_or_b64 s[34:35], s[34:35], exec
	s_and_saveexec_b64 s[38:39], s[36:37]
	s_cbranch_execz .LBB5_852
.LBB5_856:                              ;   in Loop: Header=BB5_853 Depth=2
	s_sleep 1
	s_trap 2
	ds_read_b64 v[8:9], v0
	s_waitcnt lgkmcnt(0)
	s_andn2_b64 s[34:35], s[34:35], exec
	v_cmp_ge_u64_e32 vcc, v[8:9], v[38:39]
	s_orn2_b64 vcc, vcc, exec
	s_branch .LBB5_852
.LBB5_857:                              ;   in Loop: Header=BB5_47 Depth=1
	s_or_b64 exec, exec, s[90:91]
	s_xor_b64 s[12:13], s[92:93], -1
	s_and_saveexec_b64 s[26:27], s[12:13]
	s_xor_b64 s[26:27], exec, s[26:27]
	s_cbranch_execz .LBB5_859
; %bb.858:                              ;   in Loop: Header=BB5_47 Depth=1
	v_or_b32_e32 v58, 64, v58
	s_waitcnt lgkmcnt(0)
	ds_write_b32 v0, v9
	s_trap 2
.LBB5_859:                              ;   in Loop: Header=BB5_47 Depth=1
	s_or_b64 exec, exec, s[26:27]
.LBB5_860:                              ;   in Loop: Header=BB5_47 Depth=1
	s_or_b64 exec, exec, s[42:43]
	v_and_b32_e32 v9, 0x108, v58
	v_cmp_ne_u32_e32 vcc, s99, v9
	;;#ASMSTART
	s_wakeup
	;;#ASMEND
                                        ; implicit-def: $vgpr12_vgpr13
	s_and_saveexec_b64 s[12:13], vcc
	s_xor_b64 s[26:27], exec, s[12:13]
; %bb.861:                              ;   in Loop: Header=BB5_47 Depth=1
	v_and_b32_e32 v12, 7, v112
	v_mov_b32_e32 v13, v3
                                        ; implicit-def: $vgpr112_vgpr113
; %bb.862:                              ;   in Loop: Header=BB5_47 Depth=1
	s_andn2_saveexec_b64 s[26:27], s[26:27]
	s_cbranch_execz .LBB5_864
; %bb.863:                              ;   in Loop: Header=BB5_47 Depth=1
	v_and_b32_e32 v12, 7, v112
	v_ashrrev_i32_e32 v9, 31, v8
	v_mov_b32_e32 v13, v3
	v_mad_u64_u32 v[14:15], s[12:13], v12, 24, v[6:7]
	v_lshlrev_b64 v[16:17], 1, v[8:9]
	flat_store_dwordx2 v[14:15], v[16:17] offset:8
.LBB5_864:                              ;   in Loop: Header=BB5_47 Depth=1
	s_or_b64 exec, exec, s[26:27]
	v_and_b32_e32 v9, 0x100, v58
	v_cmp_ne_u32_e32 vcc, 0, v9
	s_mov_b64 s[26:27], -1
                                        ; implicit-def: $vgpr14_vgpr15
	s_and_saveexec_b64 s[42:43], vcc
	s_cbranch_execz .LBB5_868
; %bb.865:                              ;   in Loop: Header=BB5_47 Depth=1
	v_mad_u64_u32 v[16:17], s[12:13], v12, 24, v[6:7]
	v_mov_b32_e32 v14, v17
	v_mad_u64_u32 v[14:15], s[12:13], v13, 24, v[14:15]
	v_mov_b32_e32 v17, v14
	flat_load_dword v9, v[16:17]
                                        ; implicit-def: $vgpr14_vgpr15
	s_waitcnt vmcnt(0) lgkmcnt(0)
	v_cmp_ne_u32_e32 vcc, 1, v9
	v_cmp_eq_u32_e64 s[26:27], 1, v9
	s_and_saveexec_b64 s[90:91], s[26:27]
	s_cbranch_execz .LBB5_867
; %bb.866:                              ;   in Loop: Header=BB5_47 Depth=1
	flat_load_dword v14, v[16:17] offset:4 sc0 sc1
	s_waitcnt vmcnt(0) lgkmcnt(0)
	v_ashrrev_i32_e32 v15, 31, v14
	v_lshrrev_b64 v[14:15], 1, v[14:15]
.LBB5_867:                              ;   in Loop: Header=BB5_47 Depth=1
	s_or_b64 exec, exec, s[90:91]
	s_orn2_b64 s[26:27], vcc, exec
.LBB5_868:                              ;   in Loop: Header=BB5_47 Depth=1
	s_or_b64 exec, exec, s[42:43]
	s_and_saveexec_b64 s[42:43], s[26:27]
; %bb.869:                              ;   in Loop: Header=BB5_47 Depth=1
	v_mul_lo_u32 v9, v13, v30
	v_mul_lo_u32 v13, v12, v51
	v_mad_u64_u32 v[14:15], s[12:13], v12, v30, 0
	v_add3_u32 v15, v15, v13, v9
; %bb.870:                              ;   in Loop: Header=BB5_47 Depth=1
	s_or_b64 exec, exec, s[42:43]
	v_cmp_eq_u32_e32 vcc, 0, v2
	v_lshl_add_u64 v[12:13], v[14:15], 1, v[34:35]
	s_nop 0
	v_cndmask_b32_e32 v2, v76, v73, vcc
	v_add_u32_e32 v2, v0, v2
	ds_write_b64 v2, v[12:13] offset:584
	v_and_b32_e32 v2, 0x2000, v58
	v_cmp_ne_u32_e32 vcc, 0, v2
	s_and_saveexec_b64 s[26:27], vcc
	s_cbranch_execz .LBB5_872
; %bb.871:                              ;   in Loop: Header=BB5_47 Depth=1
	ds_read_b64 v[12:13], v0 offset:872
	s_waitcnt lgkmcnt(0)
	v_lshl_add_u64 v[12:13], v[12:13], 0, 1
	ds_write_b64 v0, v[12:13] offset:872
.LBB5_872:                              ;   in Loop: Header=BB5_47 Depth=1
	s_or_b64 exec, exec, s[26:27]
	v_mov_b64_e32 v[112:113], v[10:11]
.LBB5_873:                              ;   in Loop: Header=BB5_47 Depth=1
	s_or_b64 exec, exec, s[40:41]
	s_and_saveexec_b64 s[26:27], s[6:7]
	s_cbranch_execz .LBB5_911
; %bb.874:                              ;   in Loop: Header=BB5_47 Depth=1
	s_and_saveexec_b64 s[12:13], s[56:57]
	s_xor_b64 s[40:41], exec, s[12:13]
	s_cbranch_execz .LBB5_908
; %bb.875:                              ;   in Loop: Header=BB5_47 Depth=1
	s_and_saveexec_b64 s[42:43], s[14:15]
	s_cbranch_execz .LBB5_907
; %bb.876:                              ;   in Loop: Header=BB5_47 Depth=1
	s_mov_b64 s[92:93], exec
	v_mbcnt_lo_u32_b32 v2, s92, 0
	v_mbcnt_hi_u32_b32 v2, s93, v2
	v_cmp_eq_u32_e32 vcc, 0, v2
	s_waitcnt lgkmcnt(0)
	s_and_saveexec_b64 s[90:91], vcc
	s_cbranch_execz .LBB5_878
; %bb.877:                              ;   in Loop: Header=BB5_47 Depth=1
	s_bcnt1_i32_b64 s12, s[92:93]
	v_mov_b32_e32 v2, s12
	ds_add_u64 v0, v[2:3]
	s_trap 2
.LBB5_878:                              ;   in Loop: Header=BB5_47 Depth=1
	s_or_b64 exec, exec, s[90:91]
	s_trap 2
	ds_read_b64 v[10:11], v0
	s_waitcnt lgkmcnt(0)
	v_lshl_add_u64 v[38:39], v[38:39], 0, v[52:53]
	v_cmp_lt_u64_e32 vcc, v[10:11], v[38:39]
	s_and_saveexec_b64 s[90:91], vcc
	s_cbranch_execz .LBB5_906
; %bb.879:                              ;   in Loop: Header=BB5_47 Depth=1
	s_mov_b32 s12, 0
	s_mov_b64 s[92:93], 0
                                        ; implicit-def: $sgpr94_sgpr95
                                        ; implicit-def: $sgpr30_sgpr31
	s_branch .LBB5_881
.LBB5_880:                              ;   in Loop: Header=BB5_881 Depth=2
	s_or_b64 exec, exec, s[36:37]
	s_and_b64 vcc, exec, vcc
	s_or_b64 s[92:93], vcc, s[92:93]
	s_andn2_b64 s[94:95], s[94:95], exec
	s_and_b64 vcc, s[30:31], exec
	s_or_b64 s[94:95], s[94:95], vcc
	s_andn2_b64 exec, exec, s[92:93]
	s_cbranch_execz .LBB5_904
.LBB5_881:                              ;   Parent Loop BB5_47 Depth=1
                                        ; =>  This Inner Loop Header: Depth=2
	s_add_i32 s12, s12, 1
	s_cmpk_lg_i32 s12, 0x2710
	s_cselect_b64 s[34:35], -1, 0
	s_and_b64 vcc, exec, s[34:35]
	s_cbranch_vccz .LBB5_883
; %bb.882:                              ;   in Loop: Header=BB5_881 Depth=2
	s_mov_b64 vcc, -1
	s_or_b64 s[30:31], s[30:31], exec
	s_and_saveexec_b64 s[36:37], s[34:35]
	s_cbranch_execz .LBB5_880
	s_branch .LBB5_884
.LBB5_883:                              ;   in Loop: Header=BB5_881 Depth=2
	s_trap 2
	ds_read_b64 v[10:11], v0
	s_andn2_b64 s[34:35], s[34:35], exec
	s_mov_b32 s12, 0
	s_waitcnt vmcnt(0) lgkmcnt(0)
	flat_load_dword v2, v[10:11] sc0 sc1
	s_waitcnt vmcnt(0) lgkmcnt(0)
	buffer_inv sc0 sc1
	v_cmp_eq_u32_e32 vcc, 0, v2
	s_and_b64 vcc, vcc, exec
	s_or_b64 s[34:35], s[34:35], vcc
	s_mov_b64 vcc, -1
	s_or_b64 s[30:31], s[30:31], exec
	s_and_saveexec_b64 s[36:37], s[34:35]
	s_cbranch_execz .LBB5_880
.LBB5_884:                              ;   in Loop: Header=BB5_881 Depth=2
	s_sleep 1
	s_trap 2
	ds_read_b64 v[10:11], v0
	s_waitcnt lgkmcnt(0)
	s_andn2_b64 s[30:31], s[30:31], exec
	v_cmp_ge_u64_e32 vcc, v[10:11], v[38:39]
	s_orn2_b64 vcc, vcc, exec
	s_branch .LBB5_880
.LBB5_885:                              ;   in Loop: Header=BB5_47 Depth=1
	s_or_b64 exec, exec, s[94:95]
	s_and_saveexec_b64 s[12:13], s[30:31]
	s_xor_b64 s[12:13], exec, s[12:13]
	s_cbranch_execz .LBB5_887
; %bb.886:                              ;   in Loop: Header=BB5_47 Depth=1
	ds_write_b32 v0, v63
	s_trap 2
.LBB5_887:                              ;   in Loop: Header=BB5_47 Depth=1
	s_or_b64 exec, exec, s[42:43]
	;;#ASMSTART
	s_wakeup
	;;#ASMEND
.LBB5_888:                              ;   in Loop: Header=BB5_47 Depth=1
	s_or_b64 exec, exec, s[40:41]
.LBB5_889:                              ;   in Loop: Header=BB5_47 Depth=1
	s_andn2_saveexec_b64 s[28:29], s[28:29]
	s_cbranch_execz .LBB5_891
; %bb.890:                              ;   in Loop: Header=BB5_47 Depth=1
	s_waitcnt lgkmcnt(0)
	s_barrier
.LBB5_891:                              ;   in Loop: Header=BB5_47 Depth=1
	s_or_b64 exec, exec, s[28:29]
.LBB5_892:                              ;   in Loop: Header=BB5_47 Depth=1
	s_or_b64 exec, exec, s[26:27]
	s_trap 2
	ds_read_b32 v8, v0
	v_and_b32_e32 v2, 0x4000, v58
	v_cmp_ne_u32_e32 vcc, 0, v2
	s_xor_b64 s[12:13], s[4:5], -1
	s_and_b64 s[12:13], s[12:13], vcc
	s_and_saveexec_b64 s[26:27], s[12:13]
	s_cbranch_execz .LBB5_934
; %bb.893:                              ;   in Loop: Header=BB5_47 Depth=1
	s_and_saveexec_b64 s[12:13], s[56:57]
	s_xor_b64 s[28:29], exec, s[12:13]
	s_cbranch_execz .LBB5_931
; %bb.894:                              ;   in Loop: Header=BB5_47 Depth=1
	s_and_saveexec_b64 s[40:41], s[14:15]
	s_cbranch_execz .LBB5_930
; %bb.895:                              ;   in Loop: Header=BB5_47 Depth=1
	s_mov_b64 s[94:95], exec
	v_mbcnt_lo_u32_b32 v2, s94, 0
	v_mbcnt_hi_u32_b32 v2, s95, v2
	v_cmp_eq_u32_e32 vcc, 0, v2
	s_waitcnt lgkmcnt(0)
	s_and_saveexec_b64 s[42:43], vcc
	s_cbranch_execz .LBB5_897
; %bb.896:                              ;   in Loop: Header=BB5_47 Depth=1
	s_bcnt1_i32_b64 s12, s[94:95]
	v_mov_b32_e32 v2, s12
	ds_add_u64 v0, v[2:3]
	s_trap 2
.LBB5_897:                              ;   in Loop: Header=BB5_47 Depth=1
	s_or_b64 exec, exec, s[42:43]
	s_trap 2
	ds_read_b64 v[10:11], v0
	s_waitcnt lgkmcnt(0)
	v_lshl_add_u64 v[38:39], v[38:39], 0, v[52:53]
	v_cmp_lt_u64_e32 vcc, v[10:11], v[38:39]
	s_and_saveexec_b64 s[42:43], vcc
	s_cbranch_execz .LBB5_929
; %bb.898:                              ;   in Loop: Header=BB5_47 Depth=1
	s_mov_b32 s12, 0
	s_mov_b64 s[94:95], 0
                                        ; implicit-def: $sgpr30_sgpr31
                                        ; implicit-def: $sgpr34_sgpr35
	s_branch .LBB5_900
.LBB5_899:                              ;   in Loop: Header=BB5_900 Depth=2
	s_or_b64 exec, exec, s[38:39]
	s_and_b64 vcc, exec, vcc
	s_or_b64 s[94:95], vcc, s[94:95]
	s_andn2_b64 vcc, s[30:31], exec
	s_and_b64 s[30:31], s[34:35], exec
	s_or_b64 s[30:31], vcc, s[30:31]
	s_andn2_b64 exec, exec, s[94:95]
	s_cbranch_execz .LBB5_927
.LBB5_900:                              ;   Parent Loop BB5_47 Depth=1
                                        ; =>  This Inner Loop Header: Depth=2
	s_add_i32 s12, s12, 1
	s_cmpk_lg_i32 s12, 0x2710
	s_cselect_b64 s[36:37], -1, 0
	s_and_b64 vcc, exec, s[36:37]
	s_cbranch_vccz .LBB5_902
; %bb.901:                              ;   in Loop: Header=BB5_900 Depth=2
	s_mov_b64 vcc, -1
	s_or_b64 s[34:35], s[34:35], exec
	s_and_saveexec_b64 s[38:39], s[36:37]
	s_cbranch_execz .LBB5_899
	s_branch .LBB5_903
.LBB5_902:                              ;   in Loop: Header=BB5_900 Depth=2
	s_trap 2
	ds_read_b64 v[10:11], v0
	s_andn2_b64 s[36:37], s[36:37], exec
	s_mov_b32 s12, 0
	s_waitcnt vmcnt(0) lgkmcnt(0)
	flat_load_dword v2, v[10:11] sc0 sc1
	s_waitcnt vmcnt(0) lgkmcnt(0)
	buffer_inv sc0 sc1
	v_cmp_eq_u32_e32 vcc, 0, v2
	s_and_b64 vcc, vcc, exec
	s_or_b64 s[36:37], s[36:37], vcc
	s_mov_b64 vcc, -1
	s_or_b64 s[34:35], s[34:35], exec
	s_and_saveexec_b64 s[38:39], s[36:37]
	s_cbranch_execz .LBB5_899
.LBB5_903:                              ;   in Loop: Header=BB5_900 Depth=2
	s_sleep 1
	s_trap 2
	ds_read_b64 v[10:11], v0
	s_waitcnt lgkmcnt(0)
	s_andn2_b64 s[34:35], s[34:35], exec
	v_cmp_ge_u64_e32 vcc, v[10:11], v[38:39]
	s_orn2_b64 vcc, vcc, exec
	s_branch .LBB5_899
.LBB5_904:                              ;   in Loop: Header=BB5_47 Depth=1
	s_or_b64 exec, exec, s[92:93]
	s_and_saveexec_b64 s[12:13], s[94:95]
	s_xor_b64 s[12:13], exec, s[12:13]
	s_cbranch_execz .LBB5_906
; %bb.905:                              ;   in Loop: Header=BB5_47 Depth=1
	ds_write_b32 v0, v63
	s_trap 2
.LBB5_906:                              ;   in Loop: Header=BB5_47 Depth=1
	s_or_b64 exec, exec, s[90:91]
	;;#ASMSTART
	s_wakeup
	;;#ASMEND
.LBB5_907:                              ;   in Loop: Header=BB5_47 Depth=1
	s_or_b64 exec, exec, s[42:43]
.LBB5_908:                              ;   in Loop: Header=BB5_47 Depth=1
	s_andn2_saveexec_b64 s[40:41], s[40:41]
	s_cbranch_execz .LBB5_910
; %bb.909:                              ;   in Loop: Header=BB5_47 Depth=1
	s_waitcnt lgkmcnt(0)
	s_barrier
.LBB5_910:                              ;   in Loop: Header=BB5_47 Depth=1
	s_or_b64 exec, exec, s[40:41]
.LBB5_911:                              ;   in Loop: Header=BB5_47 Depth=1
	s_or_b64 exec, exec, s[26:27]
	v_and_b32_e32 v9, 16, v58
	s_and_saveexec_b64 s[12:13], s[22:23]
	s_xor_b64 s[26:27], exec, s[12:13]
	s_cbranch_execz .LBB5_915
; %bb.912:                              ;   in Loop: Header=BB5_47 Depth=1
	s_trap 2
	ds_read_b32 v2, v0
	v_cmp_lt_i32_e32 vcc, 0, v8
	v_and_b32_e32 v8, 16, v58
	v_and_b32_e32 v9, 16, v58
	s_waitcnt lgkmcnt(0)
	v_readfirstlane_b32 s12, v2
	s_cmp_eq_u32 s12, 0
	s_cselect_b64 s[12:13], -1, 0
	s_and_b64 s[12:13], vcc, s[12:13]
	v_cmp_ne_u32_e32 vcc, 0, v8
	s_and_b64 s[12:13], vcc, s[12:13]
	s_and_saveexec_b64 s[40:41], s[12:13]
	s_cbranch_execz .LBB5_914
; %bb.913:                              ;   in Loop: Header=BB5_47 Depth=1
	v_mov_b32_e32 v9, 1
	buffer_wbl2 sc1
	s_waitcnt vmcnt(0)
	buffer_inv sc1
.LBB5_914:                              ;   in Loop: Header=BB5_47 Depth=1
	s_or_b64 exec, exec, s[40:41]
.LBB5_915:                              ;   in Loop: Header=BB5_47 Depth=1
	s_andn2_saveexec_b64 s[26:27], s[26:27]
	s_cbranch_execz .LBB5_1033
; %bb.916:                              ;   in Loop: Header=BB5_47 Depth=1
	s_and_saveexec_b64 s[12:13], s[56:57]
	s_xor_b64 s[40:41], exec, s[12:13]
	s_cbranch_execz .LBB5_1030
; %bb.917:                              ;   in Loop: Header=BB5_47 Depth=1
	s_and_saveexec_b64 s[42:43], s[14:15]
	s_cbranch_execz .LBB5_1029
; %bb.918:                              ;   in Loop: Header=BB5_47 Depth=1
	s_mov_b64 s[92:93], exec
	v_mbcnt_lo_u32_b32 v2, s92, 0
	v_mbcnt_hi_u32_b32 v2, s93, v2
	v_cmp_eq_u32_e32 vcc, 0, v2
	;;#ASMSTART
	s_waitcnt lgkmcnt(0) vmcnt(0)
	;;#ASMEND
	s_and_saveexec_b64 s[90:91], vcc
	s_cbranch_execz .LBB5_920
; %bb.919:                              ;   in Loop: Header=BB5_47 Depth=1
	s_bcnt1_i32_b64 s12, s[92:93]
	v_mov_b32_e32 v2, s12
	s_waitcnt lgkmcnt(0)
	ds_add_u64 v0, v[2:3]
	s_trap 2
.LBB5_920:                              ;   in Loop: Header=BB5_47 Depth=1
	s_or_b64 exec, exec, s[90:91]
	s_trap 2
	ds_read_b64 v[10:11], v0
	s_waitcnt lgkmcnt(0)
	v_lshl_add_u64 v[38:39], v[38:39], 0, v[52:53]
	v_cmp_lt_u64_e32 vcc, v[10:11], v[38:39]
	s_and_saveexec_b64 s[90:91], vcc
	s_cbranch_execz .LBB5_1028
; %bb.921:                              ;   in Loop: Header=BB5_47 Depth=1
	s_mov_b32 s12, 0
	s_mov_b64 s[92:93], 0
                                        ; implicit-def: $sgpr94_sgpr95
                                        ; implicit-def: $sgpr30_sgpr31
	s_branch .LBB5_923
.LBB5_922:                              ;   in Loop: Header=BB5_923 Depth=2
	s_or_b64 exec, exec, s[36:37]
	s_and_b64 vcc, exec, vcc
	s_or_b64 s[92:93], vcc, s[92:93]
	s_andn2_b64 s[94:95], s[94:95], exec
	s_and_b64 vcc, s[30:31], exec
	s_or_b64 s[94:95], s[94:95], vcc
	s_andn2_b64 exec, exec, s[92:93]
	s_cbranch_execz .LBB5_1026
.LBB5_923:                              ;   Parent Loop BB5_47 Depth=1
                                        ; =>  This Inner Loop Header: Depth=2
	s_add_i32 s12, s12, 1
	s_cmpk_lg_i32 s12, 0x2710
	s_cselect_b64 s[34:35], -1, 0
	s_and_b64 vcc, exec, s[34:35]
	s_cbranch_vccz .LBB5_925
; %bb.924:                              ;   in Loop: Header=BB5_923 Depth=2
	s_mov_b64 vcc, -1
	s_or_b64 s[30:31], s[30:31], exec
	s_and_saveexec_b64 s[36:37], s[34:35]
	s_cbranch_execz .LBB5_922
	s_branch .LBB5_926
.LBB5_925:                              ;   in Loop: Header=BB5_923 Depth=2
	s_trap 2
	ds_read_b64 v[10:11], v0
	s_andn2_b64 s[34:35], s[34:35], exec
	s_mov_b32 s12, 0
	s_waitcnt vmcnt(0) lgkmcnt(0)
	flat_load_dword v2, v[10:11] sc0 sc1
	s_waitcnt vmcnt(0) lgkmcnt(0)
	buffer_inv sc0 sc1
	v_cmp_eq_u32_e32 vcc, 0, v2
	s_and_b64 vcc, vcc, exec
	s_or_b64 s[34:35], s[34:35], vcc
	s_mov_b64 vcc, -1
	s_or_b64 s[30:31], s[30:31], exec
	s_and_saveexec_b64 s[36:37], s[34:35]
	s_cbranch_execz .LBB5_922
.LBB5_926:                              ;   in Loop: Header=BB5_923 Depth=2
	s_sleep 1
	s_trap 2
	ds_read_b64 v[10:11], v0
	s_waitcnt lgkmcnt(0)
	s_andn2_b64 s[30:31], s[30:31], exec
	v_cmp_ge_u64_e32 vcc, v[10:11], v[38:39]
	s_orn2_b64 vcc, vcc, exec
	s_branch .LBB5_922
.LBB5_927:                              ;   in Loop: Header=BB5_47 Depth=1
	s_or_b64 exec, exec, s[94:95]
	s_and_saveexec_b64 s[12:13], s[30:31]
	s_xor_b64 s[12:13], exec, s[12:13]
	s_cbranch_execz .LBB5_929
; %bb.928:                              ;   in Loop: Header=BB5_47 Depth=1
	ds_write_b32 v0, v63
	s_trap 2
.LBB5_929:                              ;   in Loop: Header=BB5_47 Depth=1
	s_or_b64 exec, exec, s[42:43]
	;;#ASMSTART
	s_wakeup
	;;#ASMEND
.LBB5_930:                              ;   in Loop: Header=BB5_47 Depth=1
	s_or_b64 exec, exec, s[40:41]
.LBB5_931:                              ;   in Loop: Header=BB5_47 Depth=1
	s_andn2_saveexec_b64 s[28:29], s[28:29]
	s_cbranch_execz .LBB5_933
; %bb.932:                              ;   in Loop: Header=BB5_47 Depth=1
	s_waitcnt lgkmcnt(0)
	s_barrier
.LBB5_933:                              ;   in Loop: Header=BB5_47 Depth=1
	s_or_b64 exec, exec, s[28:29]
.LBB5_934:                              ;   in Loop: Header=BB5_47 Depth=1
	s_or_b64 exec, exec, s[26:27]
	s_trap 2
	ds_read_b64 v[18:19], v0
	s_waitcnt lgkmcnt(0)
	v_cmp_eq_u64_e32 vcc, 0, v[18:19]
	s_cbranch_vccnz .LBB5_1023
; %bb.935:                              ;   in Loop: Header=BB5_47 Depth=1
	s_trap 2
	ds_read_b64 v[20:21], v0
	s_waitcnt lgkmcnt(0)
	v_cmp_eq_u64_e32 vcc, 0, v[20:21]
	s_cbranch_vccnz .LBB5_1023
; %bb.936:                              ;   in Loop: Header=BB5_47 Depth=1
	s_trap 2
	ds_read_b64 v[22:23], v0
	v_cmp_eq_u32_e32 vcc, 0, v8
	s_mov_b64 s[26:27], -1
	s_waitcnt lgkmcnt(0)
	v_readfirstlane_b32 s45, v22
	v_cndmask_b32_e32 v2, 0, v16, vcc
	v_cmp_ne_u64_e32 vcc, 0, v[22:23]
	v_lshlrev_b32_e32 v17, 1, v2
	s_cbranch_vccz .LBB5_1288
; %bb.937:                              ;   in Loop: Header=BB5_47 Depth=1
	s_and_saveexec_b64 s[28:29], s[20:21]
	s_cbranch_execz .LBB5_939
; %bb.938:                              ;   in Loop: Header=BB5_47 Depth=1
	ds_read_b32 v8, v0 offset:720
	s_waitcnt lgkmcnt(0)
	v_and_b32_e32 v8, 15, v8
	v_cmp_eq_u32_e32 vcc, 0, v8
	s_orn2_b64 s[26:27], vcc, exec
.LBB5_939:                              ;   in Loop: Header=BB5_47 Depth=1
	s_or_b64 exec, exec, s[28:29]
	s_and_saveexec_b64 s[28:29], s[20:21]
	s_cbranch_execz .LBB5_941
; %bb.940:                              ;   in Loop: Header=BB5_47 Depth=1
	ds_read_b32 v8, v0 offset:784
	s_waitcnt lgkmcnt(0)
	v_and_b32_e32 v8, 15, v8
	v_cmp_eq_u32_e32 vcc, 0, v8
	s_and_b64 s[12:13], s[26:27], vcc
	s_andn2_b64 s[26:27], s[26:27], exec
	s_and_b64 s[12:13], s[12:13], exec
	s_or_b64 s[26:27], s[26:27], s[12:13]
.LBB5_941:                              ;   in Loop: Header=BB5_47 Depth=1
	s_or_b64 exec, exec, s[28:29]
	s_xor_b64 s[12:13], s[26:27], -1
	v_cndmask_b32_e64 v8, 0, 1, s[12:13]
	s_mov_b64 s[28:29], -1
	v_cmp_ne_u32_e32 vcc, 0, v8
	s_cbranch_vccz .LBB5_1024
; %bb.942:                              ;   in Loop: Header=BB5_47 Depth=1
	s_and_b32 s52, s45, 1
	s_mov_b64 s[94:95], -1
	v_mov_b32_e32 v118, 0
	s_cbranch_execnz .LBB5_1025
.LBB5_943:                              ;   in Loop: Header=BB5_47 Depth=1
	v_ashrrev_i32_e32 v8, 31, v17
	v_lshrrev_b32_e32 v8, 22, v8
	v_add_u32_e32 v8, v17, v8
	v_and_b32_e32 v57, 0xfffffc00, v8
	s_trap 2
	ds_read_b64 v[42:43], v0
	v_ashrrev_i32_e32 v9, 10, v8
	v_sub_u32_e32 v78, v17, v57
	v_sub_u32_e32 v8, v9, v60
	v_cmp_lt_i32_e64 s[26:27], 15, v78
	v_sub_u32_e32 v88, v17, v54
	v_lshl_add_u64 v[118:119], v[20:21], 0, v[54:55]
	v_addc_co_u32_e64 v79, vcc, 0, v8, s[26:27]
	v_lshl_add_u64 v[40:41], v[22:23], 0, v[54:55]
	s_and_b32 s52, s45, 1
	v_cmp_lt_i32_e32 vcc, 15, v88
	s_mov_b64 s[28:29], 0
	s_and_saveexec_b64 s[30:31], vcc
	s_cbranch_execz .LBB5_1039
; %bb.944:                              ;   in Loop: Header=BB5_47 Depth=1
	s_and_b32 s12, 0xffff, s52
	s_cmp_eq_u32 s12, 0
	v_lshl_add_u64 v[44:45], v[18:19], 0, v[54:55]
	s_waitcnt lgkmcnt(0)
	v_lshl_add_u64 v[46:47], v[42:43], 0, v[54:55]
	s_mov_b64 s[38:39], 0
	s_mov_b64 s[34:35], 0
	s_cselect_b64 s[28:29], -1, 0
                                        ; implicit-def: $sgpr36_sgpr37
	s_branch .LBB5_946
.LBB5_945:                              ;   in Loop: Header=BB5_946 Depth=2
	s_or_b64 exec, exec, s[40:41]
	v_cmp_gt_i32_e32 vcc, 16, v88
	s_or_b64 s[34:35], vcc, s[34:35]
	s_andn2_b64 s[12:13], s[36:37], exec
	s_and_b64 s[40:41], s[38:39], exec
	s_or_b64 s[36:37], s[12:13], s[40:41]
	s_andn2_b64 exec, exec, s[34:35]
	s_cbranch_execz .LBB5_1038
.LBB5_946:                              ;   Parent Loop BB5_47 Depth=1
                                        ; =>  This Loop Header: Depth=2
                                        ;       Child Loop BB5_947 Depth 3
                                        ;       Child Loop BB5_982 Depth 3
	;; [unrolled: 1-line block ×4, first 2 shown]
	s_add_i32 s13, s33, 0xa0
	s_mov_b32 s12, s13
	s_mov_b64 s[42:43], -1
	s_mov_b64 s[40:41], 0
.LBB5_947:                              ;   Parent Loop BB5_47 Depth=1
                                        ;     Parent Loop BB5_946 Depth=2
                                        ; =>    This Inner Loop Header: Depth=3
	s_cmp_eq_u32 s40, 1
	s_cselect_b64 vcc, -1, 0
	v_cndmask_b32_e32 v13, v45, v47, vcc
	v_cndmask_b32_e32 v12, v44, v46, vcc
	global_load_dwordx4 v[8:11], v[12:13], off nt
	s_cmp_eq_u32 s40, 0
	s_cselect_b64 s[40:41], -1, 0
	s_waitcnt vmcnt(0)
	scratch_store_dwordx4 off, v[8:11], s12
	s_nop 1
	v_lshl_add_u64 v[8:9], v[12:13], 0, s[60:61]
	v_cndmask_b32_e64 v45, v45, v9, s[40:41]
	v_cndmask_b32_e64 v44, v44, v8, s[40:41]
	v_cndmask_b32_e32 v47, v47, v9, vcc
	v_cndmask_b32_e32 v46, v46, v8, vcc
	s_mov_b64 s[40:41], 1
	s_and_b64 vcc, exec, s[42:43]
	s_mov_b64 s[42:43], 0
	s_mov_b32 s12, s81
	s_cbranch_vccnz .LBB5_947
; %bb.948:                              ;   in Loop: Header=BB5_946 Depth=2
	s_and_saveexec_b64 s[48:49], s[38:39]
	s_cbranch_execz .LBB5_984
; %bb.949:                              ;   in Loop: Header=BB5_946 Depth=2
	scratch_load_dwordx4 v[8:11], off, s33 offset:192
	scratch_load_dwordx4 v[12:15], off, s33 offset:208
	s_waitcnt vmcnt(1)
	v_lshlrev_b32_e32 v89, 16, v8
	s_waitcnt vmcnt(0)
	v_lshlrev_b32_e32 v90, 16, v12
	v_max_f32_e32 v90, v90, v90
	v_max_f32_e32 v89, v89, v89
	v_min_f32_e32 v91, v89, v90
	v_max_f32_e32 v89, v89, v90
	v_cndmask_b32_e64 v90, v89, v91, s[28:29]
	v_and_b32_e32 v89, 0x7f800000, v90
	v_cmp_ne_u32_e32 vcc, s46, v89
                                        ; implicit-def: $vgpr89
	s_and_saveexec_b64 s[12:13], vcc
	s_xor_b64 s[40:41], exec, s[12:13]
; %bb.950:                              ;   in Loop: Header=BB5_946 Depth=2
	v_bfe_u32 v89, v90, 16, 1
	v_add3_u32 v89, v90, v89, s47
                                        ; implicit-def: $vgpr90
; %bb.951:                              ;   in Loop: Header=BB5_946 Depth=2
	s_andn2_saveexec_b64 s[40:41], s[40:41]
; %bb.952:                              ;   in Loop: Header=BB5_946 Depth=2
	v_or_b32_e32 v89, 0x10000, v90
	v_cmp_eq_u32_sdwa vcc, v90, v3 src0_sel:WORD_0 src1_sel:DWORD
	s_nop 1
	v_cndmask_b32_e32 v89, v89, v90, vcc
; %bb.953:                              ;   in Loop: Header=BB5_946 Depth=2
	s_or_b64 exec, exec, s[40:41]
	v_and_b32_e32 v8, 0xffff0000, v8
	v_and_b32_e32 v12, 0xffff0000, v12
	v_max_f32_e32 v12, v12, v12
	v_max_f32_e32 v8, v8, v8
	v_min_f32_e32 v90, v8, v12
	v_max_f32_e32 v8, v8, v12
	v_cndmask_b32_e64 v12, v8, v90, s[28:29]
	v_and_b32_e32 v8, 0x7f800000, v12
	v_cmp_ne_u32_e32 vcc, s46, v8
                                        ; implicit-def: $vgpr8
	s_and_saveexec_b64 s[12:13], vcc
	s_xor_b64 s[40:41], exec, s[12:13]
; %bb.954:                              ;   in Loop: Header=BB5_946 Depth=2
	v_bfe_u32 v8, v12, 16, 1
	v_add3_u32 v8, v12, v8, s47
                                        ; implicit-def: $vgpr12
; %bb.955:                              ;   in Loop: Header=BB5_946 Depth=2
	s_andn2_saveexec_b64 s[40:41], s[40:41]
; %bb.956:                              ;   in Loop: Header=BB5_946 Depth=2
	v_or_b32_e32 v8, 0x10000, v12
	v_cmp_eq_u32_sdwa vcc, v12, v3 src0_sel:WORD_0 src1_sel:DWORD
	s_nop 1
	v_cndmask_b32_e32 v8, v8, v12, vcc
; %bb.957:                              ;   in Loop: Header=BB5_946 Depth=2
	s_or_b64 exec, exec, s[40:41]
	v_lshlrev_b32_e32 v12, 16, v9
	v_lshlrev_b32_e32 v90, 16, v13
	v_max_f32_e32 v90, v90, v90
	v_max_f32_e32 v12, v12, v12
	v_min_f32_e32 v91, v12, v90
	v_max_f32_e32 v12, v12, v90
	v_cndmask_b32_e64 v90, v12, v91, s[28:29]
	v_and_b32_e32 v12, 0x7f800000, v90
	v_cmp_ne_u32_e32 vcc, s46, v12
                                        ; implicit-def: $vgpr12
	s_and_saveexec_b64 s[12:13], vcc
	s_xor_b64 s[40:41], exec, s[12:13]
; %bb.958:                              ;   in Loop: Header=BB5_946 Depth=2
	v_bfe_u32 v12, v90, 16, 1
	v_add3_u32 v12, v90, v12, s47
                                        ; implicit-def: $vgpr90
; %bb.959:                              ;   in Loop: Header=BB5_946 Depth=2
	s_andn2_saveexec_b64 s[40:41], s[40:41]
; %bb.960:                              ;   in Loop: Header=BB5_946 Depth=2
	v_or_b32_e32 v12, 0x10000, v90
	v_cmp_eq_u32_sdwa vcc, v90, v3 src0_sel:WORD_0 src1_sel:DWORD
	s_nop 1
	v_cndmask_b32_e32 v12, v12, v90, vcc
; %bb.961:                              ;   in Loop: Header=BB5_946 Depth=2
	s_or_b64 exec, exec, s[40:41]
	v_and_b32_e32 v9, 0xffff0000, v9
	v_and_b32_e32 v13, 0xffff0000, v13
	v_max_f32_e32 v13, v13, v13
	v_max_f32_e32 v9, v9, v9
	v_min_f32_e32 v90, v9, v13
	v_max_f32_e32 v9, v9, v13
	v_cndmask_b32_e64 v13, v9, v90, s[28:29]
	v_and_b32_e32 v9, 0x7f800000, v13
	v_cmp_ne_u32_e32 vcc, s46, v9
                                        ; implicit-def: $vgpr9
	s_and_saveexec_b64 s[12:13], vcc
	s_xor_b64 s[40:41], exec, s[12:13]
; %bb.962:                              ;   in Loop: Header=BB5_946 Depth=2
	v_bfe_u32 v9, v13, 16, 1
	v_add3_u32 v9, v13, v9, s47
                                        ; implicit-def: $vgpr13
; %bb.963:                              ;   in Loop: Header=BB5_946 Depth=2
	s_andn2_saveexec_b64 s[40:41], s[40:41]
; %bb.964:                              ;   in Loop: Header=BB5_946 Depth=2
	v_or_b32_e32 v9, 0x10000, v13
	v_cmp_eq_u32_sdwa vcc, v13, v3 src0_sel:WORD_0 src1_sel:DWORD
	s_nop 1
	v_cndmask_b32_e32 v9, v9, v13, vcc
; %bb.965:                              ;   in Loop: Header=BB5_946 Depth=2
	s_or_b64 exec, exec, s[40:41]
	v_lshlrev_b32_e32 v13, 16, v10
	v_lshlrev_b32_e32 v90, 16, v14
	v_max_f32_e32 v90, v90, v90
	v_max_f32_e32 v13, v13, v13
	v_min_f32_e32 v91, v13, v90
	v_max_f32_e32 v13, v13, v90
	v_cndmask_b32_e64 v90, v13, v91, s[28:29]
	v_and_b32_e32 v13, 0x7f800000, v90
	v_cmp_ne_u32_e32 vcc, s46, v13
                                        ; implicit-def: $vgpr13
	s_and_saveexec_b64 s[12:13], vcc
	s_xor_b64 s[40:41], exec, s[12:13]
; %bb.966:                              ;   in Loop: Header=BB5_946 Depth=2
	v_bfe_u32 v13, v90, 16, 1
	v_add3_u32 v13, v90, v13, s47
                                        ; implicit-def: $vgpr90
; %bb.967:                              ;   in Loop: Header=BB5_946 Depth=2
	s_andn2_saveexec_b64 s[40:41], s[40:41]
; %bb.968:                              ;   in Loop: Header=BB5_946 Depth=2
	v_or_b32_e32 v13, 0x10000, v90
	v_cmp_eq_u32_sdwa vcc, v90, v3 src0_sel:WORD_0 src1_sel:DWORD
	s_nop 1
	v_cndmask_b32_e32 v13, v13, v90, vcc
; %bb.969:                              ;   in Loop: Header=BB5_946 Depth=2
	s_or_b64 exec, exec, s[40:41]
	v_and_b32_e32 v10, 0xffff0000, v10
	v_and_b32_e32 v14, 0xffff0000, v14
	v_max_f32_e32 v14, v14, v14
	v_max_f32_e32 v10, v10, v10
	v_min_f32_e32 v90, v10, v14
	v_max_f32_e32 v10, v10, v14
	v_cndmask_b32_e64 v14, v10, v90, s[28:29]
	v_and_b32_e32 v10, 0x7f800000, v14
	v_cmp_ne_u32_e32 vcc, s46, v10
                                        ; implicit-def: $vgpr10
	s_and_saveexec_b64 s[12:13], vcc
	s_xor_b64 s[40:41], exec, s[12:13]
; %bb.970:                              ;   in Loop: Header=BB5_946 Depth=2
	v_bfe_u32 v10, v14, 16, 1
	v_add3_u32 v10, v14, v10, s47
                                        ; implicit-def: $vgpr14
; %bb.971:                              ;   in Loop: Header=BB5_946 Depth=2
	s_andn2_saveexec_b64 s[40:41], s[40:41]
; %bb.972:                              ;   in Loop: Header=BB5_946 Depth=2
	v_or_b32_e32 v10, 0x10000, v14
	v_cmp_eq_u32_sdwa vcc, v14, v3 src0_sel:WORD_0 src1_sel:DWORD
	s_nop 1
	v_cndmask_b32_e32 v10, v10, v14, vcc
; %bb.973:                              ;   in Loop: Header=BB5_946 Depth=2
	s_or_b64 exec, exec, s[40:41]
	v_lshlrev_b32_e32 v14, 16, v11
	v_lshlrev_b32_e32 v90, 16, v15
	v_max_f32_e32 v90, v90, v90
	v_max_f32_e32 v14, v14, v14
	v_min_f32_e32 v91, v14, v90
	v_max_f32_e32 v14, v14, v90
	v_cndmask_b32_e64 v90, v14, v91, s[28:29]
	v_and_b32_e32 v14, 0x7f800000, v90
	v_cmp_ne_u32_e32 vcc, s46, v14
                                        ; implicit-def: $vgpr14
	s_and_saveexec_b64 s[12:13], vcc
	s_xor_b64 s[40:41], exec, s[12:13]
; %bb.974:                              ;   in Loop: Header=BB5_946 Depth=2
	v_bfe_u32 v14, v90, 16, 1
	v_add3_u32 v14, v90, v14, s47
                                        ; implicit-def: $vgpr90
; %bb.975:                              ;   in Loop: Header=BB5_946 Depth=2
	s_andn2_saveexec_b64 s[40:41], s[40:41]
; %bb.976:                              ;   in Loop: Header=BB5_946 Depth=2
	v_or_b32_e32 v14, 0x10000, v90
	v_cmp_eq_u32_sdwa vcc, v90, v3 src0_sel:WORD_0 src1_sel:DWORD
	s_nop 1
	v_cndmask_b32_e32 v14, v14, v90, vcc
; %bb.977:                              ;   in Loop: Header=BB5_946 Depth=2
	s_or_b64 exec, exec, s[40:41]
	v_and_b32_e32 v11, 0xffff0000, v11
	v_and_b32_e32 v15, 0xffff0000, v15
	v_max_f32_e32 v15, v15, v15
	v_max_f32_e32 v11, v11, v11
	v_min_f32_e32 v90, v11, v15
	v_max_f32_e32 v11, v11, v15
	v_cndmask_b32_e64 v15, v11, v90, s[28:29]
	v_and_b32_e32 v11, 0x7f800000, v15
	v_cmp_ne_u32_e32 vcc, s46, v11
                                        ; implicit-def: $vgpr11
	s_and_saveexec_b64 s[12:13], vcc
	s_xor_b64 s[40:41], exec, s[12:13]
; %bb.978:                              ;   in Loop: Header=BB5_946 Depth=2
	v_bfe_u32 v11, v15, 16, 1
	v_add3_u32 v11, v15, v11, s47
                                        ; implicit-def: $vgpr15
; %bb.979:                              ;   in Loop: Header=BB5_946 Depth=2
	s_andn2_saveexec_b64 s[40:41], s[40:41]
; %bb.980:                              ;   in Loop: Header=BB5_946 Depth=2
	v_or_b32_e32 v11, 0x10000, v15
	v_cmp_eq_u32_sdwa vcc, v15, v3 src0_sel:WORD_0 src1_sel:DWORD
	s_nop 1
	v_cndmask_b32_e32 v11, v11, v15, vcc
; %bb.981:                              ;   in Loop: Header=BB5_946 Depth=2
	s_or_b64 exec, exec, s[40:41]
	v_lshrrev_b32_e32 v12, 16, v12
	v_and_or_b32 v9, v9, s44, v12
	v_lshrrev_b32_e32 v12, 16, v89
	v_and_or_b32 v8, v8, s44, v12
	;; [unrolled: 2-line block ×4, first 2 shown]
	s_mov_b64 s[50:51], 0
	s_mov_b64 s[38:39], -1
	scratch_store_dwordx4 off, v[8:11], s33 offset:192
.LBB5_982:                              ;   Parent Loop BB5_47 Depth=1
                                        ;     Parent Loop BB5_946 Depth=2
                                        ; =>    This Inner Loop Header: Depth=3
	s_cmp_eq_u32 s50, 1
	s_cselect_b64 vcc, -1, 0
	v_cndmask_b32_e32 v13, v119, v41, vcc
	s_cmp_eq_u32 s50, 0
	v_cndmask_b32_e32 v12, v118, v40, vcc
	global_store_dwordx4 v[12:13], v[8:11], off
	v_lshl_add_u64 v[12:13], v[12:13], 0, s[60:61]
	s_cselect_b64 s[40:41], -1, 0
	s_and_b64 s[42:43], exec, s[38:39]
	s_mov_b64 s[50:51], 1
	s_mov_b64 s[38:39], 0
	v_cndmask_b32_e32 v41, v41, v13, vcc
	v_cndmask_b32_e32 v40, v40, v12, vcc
	v_cndmask_b32_e64 v119, v119, v13, s[40:41]
	v_cndmask_b32_e64 v118, v118, v12, s[40:41]
	s_mov_b64 vcc, s[42:43]
	s_cbranch_vccnz .LBB5_982
; %bb.983:                              ;   in Loop: Header=BB5_946 Depth=2
	v_lshl_add_u64 v[118:119], v[118:119], 0, v[80:81]
	v_lshl_add_u64 v[40:41], v[40:41], 0, v[80:81]
.LBB5_984:                              ;   in Loop: Header=BB5_946 Depth=2
	s_or_b64 exec, exec, s[48:49]
	v_sub_u32_e32 v88, v88, v61
	v_lshl_add_u64 v[44:45], v[44:45], 0, v[80:81]
	v_lshl_add_u64 v[46:47], v[46:47], 0, v[80:81]
	v_cmp_lt_i32_e64 s[38:39], 15, v88
	s_and_saveexec_b64 s[42:43], s[38:39]
	s_cbranch_execz .LBB5_987
; %bb.985:                              ;   in Loop: Header=BB5_946 Depth=2
	s_add_i32 s13, s33, 0xc0
	s_mov_b32 s12, s13
	s_mov_b64 s[40:41], 0
	s_mov_b64 s[48:49], -1
.LBB5_986:                              ;   Parent Loop BB5_47 Depth=1
                                        ;     Parent Loop BB5_946 Depth=2
                                        ; =>    This Inner Loop Header: Depth=3
	s_cmp_eq_u32 s40, 1
	s_cselect_b64 vcc, -1, 0
	v_cndmask_b32_e32 v13, v45, v47, vcc
	v_cndmask_b32_e32 v12, v44, v46, vcc
	global_load_dwordx4 v[8:11], v[12:13], off nt
	s_cmp_eq_u32 s40, 0
	s_cselect_b64 s[40:41], -1, 0
	s_waitcnt vmcnt(0)
	scratch_store_dwordx4 off, v[8:11], s12
	s_nop 1
	v_lshl_add_u64 v[8:9], v[12:13], 0, s[60:61]
	v_cndmask_b32_e64 v45, v45, v9, s[40:41]
	v_cndmask_b32_e64 v44, v44, v8, s[40:41]
	v_cndmask_b32_e32 v47, v47, v9, vcc
	v_cndmask_b32_e32 v46, v46, v8, vcc
	s_mov_b64 s[40:41], 1
	s_and_b64 vcc, exec, s[48:49]
	s_mov_b64 s[48:49], 0
	s_mov_b32 s12, s80
	s_cbranch_vccnz .LBB5_986
.LBB5_987:                              ;   in Loop: Header=BB5_946 Depth=2
	s_or_b64 exec, exec, s[42:43]
	scratch_load_dwordx4 v[8:11], off, s33 offset:160
	scratch_load_dwordx4 v[12:15], off, s33 offset:176
	s_waitcnt vmcnt(1)
	v_lshlrev_b32_e32 v89, 16, v8
	s_waitcnt vmcnt(0)
	v_lshlrev_b32_e32 v90, 16, v12
	v_max_f32_e32 v90, v90, v90
	v_max_f32_e32 v89, v89, v89
	v_min_f32_e32 v91, v89, v90
	v_max_f32_e32 v89, v89, v90
	v_cndmask_b32_e64 v90, v89, v91, s[28:29]
	v_and_b32_e32 v89, 0x7f800000, v90
	v_cmp_ne_u32_e32 vcc, s46, v89
                                        ; implicit-def: $vgpr89
	s_and_saveexec_b64 s[12:13], vcc
	s_xor_b64 s[40:41], exec, s[12:13]
; %bb.988:                              ;   in Loop: Header=BB5_946 Depth=2
	v_bfe_u32 v89, v90, 16, 1
	v_add3_u32 v89, v90, v89, s47
                                        ; implicit-def: $vgpr90
; %bb.989:                              ;   in Loop: Header=BB5_946 Depth=2
	s_andn2_saveexec_b64 s[40:41], s[40:41]
; %bb.990:                              ;   in Loop: Header=BB5_946 Depth=2
	v_or_b32_e32 v89, 0x10000, v90
	v_cmp_eq_u32_sdwa vcc, v90, v3 src0_sel:WORD_0 src1_sel:DWORD
	s_nop 1
	v_cndmask_b32_e32 v89, v89, v90, vcc
; %bb.991:                              ;   in Loop: Header=BB5_946 Depth=2
	s_or_b64 exec, exec, s[40:41]
	v_and_b32_e32 v8, 0xffff0000, v8
	v_and_b32_e32 v12, 0xffff0000, v12
	v_max_f32_e32 v12, v12, v12
	v_max_f32_e32 v8, v8, v8
	v_min_f32_e32 v90, v8, v12
	v_max_f32_e32 v8, v8, v12
	v_cndmask_b32_e64 v12, v8, v90, s[28:29]
	v_and_b32_e32 v8, 0x7f800000, v12
	v_cmp_ne_u32_e32 vcc, s46, v8
                                        ; implicit-def: $vgpr8
	s_and_saveexec_b64 s[12:13], vcc
	s_xor_b64 s[40:41], exec, s[12:13]
; %bb.992:                              ;   in Loop: Header=BB5_946 Depth=2
	v_bfe_u32 v8, v12, 16, 1
	v_add3_u32 v8, v12, v8, s47
                                        ; implicit-def: $vgpr12
; %bb.993:                              ;   in Loop: Header=BB5_946 Depth=2
	s_andn2_saveexec_b64 s[40:41], s[40:41]
; %bb.994:                              ;   in Loop: Header=BB5_946 Depth=2
	v_or_b32_e32 v8, 0x10000, v12
	v_cmp_eq_u32_sdwa vcc, v12, v3 src0_sel:WORD_0 src1_sel:DWORD
	s_nop 1
	v_cndmask_b32_e32 v8, v8, v12, vcc
; %bb.995:                              ;   in Loop: Header=BB5_946 Depth=2
	s_or_b64 exec, exec, s[40:41]
	v_lshlrev_b32_e32 v12, 16, v9
	v_lshlrev_b32_e32 v90, 16, v13
	v_max_f32_e32 v90, v90, v90
	v_max_f32_e32 v12, v12, v12
	v_min_f32_e32 v91, v12, v90
	v_max_f32_e32 v12, v12, v90
	v_cndmask_b32_e64 v90, v12, v91, s[28:29]
	v_and_b32_e32 v12, 0x7f800000, v90
	v_cmp_ne_u32_e32 vcc, s46, v12
                                        ; implicit-def: $vgpr12
	s_and_saveexec_b64 s[12:13], vcc
	s_xor_b64 s[40:41], exec, s[12:13]
; %bb.996:                              ;   in Loop: Header=BB5_946 Depth=2
	v_bfe_u32 v12, v90, 16, 1
	v_add3_u32 v12, v90, v12, s47
                                        ; implicit-def: $vgpr90
; %bb.997:                              ;   in Loop: Header=BB5_946 Depth=2
	s_andn2_saveexec_b64 s[40:41], s[40:41]
; %bb.998:                              ;   in Loop: Header=BB5_946 Depth=2
	v_or_b32_e32 v12, 0x10000, v90
	v_cmp_eq_u32_sdwa vcc, v90, v3 src0_sel:WORD_0 src1_sel:DWORD
	s_nop 1
	v_cndmask_b32_e32 v12, v12, v90, vcc
; %bb.999:                              ;   in Loop: Header=BB5_946 Depth=2
	s_or_b64 exec, exec, s[40:41]
	v_and_b32_e32 v9, 0xffff0000, v9
	v_and_b32_e32 v13, 0xffff0000, v13
	v_max_f32_e32 v13, v13, v13
	v_max_f32_e32 v9, v9, v9
	v_min_f32_e32 v90, v9, v13
	v_max_f32_e32 v9, v9, v13
	v_cndmask_b32_e64 v13, v9, v90, s[28:29]
	v_and_b32_e32 v9, 0x7f800000, v13
	v_cmp_ne_u32_e32 vcc, s46, v9
                                        ; implicit-def: $vgpr9
	s_and_saveexec_b64 s[12:13], vcc
	s_xor_b64 s[40:41], exec, s[12:13]
; %bb.1000:                             ;   in Loop: Header=BB5_946 Depth=2
	v_bfe_u32 v9, v13, 16, 1
	v_add3_u32 v9, v13, v9, s47
                                        ; implicit-def: $vgpr13
; %bb.1001:                             ;   in Loop: Header=BB5_946 Depth=2
	s_andn2_saveexec_b64 s[40:41], s[40:41]
; %bb.1002:                             ;   in Loop: Header=BB5_946 Depth=2
	v_or_b32_e32 v9, 0x10000, v13
	v_cmp_eq_u32_sdwa vcc, v13, v3 src0_sel:WORD_0 src1_sel:DWORD
	s_nop 1
	v_cndmask_b32_e32 v9, v9, v13, vcc
; %bb.1003:                             ;   in Loop: Header=BB5_946 Depth=2
	s_or_b64 exec, exec, s[40:41]
	v_lshlrev_b32_e32 v13, 16, v10
	v_lshlrev_b32_e32 v90, 16, v14
	v_max_f32_e32 v90, v90, v90
	v_max_f32_e32 v13, v13, v13
	v_min_f32_e32 v91, v13, v90
	v_max_f32_e32 v13, v13, v90
	v_cndmask_b32_e64 v90, v13, v91, s[28:29]
	v_and_b32_e32 v13, 0x7f800000, v90
	v_cmp_ne_u32_e32 vcc, s46, v13
                                        ; implicit-def: $vgpr13
	s_and_saveexec_b64 s[12:13], vcc
	s_xor_b64 s[40:41], exec, s[12:13]
; %bb.1004:                             ;   in Loop: Header=BB5_946 Depth=2
	v_bfe_u32 v13, v90, 16, 1
	v_add3_u32 v13, v90, v13, s47
                                        ; implicit-def: $vgpr90
; %bb.1005:                             ;   in Loop: Header=BB5_946 Depth=2
	s_andn2_saveexec_b64 s[40:41], s[40:41]
; %bb.1006:                             ;   in Loop: Header=BB5_946 Depth=2
	v_or_b32_e32 v13, 0x10000, v90
	v_cmp_eq_u32_sdwa vcc, v90, v3 src0_sel:WORD_0 src1_sel:DWORD
	s_nop 1
	v_cndmask_b32_e32 v13, v13, v90, vcc
; %bb.1007:                             ;   in Loop: Header=BB5_946 Depth=2
	s_or_b64 exec, exec, s[40:41]
	v_and_b32_e32 v10, 0xffff0000, v10
	v_and_b32_e32 v14, 0xffff0000, v14
	v_max_f32_e32 v14, v14, v14
	v_max_f32_e32 v10, v10, v10
	v_min_f32_e32 v90, v10, v14
	v_max_f32_e32 v10, v10, v14
	v_cndmask_b32_e64 v14, v10, v90, s[28:29]
	v_and_b32_e32 v10, 0x7f800000, v14
	v_cmp_ne_u32_e32 vcc, s46, v10
                                        ; implicit-def: $vgpr10
	s_and_saveexec_b64 s[12:13], vcc
	s_xor_b64 s[40:41], exec, s[12:13]
; %bb.1008:                             ;   in Loop: Header=BB5_946 Depth=2
	v_bfe_u32 v10, v14, 16, 1
	v_add3_u32 v10, v14, v10, s47
                                        ; implicit-def: $vgpr14
; %bb.1009:                             ;   in Loop: Header=BB5_946 Depth=2
	s_andn2_saveexec_b64 s[40:41], s[40:41]
; %bb.1010:                             ;   in Loop: Header=BB5_946 Depth=2
	v_or_b32_e32 v10, 0x10000, v14
	v_cmp_eq_u32_sdwa vcc, v14, v3 src0_sel:WORD_0 src1_sel:DWORD
	s_nop 1
	v_cndmask_b32_e32 v10, v10, v14, vcc
; %bb.1011:                             ;   in Loop: Header=BB5_946 Depth=2
	s_or_b64 exec, exec, s[40:41]
	v_lshlrev_b32_e32 v14, 16, v11
	v_lshlrev_b32_e32 v90, 16, v15
	v_max_f32_e32 v90, v90, v90
	v_max_f32_e32 v14, v14, v14
	v_min_f32_e32 v91, v14, v90
	v_max_f32_e32 v14, v14, v90
	v_cndmask_b32_e64 v90, v14, v91, s[28:29]
	v_and_b32_e32 v14, 0x7f800000, v90
	v_cmp_ne_u32_e32 vcc, s46, v14
                                        ; implicit-def: $vgpr14
	s_and_saveexec_b64 s[12:13], vcc
	s_xor_b64 s[40:41], exec, s[12:13]
; %bb.1012:                             ;   in Loop: Header=BB5_946 Depth=2
	v_bfe_u32 v14, v90, 16, 1
	v_add3_u32 v14, v90, v14, s47
                                        ; implicit-def: $vgpr90
; %bb.1013:                             ;   in Loop: Header=BB5_946 Depth=2
	s_andn2_saveexec_b64 s[40:41], s[40:41]
; %bb.1014:                             ;   in Loop: Header=BB5_946 Depth=2
	v_or_b32_e32 v14, 0x10000, v90
	v_cmp_eq_u32_sdwa vcc, v90, v3 src0_sel:WORD_0 src1_sel:DWORD
	s_nop 1
	v_cndmask_b32_e32 v14, v14, v90, vcc
; %bb.1015:                             ;   in Loop: Header=BB5_946 Depth=2
	s_or_b64 exec, exec, s[40:41]
	v_and_b32_e32 v11, 0xffff0000, v11
	v_and_b32_e32 v15, 0xffff0000, v15
	v_max_f32_e32 v15, v15, v15
	v_max_f32_e32 v11, v11, v11
	v_min_f32_e32 v90, v11, v15
	v_max_f32_e32 v11, v11, v15
	v_cndmask_b32_e64 v15, v11, v90, s[28:29]
	v_and_b32_e32 v11, 0x7f800000, v15
	v_cmp_ne_u32_e32 vcc, s46, v11
                                        ; implicit-def: $vgpr11
	s_and_saveexec_b64 s[12:13], vcc
	s_xor_b64 s[40:41], exec, s[12:13]
; %bb.1016:                             ;   in Loop: Header=BB5_946 Depth=2
	v_bfe_u32 v11, v15, 16, 1
	v_add3_u32 v11, v15, v11, s47
                                        ; implicit-def: $vgpr15
; %bb.1017:                             ;   in Loop: Header=BB5_946 Depth=2
	s_andn2_saveexec_b64 s[40:41], s[40:41]
; %bb.1018:                             ;   in Loop: Header=BB5_946 Depth=2
	v_or_b32_e32 v11, 0x10000, v15
	v_cmp_eq_u32_sdwa vcc, v15, v3 src0_sel:WORD_0 src1_sel:DWORD
	s_nop 1
	v_cndmask_b32_e32 v11, v11, v15, vcc
; %bb.1019:                             ;   in Loop: Header=BB5_946 Depth=2
	s_or_b64 exec, exec, s[40:41]
	v_lshrrev_b32_e32 v12, 16, v12
	v_and_or_b32 v9, v9, s44, v12
	v_lshrrev_b32_e32 v12, 16, v89
	v_and_or_b32 v8, v8, s44, v12
	;; [unrolled: 2-line block ×4, first 2 shown]
	s_mov_b64 s[50:51], 0
	s_mov_b64 s[48:49], -1
	scratch_store_dwordx4 off, v[8:11], s33 offset:160
.LBB5_1020:                             ;   Parent Loop BB5_47 Depth=1
                                        ;     Parent Loop BB5_946 Depth=2
                                        ; =>    This Inner Loop Header: Depth=3
	s_cmp_eq_u32 s50, 1
	s_cselect_b64 vcc, -1, 0
	v_cndmask_b32_e32 v13, v119, v41, vcc
	s_cmp_eq_u32 s50, 0
	v_cndmask_b32_e32 v12, v118, v40, vcc
	global_store_dwordx4 v[12:13], v[8:11], off
	v_lshl_add_u64 v[12:13], v[12:13], 0, s[60:61]
	s_cselect_b64 s[40:41], -1, 0
	s_and_b64 s[42:43], exec, s[48:49]
	s_mov_b64 s[50:51], 1
	s_mov_b64 s[48:49], 0
	v_cndmask_b32_e32 v41, v41, v13, vcc
	v_cndmask_b32_e32 v40, v40, v12, vcc
	v_cndmask_b32_e64 v119, v119, v13, s[40:41]
	v_cndmask_b32_e64 v118, v118, v12, s[40:41]
	s_mov_b64 vcc, s[42:43]
	s_cbranch_vccnz .LBB5_1020
; %bb.1021:                             ;   in Loop: Header=BB5_946 Depth=2
	v_sub_u32_e32 v79, v79, v52
	s_and_saveexec_b64 s[40:41], s[38:39]
	s_cbranch_execz .LBB5_945
; %bb.1022:                             ;   in Loop: Header=BB5_946 Depth=2
	v_lshl_add_u64 v[118:119], v[118:119], 0, v[80:81]
	v_lshl_add_u64 v[40:41], v[40:41], 0, v[80:81]
	;; [unrolled: 1-line block ×4, first 2 shown]
	v_sub_u32_e32 v88, v88, v61
	v_sub_u32_e32 v79, v79, v52
	s_branch .LBB5_945
.LBB5_1023:                             ;   in Loop: Header=BB5_47 Depth=1
	s_mov_b64 s[26:27], 0
	s_and_saveexec_b64 s[28:29], s[6:7]
	s_cbranch_execnz .LBB5_1609
	s_branch .LBB5_1627
.LBB5_1024:                             ;   in Loop: Header=BB5_47 Depth=1
	s_mov_b64 s[94:95], 0
                                        ; implicit-def: $sgpr52
	s_andn2_b64 vcc, exec, s[28:29]
	v_mov_b32_e32 v118, 0
	s_cbranch_vccz .LBB5_943
.LBB5_1025:                             ;   in Loop: Header=BB5_47 Depth=1
	v_mov_b32_e32 v119, v17
	v_mov_b32_e32 v8, v0
	;; [unrolled: 1-line block ×3, first 2 shown]
	s_and_saveexec_b64 s[42:43], s[94:95]
	s_cbranch_execnz .LBB5_1195
	s_branch .LBB5_1287
.LBB5_1026:                             ;   in Loop: Header=BB5_47 Depth=1
	s_or_b64 exec, exec, s[92:93]
	s_and_saveexec_b64 s[12:13], s[94:95]
	s_xor_b64 s[12:13], exec, s[12:13]
	s_cbranch_execz .LBB5_1028
; %bb.1027:                             ;   in Loop: Header=BB5_47 Depth=1
	ds_write_b32 v0, v63
	s_trap 2
.LBB5_1028:                             ;   in Loop: Header=BB5_47 Depth=1
	s_or_b64 exec, exec, s[90:91]
	;;#ASMSTART
	s_wakeup
	;;#ASMEND
.LBB5_1029:                             ;   in Loop: Header=BB5_47 Depth=1
	s_or_b64 exec, exec, s[42:43]
.LBB5_1030:                             ;   in Loop: Header=BB5_47 Depth=1
	s_andn2_saveexec_b64 s[40:41], s[40:41]
	s_cbranch_execz .LBB5_1032
; %bb.1031:                             ;   in Loop: Header=BB5_47 Depth=1
	;;#ASMSTART
	s_waitcnt lgkmcnt(0) vmcnt(0)
	;;#ASMEND
	s_barrier
.LBB5_1032:                             ;   in Loop: Header=BB5_47 Depth=1
	s_or_b64 exec, exec, s[40:41]
.LBB5_1033:                             ;   in Loop: Header=BB5_47 Depth=1
	s_or_b64 exec, exec, s[26:27]
	v_cmp_ne_u32_e32 vcc, 0, v9
	s_xor_b64 s[12:13], s[10:11], -1
	s_and_b64 s[12:13], vcc, s[12:13]
	s_and_saveexec_b64 s[26:27], s[12:13]
	s_cbranch_execz .LBB5_1035
; %bb.1034:                             ;   in Loop: Header=BB5_47 Depth=1
	flat_store_dword v[36:37], v63 sc0 sc1
.LBB5_1035:                             ;   in Loop: Header=BB5_47 Depth=1
	s_or_b64 exec, exec, s[26:27]
	v_and_b32_e32 v2, 48, v58
	v_cmp_ne_u32_e32 vcc, 0, v2
	s_and_saveexec_b64 s[26:27], vcc
	s_cbranch_execz .LBB5_1037
; %bb.1036:                             ;   in Loop: Header=BB5_47 Depth=1
	v_lshl_add_u64 v[112:113], v[112:113], 0, 4
	flat_store_dwordx2 v[32:33], v[112:113] sc0 sc1
.LBB5_1037:                             ;   in Loop: Header=BB5_47 Depth=1
	s_or_b64 exec, exec, s[26:27]
	s_or_b64 exec, exec, s[28:29]
	s_and_b64 vcc, exec, s[24:25]
	s_cbranch_vccnz .LBB5_1981
	s_branch .LBB5_1656
.LBB5_1038:                             ;   in Loop: Header=BB5_47 Depth=1
	s_or_b64 exec, exec, s[34:35]
	s_and_b64 s[28:29], s[36:37], exec
.LBB5_1039:                             ;   in Loop: Header=BB5_47 Depth=1
	s_or_b64 exec, exec, s[30:31]
	s_and_saveexec_b64 s[42:43], s[28:29]
	s_cbranch_execz .LBB5_1074
; %bb.1040:                             ;   in Loop: Header=BB5_47 Depth=1
	scratch_load_dwordx4 v[8:11], off, s33 offset:192
	scratch_load_dwordx4 v[12:15], off, s33 offset:208
	s_and_b32 s12, 0xffff, s52
	s_cmp_eq_u32 s12, 0
	s_cselect_b64 vcc, -1, 0
	s_waitcnt vmcnt(0)
	v_lshlrev_b32_e32 v44, 16, v8
	v_lshlrev_b32_e32 v45, 16, v12
	v_max_f32_e32 v45, v45, v45
	v_max_f32_e32 v44, v44, v44
	v_min_f32_e32 v46, v44, v45
	v_max_f32_e32 v44, v44, v45
	v_cndmask_b32_e32 v45, v44, v46, vcc
	v_and_b32_e32 v44, 0x7f800000, v45
	v_cmp_ne_u32_e64 s[28:29], s46, v44
                                        ; implicit-def: $vgpr44
	s_and_saveexec_b64 s[12:13], s[28:29]
	s_xor_b64 s[28:29], exec, s[12:13]
; %bb.1041:                             ;   in Loop: Header=BB5_47 Depth=1
	v_bfe_u32 v44, v45, 16, 1
	v_add3_u32 v44, v45, v44, s47
                                        ; implicit-def: $vgpr45
; %bb.1042:                             ;   in Loop: Header=BB5_47 Depth=1
	s_andn2_saveexec_b64 s[40:41], s[28:29]
; %bb.1043:                             ;   in Loop: Header=BB5_47 Depth=1
	v_or_b32_e32 v44, 0x10000, v45
	v_cmp_eq_u32_sdwa s[28:29], v45, v3 src0_sel:WORD_0 src1_sel:DWORD
	s_nop 1
	v_cndmask_b32_e64 v44, v44, v45, s[28:29]
; %bb.1044:                             ;   in Loop: Header=BB5_47 Depth=1
	s_or_b64 exec, exec, s[40:41]
	v_and_b32_e32 v8, 0xffff0000, v8
	v_and_b32_e32 v12, 0xffff0000, v12
	v_max_f32_e32 v12, v12, v12
	v_max_f32_e32 v8, v8, v8
	v_min_f32_e32 v45, v8, v12
	v_max_f32_e32 v8, v8, v12
	v_cndmask_b32_e32 v12, v8, v45, vcc
	v_and_b32_e32 v8, 0x7f800000, v12
	v_cmp_ne_u32_e64 s[28:29], s46, v8
                                        ; implicit-def: $vgpr8
	s_and_saveexec_b64 s[12:13], s[28:29]
	s_xor_b64 s[28:29], exec, s[12:13]
; %bb.1045:                             ;   in Loop: Header=BB5_47 Depth=1
	v_bfe_u32 v8, v12, 16, 1
	v_add3_u32 v8, v12, v8, s47
                                        ; implicit-def: $vgpr12
; %bb.1046:                             ;   in Loop: Header=BB5_47 Depth=1
	s_andn2_saveexec_b64 s[40:41], s[28:29]
; %bb.1047:                             ;   in Loop: Header=BB5_47 Depth=1
	v_or_b32_e32 v8, 0x10000, v12
	v_cmp_eq_u32_sdwa s[28:29], v12, v3 src0_sel:WORD_0 src1_sel:DWORD
	s_nop 1
	v_cndmask_b32_e64 v8, v8, v12, s[28:29]
; %bb.1048:                             ;   in Loop: Header=BB5_47 Depth=1
	s_or_b64 exec, exec, s[40:41]
	v_lshlrev_b32_e32 v12, 16, v9
	v_lshlrev_b32_e32 v45, 16, v13
	v_max_f32_e32 v45, v45, v45
	v_max_f32_e32 v12, v12, v12
	v_min_f32_e32 v46, v12, v45
	v_max_f32_e32 v12, v12, v45
	v_cndmask_b32_e32 v45, v12, v46, vcc
	v_and_b32_e32 v12, 0x7f800000, v45
	v_cmp_ne_u32_e64 s[28:29], s46, v12
                                        ; implicit-def: $vgpr12
	s_and_saveexec_b64 s[12:13], s[28:29]
	s_xor_b64 s[28:29], exec, s[12:13]
; %bb.1049:                             ;   in Loop: Header=BB5_47 Depth=1
	v_bfe_u32 v12, v45, 16, 1
	v_add3_u32 v12, v45, v12, s47
                                        ; implicit-def: $vgpr45
; %bb.1050:                             ;   in Loop: Header=BB5_47 Depth=1
	s_andn2_saveexec_b64 s[40:41], s[28:29]
; %bb.1051:                             ;   in Loop: Header=BB5_47 Depth=1
	v_or_b32_e32 v12, 0x10000, v45
	v_cmp_eq_u32_sdwa s[28:29], v45, v3 src0_sel:WORD_0 src1_sel:DWORD
	s_nop 1
	v_cndmask_b32_e64 v12, v12, v45, s[28:29]
; %bb.1052:                             ;   in Loop: Header=BB5_47 Depth=1
	s_or_b64 exec, exec, s[40:41]
	v_and_b32_e32 v9, 0xffff0000, v9
	v_and_b32_e32 v13, 0xffff0000, v13
	v_max_f32_e32 v13, v13, v13
	v_max_f32_e32 v9, v9, v9
	v_min_f32_e32 v45, v9, v13
	v_max_f32_e32 v9, v9, v13
	v_cndmask_b32_e32 v13, v9, v45, vcc
	v_and_b32_e32 v9, 0x7f800000, v13
	v_cmp_ne_u32_e64 s[28:29], s46, v9
                                        ; implicit-def: $vgpr9
	s_and_saveexec_b64 s[12:13], s[28:29]
	s_xor_b64 s[28:29], exec, s[12:13]
; %bb.1053:                             ;   in Loop: Header=BB5_47 Depth=1
	v_bfe_u32 v9, v13, 16, 1
	v_add3_u32 v9, v13, v9, s47
                                        ; implicit-def: $vgpr13
; %bb.1054:                             ;   in Loop: Header=BB5_47 Depth=1
	s_andn2_saveexec_b64 s[40:41], s[28:29]
; %bb.1055:                             ;   in Loop: Header=BB5_47 Depth=1
	v_or_b32_e32 v9, 0x10000, v13
	v_cmp_eq_u32_sdwa s[28:29], v13, v3 src0_sel:WORD_0 src1_sel:DWORD
	s_nop 1
	v_cndmask_b32_e64 v9, v9, v13, s[28:29]
; %bb.1056:                             ;   in Loop: Header=BB5_47 Depth=1
	s_or_b64 exec, exec, s[40:41]
	v_lshlrev_b32_e32 v13, 16, v10
	v_lshlrev_b32_e32 v45, 16, v14
	v_max_f32_e32 v45, v45, v45
	v_max_f32_e32 v13, v13, v13
	v_min_f32_e32 v46, v13, v45
	v_max_f32_e32 v13, v13, v45
	v_cndmask_b32_e32 v45, v13, v46, vcc
	v_and_b32_e32 v13, 0x7f800000, v45
	v_cmp_ne_u32_e64 s[28:29], s46, v13
                                        ; implicit-def: $vgpr13
	s_and_saveexec_b64 s[12:13], s[28:29]
	s_xor_b64 s[28:29], exec, s[12:13]
; %bb.1057:                             ;   in Loop: Header=BB5_47 Depth=1
	v_bfe_u32 v13, v45, 16, 1
	v_add3_u32 v13, v45, v13, s47
                                        ; implicit-def: $vgpr45
; %bb.1058:                             ;   in Loop: Header=BB5_47 Depth=1
	s_andn2_saveexec_b64 s[40:41], s[28:29]
; %bb.1059:                             ;   in Loop: Header=BB5_47 Depth=1
	v_or_b32_e32 v13, 0x10000, v45
	v_cmp_eq_u32_sdwa s[28:29], v45, v3 src0_sel:WORD_0 src1_sel:DWORD
	s_nop 1
	v_cndmask_b32_e64 v13, v13, v45, s[28:29]
; %bb.1060:                             ;   in Loop: Header=BB5_47 Depth=1
	s_or_b64 exec, exec, s[40:41]
	v_and_b32_e32 v10, 0xffff0000, v10
	v_and_b32_e32 v14, 0xffff0000, v14
	v_max_f32_e32 v14, v14, v14
	v_max_f32_e32 v10, v10, v10
	v_min_f32_e32 v45, v10, v14
	v_max_f32_e32 v10, v10, v14
	v_cndmask_b32_e32 v14, v10, v45, vcc
	v_and_b32_e32 v10, 0x7f800000, v14
	v_cmp_ne_u32_e64 s[28:29], s46, v10
                                        ; implicit-def: $vgpr10
	s_and_saveexec_b64 s[12:13], s[28:29]
	s_xor_b64 s[28:29], exec, s[12:13]
; %bb.1061:                             ;   in Loop: Header=BB5_47 Depth=1
	v_bfe_u32 v10, v14, 16, 1
	v_add3_u32 v10, v14, v10, s47
                                        ; implicit-def: $vgpr14
; %bb.1062:                             ;   in Loop: Header=BB5_47 Depth=1
	s_andn2_saveexec_b64 s[40:41], s[28:29]
; %bb.1063:                             ;   in Loop: Header=BB5_47 Depth=1
	v_or_b32_e32 v10, 0x10000, v14
	v_cmp_eq_u32_sdwa s[28:29], v14, v3 src0_sel:WORD_0 src1_sel:DWORD
	s_nop 1
	v_cndmask_b32_e64 v10, v10, v14, s[28:29]
; %bb.1064:                             ;   in Loop: Header=BB5_47 Depth=1
	s_or_b64 exec, exec, s[40:41]
	v_lshlrev_b32_e32 v14, 16, v11
	v_lshlrev_b32_e32 v45, 16, v15
	v_max_f32_e32 v45, v45, v45
	v_max_f32_e32 v14, v14, v14
	v_min_f32_e32 v46, v14, v45
	v_max_f32_e32 v14, v14, v45
	v_cndmask_b32_e32 v45, v14, v46, vcc
	v_and_b32_e32 v14, 0x7f800000, v45
	v_cmp_ne_u32_e64 s[28:29], s46, v14
                                        ; implicit-def: $vgpr14
	s_and_saveexec_b64 s[12:13], s[28:29]
	s_xor_b64 s[28:29], exec, s[12:13]
; %bb.1065:                             ;   in Loop: Header=BB5_47 Depth=1
	v_bfe_u32 v14, v45, 16, 1
	v_add3_u32 v14, v45, v14, s47
                                        ; implicit-def: $vgpr45
; %bb.1066:                             ;   in Loop: Header=BB5_47 Depth=1
	s_andn2_saveexec_b64 s[40:41], s[28:29]
; %bb.1067:                             ;   in Loop: Header=BB5_47 Depth=1
	v_or_b32_e32 v14, 0x10000, v45
	v_cmp_eq_u32_sdwa s[28:29], v45, v3 src0_sel:WORD_0 src1_sel:DWORD
	s_nop 1
	v_cndmask_b32_e64 v14, v14, v45, s[28:29]
; %bb.1068:                             ;   in Loop: Header=BB5_47 Depth=1
	s_or_b64 exec, exec, s[40:41]
	v_and_b32_e32 v11, 0xffff0000, v11
	v_and_b32_e32 v15, 0xffff0000, v15
	v_max_f32_e32 v15, v15, v15
	v_max_f32_e32 v11, v11, v11
	v_min_f32_e32 v45, v11, v15
	v_max_f32_e32 v11, v11, v15
	v_cndmask_b32_e32 v15, v11, v45, vcc
	v_and_b32_e32 v11, 0x7f800000, v15
	v_cmp_ne_u32_e32 vcc, s46, v11
                                        ; implicit-def: $vgpr11
	s_and_saveexec_b64 s[12:13], vcc
	s_xor_b64 s[28:29], exec, s[12:13]
; %bb.1069:                             ;   in Loop: Header=BB5_47 Depth=1
	v_bfe_u32 v11, v15, 16, 1
	v_add3_u32 v11, v15, v11, s47
                                        ; implicit-def: $vgpr15
; %bb.1070:                             ;   in Loop: Header=BB5_47 Depth=1
	s_andn2_saveexec_b64 s[28:29], s[28:29]
; %bb.1071:                             ;   in Loop: Header=BB5_47 Depth=1
	v_or_b32_e32 v11, 0x10000, v15
	v_cmp_eq_u32_sdwa vcc, v15, v3 src0_sel:WORD_0 src1_sel:DWORD
	s_nop 1
	v_cndmask_b32_e32 v11, v11, v15, vcc
; %bb.1072:                             ;   in Loop: Header=BB5_47 Depth=1
	s_or_b64 exec, exec, s[28:29]
	v_lshrrev_b32_e32 v12, 16, v12
	v_and_or_b32 v9, v9, s44, v12
	v_lshrrev_b32_e32 v12, 16, v44
	v_and_or_b32 v8, v8, s44, v12
	;; [unrolled: 2-line block ×4, first 2 shown]
	s_mov_b64 s[34:35], 0
	s_mov_b64 s[30:31], -1
.LBB5_1073:                             ;   Parent Loop BB5_47 Depth=1
                                        ; =>  This Inner Loop Header: Depth=2
	s_cmp_eq_u32 s34, 1
	s_cselect_b64 vcc, -1, 0
	v_cndmask_b32_e32 v13, v119, v41, vcc
	s_cmp_eq_u32 s34, 0
	v_cndmask_b32_e32 v12, v118, v40, vcc
	global_store_dwordx4 v[12:13], v[8:11], off
	v_lshl_add_u64 v[12:13], v[12:13], 0, s[60:61]
	s_cselect_b64 s[28:29], -1, 0
	s_and_b64 s[40:41], exec, s[30:31]
	s_mov_b64 s[34:35], 1
	s_mov_b64 s[30:31], 0
	v_cndmask_b32_e32 v41, v41, v13, vcc
	v_cndmask_b32_e32 v40, v40, v12, vcc
	v_cndmask_b32_e64 v119, v119, v13, s[28:29]
	v_cndmask_b32_e64 v118, v118, v12, s[28:29]
	s_mov_b64 vcc, s[40:41]
	s_cbranch_vccnz .LBB5_1073
.LBB5_1074:                             ;   in Loop: Header=BB5_47 Depth=1
	s_or_b64 exec, exec, s[42:43]
	v_and_b32_e32 v9, 14, v17
	v_cndmask_b32_e64 v46, v78, v9, s[26:27]
	v_cmp_ne_u32_e32 vcc, 0, v46
                                        ; implicit-def: $vgpr119
                                        ; implicit-def: $vgpr118
                                        ; implicit-def: $vgpr8
                                        ; implicit-def: $vgpr40
	s_and_saveexec_b64 s[42:43], vcc
	s_cbranch_execz .LBB5_1194
; %bb.1075:                             ;   in Loop: Header=BB5_47 Depth=1
	v_sub_u32_e32 v8, v78, v9
	v_cndmask_b32_e64 v8, 0, v8, s[26:27]
	v_cmp_lt_i32_e32 vcc, 0, v79
	v_add_u32_e32 v47, v8, v57
	s_mov_b64 s[28:29], 0
	v_cndmask_b32_e32 v8, 0, v52, vcc
	v_sub_u32_e32 v8, v8, v79
	v_lshl_or_b32 v8, v8, 6, v59
	v_ashrrev_i32_e32 v9, 31, v8
	v_lshrrev_b32_e32 v9, 26, v9
	v_add_u32_e32 v9, v8, v9
	v_ashrrev_i32_e32 v10, 6, v9
	v_and_b32_e32 v9, 0xffffffc0, v9
	v_sub_u32_e32 v57, v8, v9
	v_lshlrev_b32_e32 v8, 4, v57
	v_lshl_add_u32 v9, v10, 10, v8
	v_add_u32_e32 v8, v9, v47
	v_sub_u32_e32 v89, v46, v9
	v_ashrrev_i32_e32 v9, 31, v46
	v_lshrrev_b32_e32 v9, 22, v9
	v_add_u32_e32 v9, v46, v9
	v_and_b32_e32 v78, 0xfffffc00, v9
	v_sub_u32_e32 v79, v46, v78
	v_ashrrev_i32_e32 v11, 10, v9
	v_cmp_lt_i32_e64 s[26:27], 15, v79
	v_ashrrev_i32_e32 v9, 31, v8
	v_lshl_add_u64 v[118:119], v[8:9], 0, v[20:21]
	v_addc_co_u32_e64 v11, vcc, 0, v11, s[26:27]
	v_sub_u32_e32 v88, v11, v10
	v_lshl_add_u64 v[40:41], v[8:9], 0, v[22:23]
	v_cmp_lt_i32_e32 vcc, 15, v89
	s_and_saveexec_b64 s[30:31], vcc
	s_cbranch_execz .LBB5_1156
; %bb.1076:                             ;   in Loop: Header=BB5_47 Depth=1
	s_and_b32 s12, 0xffff, s52
	s_cmp_eq_u32 s12, 0
	v_lshl_add_u64 v[44:45], v[8:9], 0, v[18:19]
	s_waitcnt lgkmcnt(0)
	v_lshl_add_u64 v[42:43], v[8:9], 0, v[42:43]
	s_mov_b64 s[38:39], 0
	s_mov_b64 s[34:35], 0
	s_cselect_b64 s[28:29], -1, 0
                                        ; implicit-def: $sgpr36_sgpr37
	s_branch .LBB5_1078
.LBB5_1077:                             ;   in Loop: Header=BB5_1078 Depth=2
	s_or_b64 exec, exec, s[40:41]
	v_cmp_gt_i32_e32 vcc, 16, v89
	s_or_b64 s[34:35], vcc, s[34:35]
	s_andn2_b64 s[12:13], s[36:37], exec
	s_and_b64 s[40:41], s[38:39], exec
	s_or_b64 s[36:37], s[12:13], s[40:41]
	s_andn2_b64 exec, exec, s[34:35]
	s_cbranch_execz .LBB5_1155
.LBB5_1078:                             ;   Parent Loop BB5_47 Depth=1
                                        ; =>  This Loop Header: Depth=2
                                        ;       Child Loop BB5_1079 Depth 3
                                        ;       Child Loop BB5_1114 Depth 3
	;; [unrolled: 1-line block ×4, first 2 shown]
	s_add_i32 s13, s33, 0xa0
	s_mov_b32 s12, s13
	s_mov_b64 s[48:49], -1
	s_mov_b64 s[40:41], 0
.LBB5_1079:                             ;   Parent Loop BB5_47 Depth=1
                                        ;     Parent Loop BB5_1078 Depth=2
                                        ; =>    This Inner Loop Header: Depth=3
	s_cmp_eq_u32 s40, 1
	s_cselect_b64 vcc, -1, 0
	v_cndmask_b32_e32 v13, v45, v43, vcc
	v_cndmask_b32_e32 v12, v44, v42, vcc
	global_load_dwordx4 v[8:11], v[12:13], off nt
	s_cmp_eq_u32 s40, 0
	s_cselect_b64 s[40:41], -1, 0
	s_waitcnt vmcnt(0)
	scratch_store_dwordx4 off, v[8:11], s12
	s_nop 1
	v_lshl_add_u64 v[8:9], v[12:13], 0, s[60:61]
	v_cndmask_b32_e64 v45, v45, v9, s[40:41]
	v_cndmask_b32_e64 v44, v44, v8, s[40:41]
	v_cndmask_b32_e32 v43, v43, v9, vcc
	v_cndmask_b32_e32 v42, v42, v8, vcc
	s_mov_b64 s[40:41], 1
	s_and_b64 vcc, exec, s[48:49]
	s_mov_b64 s[48:49], 0
	s_mov_b32 s12, s83
	s_cbranch_vccnz .LBB5_1079
; %bb.1080:                             ;   in Loop: Header=BB5_1078 Depth=2
	s_and_saveexec_b64 s[40:41], s[38:39]
	s_cbranch_execz .LBB5_1116
; %bb.1081:                             ;   in Loop: Header=BB5_1078 Depth=2
	scratch_load_dwordx4 v[8:11], off, s33 offset:192
	scratch_load_dwordx4 v[12:15], off, s33 offset:208
	s_waitcnt vmcnt(1)
	v_lshlrev_b32_e32 v90, 16, v8
	s_waitcnt vmcnt(0)
	v_lshlrev_b32_e32 v91, 16, v12
	v_max_f32_e32 v91, v91, v91
	v_max_f32_e32 v90, v90, v90
	v_min_f32_e32 v92, v90, v91
	v_max_f32_e32 v90, v90, v91
	v_cndmask_b32_e64 v91, v90, v92, s[28:29]
	v_and_b32_e32 v90, 0x7f800000, v91
	v_cmp_ne_u32_e32 vcc, s46, v90
                                        ; implicit-def: $vgpr90
	s_and_saveexec_b64 s[12:13], vcc
	s_xor_b64 vcc, exec, s[12:13]
; %bb.1082:                             ;   in Loop: Header=BB5_1078 Depth=2
	v_bfe_u32 v90, v91, 16, 1
	v_add3_u32 v90, v91, v90, s47
                                        ; implicit-def: $vgpr91
; %bb.1083:                             ;   in Loop: Header=BB5_1078 Depth=2
	s_andn2_saveexec_b64 s[38:39], vcc
; %bb.1084:                             ;   in Loop: Header=BB5_1078 Depth=2
	v_or_b32_e32 v90, 0x10000, v91
	v_cmp_eq_u32_sdwa vcc, v91, v3 src0_sel:WORD_0 src1_sel:DWORD
	s_nop 1
	v_cndmask_b32_e32 v90, v90, v91, vcc
; %bb.1085:                             ;   in Loop: Header=BB5_1078 Depth=2
	s_or_b64 exec, exec, s[38:39]
	v_and_b32_e32 v8, 0xffff0000, v8
	v_and_b32_e32 v12, 0xffff0000, v12
	v_max_f32_e32 v12, v12, v12
	v_max_f32_e32 v8, v8, v8
	v_min_f32_e32 v91, v8, v12
	v_max_f32_e32 v8, v8, v12
	v_cndmask_b32_e64 v12, v8, v91, s[28:29]
	v_and_b32_e32 v8, 0x7f800000, v12
	v_cmp_ne_u32_e32 vcc, s46, v8
                                        ; implicit-def: $vgpr8
	s_and_saveexec_b64 s[12:13], vcc
	s_xor_b64 vcc, exec, s[12:13]
; %bb.1086:                             ;   in Loop: Header=BB5_1078 Depth=2
	v_bfe_u32 v8, v12, 16, 1
	v_add3_u32 v8, v12, v8, s47
                                        ; implicit-def: $vgpr12
; %bb.1087:                             ;   in Loop: Header=BB5_1078 Depth=2
	s_andn2_saveexec_b64 s[38:39], vcc
; %bb.1088:                             ;   in Loop: Header=BB5_1078 Depth=2
	v_or_b32_e32 v8, 0x10000, v12
	v_cmp_eq_u32_sdwa vcc, v12, v3 src0_sel:WORD_0 src1_sel:DWORD
	s_nop 1
	v_cndmask_b32_e32 v8, v8, v12, vcc
; %bb.1089:                             ;   in Loop: Header=BB5_1078 Depth=2
	s_or_b64 exec, exec, s[38:39]
	v_lshlrev_b32_e32 v12, 16, v9
	v_lshlrev_b32_e32 v91, 16, v13
	v_max_f32_e32 v91, v91, v91
	v_max_f32_e32 v12, v12, v12
	v_min_f32_e32 v92, v12, v91
	v_max_f32_e32 v12, v12, v91
	v_cndmask_b32_e64 v91, v12, v92, s[28:29]
	v_and_b32_e32 v12, 0x7f800000, v91
	v_cmp_ne_u32_e32 vcc, s46, v12
                                        ; implicit-def: $vgpr12
	s_and_saveexec_b64 s[12:13], vcc
	s_xor_b64 vcc, exec, s[12:13]
; %bb.1090:                             ;   in Loop: Header=BB5_1078 Depth=2
	v_bfe_u32 v12, v91, 16, 1
	v_add3_u32 v12, v91, v12, s47
                                        ; implicit-def: $vgpr91
; %bb.1091:                             ;   in Loop: Header=BB5_1078 Depth=2
	s_andn2_saveexec_b64 s[38:39], vcc
; %bb.1092:                             ;   in Loop: Header=BB5_1078 Depth=2
	v_or_b32_e32 v12, 0x10000, v91
	v_cmp_eq_u32_sdwa vcc, v91, v3 src0_sel:WORD_0 src1_sel:DWORD
	s_nop 1
	v_cndmask_b32_e32 v12, v12, v91, vcc
; %bb.1093:                             ;   in Loop: Header=BB5_1078 Depth=2
	s_or_b64 exec, exec, s[38:39]
	v_and_b32_e32 v9, 0xffff0000, v9
	v_and_b32_e32 v13, 0xffff0000, v13
	v_max_f32_e32 v13, v13, v13
	v_max_f32_e32 v9, v9, v9
	v_min_f32_e32 v91, v9, v13
	v_max_f32_e32 v9, v9, v13
	v_cndmask_b32_e64 v13, v9, v91, s[28:29]
	v_and_b32_e32 v9, 0x7f800000, v13
	v_cmp_ne_u32_e32 vcc, s46, v9
                                        ; implicit-def: $vgpr9
	s_and_saveexec_b64 s[12:13], vcc
	s_xor_b64 vcc, exec, s[12:13]
; %bb.1094:                             ;   in Loop: Header=BB5_1078 Depth=2
	v_bfe_u32 v9, v13, 16, 1
	v_add3_u32 v9, v13, v9, s47
                                        ; implicit-def: $vgpr13
; %bb.1095:                             ;   in Loop: Header=BB5_1078 Depth=2
	s_andn2_saveexec_b64 s[38:39], vcc
; %bb.1096:                             ;   in Loop: Header=BB5_1078 Depth=2
	v_or_b32_e32 v9, 0x10000, v13
	v_cmp_eq_u32_sdwa vcc, v13, v3 src0_sel:WORD_0 src1_sel:DWORD
	s_nop 1
	v_cndmask_b32_e32 v9, v9, v13, vcc
; %bb.1097:                             ;   in Loop: Header=BB5_1078 Depth=2
	s_or_b64 exec, exec, s[38:39]
	v_lshlrev_b32_e32 v13, 16, v10
	v_lshlrev_b32_e32 v91, 16, v14
	v_max_f32_e32 v91, v91, v91
	v_max_f32_e32 v13, v13, v13
	v_min_f32_e32 v92, v13, v91
	v_max_f32_e32 v13, v13, v91
	v_cndmask_b32_e64 v91, v13, v92, s[28:29]
	v_and_b32_e32 v13, 0x7f800000, v91
	v_cmp_ne_u32_e32 vcc, s46, v13
                                        ; implicit-def: $vgpr13
	s_and_saveexec_b64 s[12:13], vcc
	s_xor_b64 vcc, exec, s[12:13]
; %bb.1098:                             ;   in Loop: Header=BB5_1078 Depth=2
	v_bfe_u32 v13, v91, 16, 1
	v_add3_u32 v13, v91, v13, s47
                                        ; implicit-def: $vgpr91
; %bb.1099:                             ;   in Loop: Header=BB5_1078 Depth=2
	s_andn2_saveexec_b64 s[38:39], vcc
; %bb.1100:                             ;   in Loop: Header=BB5_1078 Depth=2
	v_or_b32_e32 v13, 0x10000, v91
	v_cmp_eq_u32_sdwa vcc, v91, v3 src0_sel:WORD_0 src1_sel:DWORD
	s_nop 1
	v_cndmask_b32_e32 v13, v13, v91, vcc
; %bb.1101:                             ;   in Loop: Header=BB5_1078 Depth=2
	s_or_b64 exec, exec, s[38:39]
	v_and_b32_e32 v10, 0xffff0000, v10
	v_and_b32_e32 v14, 0xffff0000, v14
	v_max_f32_e32 v14, v14, v14
	v_max_f32_e32 v10, v10, v10
	v_min_f32_e32 v91, v10, v14
	v_max_f32_e32 v10, v10, v14
	v_cndmask_b32_e64 v14, v10, v91, s[28:29]
	v_and_b32_e32 v10, 0x7f800000, v14
	v_cmp_ne_u32_e32 vcc, s46, v10
                                        ; implicit-def: $vgpr10
	s_and_saveexec_b64 s[12:13], vcc
	s_xor_b64 vcc, exec, s[12:13]
; %bb.1102:                             ;   in Loop: Header=BB5_1078 Depth=2
	v_bfe_u32 v10, v14, 16, 1
	v_add3_u32 v10, v14, v10, s47
                                        ; implicit-def: $vgpr14
; %bb.1103:                             ;   in Loop: Header=BB5_1078 Depth=2
	s_andn2_saveexec_b64 s[38:39], vcc
; %bb.1104:                             ;   in Loop: Header=BB5_1078 Depth=2
	v_or_b32_e32 v10, 0x10000, v14
	v_cmp_eq_u32_sdwa vcc, v14, v3 src0_sel:WORD_0 src1_sel:DWORD
	s_nop 1
	v_cndmask_b32_e32 v10, v10, v14, vcc
; %bb.1105:                             ;   in Loop: Header=BB5_1078 Depth=2
	s_or_b64 exec, exec, s[38:39]
	v_lshlrev_b32_e32 v14, 16, v11
	v_lshlrev_b32_e32 v91, 16, v15
	v_max_f32_e32 v91, v91, v91
	v_max_f32_e32 v14, v14, v14
	v_min_f32_e32 v92, v14, v91
	v_max_f32_e32 v14, v14, v91
	v_cndmask_b32_e64 v91, v14, v92, s[28:29]
	v_and_b32_e32 v14, 0x7f800000, v91
	v_cmp_ne_u32_e32 vcc, s46, v14
                                        ; implicit-def: $vgpr14
	s_and_saveexec_b64 s[12:13], vcc
	s_xor_b64 vcc, exec, s[12:13]
; %bb.1106:                             ;   in Loop: Header=BB5_1078 Depth=2
	v_bfe_u32 v14, v91, 16, 1
	v_add3_u32 v14, v91, v14, s47
                                        ; implicit-def: $vgpr91
; %bb.1107:                             ;   in Loop: Header=BB5_1078 Depth=2
	s_andn2_saveexec_b64 s[38:39], vcc
; %bb.1108:                             ;   in Loop: Header=BB5_1078 Depth=2
	v_or_b32_e32 v14, 0x10000, v91
	v_cmp_eq_u32_sdwa vcc, v91, v3 src0_sel:WORD_0 src1_sel:DWORD
	s_nop 1
	v_cndmask_b32_e32 v14, v14, v91, vcc
; %bb.1109:                             ;   in Loop: Header=BB5_1078 Depth=2
	s_or_b64 exec, exec, s[38:39]
	v_and_b32_e32 v11, 0xffff0000, v11
	v_and_b32_e32 v15, 0xffff0000, v15
	v_max_f32_e32 v15, v15, v15
	v_max_f32_e32 v11, v11, v11
	v_min_f32_e32 v91, v11, v15
	v_max_f32_e32 v11, v11, v15
	v_cndmask_b32_e64 v15, v11, v91, s[28:29]
	v_and_b32_e32 v11, 0x7f800000, v15
	v_cmp_ne_u32_e32 vcc, s46, v11
                                        ; implicit-def: $vgpr11
	s_and_saveexec_b64 s[12:13], vcc
	s_xor_b64 vcc, exec, s[12:13]
; %bb.1110:                             ;   in Loop: Header=BB5_1078 Depth=2
	v_bfe_u32 v11, v15, 16, 1
	v_add3_u32 v11, v15, v11, s47
                                        ; implicit-def: $vgpr15
; %bb.1111:                             ;   in Loop: Header=BB5_1078 Depth=2
	s_andn2_saveexec_b64 s[38:39], vcc
; %bb.1112:                             ;   in Loop: Header=BB5_1078 Depth=2
	v_or_b32_e32 v11, 0x10000, v15
	v_cmp_eq_u32_sdwa vcc, v15, v3 src0_sel:WORD_0 src1_sel:DWORD
	s_nop 1
	v_cndmask_b32_e32 v11, v11, v15, vcc
; %bb.1113:                             ;   in Loop: Header=BB5_1078 Depth=2
	s_or_b64 exec, exec, s[38:39]
	v_lshrrev_b32_e32 v12, 16, v12
	v_and_or_b32 v9, v9, s44, v12
	v_lshrrev_b32_e32 v12, 16, v90
	v_and_or_b32 v8, v8, s44, v12
	;; [unrolled: 2-line block ×4, first 2 shown]
	s_mov_b64 s[38:39], -1
	scratch_store_dwordx4 off, v[8:11], s33 offset:192
.LBB5_1114:                             ;   Parent Loop BB5_47 Depth=1
                                        ;     Parent Loop BB5_1078 Depth=2
                                        ; =>    This Inner Loop Header: Depth=3
	s_cmp_eq_u32 s48, 1
	s_cselect_b64 vcc, -1, 0
	v_cndmask_b32_e32 v13, v119, v41, vcc
	v_cndmask_b32_e32 v12, v118, v40, vcc
	global_store_dwordx4 v[12:13], v[8:11], off
	v_lshl_add_u64 v[12:13], v[12:13], 0, s[60:61]
	s_cmp_eq_u32 s48, 0
	v_cndmask_b32_e32 v41, v41, v13, vcc
	v_cndmask_b32_e32 v40, v40, v12, vcc
	s_cselect_b64 vcc, -1, 0
	v_cndmask_b32_e32 v119, v119, v13, vcc
	v_cndmask_b32_e32 v118, v118, v12, vcc
	s_mov_b64 s[48:49], 1
	s_and_b64 vcc, exec, s[38:39]
	s_mov_b64 s[38:39], 0
	s_cbranch_vccnz .LBB5_1114
; %bb.1115:                             ;   in Loop: Header=BB5_1078 Depth=2
	v_lshl_add_u64 v[118:119], v[118:119], 0, v[80:81]
	v_lshl_add_u64 v[40:41], v[40:41], 0, v[80:81]
.LBB5_1116:                             ;   in Loop: Header=BB5_1078 Depth=2
	s_or_b64 exec, exec, s[40:41]
	v_sub_u32_e32 v89, v89, v61
	v_lshl_add_u64 v[44:45], v[44:45], 0, v[80:81]
	v_lshl_add_u64 v[42:43], v[42:43], 0, v[80:81]
	v_cmp_lt_i32_e64 s[38:39], 15, v89
	s_and_saveexec_b64 s[48:49], s[38:39]
	s_cbranch_execz .LBB5_1119
; %bb.1117:                             ;   in Loop: Header=BB5_1078 Depth=2
	s_add_i32 s13, s33, 0xc0
	s_mov_b32 s12, s13
	s_mov_b64 s[40:41], 0
	s_mov_b64 s[50:51], -1
.LBB5_1118:                             ;   Parent Loop BB5_47 Depth=1
                                        ;     Parent Loop BB5_1078 Depth=2
                                        ; =>    This Inner Loop Header: Depth=3
	s_cmp_eq_u32 s40, 1
	s_cselect_b64 vcc, -1, 0
	v_cndmask_b32_e32 v13, v45, v43, vcc
	v_cndmask_b32_e32 v12, v44, v42, vcc
	global_load_dwordx4 v[8:11], v[12:13], off nt
	s_cmp_eq_u32 s40, 0
	s_cselect_b64 s[40:41], -1, 0
	s_waitcnt vmcnt(0)
	scratch_store_dwordx4 off, v[8:11], s12
	s_nop 1
	v_lshl_add_u64 v[8:9], v[12:13], 0, s[60:61]
	v_cndmask_b32_e64 v45, v45, v9, s[40:41]
	v_cndmask_b32_e64 v44, v44, v8, s[40:41]
	v_cndmask_b32_e32 v43, v43, v9, vcc
	v_cndmask_b32_e32 v42, v42, v8, vcc
	s_mov_b64 s[40:41], 1
	s_and_b64 vcc, exec, s[50:51]
	s_mov_b64 s[50:51], 0
	s_mov_b32 s12, s82
	s_cbranch_vccnz .LBB5_1118
.LBB5_1119:                             ;   in Loop: Header=BB5_1078 Depth=2
	s_or_b64 exec, exec, s[48:49]
	scratch_load_dwordx4 v[8:11], off, s33 offset:160
	scratch_load_dwordx4 v[12:15], off, s33 offset:176
	s_waitcnt vmcnt(1)
	v_lshlrev_b32_e32 v90, 16, v8
	s_waitcnt vmcnt(0)
	v_lshlrev_b32_e32 v91, 16, v12
	v_max_f32_e32 v91, v91, v91
	v_max_f32_e32 v90, v90, v90
	v_min_f32_e32 v92, v90, v91
	v_max_f32_e32 v90, v90, v91
	v_cndmask_b32_e64 v91, v90, v92, s[28:29]
	v_and_b32_e32 v90, 0x7f800000, v91
	v_cmp_ne_u32_e32 vcc, s46, v90
                                        ; implicit-def: $vgpr90
	s_and_saveexec_b64 s[12:13], vcc
	s_xor_b64 s[40:41], exec, s[12:13]
; %bb.1120:                             ;   in Loop: Header=BB5_1078 Depth=2
	v_bfe_u32 v90, v91, 16, 1
	v_add3_u32 v90, v91, v90, s47
                                        ; implicit-def: $vgpr91
; %bb.1121:                             ;   in Loop: Header=BB5_1078 Depth=2
	s_andn2_saveexec_b64 s[40:41], s[40:41]
; %bb.1122:                             ;   in Loop: Header=BB5_1078 Depth=2
	v_or_b32_e32 v90, 0x10000, v91
	v_cmp_eq_u32_sdwa vcc, v91, v3 src0_sel:WORD_0 src1_sel:DWORD
	s_nop 1
	v_cndmask_b32_e32 v90, v90, v91, vcc
; %bb.1123:                             ;   in Loop: Header=BB5_1078 Depth=2
	s_or_b64 exec, exec, s[40:41]
	v_and_b32_e32 v8, 0xffff0000, v8
	v_and_b32_e32 v12, 0xffff0000, v12
	v_max_f32_e32 v12, v12, v12
	v_max_f32_e32 v8, v8, v8
	v_min_f32_e32 v91, v8, v12
	v_max_f32_e32 v8, v8, v12
	v_cndmask_b32_e64 v12, v8, v91, s[28:29]
	v_and_b32_e32 v8, 0x7f800000, v12
	v_cmp_ne_u32_e32 vcc, s46, v8
                                        ; implicit-def: $vgpr8
	s_and_saveexec_b64 s[12:13], vcc
	s_xor_b64 s[40:41], exec, s[12:13]
; %bb.1124:                             ;   in Loop: Header=BB5_1078 Depth=2
	v_bfe_u32 v8, v12, 16, 1
	v_add3_u32 v8, v12, v8, s47
                                        ; implicit-def: $vgpr12
; %bb.1125:                             ;   in Loop: Header=BB5_1078 Depth=2
	s_andn2_saveexec_b64 s[40:41], s[40:41]
; %bb.1126:                             ;   in Loop: Header=BB5_1078 Depth=2
	v_or_b32_e32 v8, 0x10000, v12
	v_cmp_eq_u32_sdwa vcc, v12, v3 src0_sel:WORD_0 src1_sel:DWORD
	s_nop 1
	v_cndmask_b32_e32 v8, v8, v12, vcc
; %bb.1127:                             ;   in Loop: Header=BB5_1078 Depth=2
	s_or_b64 exec, exec, s[40:41]
	v_lshlrev_b32_e32 v12, 16, v9
	v_lshlrev_b32_e32 v91, 16, v13
	v_max_f32_e32 v91, v91, v91
	v_max_f32_e32 v12, v12, v12
	v_min_f32_e32 v92, v12, v91
	v_max_f32_e32 v12, v12, v91
	v_cndmask_b32_e64 v91, v12, v92, s[28:29]
	v_and_b32_e32 v12, 0x7f800000, v91
	v_cmp_ne_u32_e32 vcc, s46, v12
                                        ; implicit-def: $vgpr12
	s_and_saveexec_b64 s[12:13], vcc
	s_xor_b64 s[40:41], exec, s[12:13]
; %bb.1128:                             ;   in Loop: Header=BB5_1078 Depth=2
	v_bfe_u32 v12, v91, 16, 1
	v_add3_u32 v12, v91, v12, s47
                                        ; implicit-def: $vgpr91
; %bb.1129:                             ;   in Loop: Header=BB5_1078 Depth=2
	s_andn2_saveexec_b64 s[40:41], s[40:41]
; %bb.1130:                             ;   in Loop: Header=BB5_1078 Depth=2
	v_or_b32_e32 v12, 0x10000, v91
	v_cmp_eq_u32_sdwa vcc, v91, v3 src0_sel:WORD_0 src1_sel:DWORD
	s_nop 1
	v_cndmask_b32_e32 v12, v12, v91, vcc
; %bb.1131:                             ;   in Loop: Header=BB5_1078 Depth=2
	s_or_b64 exec, exec, s[40:41]
	v_and_b32_e32 v9, 0xffff0000, v9
	v_and_b32_e32 v13, 0xffff0000, v13
	v_max_f32_e32 v13, v13, v13
	v_max_f32_e32 v9, v9, v9
	v_min_f32_e32 v91, v9, v13
	v_max_f32_e32 v9, v9, v13
	v_cndmask_b32_e64 v13, v9, v91, s[28:29]
	v_and_b32_e32 v9, 0x7f800000, v13
	v_cmp_ne_u32_e32 vcc, s46, v9
                                        ; implicit-def: $vgpr9
	s_and_saveexec_b64 s[12:13], vcc
	s_xor_b64 s[40:41], exec, s[12:13]
; %bb.1132:                             ;   in Loop: Header=BB5_1078 Depth=2
	v_bfe_u32 v9, v13, 16, 1
	v_add3_u32 v9, v13, v9, s47
                                        ; implicit-def: $vgpr13
; %bb.1133:                             ;   in Loop: Header=BB5_1078 Depth=2
	s_andn2_saveexec_b64 s[40:41], s[40:41]
; %bb.1134:                             ;   in Loop: Header=BB5_1078 Depth=2
	v_or_b32_e32 v9, 0x10000, v13
	v_cmp_eq_u32_sdwa vcc, v13, v3 src0_sel:WORD_0 src1_sel:DWORD
	s_nop 1
	v_cndmask_b32_e32 v9, v9, v13, vcc
; %bb.1135:                             ;   in Loop: Header=BB5_1078 Depth=2
	s_or_b64 exec, exec, s[40:41]
	v_lshlrev_b32_e32 v13, 16, v10
	v_lshlrev_b32_e32 v91, 16, v14
	v_max_f32_e32 v91, v91, v91
	v_max_f32_e32 v13, v13, v13
	v_min_f32_e32 v92, v13, v91
	v_max_f32_e32 v13, v13, v91
	v_cndmask_b32_e64 v91, v13, v92, s[28:29]
	v_and_b32_e32 v13, 0x7f800000, v91
	v_cmp_ne_u32_e32 vcc, s46, v13
                                        ; implicit-def: $vgpr13
	s_and_saveexec_b64 s[12:13], vcc
	s_xor_b64 s[40:41], exec, s[12:13]
; %bb.1136:                             ;   in Loop: Header=BB5_1078 Depth=2
	v_bfe_u32 v13, v91, 16, 1
	v_add3_u32 v13, v91, v13, s47
                                        ; implicit-def: $vgpr91
; %bb.1137:                             ;   in Loop: Header=BB5_1078 Depth=2
	s_andn2_saveexec_b64 s[40:41], s[40:41]
; %bb.1138:                             ;   in Loop: Header=BB5_1078 Depth=2
	v_or_b32_e32 v13, 0x10000, v91
	v_cmp_eq_u32_sdwa vcc, v91, v3 src0_sel:WORD_0 src1_sel:DWORD
	s_nop 1
	v_cndmask_b32_e32 v13, v13, v91, vcc
; %bb.1139:                             ;   in Loop: Header=BB5_1078 Depth=2
	s_or_b64 exec, exec, s[40:41]
	v_and_b32_e32 v10, 0xffff0000, v10
	v_and_b32_e32 v14, 0xffff0000, v14
	v_max_f32_e32 v14, v14, v14
	v_max_f32_e32 v10, v10, v10
	v_min_f32_e32 v91, v10, v14
	v_max_f32_e32 v10, v10, v14
	v_cndmask_b32_e64 v14, v10, v91, s[28:29]
	v_and_b32_e32 v10, 0x7f800000, v14
	v_cmp_ne_u32_e32 vcc, s46, v10
                                        ; implicit-def: $vgpr10
	s_and_saveexec_b64 s[12:13], vcc
	s_xor_b64 s[40:41], exec, s[12:13]
; %bb.1140:                             ;   in Loop: Header=BB5_1078 Depth=2
	v_bfe_u32 v10, v14, 16, 1
	v_add3_u32 v10, v14, v10, s47
                                        ; implicit-def: $vgpr14
; %bb.1141:                             ;   in Loop: Header=BB5_1078 Depth=2
	s_andn2_saveexec_b64 s[40:41], s[40:41]
; %bb.1142:                             ;   in Loop: Header=BB5_1078 Depth=2
	v_or_b32_e32 v10, 0x10000, v14
	v_cmp_eq_u32_sdwa vcc, v14, v3 src0_sel:WORD_0 src1_sel:DWORD
	s_nop 1
	v_cndmask_b32_e32 v10, v10, v14, vcc
; %bb.1143:                             ;   in Loop: Header=BB5_1078 Depth=2
	s_or_b64 exec, exec, s[40:41]
	v_lshlrev_b32_e32 v14, 16, v11
	v_lshlrev_b32_e32 v91, 16, v15
	v_max_f32_e32 v91, v91, v91
	v_max_f32_e32 v14, v14, v14
	v_min_f32_e32 v92, v14, v91
	v_max_f32_e32 v14, v14, v91
	v_cndmask_b32_e64 v91, v14, v92, s[28:29]
	v_and_b32_e32 v14, 0x7f800000, v91
	v_cmp_ne_u32_e32 vcc, s46, v14
                                        ; implicit-def: $vgpr14
	s_and_saveexec_b64 s[12:13], vcc
	s_xor_b64 s[40:41], exec, s[12:13]
; %bb.1144:                             ;   in Loop: Header=BB5_1078 Depth=2
	v_bfe_u32 v14, v91, 16, 1
	v_add3_u32 v14, v91, v14, s47
                                        ; implicit-def: $vgpr91
; %bb.1145:                             ;   in Loop: Header=BB5_1078 Depth=2
	s_andn2_saveexec_b64 s[40:41], s[40:41]
; %bb.1146:                             ;   in Loop: Header=BB5_1078 Depth=2
	v_or_b32_e32 v14, 0x10000, v91
	v_cmp_eq_u32_sdwa vcc, v91, v3 src0_sel:WORD_0 src1_sel:DWORD
	s_nop 1
	v_cndmask_b32_e32 v14, v14, v91, vcc
; %bb.1147:                             ;   in Loop: Header=BB5_1078 Depth=2
	s_or_b64 exec, exec, s[40:41]
	v_and_b32_e32 v11, 0xffff0000, v11
	v_and_b32_e32 v15, 0xffff0000, v15
	v_max_f32_e32 v15, v15, v15
	v_max_f32_e32 v11, v11, v11
	v_min_f32_e32 v91, v11, v15
	v_max_f32_e32 v11, v11, v15
	v_cndmask_b32_e64 v15, v11, v91, s[28:29]
	v_and_b32_e32 v11, 0x7f800000, v15
	v_cmp_ne_u32_e32 vcc, s46, v11
                                        ; implicit-def: $vgpr11
	s_and_saveexec_b64 s[12:13], vcc
	s_xor_b64 s[40:41], exec, s[12:13]
; %bb.1148:                             ;   in Loop: Header=BB5_1078 Depth=2
	v_bfe_u32 v11, v15, 16, 1
	v_add3_u32 v11, v15, v11, s47
                                        ; implicit-def: $vgpr15
; %bb.1149:                             ;   in Loop: Header=BB5_1078 Depth=2
	s_andn2_saveexec_b64 s[40:41], s[40:41]
; %bb.1150:                             ;   in Loop: Header=BB5_1078 Depth=2
	v_or_b32_e32 v11, 0x10000, v15
	v_cmp_eq_u32_sdwa vcc, v15, v3 src0_sel:WORD_0 src1_sel:DWORD
	s_nop 1
	v_cndmask_b32_e32 v11, v11, v15, vcc
; %bb.1151:                             ;   in Loop: Header=BB5_1078 Depth=2
	s_or_b64 exec, exec, s[40:41]
	v_lshrrev_b32_e32 v12, 16, v12
	v_and_or_b32 v9, v9, s44, v12
	v_lshrrev_b32_e32 v12, 16, v90
	v_and_or_b32 v8, v8, s44, v12
	;; [unrolled: 2-line block ×4, first 2 shown]
	s_mov_b64 s[48:49], 0
	s_mov_b64 s[40:41], -1
	scratch_store_dwordx4 off, v[8:11], s33 offset:160
.LBB5_1152:                             ;   Parent Loop BB5_47 Depth=1
                                        ;     Parent Loop BB5_1078 Depth=2
                                        ; =>    This Inner Loop Header: Depth=3
	s_cmp_eq_u32 s48, 1
	s_cselect_b64 vcc, -1, 0
	v_cndmask_b32_e32 v13, v119, v41, vcc
	v_cndmask_b32_e32 v12, v118, v40, vcc
	global_store_dwordx4 v[12:13], v[8:11], off
	v_lshl_add_u64 v[12:13], v[12:13], 0, s[60:61]
	s_cmp_eq_u32 s48, 0
	v_cndmask_b32_e32 v41, v41, v13, vcc
	v_cndmask_b32_e32 v40, v40, v12, vcc
	s_cselect_b64 vcc, -1, 0
	v_cndmask_b32_e32 v119, v119, v13, vcc
	v_cndmask_b32_e32 v118, v118, v12, vcc
	s_mov_b64 s[48:49], 1
	s_and_b64 vcc, exec, s[40:41]
	s_mov_b64 s[40:41], 0
	s_cbranch_vccnz .LBB5_1152
; %bb.1153:                             ;   in Loop: Header=BB5_1078 Depth=2
	v_sub_u32_e32 v88, v88, v52
	s_and_saveexec_b64 s[40:41], s[38:39]
	s_cbranch_execz .LBB5_1077
; %bb.1154:                             ;   in Loop: Header=BB5_1078 Depth=2
	v_lshl_add_u64 v[118:119], v[118:119], 0, v[80:81]
	v_lshl_add_u64 v[40:41], v[40:41], 0, v[80:81]
	;; [unrolled: 1-line block ×4, first 2 shown]
	v_sub_u32_e32 v89, v89, v61
	v_sub_u32_e32 v88, v88, v52
	s_branch .LBB5_1077
.LBB5_1155:                             ;   in Loop: Header=BB5_47 Depth=1
	s_or_b64 exec, exec, s[34:35]
	s_and_b64 s[28:29], s[36:37], exec
.LBB5_1156:                             ;   in Loop: Header=BB5_47 Depth=1
	s_or_b64 exec, exec, s[30:31]
	s_and_saveexec_b64 s[30:31], s[28:29]
	s_cbranch_execz .LBB5_1191
; %bb.1157:                             ;   in Loop: Header=BB5_47 Depth=1
	scratch_load_dwordx4 v[8:11], off, s33 offset:192
	scratch_load_dwordx4 v[12:15], off, s33 offset:208
	s_and_b32 s12, 0xffff, s52
	s_cmp_eq_u32 s12, 0
	s_cselect_b64 vcc, -1, 0
	s_waitcnt vmcnt(0) lgkmcnt(0)
	v_lshlrev_b32_e32 v42, 16, v8
	v_lshlrev_b32_e32 v43, 16, v12
	v_max_f32_e32 v43, v43, v43
	v_max_f32_e32 v42, v42, v42
	v_min_f32_e32 v44, v42, v43
	v_max_f32_e32 v42, v42, v43
	v_cndmask_b32_e32 v43, v42, v44, vcc
	v_and_b32_e32 v42, 0x7f800000, v43
	v_cmp_ne_u32_e64 s[28:29], s46, v42
                                        ; implicit-def: $vgpr42
	s_and_saveexec_b64 s[12:13], s[28:29]
	s_xor_b64 s[28:29], exec, s[12:13]
; %bb.1158:                             ;   in Loop: Header=BB5_47 Depth=1
	v_bfe_u32 v42, v43, 16, 1
	v_add3_u32 v42, v43, v42, s47
                                        ; implicit-def: $vgpr43
; %bb.1159:                             ;   in Loop: Header=BB5_47 Depth=1
	s_andn2_saveexec_b64 s[40:41], s[28:29]
; %bb.1160:                             ;   in Loop: Header=BB5_47 Depth=1
	v_or_b32_e32 v42, 0x10000, v43
	v_cmp_eq_u32_sdwa s[28:29], v43, v3 src0_sel:WORD_0 src1_sel:DWORD
	s_nop 1
	v_cndmask_b32_e64 v42, v42, v43, s[28:29]
; %bb.1161:                             ;   in Loop: Header=BB5_47 Depth=1
	s_or_b64 exec, exec, s[40:41]
	v_and_b32_e32 v8, 0xffff0000, v8
	v_and_b32_e32 v12, 0xffff0000, v12
	v_max_f32_e32 v12, v12, v12
	v_max_f32_e32 v8, v8, v8
	v_min_f32_e32 v43, v8, v12
	v_max_f32_e32 v8, v8, v12
	v_cndmask_b32_e32 v12, v8, v43, vcc
	v_and_b32_e32 v8, 0x7f800000, v12
	v_cmp_ne_u32_e64 s[28:29], s46, v8
                                        ; implicit-def: $vgpr8
	s_and_saveexec_b64 s[12:13], s[28:29]
	s_xor_b64 s[28:29], exec, s[12:13]
; %bb.1162:                             ;   in Loop: Header=BB5_47 Depth=1
	v_bfe_u32 v8, v12, 16, 1
	v_add3_u32 v8, v12, v8, s47
                                        ; implicit-def: $vgpr12
; %bb.1163:                             ;   in Loop: Header=BB5_47 Depth=1
	s_andn2_saveexec_b64 s[40:41], s[28:29]
; %bb.1164:                             ;   in Loop: Header=BB5_47 Depth=1
	v_or_b32_e32 v8, 0x10000, v12
	v_cmp_eq_u32_sdwa s[28:29], v12, v3 src0_sel:WORD_0 src1_sel:DWORD
	s_nop 1
	v_cndmask_b32_e64 v8, v8, v12, s[28:29]
; %bb.1165:                             ;   in Loop: Header=BB5_47 Depth=1
	s_or_b64 exec, exec, s[40:41]
	v_lshlrev_b32_e32 v12, 16, v9
	v_lshlrev_b32_e32 v43, 16, v13
	v_max_f32_e32 v43, v43, v43
	v_max_f32_e32 v12, v12, v12
	v_min_f32_e32 v44, v12, v43
	v_max_f32_e32 v12, v12, v43
	v_cndmask_b32_e32 v43, v12, v44, vcc
	v_and_b32_e32 v12, 0x7f800000, v43
	v_cmp_ne_u32_e64 s[28:29], s46, v12
                                        ; implicit-def: $vgpr12
	s_and_saveexec_b64 s[12:13], s[28:29]
	s_xor_b64 s[28:29], exec, s[12:13]
; %bb.1166:                             ;   in Loop: Header=BB5_47 Depth=1
	v_bfe_u32 v12, v43, 16, 1
	v_add3_u32 v12, v43, v12, s47
                                        ; implicit-def: $vgpr43
; %bb.1167:                             ;   in Loop: Header=BB5_47 Depth=1
	s_andn2_saveexec_b64 s[40:41], s[28:29]
; %bb.1168:                             ;   in Loop: Header=BB5_47 Depth=1
	v_or_b32_e32 v12, 0x10000, v43
	v_cmp_eq_u32_sdwa s[28:29], v43, v3 src0_sel:WORD_0 src1_sel:DWORD
	s_nop 1
	v_cndmask_b32_e64 v12, v12, v43, s[28:29]
; %bb.1169:                             ;   in Loop: Header=BB5_47 Depth=1
	s_or_b64 exec, exec, s[40:41]
	v_and_b32_e32 v9, 0xffff0000, v9
	v_and_b32_e32 v13, 0xffff0000, v13
	v_max_f32_e32 v13, v13, v13
	v_max_f32_e32 v9, v9, v9
	v_min_f32_e32 v43, v9, v13
	v_max_f32_e32 v9, v9, v13
	v_cndmask_b32_e32 v13, v9, v43, vcc
	v_and_b32_e32 v9, 0x7f800000, v13
	v_cmp_ne_u32_e64 s[28:29], s46, v9
                                        ; implicit-def: $vgpr9
	s_and_saveexec_b64 s[12:13], s[28:29]
	s_xor_b64 s[28:29], exec, s[12:13]
; %bb.1170:                             ;   in Loop: Header=BB5_47 Depth=1
	v_bfe_u32 v9, v13, 16, 1
	v_add3_u32 v9, v13, v9, s47
                                        ; implicit-def: $vgpr13
; %bb.1171:                             ;   in Loop: Header=BB5_47 Depth=1
	s_andn2_saveexec_b64 s[40:41], s[28:29]
; %bb.1172:                             ;   in Loop: Header=BB5_47 Depth=1
	v_or_b32_e32 v9, 0x10000, v13
	v_cmp_eq_u32_sdwa s[28:29], v13, v3 src0_sel:WORD_0 src1_sel:DWORD
	s_nop 1
	v_cndmask_b32_e64 v9, v9, v13, s[28:29]
; %bb.1173:                             ;   in Loop: Header=BB5_47 Depth=1
	s_or_b64 exec, exec, s[40:41]
	v_lshlrev_b32_e32 v13, 16, v10
	v_lshlrev_b32_e32 v43, 16, v14
	v_max_f32_e32 v43, v43, v43
	v_max_f32_e32 v13, v13, v13
	v_min_f32_e32 v44, v13, v43
	v_max_f32_e32 v13, v13, v43
	v_cndmask_b32_e32 v43, v13, v44, vcc
	v_and_b32_e32 v13, 0x7f800000, v43
	v_cmp_ne_u32_e64 s[28:29], s46, v13
                                        ; implicit-def: $vgpr13
	s_and_saveexec_b64 s[12:13], s[28:29]
	s_xor_b64 s[28:29], exec, s[12:13]
; %bb.1174:                             ;   in Loop: Header=BB5_47 Depth=1
	v_bfe_u32 v13, v43, 16, 1
	v_add3_u32 v13, v43, v13, s47
                                        ; implicit-def: $vgpr43
; %bb.1175:                             ;   in Loop: Header=BB5_47 Depth=1
	s_andn2_saveexec_b64 s[40:41], s[28:29]
; %bb.1176:                             ;   in Loop: Header=BB5_47 Depth=1
	v_or_b32_e32 v13, 0x10000, v43
	v_cmp_eq_u32_sdwa s[28:29], v43, v3 src0_sel:WORD_0 src1_sel:DWORD
	s_nop 1
	v_cndmask_b32_e64 v13, v13, v43, s[28:29]
; %bb.1177:                             ;   in Loop: Header=BB5_47 Depth=1
	s_or_b64 exec, exec, s[40:41]
	v_and_b32_e32 v10, 0xffff0000, v10
	v_and_b32_e32 v14, 0xffff0000, v14
	v_max_f32_e32 v14, v14, v14
	v_max_f32_e32 v10, v10, v10
	v_min_f32_e32 v43, v10, v14
	v_max_f32_e32 v10, v10, v14
	v_cndmask_b32_e32 v14, v10, v43, vcc
	v_and_b32_e32 v10, 0x7f800000, v14
	v_cmp_ne_u32_e64 s[28:29], s46, v10
                                        ; implicit-def: $vgpr10
	s_and_saveexec_b64 s[12:13], s[28:29]
	s_xor_b64 s[28:29], exec, s[12:13]
; %bb.1178:                             ;   in Loop: Header=BB5_47 Depth=1
	v_bfe_u32 v10, v14, 16, 1
	v_add3_u32 v10, v14, v10, s47
                                        ; implicit-def: $vgpr14
; %bb.1179:                             ;   in Loop: Header=BB5_47 Depth=1
	s_andn2_saveexec_b64 s[40:41], s[28:29]
; %bb.1180:                             ;   in Loop: Header=BB5_47 Depth=1
	v_or_b32_e32 v10, 0x10000, v14
	v_cmp_eq_u32_sdwa s[28:29], v14, v3 src0_sel:WORD_0 src1_sel:DWORD
	s_nop 1
	v_cndmask_b32_e64 v10, v10, v14, s[28:29]
; %bb.1181:                             ;   in Loop: Header=BB5_47 Depth=1
	s_or_b64 exec, exec, s[40:41]
	v_lshlrev_b32_e32 v14, 16, v11
	v_lshlrev_b32_e32 v43, 16, v15
	v_max_f32_e32 v43, v43, v43
	v_max_f32_e32 v14, v14, v14
	v_min_f32_e32 v44, v14, v43
	v_max_f32_e32 v14, v14, v43
	v_cndmask_b32_e32 v43, v14, v44, vcc
	v_and_b32_e32 v14, 0x7f800000, v43
	v_cmp_ne_u32_e64 s[28:29], s46, v14
                                        ; implicit-def: $vgpr14
	s_and_saveexec_b64 s[12:13], s[28:29]
	s_xor_b64 s[28:29], exec, s[12:13]
; %bb.1182:                             ;   in Loop: Header=BB5_47 Depth=1
	v_bfe_u32 v14, v43, 16, 1
	v_add3_u32 v14, v43, v14, s47
                                        ; implicit-def: $vgpr43
; %bb.1183:                             ;   in Loop: Header=BB5_47 Depth=1
	s_andn2_saveexec_b64 s[40:41], s[28:29]
; %bb.1184:                             ;   in Loop: Header=BB5_47 Depth=1
	v_or_b32_e32 v14, 0x10000, v43
	v_cmp_eq_u32_sdwa s[28:29], v43, v3 src0_sel:WORD_0 src1_sel:DWORD
	s_nop 1
	v_cndmask_b32_e64 v14, v14, v43, s[28:29]
; %bb.1185:                             ;   in Loop: Header=BB5_47 Depth=1
	s_or_b64 exec, exec, s[40:41]
	v_and_b32_e32 v11, 0xffff0000, v11
	v_and_b32_e32 v15, 0xffff0000, v15
	v_max_f32_e32 v15, v15, v15
	v_max_f32_e32 v11, v11, v11
	v_min_f32_e32 v43, v11, v15
	v_max_f32_e32 v11, v11, v15
	v_cndmask_b32_e32 v15, v11, v43, vcc
	v_and_b32_e32 v11, 0x7f800000, v15
	v_cmp_ne_u32_e32 vcc, s46, v11
                                        ; implicit-def: $vgpr11
	s_and_saveexec_b64 s[12:13], vcc
	s_xor_b64 s[28:29], exec, s[12:13]
; %bb.1186:                             ;   in Loop: Header=BB5_47 Depth=1
	v_bfe_u32 v11, v15, 16, 1
	v_add3_u32 v11, v15, v11, s47
                                        ; implicit-def: $vgpr15
; %bb.1187:                             ;   in Loop: Header=BB5_47 Depth=1
	s_andn2_saveexec_b64 s[28:29], s[28:29]
; %bb.1188:                             ;   in Loop: Header=BB5_47 Depth=1
	v_or_b32_e32 v11, 0x10000, v15
	v_cmp_eq_u32_sdwa vcc, v15, v3 src0_sel:WORD_0 src1_sel:DWORD
	s_nop 1
	v_cndmask_b32_e32 v11, v11, v15, vcc
; %bb.1189:                             ;   in Loop: Header=BB5_47 Depth=1
	s_or_b64 exec, exec, s[28:29]
	v_lshrrev_b32_e32 v12, 16, v12
	v_and_or_b32 v9, v9, s44, v12
	v_lshrrev_b32_e32 v12, 16, v42
	v_and_or_b32 v8, v8, s44, v12
	;; [unrolled: 2-line block ×4, first 2 shown]
	s_mov_b64 s[36:37], 0
	s_mov_b64 s[34:35], -1
.LBB5_1190:                             ;   Parent Loop BB5_47 Depth=1
                                        ; =>  This Inner Loop Header: Depth=2
	s_cmp_eq_u32 s36, 1
	s_cselect_b64 vcc, -1, 0
	v_cndmask_b32_e32 v13, v119, v41, vcc
	s_cmp_eq_u32 s36, 0
	v_cndmask_b32_e32 v12, v118, v40, vcc
	global_store_dwordx4 v[12:13], v[8:11], off
	v_lshl_add_u64 v[12:13], v[12:13], 0, s[60:61]
	s_cselect_b64 s[28:29], -1, 0
	s_and_b64 s[40:41], exec, s[34:35]
	s_mov_b64 s[36:37], 1
	s_mov_b64 s[34:35], 0
	v_cndmask_b32_e32 v41, v41, v13, vcc
	v_cndmask_b32_e32 v40, v40, v12, vcc
	v_cndmask_b32_e64 v119, v119, v13, s[28:29]
	v_cndmask_b32_e64 v118, v118, v12, s[28:29]
	s_mov_b64 vcc, s[40:41]
	s_cbranch_vccnz .LBB5_1190
.LBB5_1191:                             ;   in Loop: Header=BB5_47 Depth=1
	s_or_b64 exec, exec, s[30:31]
	v_and_b32_e32 v9, 14, v46
	v_cndmask_b32_e64 v119, v79, v9, s[26:27]
	v_cmp_ne_u32_e32 vcc, 0, v119
	s_mov_b64 s[28:29], s[94:95]
                                        ; implicit-def: $vgpr118
                                        ; implicit-def: $vgpr8
                                        ; implicit-def: $vgpr40
	s_and_saveexec_b64 s[40:41], vcc
	s_cbranch_execz .LBB5_1193
; %bb.1192:                             ;   in Loop: Header=BB5_47 Depth=1
	v_sub_u32_e32 v8, v79, v9
	v_cndmask_b32_e64 v8, 0, v8, s[26:27]
	v_cmp_lt_i32_e32 vcc, 0, v88
	v_add3_u32 v118, v78, v47, v8
	s_or_b64 s[28:29], s[94:95], exec
	v_cndmask_b32_e32 v8, 0, v52, vcc
	v_sub_u32_e32 v8, v8, v88
	v_lshl_add_u32 v8, v8, 6, v57
	v_ashrrev_i32_e32 v9, 31, v8
	v_lshrrev_b32_e32 v9, 26, v9
	v_add_u32_e32 v9, v8, v9
	v_and_b32_e32 v9, 0xffffffc0, v9
	v_sub_u32_e32 v40, v8, v9
.LBB5_1193:                             ;   in Loop: Header=BB5_47 Depth=1
	s_or_b64 exec, exec, s[40:41]
	s_andn2_b64 s[12:13], s[94:95], exec
	s_and_b64 s[26:27], s[28:29], exec
	s_or_b64 s[94:95], s[12:13], s[26:27]
.LBB5_1194:                             ;   in Loop: Header=BB5_47 Depth=1
	s_or_b64 exec, exec, s[42:43]
	s_and_saveexec_b64 s[42:43], s[94:95]
	s_cbranch_execz .LBB5_1287
.LBB5_1195:                             ;   in Loop: Header=BB5_47 Depth=1
	v_ashrrev_i32_e32 v9, 31, v8
	v_lshrrev_b32_e32 v9, 26, v9
	v_add_u32_e32 v8, v8, v9
	v_ashrrev_i32_e32 v8, 6, v8
	v_lshlrev_b32_e32 v9, 9, v8
	v_lshlrev_b32_e32 v10, 1, v40
	v_add3_u32 v14, v118, v10, v9
	v_ashrrev_i32_e32 v9, 31, v119
	v_lshrrev_b32_e32 v9, 23, v9
	v_add_u32_e32 v9, v119, v9
	s_waitcnt lgkmcnt(0)
	v_ashrrev_i32_e32 v42, 9, v9
	v_ashrrev_i32_e32 v15, 31, v14
	v_sub_u32_e32 v41, v42, v8
	v_lshl_add_u64 v[10:11], v[20:21], 0, v[14:15]
	v_lshl_add_u64 v[8:9], v[22:23], 0, v[14:15]
	v_cmp_lt_i32_e32 vcc, 0, v41
	v_mov_b32_e32 v88, 0
	s_mov_b64 s[26:27], 0
	v_mov_b32_e32 v78, 0
	v_mov_b32_e32 v43, 0
	;; [unrolled: 1-line block ×7, first 2 shown]
	s_and_saveexec_b64 s[28:29], vcc
	s_cbranch_execz .LBB5_1237
; %bb.1196:                             ;   in Loop: Header=BB5_47 Depth=1
	s_trap 2
	ds_read_b64 v[44:45], v0
	s_and_b32 s12, s52, 0xff
	s_cmp_eq_u32 s12, 0
	v_lshl_add_u64 v[12:13], v[14:15], 0, v[18:19]
	s_mov_b64 s[30:31], 0
	s_waitcnt lgkmcnt(0)
	v_lshl_add_u64 v[14:15], v[44:45], 0, v[14:15]
	s_mov_b64 s[94:95], 0
	s_cselect_b64 vcc, -1, 0
                                        ; implicit-def: $sgpr40_sgpr41
                                        ; implicit-def: $vgpr89
                                        ; implicit-def: $vgpr78
                                        ; implicit-def: $vgpr57
                                        ; implicit-def: $vgpr47
                                        ; implicit-def: $vgpr43
                                        ; implicit-def: $vgpr44
                                        ; implicit-def: $vgpr45
                                        ; implicit-def: $vgpr46
	s_branch .LBB5_1198
.LBB5_1197:                             ;   in Loop: Header=BB5_1198 Depth=2
	s_or_b64 exec, exec, s[26:27]
	v_cmp_gt_i32_e64 s[26:27], 1, v41
	s_or_b64 s[94:95], s[26:27], s[94:95]
	s_andn2_b64 s[12:13], s[40:41], exec
	s_and_b64 s[26:27], s[30:31], exec
	s_or_b64 s[40:41], s[12:13], s[26:27]
	s_andn2_b64 exec, exec, s[94:95]
	s_cbranch_execz .LBB5_1236
.LBB5_1198:                             ;   Parent Loop BB5_47 Depth=1
                                        ; =>  This Inner Loop Header: Depth=2
	flat_load_ushort v94, v[12:13] nt
	flat_load_ushort v92, v[12:13] offset:128 nt
	flat_load_ushort v90, v[12:13] offset:256 nt
	;; [unrolled: 1-line block ×3, first 2 shown]
	flat_load_ushort v95, v[14:15] nt
	flat_load_ushort v93, v[14:15] offset:128 nt
	flat_load_ushort v91, v[14:15] offset:256 nt
	;; [unrolled: 1-line block ×3, first 2 shown]
	s_and_saveexec_b64 s[34:35], s[30:31]
	s_cbranch_execz .LBB5_1216
; %bb.1199:                             ;   in Loop: Header=BB5_1198 Depth=2
	v_lshlrev_b32_e32 v89, 16, v89
	v_lshlrev_b32_e32 v104, 16, v43
	v_max_f32_e32 v104, v104, v104
	v_max_f32_e32 v89, v89, v89
	v_min_f32_e32 v105, v89, v104
	v_max_f32_e32 v89, v89, v104
	v_cndmask_b32_e32 v104, v89, v105, vcc
	v_and_b32_e32 v89, 0x7f800000, v104
	v_cmp_ne_u32_e64 s[26:27], s46, v89
                                        ; implicit-def: $vgpr89
	s_and_saveexec_b64 s[12:13], s[26:27]
	s_xor_b64 s[26:27], exec, s[12:13]
; %bb.1200:                             ;   in Loop: Header=BB5_1198 Depth=2
	v_bfe_u32 v89, v104, 16, 1
	v_add3_u32 v89, v104, v89, s47
                                        ; implicit-def: $vgpr104
; %bb.1201:                             ;   in Loop: Header=BB5_1198 Depth=2
	s_andn2_saveexec_b64 s[30:31], s[26:27]
; %bb.1202:                             ;   in Loop: Header=BB5_1198 Depth=2
	v_or_b32_e32 v89, 0x10000, v104
	v_cmp_eq_u32_sdwa s[26:27], v104, v3 src0_sel:WORD_0 src1_sel:DWORD
	s_nop 1
	v_cndmask_b32_e64 v89, v89, v104, s[26:27]
; %bb.1203:                             ;   in Loop: Header=BB5_1198 Depth=2
	s_or_b64 exec, exec, s[30:31]
	v_lshlrev_b32_e32 v78, 16, v78
	v_lshlrev_b32_e32 v104, 16, v44
	v_max_f32_e32 v104, v104, v104
	v_max_f32_e32 v78, v78, v78
	v_min_f32_e32 v105, v78, v104
	v_max_f32_e32 v78, v78, v104
	v_cndmask_b32_e32 v104, v78, v105, vcc
	v_and_b32_e32 v78, 0x7f800000, v104
	v_cmp_ne_u32_e64 s[26:27], s46, v78
                                        ; implicit-def: $vgpr78
	s_and_saveexec_b64 s[12:13], s[26:27]
	s_xor_b64 s[26:27], exec, s[12:13]
; %bb.1204:                             ;   in Loop: Header=BB5_1198 Depth=2
	v_bfe_u32 v78, v104, 16, 1
	v_add3_u32 v78, v104, v78, s47
                                        ; implicit-def: $vgpr104
; %bb.1205:                             ;   in Loop: Header=BB5_1198 Depth=2
	s_andn2_saveexec_b64 s[30:31], s[26:27]
; %bb.1206:                             ;   in Loop: Header=BB5_1198 Depth=2
	v_or_b32_e32 v78, 0x10000, v104
	v_cmp_eq_u32_sdwa s[26:27], v104, v3 src0_sel:WORD_0 src1_sel:DWORD
	s_nop 1
	v_cndmask_b32_e64 v78, v78, v104, s[26:27]
; %bb.1207:                             ;   in Loop: Header=BB5_1198 Depth=2
	s_or_b64 exec, exec, s[30:31]
	v_lshlrev_b32_e32 v57, 16, v57
	v_lshlrev_b32_e32 v104, 16, v45
	v_max_f32_e32 v104, v104, v104
	v_max_f32_e32 v57, v57, v57
	v_min_f32_e32 v105, v57, v104
	v_max_f32_e32 v57, v57, v104
	v_cndmask_b32_e32 v104, v57, v105, vcc
	v_and_b32_e32 v57, 0x7f800000, v104
	v_cmp_ne_u32_e64 s[26:27], s46, v57
                                        ; implicit-def: $vgpr57
	s_and_saveexec_b64 s[12:13], s[26:27]
	s_xor_b64 s[26:27], exec, s[12:13]
; %bb.1208:                             ;   in Loop: Header=BB5_1198 Depth=2
	v_bfe_u32 v57, v104, 16, 1
	v_add3_u32 v57, v104, v57, s47
                                        ; implicit-def: $vgpr104
; %bb.1209:                             ;   in Loop: Header=BB5_1198 Depth=2
	s_andn2_saveexec_b64 s[30:31], s[26:27]
; %bb.1210:                             ;   in Loop: Header=BB5_1198 Depth=2
	v_or_b32_e32 v57, 0x10000, v104
	v_cmp_eq_u32_sdwa s[26:27], v104, v3 src0_sel:WORD_0 src1_sel:DWORD
	s_nop 1
	v_cndmask_b32_e64 v57, v57, v104, s[26:27]
; %bb.1211:                             ;   in Loop: Header=BB5_1198 Depth=2
	s_or_b64 exec, exec, s[30:31]
	v_lshlrev_b32_e32 v47, 16, v47
	v_lshlrev_b32_e32 v104, 16, v46
	v_max_f32_e32 v104, v104, v104
	v_max_f32_e32 v47, v47, v47
	v_min_f32_e32 v105, v47, v104
	v_max_f32_e32 v47, v47, v104
	v_cndmask_b32_e32 v104, v47, v105, vcc
	v_and_b32_e32 v47, 0x7f800000, v104
	v_cmp_ne_u32_e64 s[26:27], s46, v47
                                        ; implicit-def: $vgpr47
	s_and_saveexec_b64 s[12:13], s[26:27]
	s_xor_b64 s[26:27], exec, s[12:13]
; %bb.1212:                             ;   in Loop: Header=BB5_1198 Depth=2
	v_bfe_u32 v47, v104, 16, 1
	v_add3_u32 v47, v104, v47, s47
                                        ; implicit-def: $vgpr104
; %bb.1213:                             ;   in Loop: Header=BB5_1198 Depth=2
	s_andn2_saveexec_b64 s[30:31], s[26:27]
; %bb.1214:                             ;   in Loop: Header=BB5_1198 Depth=2
	v_or_b32_e32 v47, 0x10000, v104
	v_cmp_eq_u32_sdwa s[26:27], v104, v3 src0_sel:WORD_0 src1_sel:DWORD
	s_nop 1
	v_cndmask_b32_e64 v47, v47, v104, s[26:27]
; %bb.1215:                             ;   in Loop: Header=BB5_1198 Depth=2
	s_or_b64 exec, exec, s[30:31]
	v_lshrrev_b32_e32 v89, 16, v89
	v_lshrrev_b32_e32 v57, 16, v57
	;; [unrolled: 1-line block ×4, first 2 shown]
	flat_store_short v[10:11], v89 nt
	flat_store_short v[10:11], v78 offset:128 nt
	flat_store_short v[10:11], v57 offset:256 nt
	;; [unrolled: 1-line block ×3, first 2 shown]
	flat_store_short v[8:9], v89 nt
	flat_store_short v[8:9], v78 offset:128 nt
	flat_store_short v[8:9], v57 offset:256 nt
	;; [unrolled: 1-line block ×3, first 2 shown]
	v_lshl_add_u64 v[10:11], v[10:11], 0, v[86:87]
	v_lshl_add_u64 v[8:9], v[8:9], 0, v[86:87]
.LBB5_1216:                             ;   in Loop: Header=BB5_1198 Depth=2
	s_or_b64 exec, exec, s[34:35]
	v_sub_u32_e32 v41, v41, v52
	v_lshl_add_u64 v[12:13], v[12:13], 0, v[86:87]
	v_lshl_add_u64 v[14:15], v[14:15], 0, v[86:87]
	v_cmp_lt_i32_e64 s[30:31], 0, v41
	s_and_saveexec_b64 s[26:27], s[30:31]
	s_cbranch_execz .LBB5_1218
; %bb.1217:                             ;   in Loop: Header=BB5_1198 Depth=2
	flat_load_ushort v89, v[12:13] nt
	flat_load_ushort v78, v[12:13] offset:128 nt
	flat_load_ushort v57, v[12:13] offset:256 nt
	;; [unrolled: 1-line block ×3, first 2 shown]
	flat_load_ushort v43, v[14:15] nt
	flat_load_ushort v44, v[14:15] offset:128 nt
	flat_load_ushort v45, v[14:15] offset:256 nt
	flat_load_ushort v46, v[14:15] offset:384 nt
	v_lshl_add_u64 v[12:13], v[12:13], 0, s[62:63]
	v_lshl_add_u64 v[14:15], v[14:15], 0, s[62:63]
.LBB5_1218:                             ;   in Loop: Header=BB5_1198 Depth=2
	s_or_b64 exec, exec, s[26:27]
	s_waitcnt vmcnt(0) lgkmcnt(0)
	v_lshlrev_b32_e32 v94, 16, v94
	v_lshlrev_b32_e32 v95, 16, v95
	v_max_f32_e32 v95, v95, v95
	v_max_f32_e32 v94, v94, v94
	v_min_f32_e32 v104, v94, v95
	v_max_f32_e32 v94, v94, v95
	v_cndmask_b32_e32 v95, v94, v104, vcc
	v_and_b32_e32 v94, 0x7f800000, v95
	v_cmp_ne_u32_e64 s[26:27], s46, v94
                                        ; implicit-def: $vgpr94
	s_and_saveexec_b64 s[12:13], s[26:27]
	s_xor_b64 s[26:27], exec, s[12:13]
; %bb.1219:                             ;   in Loop: Header=BB5_1198 Depth=2
	v_bfe_u32 v94, v95, 16, 1
	v_add3_u32 v94, v95, v94, s47
                                        ; implicit-def: $vgpr95
; %bb.1220:                             ;   in Loop: Header=BB5_1198 Depth=2
	s_andn2_saveexec_b64 s[34:35], s[26:27]
; %bb.1221:                             ;   in Loop: Header=BB5_1198 Depth=2
	v_or_b32_e32 v94, 0x10000, v95
	v_cmp_eq_u32_sdwa s[26:27], v95, v3 src0_sel:WORD_0 src1_sel:DWORD
	s_nop 1
	v_cndmask_b32_e64 v94, v94, v95, s[26:27]
; %bb.1222:                             ;   in Loop: Header=BB5_1198 Depth=2
	s_or_b64 exec, exec, s[34:35]
	v_lshlrev_b32_e32 v92, 16, v92
	v_lshlrev_b32_e32 v93, 16, v93
	v_max_f32_e32 v93, v93, v93
	v_max_f32_e32 v92, v92, v92
	v_min_f32_e32 v95, v92, v93
	v_max_f32_e32 v92, v92, v93
	v_cndmask_b32_e32 v93, v92, v95, vcc
	v_and_b32_e32 v92, 0x7f800000, v93
	v_cmp_ne_u32_e64 s[26:27], s46, v92
                                        ; implicit-def: $vgpr92
	s_and_saveexec_b64 s[12:13], s[26:27]
	s_xor_b64 s[26:27], exec, s[12:13]
; %bb.1223:                             ;   in Loop: Header=BB5_1198 Depth=2
	v_bfe_u32 v92, v93, 16, 1
	v_add3_u32 v92, v93, v92, s47
                                        ; implicit-def: $vgpr93
; %bb.1224:                             ;   in Loop: Header=BB5_1198 Depth=2
	s_andn2_saveexec_b64 s[34:35], s[26:27]
; %bb.1225:                             ;   in Loop: Header=BB5_1198 Depth=2
	v_or_b32_e32 v92, 0x10000, v93
	v_cmp_eq_u32_sdwa s[26:27], v93, v3 src0_sel:WORD_0 src1_sel:DWORD
	s_nop 1
	v_cndmask_b32_e64 v92, v92, v93, s[26:27]
; %bb.1226:                             ;   in Loop: Header=BB5_1198 Depth=2
	s_or_b64 exec, exec, s[34:35]
	v_lshlrev_b32_e32 v90, 16, v90
	v_lshlrev_b32_e32 v91, 16, v91
	v_max_f32_e32 v91, v91, v91
	v_max_f32_e32 v90, v90, v90
	v_min_f32_e32 v93, v90, v91
	v_max_f32_e32 v90, v90, v91
	v_cndmask_b32_e32 v91, v90, v93, vcc
	v_and_b32_e32 v90, 0x7f800000, v91
	v_cmp_ne_u32_e64 s[26:27], s46, v90
                                        ; implicit-def: $vgpr90
	s_and_saveexec_b64 s[12:13], s[26:27]
	s_xor_b64 s[26:27], exec, s[12:13]
; %bb.1227:                             ;   in Loop: Header=BB5_1198 Depth=2
	v_bfe_u32 v90, v91, 16, 1
	v_add3_u32 v90, v91, v90, s47
                                        ; implicit-def: $vgpr91
; %bb.1228:                             ;   in Loop: Header=BB5_1198 Depth=2
	s_andn2_saveexec_b64 s[34:35], s[26:27]
; %bb.1229:                             ;   in Loop: Header=BB5_1198 Depth=2
	v_or_b32_e32 v90, 0x10000, v91
	v_cmp_eq_u32_sdwa s[26:27], v91, v3 src0_sel:WORD_0 src1_sel:DWORD
	s_nop 1
	v_cndmask_b32_e64 v90, v90, v91, s[26:27]
; %bb.1230:                             ;   in Loop: Header=BB5_1198 Depth=2
	s_or_b64 exec, exec, s[34:35]
	v_lshlrev_b32_e32 v79, 16, v79
	v_lshlrev_b32_e32 v88, 16, v88
	v_max_f32_e32 v88, v88, v88
	v_max_f32_e32 v79, v79, v79
	v_min_f32_e32 v91, v79, v88
	v_max_f32_e32 v79, v79, v88
	v_cndmask_b32_e32 v88, v79, v91, vcc
	v_and_b32_e32 v79, 0x7f800000, v88
	v_cmp_ne_u32_e64 s[26:27], s46, v79
                                        ; implicit-def: $vgpr79
	s_and_saveexec_b64 s[12:13], s[26:27]
	s_xor_b64 s[26:27], exec, s[12:13]
; %bb.1231:                             ;   in Loop: Header=BB5_1198 Depth=2
	v_bfe_u32 v79, v88, 16, 1
	v_add3_u32 v79, v88, v79, s47
                                        ; implicit-def: $vgpr88
; %bb.1232:                             ;   in Loop: Header=BB5_1198 Depth=2
	s_andn2_saveexec_b64 s[34:35], s[26:27]
; %bb.1233:                             ;   in Loop: Header=BB5_1198 Depth=2
	v_or_b32_e32 v79, 0x10000, v88
	v_cmp_eq_u32_sdwa s[26:27], v88, v3 src0_sel:WORD_0 src1_sel:DWORD
	s_nop 1
	v_cndmask_b32_e64 v79, v79, v88, s[26:27]
; %bb.1234:                             ;   in Loop: Header=BB5_1198 Depth=2
	s_or_b64 exec, exec, s[34:35]
	v_lshrrev_b32_e32 v91, 16, v94
	v_lshrrev_b32_e32 v88, 16, v90
	;; [unrolled: 1-line block ×4, first 2 shown]
	flat_store_short v[10:11], v91 nt
	flat_store_short v[10:11], v90 offset:128 nt
	flat_store_short v[10:11], v88 offset:256 nt
	flat_store_short v[10:11], v79 offset:384 nt
	v_lshl_add_u64 v[10:11], v[10:11], 0, s[62:63]
	flat_store_short v[8:9], v91 nt
	flat_store_short v[8:9], v90 offset:128 nt
	flat_store_short v[8:9], v88 offset:256 nt
	;; [unrolled: 1-line block ×3, first 2 shown]
	v_lshl_add_u64 v[8:9], v[8:9], 0, s[62:63]
	s_and_saveexec_b64 s[26:27], s[30:31]
	s_cbranch_execz .LBB5_1197
; %bb.1235:                             ;   in Loop: Header=BB5_1198 Depth=2
	v_lshl_add_u64 v[10:11], v[10:11], 0, v[70:71]
	v_lshl_add_u64 v[8:9], v[8:9], 0, v[70:71]
	v_lshl_add_u64 v[12:13], v[12:13], 0, v[70:71]
	v_lshl_add_u64 v[14:15], v[14:15], 0, v[70:71]
	v_sub_u32_e32 v41, v41, v52
	s_branch .LBB5_1197
.LBB5_1236:                             ;   in Loop: Header=BB5_47 Depth=1
	s_or_b64 exec, exec, s[94:95]
	v_lshlrev_b32_e32 v88, 16, v89
	v_lshlrev_b32_e32 v89, 16, v43
	;; [unrolled: 1-line block ×8, first 2 shown]
	s_and_b64 s[26:27], s[40:41], exec
.LBB5_1237:                             ;   in Loop: Header=BB5_47 Depth=1
	s_or_b64 exec, exec, s[28:29]
	s_and_saveexec_b64 s[28:29], s[26:27]
	s_cbranch_execz .LBB5_1255
; %bb.1238:                             ;   in Loop: Header=BB5_47 Depth=1
	s_and_b32 s12, s52, 0xff
	s_cmp_eq_u32 s12, 0
	v_max_f32_e32 v14, v89, v89
	v_max_f32_e32 v15, v88, v88
	v_min_f32_e32 v45, v15, v14
	v_max_f32_e32 v14, v15, v14
	s_cselect_b64 vcc, -1, 0
	v_cndmask_b32_e32 v15, v14, v45, vcc
	v_and_b32_e32 v14, 0x7f800000, v15
	v_cmp_ne_u32_e64 s[26:27], s46, v14
                                        ; implicit-def: $vgpr14
	s_and_saveexec_b64 s[12:13], s[26:27]
	s_xor_b64 s[26:27], exec, s[12:13]
; %bb.1239:                             ;   in Loop: Header=BB5_47 Depth=1
	v_bfe_u32 v14, v15, 16, 1
	v_add3_u32 v14, v15, v14, s47
                                        ; implicit-def: $vgpr15
; %bb.1240:                             ;   in Loop: Header=BB5_47 Depth=1
	s_andn2_saveexec_b64 s[40:41], s[26:27]
; %bb.1241:                             ;   in Loop: Header=BB5_47 Depth=1
	v_or_b32_e32 v14, 0x10000, v15
	v_cmp_eq_u32_sdwa s[26:27], v15, v3 src0_sel:WORD_0 src1_sel:DWORD
	s_nop 1
	v_cndmask_b32_e64 v14, v14, v15, s[26:27]
; %bb.1242:                             ;   in Loop: Header=BB5_47 Depth=1
	s_or_b64 exec, exec, s[40:41]
	v_max_f32_e32 v15, v79, v79
	v_max_f32_e32 v45, v78, v78
	v_min_f32_e32 v46, v45, v15
	v_max_f32_e32 v15, v45, v15
	v_cndmask_b32_e32 v45, v15, v46, vcc
	v_and_b32_e32 v15, 0x7f800000, v45
	v_cmp_ne_u32_e64 s[26:27], s46, v15
                                        ; implicit-def: $vgpr15
	s_and_saveexec_b64 s[12:13], s[26:27]
	s_xor_b64 s[26:27], exec, s[12:13]
; %bb.1243:                             ;   in Loop: Header=BB5_47 Depth=1
	v_bfe_u32 v15, v45, 16, 1
	v_add3_u32 v15, v45, v15, s47
                                        ; implicit-def: $vgpr45
; %bb.1244:                             ;   in Loop: Header=BB5_47 Depth=1
	s_andn2_saveexec_b64 s[40:41], s[26:27]
; %bb.1245:                             ;   in Loop: Header=BB5_47 Depth=1
	v_or_b32_e32 v15, 0x10000, v45
	v_cmp_eq_u32_sdwa s[26:27], v45, v3 src0_sel:WORD_0 src1_sel:DWORD
	s_nop 1
	v_cndmask_b32_e64 v15, v15, v45, s[26:27]
; %bb.1246:                             ;   in Loop: Header=BB5_47 Depth=1
	s_or_b64 exec, exec, s[40:41]
	v_max_f32_e32 v44, v44, v44
	v_max_f32_e32 v43, v43, v43
	v_min_f32_e32 v45, v43, v44
	v_max_f32_e32 v43, v43, v44
	v_cndmask_b32_e32 v44, v43, v45, vcc
	v_and_b32_e32 v43, 0x7f800000, v44
	v_cmp_ne_u32_e64 s[26:27], s46, v43
                                        ; implicit-def: $vgpr43
	s_and_saveexec_b64 s[12:13], s[26:27]
	s_xor_b64 s[26:27], exec, s[12:13]
; %bb.1247:                             ;   in Loop: Header=BB5_47 Depth=1
	v_bfe_u32 v43, v44, 16, 1
	v_add3_u32 v43, v44, v43, s47
                                        ; implicit-def: $vgpr44
; %bb.1248:                             ;   in Loop: Header=BB5_47 Depth=1
	s_andn2_saveexec_b64 s[40:41], s[26:27]
; %bb.1249:                             ;   in Loop: Header=BB5_47 Depth=1
	v_or_b32_e32 v43, 0x10000, v44
	v_cmp_eq_u32_sdwa s[26:27], v44, v3 src0_sel:WORD_0 src1_sel:DWORD
	s_nop 1
	v_cndmask_b32_e64 v43, v43, v44, s[26:27]
; %bb.1250:                             ;   in Loop: Header=BB5_47 Depth=1
	s_or_b64 exec, exec, s[40:41]
	v_max_f32_e32 v13, v13, v13
	v_max_f32_e32 v12, v12, v12
	v_min_f32_e32 v44, v12, v13
	v_max_f32_e32 v12, v12, v13
	v_cndmask_b32_e32 v13, v12, v44, vcc
	v_and_b32_e32 v12, 0x7f800000, v13
	v_cmp_ne_u32_e32 vcc, s46, v12
                                        ; implicit-def: $vgpr12
	s_and_saveexec_b64 s[12:13], vcc
	s_xor_b64 s[26:27], exec, s[12:13]
; %bb.1251:                             ;   in Loop: Header=BB5_47 Depth=1
	v_bfe_u32 v12, v13, 16, 1
	v_add3_u32 v12, v13, v12, s47
                                        ; implicit-def: $vgpr13
; %bb.1252:                             ;   in Loop: Header=BB5_47 Depth=1
	s_andn2_saveexec_b64 s[26:27], s[26:27]
; %bb.1253:                             ;   in Loop: Header=BB5_47 Depth=1
	v_or_b32_e32 v12, 0x10000, v13
	v_cmp_eq_u32_sdwa vcc, v13, v3 src0_sel:WORD_0 src1_sel:DWORD
	s_nop 1
	v_cndmask_b32_e32 v12, v12, v13, vcc
; %bb.1254:                             ;   in Loop: Header=BB5_47 Depth=1
	s_or_b64 exec, exec, s[26:27]
	v_lshrrev_b32_e32 v14, 16, v14
	v_lshrrev_b32_e32 v13, 16, v43
	;; [unrolled: 1-line block ×4, first 2 shown]
	flat_store_short v[10:11], v14 nt
	flat_store_short v[10:11], v15 offset:128 nt
	flat_store_short v[10:11], v13 offset:256 nt
	flat_store_short v[10:11], v12 offset:384 nt
	flat_store_short v[8:9], v14 nt
	flat_store_short v[8:9], v15 offset:128 nt
	flat_store_short v[8:9], v13 offset:256 nt
	;; [unrolled: 1-line block ×3, first 2 shown]
.LBB5_1255:                             ;   in Loop: Header=BB5_47 Depth=1
	s_or_b64 exec, exec, s[28:29]
	v_lshlrev_b32_e32 v8, 9, v42
	v_cmp_ne_u32_e32 vcc, v119, v8
	s_and_b64 exec, exec, vcc
	s_cbranch_execz .LBB5_1287
; %bb.1256:                             ;   in Loop: Header=BB5_47 Depth=1
	v_lshlrev_b32_e32 v9, 6, v41
	v_sub_u32_e32 v9, v40, v9
	v_ashrrev_i32_e32 v10, 31, v9
	v_lshrrev_b32_e32 v10, 26, v10
	v_add_u32_e32 v10, v9, v10
	v_and_b32_e32 v11, 0x7fffffc0, v10
	v_sub_u32_e32 v9, v9, v11
	v_lshlrev_b32_e32 v10, 1, v10
	v_and_b32_e32 v10, 0xffffff80, v10
	v_lshlrev_b32_e32 v9, 1, v9
	v_add3_u32 v8, v10, v9, v8
	v_sub_u32_e32 v119, v119, v8
	v_cmp_lt_i32_e32 vcc, 1, v119
	s_and_b64 exec, exec, vcc
	s_cbranch_execz .LBB5_1287
; %bb.1257:                             ;   in Loop: Header=BB5_47 Depth=1
	s_trap 2
	ds_read_b64 v[14:15], v0
	v_add_u32_e32 v40, v8, v118
	s_and_b32 s12, s52, 0xff
	v_ashrrev_i32_e32 v41, 31, v40
	s_cmp_eq_u32 s12, 0
	v_lshl_add_u64 v[8:9], v[20:21], 0, v[40:41]
	v_lshl_add_u64 v[10:11], v[22:23], 0, v[40:41]
	;; [unrolled: 1-line block ×3, first 2 shown]
	s_waitcnt lgkmcnt(0)
	v_lshl_add_u64 v[14:15], v[14:15], 0, v[40:41]
	s_mov_b64 s[34:35], 0
	s_mov_b64 s[94:95], 0
	s_cselect_b64 s[26:27], -1, 0
                                        ; implicit-def: $sgpr30_sgpr31
	s_branch .LBB5_1259
.LBB5_1258:                             ;   in Loop: Header=BB5_1259 Depth=2
	s_or_b64 exec, exec, s[28:29]
	v_cmp_gt_i32_e32 vcc, 2, v119
	s_or_b64 s[94:95], vcc, s[94:95]
	s_andn2_b64 s[12:13], s[30:31], exec
	s_and_b64 s[28:29], s[34:35], exec
	s_or_b64 s[30:31], s[12:13], s[28:29]
	s_andn2_b64 exec, exec, s[94:95]
	s_cbranch_execz .LBB5_1280
.LBB5_1259:                             ;   Parent Loop BB5_47 Depth=1
                                        ; =>  This Loop Header: Depth=2
                                        ;       Child Loop BB5_1260 Depth 3
                                        ;       Child Loop BB5_1267 Depth 3
	;; [unrolled: 1-line block ×4, first 2 shown]
	s_add_i32 s13, s33, 0xa0
	s_mov_b32 s12, s13
	s_mov_b64 s[36:37], -1
	s_mov_b64 s[38:39], 0
.LBB5_1260:                             ;   Parent Loop BB5_47 Depth=1
                                        ;     Parent Loop BB5_1259 Depth=2
                                        ; =>    This Inner Loop Header: Depth=3
	s_cmp_eq_u32 s38, 1
	s_cselect_b64 vcc, -1, 0
	v_cndmask_b32_e32 v23, v13, v15, vcc
	v_cndmask_b32_e32 v22, v12, v14, vcc
	flat_load_ushort v118, v[22:23] nt
	s_cmp_eq_u32 s38, 0
	s_cselect_b64 s[28:29], -1, 0
	s_and_b64 s[40:41], exec, s[36:37]
	v_lshl_add_u64 v[22:23], v[22:23], 0, s[72:73]
	s_add_i32 s13, s33, 0xc0
	s_mov_b64 s[38:39], 1
	s_mov_b64 s[36:37], 0
	v_cndmask_b32_e64 v13, v13, v23, s[28:29]
	v_cndmask_b32_e64 v12, v12, v22, s[28:29]
	v_cndmask_b32_e32 v15, v15, v23, vcc
	v_cndmask_b32_e32 v14, v14, v22, vcc
	s_mov_b64 vcc, s[40:41]
	s_waitcnt vmcnt(0) lgkmcnt(0)
	scratch_store_short off, v118, s12
	s_mov_b32 s12, s13
	s_cbranch_vccnz .LBB5_1260
; %bb.1261:                             ;   in Loop: Header=BB5_1259 Depth=2
	s_and_saveexec_b64 s[36:37], s[34:35]
	s_cbranch_execz .LBB5_1269
; %bb.1262:                             ;   in Loop: Header=BB5_1259 Depth=2
	scratch_load_ushort v22, off, s33 offset:144
	scratch_load_ushort v23, off, s33 offset:146
	s_waitcnt vmcnt(1)
	v_lshlrev_b32_e32 v22, 16, v22
	s_waitcnt vmcnt(0)
	v_lshlrev_b32_e32 v23, 16, v23
	v_max_f32_e32 v23, v23, v23
	v_max_f32_e32 v22, v22, v22
	v_min_f32_e32 v118, v22, v23
	v_max_f32_e32 v22, v22, v23
	v_cndmask_b32_e64 v22, v22, v118, s[26:27]
	v_and_b32_e32 v23, 0x7f800000, v22
	v_cmp_ne_u32_e32 vcc, s46, v23
                                        ; implicit-def: $vgpr23
	s_and_saveexec_b64 s[12:13], vcc
	s_xor_b64 s[28:29], exec, s[12:13]
; %bb.1263:                             ;   in Loop: Header=BB5_1259 Depth=2
	v_bfe_u32 v23, v22, 16, 1
	v_add3_u32 v23, v22, v23, s47
                                        ; implicit-def: $vgpr22
; %bb.1264:                             ;   in Loop: Header=BB5_1259 Depth=2
	s_andn2_saveexec_b64 s[28:29], s[28:29]
; %bb.1265:                             ;   in Loop: Header=BB5_1259 Depth=2
	v_or_b32_e32 v23, 0x10000, v22
	v_cmp_eq_u32_sdwa vcc, v22, v3 src0_sel:WORD_0 src1_sel:DWORD
	s_nop 1
	v_cndmask_b32_e32 v23, v23, v22, vcc
; %bb.1266:                             ;   in Loop: Header=BB5_1259 Depth=2
	s_or_b64 exec, exec, s[28:29]
	v_lshrrev_b32_e32 v22, 16, v23
	s_mov_b64 s[38:39], 0
	s_mov_b64 s[34:35], -1
	scratch_store_short off, v22, s33 offset:144
.LBB5_1267:                             ;   Parent Loop BB5_47 Depth=1
                                        ;     Parent Loop BB5_1259 Depth=2
                                        ; =>    This Inner Loop Header: Depth=3
	s_cmp_eq_u32 s38, 1
	s_cselect_b64 vcc, -1, 0
	v_cndmask_b32_e32 v41, v9, v11, vcc
	s_cmp_eq_u32 s38, 0
	v_cndmask_b32_e32 v40, v8, v10, vcc
	flat_store_short v[40:41], v22 nt
	v_lshl_add_u64 v[40:41], v[40:41], 0, s[72:73]
	s_cselect_b64 s[28:29], -1, 0
	s_and_b64 s[40:41], exec, s[34:35]
	s_mov_b64 s[38:39], 1
	s_mov_b64 s[34:35], 0
	v_cndmask_b32_e32 v11, v11, v41, vcc
	v_cndmask_b32_e32 v10, v10, v40, vcc
	v_cndmask_b32_e64 v9, v9, v41, s[28:29]
	v_cndmask_b32_e64 v8, v8, v40, s[28:29]
	s_mov_b64 vcc, s[40:41]
	s_cbranch_vccnz .LBB5_1267
; %bb.1268:                             ;   in Loop: Header=BB5_1259 Depth=2
	v_lshl_add_u64 v[8:9], v[8:9], 0, v[82:83]
	v_lshl_add_u64 v[10:11], v[10:11], 0, v[82:83]
.LBB5_1269:                             ;   in Loop: Header=BB5_1259 Depth=2
	s_or_b64 exec, exec, s[36:37]
	v_sub_u32_e32 v119, v119, v62
	v_lshl_add_u64 v[12:13], v[12:13], 0, v[82:83]
	v_lshl_add_u64 v[14:15], v[14:15], 0, v[82:83]
	v_cmp_lt_i32_e64 s[34:35], 1, v119
	s_and_saveexec_b64 s[36:37], s[34:35]
	s_cbranch_execz .LBB5_1272
; %bb.1270:                             ;   in Loop: Header=BB5_1259 Depth=2
	s_add_i32 s13, s33, 0x90
	s_mov_b32 s12, s13
	s_mov_b64 s[48:49], 0
	s_mov_b64 s[38:39], -1
.LBB5_1271:                             ;   Parent Loop BB5_47 Depth=1
                                        ;     Parent Loop BB5_1259 Depth=2
                                        ; =>    This Inner Loop Header: Depth=3
	s_cmp_eq_u32 s48, 1
	s_cselect_b64 vcc, -1, 0
	v_cndmask_b32_e32 v23, v13, v15, vcc
	v_cndmask_b32_e32 v22, v12, v14, vcc
	flat_load_ushort v118, v[22:23] nt
	s_cmp_eq_u32 s48, 0
	s_cselect_b64 s[28:29], -1, 0
	s_and_b64 s[40:41], exec, s[38:39]
	v_lshl_add_u64 v[22:23], v[22:23], 0, s[72:73]
	s_add_i32 s13, s33, 0x92
	s_mov_b64 s[48:49], 1
	s_mov_b64 s[38:39], 0
	v_cndmask_b32_e64 v13, v13, v23, s[28:29]
	v_cndmask_b32_e64 v12, v12, v22, s[28:29]
	v_cndmask_b32_e32 v15, v15, v23, vcc
	v_cndmask_b32_e32 v14, v14, v22, vcc
	s_mov_b64 vcc, s[40:41]
	s_waitcnt vmcnt(0) lgkmcnt(0)
	scratch_store_short off, v118, s12
	s_mov_b32 s12, s13
	s_cbranch_vccnz .LBB5_1271
.LBB5_1272:                             ;   in Loop: Header=BB5_1259 Depth=2
	s_or_b64 exec, exec, s[36:37]
	scratch_load_ushort v22, off, s33 offset:160
	scratch_load_ushort v23, off, s33 offset:192
	s_waitcnt vmcnt(0)
	v_lshlrev_b32_e32 v22, 16, v22
	v_lshlrev_b32_e32 v23, 16, v23
	v_max_f32_e32 v23, v23, v23
	v_max_f32_e32 v22, v22, v22
	v_min_f32_e32 v118, v22, v23
	v_max_f32_e32 v22, v22, v23
	v_cndmask_b32_e64 v22, v22, v118, s[26:27]
	v_and_b32_e32 v23, 0x7f800000, v22
	v_cmp_ne_u32_e32 vcc, s46, v23
                                        ; implicit-def: $vgpr23
	s_and_saveexec_b64 s[12:13], vcc
	s_xor_b64 s[28:29], exec, s[12:13]
; %bb.1273:                             ;   in Loop: Header=BB5_1259 Depth=2
	v_bfe_u32 v23, v22, 16, 1
	v_add3_u32 v23, v22, v23, s47
                                        ; implicit-def: $vgpr22
; %bb.1274:                             ;   in Loop: Header=BB5_1259 Depth=2
	s_andn2_saveexec_b64 s[28:29], s[28:29]
; %bb.1275:                             ;   in Loop: Header=BB5_1259 Depth=2
	v_or_b32_e32 v23, 0x10000, v22
	v_cmp_eq_u32_sdwa vcc, v22, v3 src0_sel:WORD_0 src1_sel:DWORD
	s_nop 1
	v_cndmask_b32_e32 v23, v23, v22, vcc
; %bb.1276:                             ;   in Loop: Header=BB5_1259 Depth=2
	s_or_b64 exec, exec, s[28:29]
	v_lshrrev_b32_e32 v22, 16, v23
	s_mov_b64 s[38:39], 0
	s_mov_b64 s[36:37], -1
	scratch_store_short off, v22, s33 offset:160
.LBB5_1277:                             ;   Parent Loop BB5_47 Depth=1
                                        ;     Parent Loop BB5_1259 Depth=2
                                        ; =>    This Inner Loop Header: Depth=3
	s_cmp_eq_u32 s38, 1
	s_cselect_b64 vcc, -1, 0
	v_cndmask_b32_e32 v41, v9, v11, vcc
	s_cmp_eq_u32 s38, 0
	v_cndmask_b32_e32 v40, v8, v10, vcc
	flat_store_short v[40:41], v22 nt
	v_lshl_add_u64 v[40:41], v[40:41], 0, s[72:73]
	s_cselect_b64 s[28:29], -1, 0
	s_and_b64 s[40:41], exec, s[36:37]
	s_mov_b64 s[38:39], 1
	s_mov_b64 s[36:37], 0
	v_cndmask_b32_e32 v11, v11, v41, vcc
	v_cndmask_b32_e32 v10, v10, v40, vcc
	v_cndmask_b32_e64 v9, v9, v41, s[28:29]
	v_cndmask_b32_e64 v8, v8, v40, s[28:29]
	s_mov_b64 vcc, s[40:41]
	s_cbranch_vccnz .LBB5_1277
; %bb.1278:                             ;   in Loop: Header=BB5_1259 Depth=2
	s_and_saveexec_b64 s[28:29], s[34:35]
	s_cbranch_execz .LBB5_1258
; %bb.1279:                             ;   in Loop: Header=BB5_1259 Depth=2
	v_lshl_add_u64 v[8:9], v[8:9], 0, v[82:83]
	v_lshl_add_u64 v[10:11], v[10:11], 0, v[82:83]
	;; [unrolled: 1-line block ×4, first 2 shown]
	v_sub_u32_e32 v119, v119, v62
	s_branch .LBB5_1258
.LBB5_1280:                             ;   in Loop: Header=BB5_47 Depth=1
	s_or_b64 exec, exec, s[94:95]
	s_and_b64 exec, exec, s[30:31]
	s_cbranch_execz .LBB5_1287
; %bb.1281:                             ;   in Loop: Header=BB5_47 Depth=1
	scratch_load_ushort v12, off, s33 offset:144
	scratch_load_ushort v13, off, s33 offset:146
	s_waitcnt vmcnt(0)
	v_lshlrev_b32_e32 v12, 16, v12
	v_lshlrev_b32_e32 v13, 16, v13
	v_max_f32_e32 v13, v13, v13
	v_max_f32_e32 v12, v12, v12
	v_min_f32_e32 v14, v12, v13
	v_max_f32_e32 v12, v12, v13
	v_cndmask_b32_e64 v12, v12, v14, s[26:27]
	v_and_b32_e32 v13, 0x7f800000, v12
	v_cmp_ne_u32_e32 vcc, s46, v13
                                        ; implicit-def: $vgpr13
	s_and_saveexec_b64 s[12:13], vcc
	s_xor_b64 s[26:27], exec, s[12:13]
; %bb.1282:                             ;   in Loop: Header=BB5_47 Depth=1
	v_bfe_u32 v13, v12, 16, 1
	v_add3_u32 v13, v12, v13, s47
                                        ; implicit-def: $vgpr12
; %bb.1283:                             ;   in Loop: Header=BB5_47 Depth=1
	s_andn2_saveexec_b64 s[26:27], s[26:27]
; %bb.1284:                             ;   in Loop: Header=BB5_47 Depth=1
	v_or_b32_e32 v13, 0x10000, v12
	v_cmp_eq_u32_sdwa vcc, v12, v3 src0_sel:WORD_0 src1_sel:DWORD
	s_nop 1
	v_cndmask_b32_e32 v13, v13, v12, vcc
; %bb.1285:                             ;   in Loop: Header=BB5_47 Depth=1
	s_or_b64 exec, exec, s[26:27]
	v_lshrrev_b32_e32 v12, 16, v13
	s_mov_b64 s[94:95], 0
	s_mov_b64 s[40:41], -1
.LBB5_1286:                             ;   Parent Loop BB5_47 Depth=1
                                        ; =>  This Inner Loop Header: Depth=2
	s_cmp_eq_u32 s94, 1
	s_cselect_b64 vcc, -1, 0
	v_cndmask_b32_e32 v15, v9, v11, vcc
	s_cmp_eq_u32 s94, 0
	v_cndmask_b32_e32 v14, v8, v10, vcc
	flat_store_short v[14:15], v12 nt
	v_lshl_add_u64 v[14:15], v[14:15], 0, s[72:73]
	s_cselect_b64 s[26:27], -1, 0
	s_and_b64 s[28:29], exec, s[40:41]
	s_mov_b64 s[94:95], 1
	s_mov_b64 s[40:41], 0
	v_cndmask_b32_e32 v11, v11, v15, vcc
	v_cndmask_b32_e32 v10, v10, v14, vcc
	v_cndmask_b32_e64 v9, v9, v15, s[26:27]
	v_cndmask_b32_e64 v8, v8, v14, s[26:27]
	s_mov_b64 vcc, s[28:29]
	s_cbranch_vccnz .LBB5_1286
.LBB5_1287:                             ;   in Loop: Header=BB5_47 Depth=1
	s_or_b64 exec, exec, s[42:43]
	s_mov_b64 s[26:27], 0
.LBB5_1288:                             ;   in Loop: Header=BB5_47 Depth=1
	s_and_b64 vcc, exec, s[26:27]
	s_cbranch_vccz .LBB5_1371
; %bb.1289:                             ;   in Loop: Header=BB5_47 Depth=1
	s_mov_b64 s[26:27], -1
	s_and_saveexec_b64 s[28:29], s[20:21]
	s_cbranch_execz .LBB5_1291
; %bb.1290:                             ;   in Loop: Header=BB5_47 Depth=1
	ds_read_b32 v8, v0 offset:720
	s_waitcnt lgkmcnt(0)
	v_and_b32_e32 v8, 15, v8
	v_cmp_eq_u32_e32 vcc, 0, v8
	s_orn2_b64 s[26:27], vcc, exec
.LBB5_1291:                             ;   in Loop: Header=BB5_47 Depth=1
	s_or_b64 exec, exec, s[28:29]
	s_and_saveexec_b64 s[28:29], s[16:17]
	s_cbranch_execz .LBB5_1293
; %bb.1292:                             ;   in Loop: Header=BB5_47 Depth=1
	ds_read_b32 v8, v0 offset:784
	s_waitcnt lgkmcnt(0)
	v_and_b32_e32 v8, 15, v8
	v_cmp_eq_u32_e32 vcc, 0, v8
	s_and_b64 s[12:13], s[26:27], vcc
	s_andn2_b64 s[26:27], s[26:27], exec
	s_and_b64 s[12:13], s[12:13], exec
	s_or_b64 s[26:27], s[26:27], s[12:13]
.LBB5_1293:                             ;   in Loop: Header=BB5_47 Depth=1
	s_or_b64 exec, exec, s[28:29]
	s_xor_b64 s[12:13], s[26:27], -1
	v_cndmask_b32_e64 v8, 0, 1, s[12:13]
	s_mov_b64 s[28:29], -1
	v_cmp_ne_u32_e32 vcc, 0, v8
	s_cbranch_vccz .LBB5_1372
; %bb.1294:                             ;   in Loop: Header=BB5_47 Depth=1
	s_and_b32 s52, s45, 1
	s_mov_b64 s[94:95], -1
	v_mov_b32_e32 v14, 0
	s_cbranch_execnz .LBB5_1373
.LBB5_1295:                             ;   in Loop: Header=BB5_47 Depth=1
	v_ashrrev_i32_e32 v8, 31, v17
	v_lshrrev_b32_e32 v8, 22, v8
	v_add_u32_e32 v8, v17, v8
	v_and_b32_e32 v44, 0xfffffc00, v8
	s_trap 2
	ds_read_b64 v[22:23], v0
	v_ashrrev_i32_e32 v9, 10, v8
	v_sub_u32_e32 v45, v17, v44
	v_sub_u32_e32 v8, v9, v60
	v_cmp_lt_i32_e64 s[26:27], 15, v45
	v_sub_u32_e32 v47, v17, v54
	s_and_b32 s52, s45, 1
	v_addc_co_u32_e64 v46, vcc, 0, v8, s[26:27]
	v_lshl_add_u64 v[118:119], v[20:21], 0, v[54:55]
	v_cmp_lt_i32_e32 vcc, 15, v47
	s_mov_b64 s[28:29], 0
	s_and_saveexec_b64 s[30:31], vcc
	s_cbranch_execz .LBB5_1375
; %bb.1296:                             ;   in Loop: Header=BB5_47 Depth=1
	s_and_b32 s12, 0xffff, s52
	s_cmp_eq_u32 s12, 0
	v_lshl_add_u64 v[40:41], v[18:19], 0, v[54:55]
	s_waitcnt lgkmcnt(0)
	v_lshl_add_u64 v[42:43], v[22:23], 0, v[54:55]
	s_mov_b64 s[38:39], 0
	s_mov_b64 s[34:35], 0
	s_cselect_b64 s[28:29], -1, 0
                                        ; implicit-def: $sgpr36_sgpr37
	s_branch .LBB5_1298
.LBB5_1297:                             ;   in Loop: Header=BB5_1298 Depth=2
	s_or_b64 exec, exec, s[40:41]
	v_cmp_gt_i32_e32 vcc, 16, v47
	s_or_b64 s[34:35], vcc, s[34:35]
	s_andn2_b64 s[12:13], s[36:37], exec
	s_and_b64 s[40:41], s[38:39], exec
	s_or_b64 s[36:37], s[12:13], s[40:41]
	s_andn2_b64 exec, exec, s[34:35]
	s_cbranch_execz .LBB5_1374
.LBB5_1298:                             ;   Parent Loop BB5_47 Depth=1
                                        ; =>  This Loop Header: Depth=2
                                        ;       Child Loop BB5_1299 Depth 3
                                        ;       Child Loop BB5_1336 Depth 3
	s_add_i32 s13, s33, 0xa0
	s_mov_b32 s12, s13
	s_mov_b64 s[48:49], -1
	s_mov_b64 s[50:51], 0
.LBB5_1299:                             ;   Parent Loop BB5_47 Depth=1
                                        ;     Parent Loop BB5_1298 Depth=2
                                        ; =>    This Inner Loop Header: Depth=3
	s_cmp_eq_u32 s50, 1
	s_cselect_b64 vcc, -1, 0
	v_cndmask_b32_e32 v13, v41, v43, vcc
	v_cndmask_b32_e32 v12, v40, v42, vcc
	global_load_dwordx4 v[8:11], v[12:13], off nt
	s_cmp_eq_u32 s50, 0
	v_lshl_add_u64 v[12:13], v[12:13], 0, s[60:61]
	s_cselect_b64 s[40:41], -1, 0
	s_and_b64 s[42:43], exec, s[48:49]
	s_mov_b64 s[50:51], 1
	s_mov_b64 s[48:49], 0
	v_cndmask_b32_e64 v41, v41, v13, s[40:41]
	v_cndmask_b32_e64 v40, v40, v12, s[40:41]
	v_cndmask_b32_e32 v43, v43, v13, vcc
	v_cndmask_b32_e32 v42, v42, v12, vcc
	s_mov_b64 vcc, s[42:43]
	s_waitcnt vmcnt(0)
	scratch_store_dwordx4 off, v[8:11], s12
	s_mov_b32 s12, s85
	s_cbranch_vccnz .LBB5_1299
; %bb.1300:                             ;   in Loop: Header=BB5_1298 Depth=2
	s_and_saveexec_b64 s[40:41], s[38:39]
	s_cbranch_execz .LBB5_1334
; %bb.1301:                             ;   in Loop: Header=BB5_1298 Depth=2
	scratch_load_dwordx4 v[8:11], off, s33 offset:192
	scratch_load_dwordx4 v[12:15], off, s33 offset:208
	s_waitcnt vmcnt(1)
	v_lshlrev_b32_e32 v57, 16, v8
	s_waitcnt vmcnt(0)
	v_lshlrev_b32_e32 v78, 16, v12
	v_max_f32_e32 v78, v78, v78
	v_max_f32_e32 v57, v57, v57
	v_min_f32_e32 v79, v57, v78
	v_max_f32_e32 v57, v57, v78
	v_cndmask_b32_e64 v78, v57, v79, s[28:29]
	v_and_b32_e32 v57, 0x7f800000, v78
	v_cmp_ne_u32_e32 vcc, s46, v57
                                        ; implicit-def: $vgpr57
	s_and_saveexec_b64 s[12:13], vcc
	s_xor_b64 s[42:43], exec, s[12:13]
; %bb.1302:                             ;   in Loop: Header=BB5_1298 Depth=2
	v_bfe_u32 v57, v78, 16, 1
	v_add3_u32 v57, v78, v57, s47
                                        ; implicit-def: $vgpr78
; %bb.1303:                             ;   in Loop: Header=BB5_1298 Depth=2
	s_andn2_saveexec_b64 s[42:43], s[42:43]
; %bb.1304:                             ;   in Loop: Header=BB5_1298 Depth=2
	v_or_b32_e32 v57, 0x10000, v78
	v_cmp_eq_u32_sdwa vcc, v78, v3 src0_sel:WORD_0 src1_sel:DWORD
	s_nop 1
	v_cndmask_b32_e32 v57, v57, v78, vcc
; %bb.1305:                             ;   in Loop: Header=BB5_1298 Depth=2
	s_or_b64 exec, exec, s[42:43]
	v_and_b32_e32 v8, 0xffff0000, v8
	v_and_b32_e32 v12, 0xffff0000, v12
	v_max_f32_e32 v12, v12, v12
	v_max_f32_e32 v8, v8, v8
	v_min_f32_e32 v78, v8, v12
	v_max_f32_e32 v8, v8, v12
	v_cndmask_b32_e64 v12, v8, v78, s[28:29]
	v_and_b32_e32 v8, 0x7f800000, v12
	v_cmp_ne_u32_e32 vcc, s46, v8
                                        ; implicit-def: $vgpr8
	s_and_saveexec_b64 s[12:13], vcc
	s_xor_b64 s[42:43], exec, s[12:13]
; %bb.1306:                             ;   in Loop: Header=BB5_1298 Depth=2
	v_bfe_u32 v8, v12, 16, 1
	v_add3_u32 v8, v12, v8, s47
                                        ; implicit-def: $vgpr12
; %bb.1307:                             ;   in Loop: Header=BB5_1298 Depth=2
	s_andn2_saveexec_b64 s[42:43], s[42:43]
; %bb.1308:                             ;   in Loop: Header=BB5_1298 Depth=2
	v_or_b32_e32 v8, 0x10000, v12
	v_cmp_eq_u32_sdwa vcc, v12, v3 src0_sel:WORD_0 src1_sel:DWORD
	s_nop 1
	v_cndmask_b32_e32 v8, v8, v12, vcc
; %bb.1309:                             ;   in Loop: Header=BB5_1298 Depth=2
	s_or_b64 exec, exec, s[42:43]
	v_lshlrev_b32_e32 v12, 16, v9
	v_lshlrev_b32_e32 v78, 16, v13
	v_max_f32_e32 v78, v78, v78
	v_max_f32_e32 v12, v12, v12
	v_min_f32_e32 v79, v12, v78
	v_max_f32_e32 v12, v12, v78
	v_cndmask_b32_e64 v78, v12, v79, s[28:29]
	v_and_b32_e32 v12, 0x7f800000, v78
	v_cmp_ne_u32_e32 vcc, s46, v12
                                        ; implicit-def: $vgpr12
	s_and_saveexec_b64 s[12:13], vcc
	s_xor_b64 s[42:43], exec, s[12:13]
; %bb.1310:                             ;   in Loop: Header=BB5_1298 Depth=2
	v_bfe_u32 v12, v78, 16, 1
	v_add3_u32 v12, v78, v12, s47
                                        ; implicit-def: $vgpr78
; %bb.1311:                             ;   in Loop: Header=BB5_1298 Depth=2
	s_andn2_saveexec_b64 s[42:43], s[42:43]
; %bb.1312:                             ;   in Loop: Header=BB5_1298 Depth=2
	v_or_b32_e32 v12, 0x10000, v78
	v_cmp_eq_u32_sdwa vcc, v78, v3 src0_sel:WORD_0 src1_sel:DWORD
	s_nop 1
	v_cndmask_b32_e32 v12, v12, v78, vcc
; %bb.1313:                             ;   in Loop: Header=BB5_1298 Depth=2
	s_or_b64 exec, exec, s[42:43]
	v_and_b32_e32 v9, 0xffff0000, v9
	v_and_b32_e32 v13, 0xffff0000, v13
	v_max_f32_e32 v13, v13, v13
	v_max_f32_e32 v9, v9, v9
	v_min_f32_e32 v78, v9, v13
	v_max_f32_e32 v9, v9, v13
	v_cndmask_b32_e64 v13, v9, v78, s[28:29]
	v_and_b32_e32 v9, 0x7f800000, v13
	v_cmp_ne_u32_e32 vcc, s46, v9
                                        ; implicit-def: $vgpr9
	s_and_saveexec_b64 s[12:13], vcc
	s_xor_b64 s[42:43], exec, s[12:13]
; %bb.1314:                             ;   in Loop: Header=BB5_1298 Depth=2
	v_bfe_u32 v9, v13, 16, 1
	v_add3_u32 v9, v13, v9, s47
                                        ; implicit-def: $vgpr13
; %bb.1315:                             ;   in Loop: Header=BB5_1298 Depth=2
	s_andn2_saveexec_b64 s[42:43], s[42:43]
; %bb.1316:                             ;   in Loop: Header=BB5_1298 Depth=2
	v_or_b32_e32 v9, 0x10000, v13
	v_cmp_eq_u32_sdwa vcc, v13, v3 src0_sel:WORD_0 src1_sel:DWORD
	s_nop 1
	v_cndmask_b32_e32 v9, v9, v13, vcc
; %bb.1317:                             ;   in Loop: Header=BB5_1298 Depth=2
	s_or_b64 exec, exec, s[42:43]
	v_lshlrev_b32_e32 v13, 16, v10
	v_lshlrev_b32_e32 v78, 16, v14
	v_max_f32_e32 v78, v78, v78
	v_max_f32_e32 v13, v13, v13
	v_min_f32_e32 v79, v13, v78
	v_max_f32_e32 v13, v13, v78
	v_cndmask_b32_e64 v78, v13, v79, s[28:29]
	v_and_b32_e32 v13, 0x7f800000, v78
	v_cmp_ne_u32_e32 vcc, s46, v13
                                        ; implicit-def: $vgpr13
	s_and_saveexec_b64 s[12:13], vcc
	s_xor_b64 s[42:43], exec, s[12:13]
; %bb.1318:                             ;   in Loop: Header=BB5_1298 Depth=2
	v_bfe_u32 v13, v78, 16, 1
	v_add3_u32 v13, v78, v13, s47
                                        ; implicit-def: $vgpr78
; %bb.1319:                             ;   in Loop: Header=BB5_1298 Depth=2
	s_andn2_saveexec_b64 s[42:43], s[42:43]
; %bb.1320:                             ;   in Loop: Header=BB5_1298 Depth=2
	v_or_b32_e32 v13, 0x10000, v78
	v_cmp_eq_u32_sdwa vcc, v78, v3 src0_sel:WORD_0 src1_sel:DWORD
	s_nop 1
	v_cndmask_b32_e32 v13, v13, v78, vcc
; %bb.1321:                             ;   in Loop: Header=BB5_1298 Depth=2
	s_or_b64 exec, exec, s[42:43]
	v_and_b32_e32 v10, 0xffff0000, v10
	v_and_b32_e32 v14, 0xffff0000, v14
	v_max_f32_e32 v14, v14, v14
	v_max_f32_e32 v10, v10, v10
	v_min_f32_e32 v78, v10, v14
	v_max_f32_e32 v10, v10, v14
	v_cndmask_b32_e64 v14, v10, v78, s[28:29]
	v_and_b32_e32 v10, 0x7f800000, v14
	v_cmp_ne_u32_e32 vcc, s46, v10
                                        ; implicit-def: $vgpr10
	s_and_saveexec_b64 s[12:13], vcc
	s_xor_b64 s[42:43], exec, s[12:13]
; %bb.1322:                             ;   in Loop: Header=BB5_1298 Depth=2
	v_bfe_u32 v10, v14, 16, 1
	v_add3_u32 v10, v14, v10, s47
                                        ; implicit-def: $vgpr14
; %bb.1323:                             ;   in Loop: Header=BB5_1298 Depth=2
	s_andn2_saveexec_b64 s[42:43], s[42:43]
; %bb.1324:                             ;   in Loop: Header=BB5_1298 Depth=2
	v_or_b32_e32 v10, 0x10000, v14
	v_cmp_eq_u32_sdwa vcc, v14, v3 src0_sel:WORD_0 src1_sel:DWORD
	s_nop 1
	v_cndmask_b32_e32 v10, v10, v14, vcc
; %bb.1325:                             ;   in Loop: Header=BB5_1298 Depth=2
	s_or_b64 exec, exec, s[42:43]
	v_lshlrev_b32_e32 v14, 16, v11
	v_lshlrev_b32_e32 v78, 16, v15
	v_max_f32_e32 v78, v78, v78
	v_max_f32_e32 v14, v14, v14
	v_min_f32_e32 v79, v14, v78
	v_max_f32_e32 v14, v14, v78
	v_cndmask_b32_e64 v78, v14, v79, s[28:29]
	v_and_b32_e32 v14, 0x7f800000, v78
	v_cmp_ne_u32_e32 vcc, s46, v14
                                        ; implicit-def: $vgpr14
	s_and_saveexec_b64 s[12:13], vcc
	s_xor_b64 s[42:43], exec, s[12:13]
; %bb.1326:                             ;   in Loop: Header=BB5_1298 Depth=2
	v_bfe_u32 v14, v78, 16, 1
	v_add3_u32 v14, v78, v14, s47
                                        ; implicit-def: $vgpr78
; %bb.1327:                             ;   in Loop: Header=BB5_1298 Depth=2
	s_andn2_saveexec_b64 s[42:43], s[42:43]
; %bb.1328:                             ;   in Loop: Header=BB5_1298 Depth=2
	v_or_b32_e32 v14, 0x10000, v78
	v_cmp_eq_u32_sdwa vcc, v78, v3 src0_sel:WORD_0 src1_sel:DWORD
	s_nop 1
	v_cndmask_b32_e32 v14, v14, v78, vcc
; %bb.1329:                             ;   in Loop: Header=BB5_1298 Depth=2
	s_or_b64 exec, exec, s[42:43]
	v_and_b32_e32 v11, 0xffff0000, v11
	v_and_b32_e32 v15, 0xffff0000, v15
	v_max_f32_e32 v15, v15, v15
	v_max_f32_e32 v11, v11, v11
	v_min_f32_e32 v78, v11, v15
	v_max_f32_e32 v11, v11, v15
	v_cndmask_b32_e64 v15, v11, v78, s[28:29]
	v_and_b32_e32 v11, 0x7f800000, v15
	v_cmp_ne_u32_e32 vcc, s46, v11
                                        ; implicit-def: $vgpr11
	s_and_saveexec_b64 s[12:13], vcc
	s_xor_b64 s[42:43], exec, s[12:13]
; %bb.1330:                             ;   in Loop: Header=BB5_1298 Depth=2
	v_bfe_u32 v11, v15, 16, 1
	v_add3_u32 v11, v15, v11, s47
                                        ; implicit-def: $vgpr15
; %bb.1331:                             ;   in Loop: Header=BB5_1298 Depth=2
	s_andn2_saveexec_b64 s[42:43], s[42:43]
; %bb.1332:                             ;   in Loop: Header=BB5_1298 Depth=2
	v_or_b32_e32 v11, 0x10000, v15
	v_cmp_eq_u32_sdwa vcc, v15, v3 src0_sel:WORD_0 src1_sel:DWORD
	s_nop 1
	v_cndmask_b32_e32 v11, v11, v15, vcc
; %bb.1333:                             ;   in Loop: Header=BB5_1298 Depth=2
	s_or_b64 exec, exec, s[42:43]
	v_lshrrev_b32_e32 v12, 16, v12
	v_and_or_b32 v9, v9, s44, v12
	v_lshrrev_b32_e32 v12, 16, v57
	v_and_or_b32 v8, v8, s44, v12
	;; [unrolled: 2-line block ×4, first 2 shown]
	scratch_store_dwordx4 off, v[8:11], s33 offset:192
	global_store_dwordx4 v[118:119], v[8:11], off
	v_lshl_add_u64 v[118:119], v[96:97], 0, v[118:119]
.LBB5_1334:                             ;   in Loop: Header=BB5_1298 Depth=2
	s_or_b64 exec, exec, s[40:41]
	v_sub_u32_e32 v47, v47, v61
	v_lshl_add_u64 v[40:41], v[40:41], 0, v[80:81]
	v_lshl_add_u64 v[42:43], v[42:43], 0, v[80:81]
	v_cmp_lt_i32_e64 s[38:39], 15, v47
	s_and_saveexec_b64 s[42:43], s[38:39]
	s_cbranch_execz .LBB5_1337
; %bb.1335:                             ;   in Loop: Header=BB5_1298 Depth=2
	s_add_i32 s13, s33, 0xc0
	s_mov_b32 s12, s13
	s_mov_b64 s[40:41], 0
	s_mov_b64 s[48:49], -1
.LBB5_1336:                             ;   Parent Loop BB5_47 Depth=1
                                        ;     Parent Loop BB5_1298 Depth=2
                                        ; =>    This Inner Loop Header: Depth=3
	s_cmp_eq_u32 s40, 1
	s_cselect_b64 vcc, -1, 0
	v_cndmask_b32_e32 v13, v41, v43, vcc
	v_cndmask_b32_e32 v12, v40, v42, vcc
	global_load_dwordx4 v[8:11], v[12:13], off nt
	s_cmp_eq_u32 s40, 0
	s_cselect_b64 s[40:41], -1, 0
	s_waitcnt vmcnt(0)
	scratch_store_dwordx4 off, v[8:11], s12
	s_nop 1
	v_lshl_add_u64 v[8:9], v[12:13], 0, s[60:61]
	v_cndmask_b32_e64 v41, v41, v9, s[40:41]
	v_cndmask_b32_e64 v40, v40, v8, s[40:41]
	v_cndmask_b32_e32 v43, v43, v9, vcc
	v_cndmask_b32_e32 v42, v42, v8, vcc
	s_mov_b64 s[40:41], 1
	s_and_b64 vcc, exec, s[48:49]
	s_mov_b64 s[48:49], 0
	s_mov_b32 s12, s84
	s_cbranch_vccnz .LBB5_1336
.LBB5_1337:                             ;   in Loop: Header=BB5_1298 Depth=2
	s_or_b64 exec, exec, s[42:43]
	scratch_load_dwordx4 v[8:11], off, s33 offset:160
	scratch_load_dwordx4 v[12:15], off, s33 offset:176
	s_waitcnt vmcnt(1)
	v_lshlrev_b32_e32 v57, 16, v8
	s_waitcnt vmcnt(0)
	v_lshlrev_b32_e32 v78, 16, v12
	v_max_f32_e32 v78, v78, v78
	v_max_f32_e32 v57, v57, v57
	v_min_f32_e32 v79, v57, v78
	v_max_f32_e32 v57, v57, v78
	v_cndmask_b32_e64 v78, v57, v79, s[28:29]
	v_and_b32_e32 v57, 0x7f800000, v78
	v_cmp_ne_u32_e32 vcc, s46, v57
                                        ; implicit-def: $vgpr57
	s_and_saveexec_b64 s[12:13], vcc
	s_xor_b64 s[40:41], exec, s[12:13]
; %bb.1338:                             ;   in Loop: Header=BB5_1298 Depth=2
	v_bfe_u32 v57, v78, 16, 1
	v_add3_u32 v57, v78, v57, s47
                                        ; implicit-def: $vgpr78
; %bb.1339:                             ;   in Loop: Header=BB5_1298 Depth=2
	s_andn2_saveexec_b64 s[40:41], s[40:41]
; %bb.1340:                             ;   in Loop: Header=BB5_1298 Depth=2
	v_or_b32_e32 v57, 0x10000, v78
	v_cmp_eq_u32_sdwa vcc, v78, v3 src0_sel:WORD_0 src1_sel:DWORD
	s_nop 1
	v_cndmask_b32_e32 v57, v57, v78, vcc
; %bb.1341:                             ;   in Loop: Header=BB5_1298 Depth=2
	s_or_b64 exec, exec, s[40:41]
	v_and_b32_e32 v8, 0xffff0000, v8
	v_and_b32_e32 v12, 0xffff0000, v12
	v_max_f32_e32 v12, v12, v12
	v_max_f32_e32 v8, v8, v8
	v_min_f32_e32 v78, v8, v12
	v_max_f32_e32 v8, v8, v12
	v_cndmask_b32_e64 v12, v8, v78, s[28:29]
	v_and_b32_e32 v8, 0x7f800000, v12
	v_cmp_ne_u32_e32 vcc, s46, v8
                                        ; implicit-def: $vgpr8
	s_and_saveexec_b64 s[12:13], vcc
	s_xor_b64 s[40:41], exec, s[12:13]
; %bb.1342:                             ;   in Loop: Header=BB5_1298 Depth=2
	v_bfe_u32 v8, v12, 16, 1
	v_add3_u32 v8, v12, v8, s47
                                        ; implicit-def: $vgpr12
; %bb.1343:                             ;   in Loop: Header=BB5_1298 Depth=2
	s_andn2_saveexec_b64 s[40:41], s[40:41]
; %bb.1344:                             ;   in Loop: Header=BB5_1298 Depth=2
	v_or_b32_e32 v8, 0x10000, v12
	v_cmp_eq_u32_sdwa vcc, v12, v3 src0_sel:WORD_0 src1_sel:DWORD
	s_nop 1
	v_cndmask_b32_e32 v8, v8, v12, vcc
; %bb.1345:                             ;   in Loop: Header=BB5_1298 Depth=2
	s_or_b64 exec, exec, s[40:41]
	v_lshlrev_b32_e32 v12, 16, v9
	v_lshlrev_b32_e32 v78, 16, v13
	v_max_f32_e32 v78, v78, v78
	v_max_f32_e32 v12, v12, v12
	v_min_f32_e32 v79, v12, v78
	v_max_f32_e32 v12, v12, v78
	v_cndmask_b32_e64 v78, v12, v79, s[28:29]
	v_and_b32_e32 v12, 0x7f800000, v78
	v_cmp_ne_u32_e32 vcc, s46, v12
                                        ; implicit-def: $vgpr12
	s_and_saveexec_b64 s[12:13], vcc
	s_xor_b64 s[40:41], exec, s[12:13]
; %bb.1346:                             ;   in Loop: Header=BB5_1298 Depth=2
	v_bfe_u32 v12, v78, 16, 1
	v_add3_u32 v12, v78, v12, s47
                                        ; implicit-def: $vgpr78
; %bb.1347:                             ;   in Loop: Header=BB5_1298 Depth=2
	s_andn2_saveexec_b64 s[40:41], s[40:41]
; %bb.1348:                             ;   in Loop: Header=BB5_1298 Depth=2
	v_or_b32_e32 v12, 0x10000, v78
	v_cmp_eq_u32_sdwa vcc, v78, v3 src0_sel:WORD_0 src1_sel:DWORD
	s_nop 1
	v_cndmask_b32_e32 v12, v12, v78, vcc
; %bb.1349:                             ;   in Loop: Header=BB5_1298 Depth=2
	s_or_b64 exec, exec, s[40:41]
	v_and_b32_e32 v9, 0xffff0000, v9
	v_and_b32_e32 v13, 0xffff0000, v13
	v_max_f32_e32 v13, v13, v13
	v_max_f32_e32 v9, v9, v9
	v_min_f32_e32 v78, v9, v13
	v_max_f32_e32 v9, v9, v13
	v_cndmask_b32_e64 v13, v9, v78, s[28:29]
	v_and_b32_e32 v9, 0x7f800000, v13
	v_cmp_ne_u32_e32 vcc, s46, v9
                                        ; implicit-def: $vgpr9
	s_and_saveexec_b64 s[12:13], vcc
	s_xor_b64 s[40:41], exec, s[12:13]
; %bb.1350:                             ;   in Loop: Header=BB5_1298 Depth=2
	v_bfe_u32 v9, v13, 16, 1
	v_add3_u32 v9, v13, v9, s47
                                        ; implicit-def: $vgpr13
; %bb.1351:                             ;   in Loop: Header=BB5_1298 Depth=2
	s_andn2_saveexec_b64 s[40:41], s[40:41]
; %bb.1352:                             ;   in Loop: Header=BB5_1298 Depth=2
	v_or_b32_e32 v9, 0x10000, v13
	v_cmp_eq_u32_sdwa vcc, v13, v3 src0_sel:WORD_0 src1_sel:DWORD
	s_nop 1
	v_cndmask_b32_e32 v9, v9, v13, vcc
; %bb.1353:                             ;   in Loop: Header=BB5_1298 Depth=2
	s_or_b64 exec, exec, s[40:41]
	v_lshlrev_b32_e32 v13, 16, v10
	v_lshlrev_b32_e32 v78, 16, v14
	v_max_f32_e32 v78, v78, v78
	v_max_f32_e32 v13, v13, v13
	v_min_f32_e32 v79, v13, v78
	v_max_f32_e32 v13, v13, v78
	v_cndmask_b32_e64 v78, v13, v79, s[28:29]
	v_and_b32_e32 v13, 0x7f800000, v78
	v_cmp_ne_u32_e32 vcc, s46, v13
                                        ; implicit-def: $vgpr13
	s_and_saveexec_b64 s[12:13], vcc
	s_xor_b64 s[40:41], exec, s[12:13]
; %bb.1354:                             ;   in Loop: Header=BB5_1298 Depth=2
	v_bfe_u32 v13, v78, 16, 1
	v_add3_u32 v13, v78, v13, s47
                                        ; implicit-def: $vgpr78
; %bb.1355:                             ;   in Loop: Header=BB5_1298 Depth=2
	s_andn2_saveexec_b64 s[40:41], s[40:41]
; %bb.1356:                             ;   in Loop: Header=BB5_1298 Depth=2
	v_or_b32_e32 v13, 0x10000, v78
	v_cmp_eq_u32_sdwa vcc, v78, v3 src0_sel:WORD_0 src1_sel:DWORD
	s_nop 1
	v_cndmask_b32_e32 v13, v13, v78, vcc
; %bb.1357:                             ;   in Loop: Header=BB5_1298 Depth=2
	s_or_b64 exec, exec, s[40:41]
	v_and_b32_e32 v10, 0xffff0000, v10
	v_and_b32_e32 v14, 0xffff0000, v14
	v_max_f32_e32 v14, v14, v14
	v_max_f32_e32 v10, v10, v10
	v_min_f32_e32 v78, v10, v14
	v_max_f32_e32 v10, v10, v14
	v_cndmask_b32_e64 v14, v10, v78, s[28:29]
	v_and_b32_e32 v10, 0x7f800000, v14
	v_cmp_ne_u32_e32 vcc, s46, v10
                                        ; implicit-def: $vgpr10
	s_and_saveexec_b64 s[12:13], vcc
	s_xor_b64 s[40:41], exec, s[12:13]
; %bb.1358:                             ;   in Loop: Header=BB5_1298 Depth=2
	v_bfe_u32 v10, v14, 16, 1
	v_add3_u32 v10, v14, v10, s47
                                        ; implicit-def: $vgpr14
; %bb.1359:                             ;   in Loop: Header=BB5_1298 Depth=2
	s_andn2_saveexec_b64 s[40:41], s[40:41]
; %bb.1360:                             ;   in Loop: Header=BB5_1298 Depth=2
	v_or_b32_e32 v10, 0x10000, v14
	v_cmp_eq_u32_sdwa vcc, v14, v3 src0_sel:WORD_0 src1_sel:DWORD
	s_nop 1
	v_cndmask_b32_e32 v10, v10, v14, vcc
; %bb.1361:                             ;   in Loop: Header=BB5_1298 Depth=2
	s_or_b64 exec, exec, s[40:41]
	v_lshlrev_b32_e32 v14, 16, v11
	v_lshlrev_b32_e32 v78, 16, v15
	v_max_f32_e32 v78, v78, v78
	v_max_f32_e32 v14, v14, v14
	v_min_f32_e32 v79, v14, v78
	v_max_f32_e32 v14, v14, v78
	v_cndmask_b32_e64 v78, v14, v79, s[28:29]
	v_and_b32_e32 v14, 0x7f800000, v78
	v_cmp_ne_u32_e32 vcc, s46, v14
                                        ; implicit-def: $vgpr14
	s_and_saveexec_b64 s[12:13], vcc
	s_xor_b64 s[40:41], exec, s[12:13]
; %bb.1362:                             ;   in Loop: Header=BB5_1298 Depth=2
	v_bfe_u32 v14, v78, 16, 1
	v_add3_u32 v14, v78, v14, s47
                                        ; implicit-def: $vgpr78
; %bb.1363:                             ;   in Loop: Header=BB5_1298 Depth=2
	s_andn2_saveexec_b64 s[40:41], s[40:41]
; %bb.1364:                             ;   in Loop: Header=BB5_1298 Depth=2
	v_or_b32_e32 v14, 0x10000, v78
	v_cmp_eq_u32_sdwa vcc, v78, v3 src0_sel:WORD_0 src1_sel:DWORD
	s_nop 1
	v_cndmask_b32_e32 v14, v14, v78, vcc
; %bb.1365:                             ;   in Loop: Header=BB5_1298 Depth=2
	s_or_b64 exec, exec, s[40:41]
	v_and_b32_e32 v11, 0xffff0000, v11
	v_and_b32_e32 v15, 0xffff0000, v15
	v_max_f32_e32 v15, v15, v15
	v_max_f32_e32 v11, v11, v11
	v_min_f32_e32 v78, v11, v15
	v_max_f32_e32 v11, v11, v15
	v_cndmask_b32_e64 v15, v11, v78, s[28:29]
	v_and_b32_e32 v11, 0x7f800000, v15
	v_cmp_ne_u32_e32 vcc, s46, v11
                                        ; implicit-def: $vgpr11
	s_and_saveexec_b64 s[12:13], vcc
	s_xor_b64 s[40:41], exec, s[12:13]
; %bb.1366:                             ;   in Loop: Header=BB5_1298 Depth=2
	v_bfe_u32 v11, v15, 16, 1
	v_add3_u32 v11, v15, v11, s47
                                        ; implicit-def: $vgpr15
; %bb.1367:                             ;   in Loop: Header=BB5_1298 Depth=2
	s_andn2_saveexec_b64 s[40:41], s[40:41]
; %bb.1368:                             ;   in Loop: Header=BB5_1298 Depth=2
	v_or_b32_e32 v11, 0x10000, v15
	v_cmp_eq_u32_sdwa vcc, v15, v3 src0_sel:WORD_0 src1_sel:DWORD
	s_nop 1
	v_cndmask_b32_e32 v11, v11, v15, vcc
; %bb.1369:                             ;   in Loop: Header=BB5_1298 Depth=2
	s_or_b64 exec, exec, s[40:41]
	v_lshrrev_b32_e32 v12, 16, v12
	v_and_or_b32 v9, v9, s44, v12
	v_lshrrev_b32_e32 v12, 16, v57
	v_and_or_b32 v8, v8, s44, v12
	;; [unrolled: 2-line block ×4, first 2 shown]
	v_sub_u32_e32 v46, v46, v52
	scratch_store_dwordx4 off, v[8:11], s33 offset:160
	global_store_dwordx4 v[118:119], v[8:11], off
	v_lshl_add_u64 v[118:119], v[118:119], 0, s[60:61]
	s_and_saveexec_b64 s[40:41], s[38:39]
	s_cbranch_execz .LBB5_1297
; %bb.1370:                             ;   in Loop: Header=BB5_1298 Depth=2
	v_lshl_add_u64 v[40:41], v[40:41], 0, v[80:81]
	v_lshl_add_u64 v[42:43], v[42:43], 0, v[80:81]
	;; [unrolled: 1-line block ×3, first 2 shown]
	v_sub_u32_e32 v47, v47, v61
	v_sub_u32_e32 v46, v46, v52
	s_branch .LBB5_1297
.LBB5_1371:                             ;   in Loop: Header=BB5_47 Depth=1
	v_cmp_lt_i32_e64 s[26:27], 0, v2
	s_and_saveexec_b64 s[28:29], s[6:7]
	s_cbranch_execnz .LBB5_1609
	s_branch .LBB5_1627
.LBB5_1372:                             ;   in Loop: Header=BB5_47 Depth=1
	s_mov_b64 s[94:95], 0
                                        ; implicit-def: $sgpr52
	s_andn2_b64 vcc, exec, s[28:29]
	v_mov_b32_e32 v14, 0
	s_cbranch_vccz .LBB5_1295
.LBB5_1373:                             ;   in Loop: Header=BB5_47 Depth=1
	v_mov_b32_e32 v8, v0
	v_mov_b32_e32 v15, v59
	s_and_saveexec_b64 s[42:43], s[94:95]
	s_cbranch_execnz .LBB5_1525
	s_branch .LBB5_1608
.LBB5_1374:                             ;   in Loop: Header=BB5_47 Depth=1
	s_or_b64 exec, exec, s[34:35]
	s_and_b64 s[28:29], s[36:37], exec
.LBB5_1375:                             ;   in Loop: Header=BB5_47 Depth=1
	s_or_b64 exec, exec, s[30:31]
	s_and_saveexec_b64 s[40:41], s[28:29]
	s_cbranch_execz .LBB5_1409
; %bb.1376:                             ;   in Loop: Header=BB5_47 Depth=1
	scratch_load_dwordx4 v[8:11], off, s33 offset:192
	scratch_load_dwordx4 v[12:15], off, s33 offset:208
	s_and_b32 s12, 0xffff, s52
	s_cmp_eq_u32 s12, 0
	s_cselect_b64 vcc, -1, 0
	s_waitcnt vmcnt(0)
	v_lshlrev_b32_e32 v40, 16, v8
	v_lshlrev_b32_e32 v41, 16, v12
	v_max_f32_e32 v41, v41, v41
	v_max_f32_e32 v40, v40, v40
	s_waitcnt lgkmcnt(0)
	v_min_f32_e32 v42, v40, v41
	v_max_f32_e32 v40, v40, v41
	v_cndmask_b32_e32 v41, v40, v42, vcc
	v_and_b32_e32 v40, 0x7f800000, v41
	v_cmp_ne_u32_e64 s[28:29], s46, v40
                                        ; implicit-def: $vgpr40
	s_and_saveexec_b64 s[12:13], s[28:29]
	s_xor_b64 s[28:29], exec, s[12:13]
; %bb.1377:                             ;   in Loop: Header=BB5_47 Depth=1
	v_bfe_u32 v40, v41, 16, 1
	v_add3_u32 v40, v41, v40, s47
                                        ; implicit-def: $vgpr41
; %bb.1378:                             ;   in Loop: Header=BB5_47 Depth=1
	s_andn2_saveexec_b64 s[42:43], s[28:29]
; %bb.1379:                             ;   in Loop: Header=BB5_47 Depth=1
	v_or_b32_e32 v40, 0x10000, v41
	v_cmp_eq_u32_sdwa s[28:29], v41, v3 src0_sel:WORD_0 src1_sel:DWORD
	s_nop 1
	v_cndmask_b32_e64 v40, v40, v41, s[28:29]
; %bb.1380:                             ;   in Loop: Header=BB5_47 Depth=1
	s_or_b64 exec, exec, s[42:43]
	v_and_b32_e32 v8, 0xffff0000, v8
	v_and_b32_e32 v12, 0xffff0000, v12
	v_max_f32_e32 v12, v12, v12
	v_max_f32_e32 v8, v8, v8
	v_min_f32_e32 v41, v8, v12
	v_max_f32_e32 v8, v8, v12
	v_cndmask_b32_e32 v12, v8, v41, vcc
	v_and_b32_e32 v8, 0x7f800000, v12
	v_cmp_ne_u32_e64 s[28:29], s46, v8
                                        ; implicit-def: $vgpr8
	s_and_saveexec_b64 s[12:13], s[28:29]
	s_xor_b64 s[28:29], exec, s[12:13]
; %bb.1381:                             ;   in Loop: Header=BB5_47 Depth=1
	v_bfe_u32 v8, v12, 16, 1
	v_add3_u32 v8, v12, v8, s47
                                        ; implicit-def: $vgpr12
; %bb.1382:                             ;   in Loop: Header=BB5_47 Depth=1
	s_andn2_saveexec_b64 s[42:43], s[28:29]
; %bb.1383:                             ;   in Loop: Header=BB5_47 Depth=1
	v_or_b32_e32 v8, 0x10000, v12
	v_cmp_eq_u32_sdwa s[28:29], v12, v3 src0_sel:WORD_0 src1_sel:DWORD
	s_nop 1
	v_cndmask_b32_e64 v8, v8, v12, s[28:29]
; %bb.1384:                             ;   in Loop: Header=BB5_47 Depth=1
	s_or_b64 exec, exec, s[42:43]
	v_lshlrev_b32_e32 v12, 16, v9
	v_lshlrev_b32_e32 v41, 16, v13
	v_max_f32_e32 v41, v41, v41
	v_max_f32_e32 v12, v12, v12
	v_min_f32_e32 v42, v12, v41
	v_max_f32_e32 v12, v12, v41
	v_cndmask_b32_e32 v41, v12, v42, vcc
	v_and_b32_e32 v12, 0x7f800000, v41
	v_cmp_ne_u32_e64 s[28:29], s46, v12
                                        ; implicit-def: $vgpr12
	s_and_saveexec_b64 s[12:13], s[28:29]
	s_xor_b64 s[28:29], exec, s[12:13]
; %bb.1385:                             ;   in Loop: Header=BB5_47 Depth=1
	v_bfe_u32 v12, v41, 16, 1
	v_add3_u32 v12, v41, v12, s47
                                        ; implicit-def: $vgpr41
; %bb.1386:                             ;   in Loop: Header=BB5_47 Depth=1
	s_andn2_saveexec_b64 s[42:43], s[28:29]
; %bb.1387:                             ;   in Loop: Header=BB5_47 Depth=1
	v_or_b32_e32 v12, 0x10000, v41
	v_cmp_eq_u32_sdwa s[28:29], v41, v3 src0_sel:WORD_0 src1_sel:DWORD
	s_nop 1
	v_cndmask_b32_e64 v12, v12, v41, s[28:29]
; %bb.1388:                             ;   in Loop: Header=BB5_47 Depth=1
	s_or_b64 exec, exec, s[42:43]
	v_and_b32_e32 v9, 0xffff0000, v9
	v_and_b32_e32 v13, 0xffff0000, v13
	v_max_f32_e32 v13, v13, v13
	v_max_f32_e32 v9, v9, v9
	v_min_f32_e32 v41, v9, v13
	v_max_f32_e32 v9, v9, v13
	v_cndmask_b32_e32 v13, v9, v41, vcc
	v_and_b32_e32 v9, 0x7f800000, v13
	v_cmp_ne_u32_e64 s[28:29], s46, v9
                                        ; implicit-def: $vgpr9
	s_and_saveexec_b64 s[12:13], s[28:29]
	s_xor_b64 s[28:29], exec, s[12:13]
; %bb.1389:                             ;   in Loop: Header=BB5_47 Depth=1
	v_bfe_u32 v9, v13, 16, 1
	v_add3_u32 v9, v13, v9, s47
                                        ; implicit-def: $vgpr13
; %bb.1390:                             ;   in Loop: Header=BB5_47 Depth=1
	s_andn2_saveexec_b64 s[42:43], s[28:29]
; %bb.1391:                             ;   in Loop: Header=BB5_47 Depth=1
	v_or_b32_e32 v9, 0x10000, v13
	v_cmp_eq_u32_sdwa s[28:29], v13, v3 src0_sel:WORD_0 src1_sel:DWORD
	s_nop 1
	v_cndmask_b32_e64 v9, v9, v13, s[28:29]
; %bb.1392:                             ;   in Loop: Header=BB5_47 Depth=1
	s_or_b64 exec, exec, s[42:43]
	v_lshlrev_b32_e32 v13, 16, v10
	v_lshlrev_b32_e32 v41, 16, v14
	v_max_f32_e32 v41, v41, v41
	v_max_f32_e32 v13, v13, v13
	v_min_f32_e32 v42, v13, v41
	v_max_f32_e32 v13, v13, v41
	v_cndmask_b32_e32 v41, v13, v42, vcc
	v_and_b32_e32 v13, 0x7f800000, v41
	v_cmp_ne_u32_e64 s[28:29], s46, v13
                                        ; implicit-def: $vgpr13
	s_and_saveexec_b64 s[12:13], s[28:29]
	s_xor_b64 s[28:29], exec, s[12:13]
; %bb.1393:                             ;   in Loop: Header=BB5_47 Depth=1
	v_bfe_u32 v13, v41, 16, 1
	v_add3_u32 v13, v41, v13, s47
                                        ; implicit-def: $vgpr41
; %bb.1394:                             ;   in Loop: Header=BB5_47 Depth=1
	s_andn2_saveexec_b64 s[42:43], s[28:29]
; %bb.1395:                             ;   in Loop: Header=BB5_47 Depth=1
	v_or_b32_e32 v13, 0x10000, v41
	v_cmp_eq_u32_sdwa s[28:29], v41, v3 src0_sel:WORD_0 src1_sel:DWORD
	s_nop 1
	v_cndmask_b32_e64 v13, v13, v41, s[28:29]
; %bb.1396:                             ;   in Loop: Header=BB5_47 Depth=1
	s_or_b64 exec, exec, s[42:43]
	v_and_b32_e32 v10, 0xffff0000, v10
	v_and_b32_e32 v14, 0xffff0000, v14
	v_max_f32_e32 v14, v14, v14
	v_max_f32_e32 v10, v10, v10
	v_min_f32_e32 v41, v10, v14
	v_max_f32_e32 v10, v10, v14
	v_cndmask_b32_e32 v14, v10, v41, vcc
	v_and_b32_e32 v10, 0x7f800000, v14
	v_cmp_ne_u32_e64 s[28:29], s46, v10
                                        ; implicit-def: $vgpr10
	s_and_saveexec_b64 s[12:13], s[28:29]
	s_xor_b64 s[28:29], exec, s[12:13]
; %bb.1397:                             ;   in Loop: Header=BB5_47 Depth=1
	v_bfe_u32 v10, v14, 16, 1
	v_add3_u32 v10, v14, v10, s47
                                        ; implicit-def: $vgpr14
; %bb.1398:                             ;   in Loop: Header=BB5_47 Depth=1
	s_andn2_saveexec_b64 s[42:43], s[28:29]
; %bb.1399:                             ;   in Loop: Header=BB5_47 Depth=1
	v_or_b32_e32 v10, 0x10000, v14
	v_cmp_eq_u32_sdwa s[28:29], v14, v3 src0_sel:WORD_0 src1_sel:DWORD
	s_nop 1
	v_cndmask_b32_e64 v10, v10, v14, s[28:29]
; %bb.1400:                             ;   in Loop: Header=BB5_47 Depth=1
	s_or_b64 exec, exec, s[42:43]
	v_lshlrev_b32_e32 v14, 16, v11
	v_lshlrev_b32_e32 v41, 16, v15
	v_max_f32_e32 v41, v41, v41
	v_max_f32_e32 v14, v14, v14
	v_min_f32_e32 v42, v14, v41
	v_max_f32_e32 v14, v14, v41
	v_cndmask_b32_e32 v41, v14, v42, vcc
	v_and_b32_e32 v14, 0x7f800000, v41
	v_cmp_ne_u32_e64 s[28:29], s46, v14
                                        ; implicit-def: $vgpr14
	s_and_saveexec_b64 s[12:13], s[28:29]
	s_xor_b64 s[28:29], exec, s[12:13]
; %bb.1401:                             ;   in Loop: Header=BB5_47 Depth=1
	v_bfe_u32 v14, v41, 16, 1
	v_add3_u32 v14, v41, v14, s47
                                        ; implicit-def: $vgpr41
; %bb.1402:                             ;   in Loop: Header=BB5_47 Depth=1
	s_andn2_saveexec_b64 s[42:43], s[28:29]
; %bb.1403:                             ;   in Loop: Header=BB5_47 Depth=1
	v_or_b32_e32 v14, 0x10000, v41
	v_cmp_eq_u32_sdwa s[28:29], v41, v3 src0_sel:WORD_0 src1_sel:DWORD
	s_nop 1
	v_cndmask_b32_e64 v14, v14, v41, s[28:29]
; %bb.1404:                             ;   in Loop: Header=BB5_47 Depth=1
	s_or_b64 exec, exec, s[42:43]
	v_and_b32_e32 v11, 0xffff0000, v11
	v_and_b32_e32 v15, 0xffff0000, v15
	v_max_f32_e32 v15, v15, v15
	v_max_f32_e32 v11, v11, v11
	v_min_f32_e32 v41, v11, v15
	v_max_f32_e32 v11, v11, v15
	v_cndmask_b32_e32 v15, v11, v41, vcc
	v_and_b32_e32 v11, 0x7f800000, v15
	v_cmp_ne_u32_e32 vcc, s46, v11
                                        ; implicit-def: $vgpr11
	s_and_saveexec_b64 s[12:13], vcc
	s_xor_b64 s[28:29], exec, s[12:13]
; %bb.1405:                             ;   in Loop: Header=BB5_47 Depth=1
	v_bfe_u32 v11, v15, 16, 1
	v_add3_u32 v11, v15, v11, s47
                                        ; implicit-def: $vgpr15
; %bb.1406:                             ;   in Loop: Header=BB5_47 Depth=1
	s_andn2_saveexec_b64 s[28:29], s[28:29]
; %bb.1407:                             ;   in Loop: Header=BB5_47 Depth=1
	v_or_b32_e32 v11, 0x10000, v15
	v_cmp_eq_u32_sdwa vcc, v15, v3 src0_sel:WORD_0 src1_sel:DWORD
	s_nop 1
	v_cndmask_b32_e32 v11, v11, v15, vcc
; %bb.1408:                             ;   in Loop: Header=BB5_47 Depth=1
	s_or_b64 exec, exec, s[28:29]
	v_lshrrev_b32_e32 v12, 16, v12
	v_and_or_b32 v9, v9, s44, v12
	v_lshrrev_b32_e32 v12, 16, v40
	v_and_or_b32 v8, v8, s44, v12
	;; [unrolled: 2-line block ×4, first 2 shown]
	global_store_dwordx4 v[118:119], v[8:11], off
.LBB5_1409:                             ;   in Loop: Header=BB5_47 Depth=1
	s_or_b64 exec, exec, s[40:41]
	s_nop 0
	v_and_b32_e32 v9, 14, v17
	s_waitcnt lgkmcnt(0)
	v_cndmask_b32_e64 v42, v45, v9, s[26:27]
	v_cmp_ne_u32_e32 vcc, 0, v42
                                        ; implicit-def: $vgpr17
                                        ; implicit-def: $vgpr14
                                        ; implicit-def: $vgpr8
                                        ; implicit-def: $vgpr15
	s_and_saveexec_b64 s[42:43], vcc
	s_cbranch_execz .LBB5_1524
; %bb.1410:                             ;   in Loop: Header=BB5_47 Depth=1
	v_sub_u32_e32 v8, v45, v9
	v_cndmask_b32_e64 v8, 0, v8, s[26:27]
	v_cmp_lt_i32_e32 vcc, 0, v46
	v_add_u32_e32 v43, v8, v44
	s_mov_b64 s[28:29], 0
	v_cndmask_b32_e32 v8, 0, v52, vcc
	v_sub_u32_e32 v8, v8, v46
	v_lshl_or_b32 v8, v8, 6, v59
	v_ashrrev_i32_e32 v9, 31, v8
	v_lshrrev_b32_e32 v9, 26, v9
	v_add_u32_e32 v9, v8, v9
	v_ashrrev_i32_e32 v10, 6, v9
	v_and_b32_e32 v9, 0xffffffc0, v9
	v_sub_u32_e32 v44, v8, v9
	v_lshlrev_b32_e32 v8, 4, v44
	v_lshl_add_u32 v9, v10, 10, v8
	v_add_u32_e32 v8, v9, v43
	v_sub_u32_e32 v17, v42, v9
	v_ashrrev_i32_e32 v9, 31, v42
	v_lshrrev_b32_e32 v9, 22, v9
	v_add_u32_e32 v9, v42, v9
	v_and_b32_e32 v45, 0xfffffc00, v9
	v_sub_u32_e32 v46, v42, v45
	v_ashrrev_i32_e32 v11, 10, v9
	v_cmp_lt_i32_e64 s[26:27], 15, v46
	v_ashrrev_i32_e32 v9, 31, v8
	v_lshl_add_u64 v[118:119], v[8:9], 0, v[20:21]
	v_addc_co_u32_e64 v11, vcc, 0, v11, s[26:27]
	v_sub_u32_e32 v47, v11, v10
	v_cmp_lt_i32_e32 vcc, 15, v17
	s_and_saveexec_b64 s[30:31], vcc
	s_cbranch_execz .LBB5_1487
; %bb.1411:                             ;   in Loop: Header=BB5_47 Depth=1
	s_and_b32 s12, 0xffff, s52
	s_cmp_eq_u32 s12, 0
	v_lshl_add_u64 v[40:41], v[8:9], 0, v[18:19]
	v_lshl_add_u64 v[22:23], v[8:9], 0, v[22:23]
	s_mov_b64 s[38:39], 0
	s_mov_b64 s[34:35], 0
	s_cselect_b64 s[28:29], -1, 0
                                        ; implicit-def: $sgpr36_sgpr37
	s_branch .LBB5_1413
.LBB5_1412:                             ;   in Loop: Header=BB5_1413 Depth=2
	s_or_b64 exec, exec, s[40:41]
	v_cmp_gt_i32_e32 vcc, 16, v17
	s_or_b64 s[34:35], vcc, s[34:35]
	s_andn2_b64 s[12:13], s[36:37], exec
	s_and_b64 s[40:41], s[38:39], exec
	s_or_b64 s[36:37], s[12:13], s[40:41]
	s_andn2_b64 exec, exec, s[34:35]
	s_cbranch_execz .LBB5_1486
.LBB5_1413:                             ;   Parent Loop BB5_47 Depth=1
                                        ; =>  This Loop Header: Depth=2
                                        ;       Child Loop BB5_1414 Depth 3
                                        ;       Child Loop BB5_1451 Depth 3
	s_add_i32 s13, s33, 0xa0
	s_mov_b32 s12, s13
	s_mov_b64 s[48:49], -1
	s_mov_b64 s[40:41], 0
.LBB5_1414:                             ;   Parent Loop BB5_47 Depth=1
                                        ;     Parent Loop BB5_1413 Depth=2
                                        ; =>    This Inner Loop Header: Depth=3
	s_cmp_eq_u32 s40, 1
	s_cselect_b64 vcc, -1, 0
	v_cndmask_b32_e32 v13, v41, v23, vcc
	v_cndmask_b32_e32 v12, v40, v22, vcc
	global_load_dwordx4 v[8:11], v[12:13], off nt
	s_cmp_eq_u32 s40, 0
	s_cselect_b64 s[40:41], -1, 0
	s_waitcnt vmcnt(0)
	scratch_store_dwordx4 off, v[8:11], s12
	s_nop 1
	v_lshl_add_u64 v[8:9], v[12:13], 0, s[60:61]
	v_cndmask_b32_e64 v41, v41, v9, s[40:41]
	v_cndmask_b32_e64 v40, v40, v8, s[40:41]
	v_cndmask_b32_e32 v23, v23, v9, vcc
	v_cndmask_b32_e32 v22, v22, v8, vcc
	s_mov_b64 s[40:41], 1
	s_and_b64 vcc, exec, s[48:49]
	s_mov_b64 s[48:49], 0
	s_mov_b32 s12, s87
	s_cbranch_vccnz .LBB5_1414
; %bb.1415:                             ;   in Loop: Header=BB5_1413 Depth=2
	s_and_saveexec_b64 s[40:41], s[38:39]
	s_cbranch_execz .LBB5_1449
; %bb.1416:                             ;   in Loop: Header=BB5_1413 Depth=2
	scratch_load_dwordx4 v[8:11], off, s33 offset:192
	scratch_load_dwordx4 v[12:15], off, s33 offset:208
	s_waitcnt vmcnt(1)
	v_lshlrev_b32_e32 v57, 16, v8
	s_waitcnt vmcnt(0)
	v_lshlrev_b32_e32 v78, 16, v12
	v_max_f32_e32 v78, v78, v78
	v_max_f32_e32 v57, v57, v57
	v_min_f32_e32 v79, v57, v78
	v_max_f32_e32 v57, v57, v78
	v_cndmask_b32_e64 v78, v57, v79, s[28:29]
	v_and_b32_e32 v57, 0x7f800000, v78
	v_cmp_ne_u32_e32 vcc, s46, v57
                                        ; implicit-def: $vgpr57
	s_and_saveexec_b64 s[12:13], vcc
	s_xor_b64 vcc, exec, s[12:13]
; %bb.1417:                             ;   in Loop: Header=BB5_1413 Depth=2
	v_bfe_u32 v57, v78, 16, 1
	v_add3_u32 v57, v78, v57, s47
                                        ; implicit-def: $vgpr78
; %bb.1418:                             ;   in Loop: Header=BB5_1413 Depth=2
	s_andn2_saveexec_b64 s[38:39], vcc
; %bb.1419:                             ;   in Loop: Header=BB5_1413 Depth=2
	v_or_b32_e32 v57, 0x10000, v78
	v_cmp_eq_u32_sdwa vcc, v78, v3 src0_sel:WORD_0 src1_sel:DWORD
	s_nop 1
	v_cndmask_b32_e32 v57, v57, v78, vcc
; %bb.1420:                             ;   in Loop: Header=BB5_1413 Depth=2
	s_or_b64 exec, exec, s[38:39]
	v_and_b32_e32 v8, 0xffff0000, v8
	v_and_b32_e32 v12, 0xffff0000, v12
	v_max_f32_e32 v12, v12, v12
	v_max_f32_e32 v8, v8, v8
	v_min_f32_e32 v78, v8, v12
	v_max_f32_e32 v8, v8, v12
	v_cndmask_b32_e64 v12, v8, v78, s[28:29]
	v_and_b32_e32 v8, 0x7f800000, v12
	v_cmp_ne_u32_e32 vcc, s46, v8
                                        ; implicit-def: $vgpr8
	s_and_saveexec_b64 s[12:13], vcc
	s_xor_b64 vcc, exec, s[12:13]
; %bb.1421:                             ;   in Loop: Header=BB5_1413 Depth=2
	v_bfe_u32 v8, v12, 16, 1
	v_add3_u32 v8, v12, v8, s47
                                        ; implicit-def: $vgpr12
; %bb.1422:                             ;   in Loop: Header=BB5_1413 Depth=2
	s_andn2_saveexec_b64 s[38:39], vcc
; %bb.1423:                             ;   in Loop: Header=BB5_1413 Depth=2
	v_or_b32_e32 v8, 0x10000, v12
	v_cmp_eq_u32_sdwa vcc, v12, v3 src0_sel:WORD_0 src1_sel:DWORD
	s_nop 1
	v_cndmask_b32_e32 v8, v8, v12, vcc
; %bb.1424:                             ;   in Loop: Header=BB5_1413 Depth=2
	s_or_b64 exec, exec, s[38:39]
	v_lshlrev_b32_e32 v12, 16, v9
	v_lshlrev_b32_e32 v78, 16, v13
	v_max_f32_e32 v78, v78, v78
	v_max_f32_e32 v12, v12, v12
	v_min_f32_e32 v79, v12, v78
	v_max_f32_e32 v12, v12, v78
	v_cndmask_b32_e64 v78, v12, v79, s[28:29]
	v_and_b32_e32 v12, 0x7f800000, v78
	v_cmp_ne_u32_e32 vcc, s46, v12
                                        ; implicit-def: $vgpr12
	s_and_saveexec_b64 s[12:13], vcc
	s_xor_b64 vcc, exec, s[12:13]
; %bb.1425:                             ;   in Loop: Header=BB5_1413 Depth=2
	v_bfe_u32 v12, v78, 16, 1
	v_add3_u32 v12, v78, v12, s47
                                        ; implicit-def: $vgpr78
; %bb.1426:                             ;   in Loop: Header=BB5_1413 Depth=2
	s_andn2_saveexec_b64 s[38:39], vcc
; %bb.1427:                             ;   in Loop: Header=BB5_1413 Depth=2
	v_or_b32_e32 v12, 0x10000, v78
	v_cmp_eq_u32_sdwa vcc, v78, v3 src0_sel:WORD_0 src1_sel:DWORD
	s_nop 1
	v_cndmask_b32_e32 v12, v12, v78, vcc
; %bb.1428:                             ;   in Loop: Header=BB5_1413 Depth=2
	s_or_b64 exec, exec, s[38:39]
	v_and_b32_e32 v9, 0xffff0000, v9
	v_and_b32_e32 v13, 0xffff0000, v13
	v_max_f32_e32 v13, v13, v13
	v_max_f32_e32 v9, v9, v9
	v_min_f32_e32 v78, v9, v13
	v_max_f32_e32 v9, v9, v13
	v_cndmask_b32_e64 v13, v9, v78, s[28:29]
	v_and_b32_e32 v9, 0x7f800000, v13
	v_cmp_ne_u32_e32 vcc, s46, v9
                                        ; implicit-def: $vgpr9
	s_and_saveexec_b64 s[12:13], vcc
	s_xor_b64 vcc, exec, s[12:13]
; %bb.1429:                             ;   in Loop: Header=BB5_1413 Depth=2
	v_bfe_u32 v9, v13, 16, 1
	v_add3_u32 v9, v13, v9, s47
                                        ; implicit-def: $vgpr13
; %bb.1430:                             ;   in Loop: Header=BB5_1413 Depth=2
	s_andn2_saveexec_b64 s[38:39], vcc
; %bb.1431:                             ;   in Loop: Header=BB5_1413 Depth=2
	v_or_b32_e32 v9, 0x10000, v13
	v_cmp_eq_u32_sdwa vcc, v13, v3 src0_sel:WORD_0 src1_sel:DWORD
	s_nop 1
	v_cndmask_b32_e32 v9, v9, v13, vcc
; %bb.1432:                             ;   in Loop: Header=BB5_1413 Depth=2
	s_or_b64 exec, exec, s[38:39]
	v_lshlrev_b32_e32 v13, 16, v10
	v_lshlrev_b32_e32 v78, 16, v14
	v_max_f32_e32 v78, v78, v78
	v_max_f32_e32 v13, v13, v13
	v_min_f32_e32 v79, v13, v78
	v_max_f32_e32 v13, v13, v78
	v_cndmask_b32_e64 v78, v13, v79, s[28:29]
	v_and_b32_e32 v13, 0x7f800000, v78
	v_cmp_ne_u32_e32 vcc, s46, v13
                                        ; implicit-def: $vgpr13
	s_and_saveexec_b64 s[12:13], vcc
	s_xor_b64 vcc, exec, s[12:13]
; %bb.1433:                             ;   in Loop: Header=BB5_1413 Depth=2
	v_bfe_u32 v13, v78, 16, 1
	v_add3_u32 v13, v78, v13, s47
                                        ; implicit-def: $vgpr78
; %bb.1434:                             ;   in Loop: Header=BB5_1413 Depth=2
	s_andn2_saveexec_b64 s[38:39], vcc
; %bb.1435:                             ;   in Loop: Header=BB5_1413 Depth=2
	v_or_b32_e32 v13, 0x10000, v78
	v_cmp_eq_u32_sdwa vcc, v78, v3 src0_sel:WORD_0 src1_sel:DWORD
	s_nop 1
	v_cndmask_b32_e32 v13, v13, v78, vcc
; %bb.1436:                             ;   in Loop: Header=BB5_1413 Depth=2
	s_or_b64 exec, exec, s[38:39]
	v_and_b32_e32 v10, 0xffff0000, v10
	v_and_b32_e32 v14, 0xffff0000, v14
	v_max_f32_e32 v14, v14, v14
	v_max_f32_e32 v10, v10, v10
	v_min_f32_e32 v78, v10, v14
	v_max_f32_e32 v10, v10, v14
	v_cndmask_b32_e64 v14, v10, v78, s[28:29]
	v_and_b32_e32 v10, 0x7f800000, v14
	v_cmp_ne_u32_e32 vcc, s46, v10
                                        ; implicit-def: $vgpr10
	s_and_saveexec_b64 s[12:13], vcc
	s_xor_b64 vcc, exec, s[12:13]
; %bb.1437:                             ;   in Loop: Header=BB5_1413 Depth=2
	v_bfe_u32 v10, v14, 16, 1
	v_add3_u32 v10, v14, v10, s47
                                        ; implicit-def: $vgpr14
; %bb.1438:                             ;   in Loop: Header=BB5_1413 Depth=2
	s_andn2_saveexec_b64 s[38:39], vcc
; %bb.1439:                             ;   in Loop: Header=BB5_1413 Depth=2
	v_or_b32_e32 v10, 0x10000, v14
	v_cmp_eq_u32_sdwa vcc, v14, v3 src0_sel:WORD_0 src1_sel:DWORD
	s_nop 1
	v_cndmask_b32_e32 v10, v10, v14, vcc
; %bb.1440:                             ;   in Loop: Header=BB5_1413 Depth=2
	s_or_b64 exec, exec, s[38:39]
	v_lshlrev_b32_e32 v14, 16, v11
	v_lshlrev_b32_e32 v78, 16, v15
	v_max_f32_e32 v78, v78, v78
	v_max_f32_e32 v14, v14, v14
	v_min_f32_e32 v79, v14, v78
	v_max_f32_e32 v14, v14, v78
	v_cndmask_b32_e64 v78, v14, v79, s[28:29]
	v_and_b32_e32 v14, 0x7f800000, v78
	v_cmp_ne_u32_e32 vcc, s46, v14
                                        ; implicit-def: $vgpr14
	s_and_saveexec_b64 s[12:13], vcc
	s_xor_b64 vcc, exec, s[12:13]
; %bb.1441:                             ;   in Loop: Header=BB5_1413 Depth=2
	v_bfe_u32 v14, v78, 16, 1
	v_add3_u32 v14, v78, v14, s47
                                        ; implicit-def: $vgpr78
; %bb.1442:                             ;   in Loop: Header=BB5_1413 Depth=2
	s_andn2_saveexec_b64 s[38:39], vcc
; %bb.1443:                             ;   in Loop: Header=BB5_1413 Depth=2
	v_or_b32_e32 v14, 0x10000, v78
	v_cmp_eq_u32_sdwa vcc, v78, v3 src0_sel:WORD_0 src1_sel:DWORD
	s_nop 1
	v_cndmask_b32_e32 v14, v14, v78, vcc
; %bb.1444:                             ;   in Loop: Header=BB5_1413 Depth=2
	s_or_b64 exec, exec, s[38:39]
	v_and_b32_e32 v11, 0xffff0000, v11
	v_and_b32_e32 v15, 0xffff0000, v15
	v_max_f32_e32 v15, v15, v15
	v_max_f32_e32 v11, v11, v11
	v_min_f32_e32 v78, v11, v15
	v_max_f32_e32 v11, v11, v15
	v_cndmask_b32_e64 v15, v11, v78, s[28:29]
	v_and_b32_e32 v11, 0x7f800000, v15
	v_cmp_ne_u32_e32 vcc, s46, v11
                                        ; implicit-def: $vgpr11
	s_and_saveexec_b64 s[12:13], vcc
	s_xor_b64 vcc, exec, s[12:13]
; %bb.1445:                             ;   in Loop: Header=BB5_1413 Depth=2
	v_bfe_u32 v11, v15, 16, 1
	v_add3_u32 v11, v15, v11, s47
                                        ; implicit-def: $vgpr15
; %bb.1446:                             ;   in Loop: Header=BB5_1413 Depth=2
	s_andn2_saveexec_b64 s[38:39], vcc
; %bb.1447:                             ;   in Loop: Header=BB5_1413 Depth=2
	v_or_b32_e32 v11, 0x10000, v15
	v_cmp_eq_u32_sdwa vcc, v15, v3 src0_sel:WORD_0 src1_sel:DWORD
	s_nop 1
	v_cndmask_b32_e32 v11, v11, v15, vcc
; %bb.1448:                             ;   in Loop: Header=BB5_1413 Depth=2
	s_or_b64 exec, exec, s[38:39]
	v_lshrrev_b32_e32 v12, 16, v12
	v_and_or_b32 v9, v9, s44, v12
	v_lshrrev_b32_e32 v12, 16, v57
	v_and_or_b32 v8, v8, s44, v12
	;; [unrolled: 2-line block ×4, first 2 shown]
	scratch_store_dwordx4 off, v[8:11], s33 offset:192
	global_store_dwordx4 v[118:119], v[8:11], off
	v_lshl_add_u64 v[118:119], v[96:97], 0, v[118:119]
.LBB5_1449:                             ;   in Loop: Header=BB5_1413 Depth=2
	s_or_b64 exec, exec, s[40:41]
	v_sub_u32_e32 v17, v17, v61
	v_lshl_add_u64 v[40:41], v[40:41], 0, v[80:81]
	v_lshl_add_u64 v[22:23], v[22:23], 0, v[80:81]
	v_cmp_lt_i32_e64 s[38:39], 15, v17
	s_and_saveexec_b64 s[48:49], s[38:39]
	s_cbranch_execz .LBB5_1452
; %bb.1450:                             ;   in Loop: Header=BB5_1413 Depth=2
	s_add_i32 s13, s33, 0xc0
	s_mov_b32 s12, s13
	s_mov_b64 s[40:41], 0
	s_mov_b64 s[50:51], -1
.LBB5_1451:                             ;   Parent Loop BB5_47 Depth=1
                                        ;     Parent Loop BB5_1413 Depth=2
                                        ; =>    This Inner Loop Header: Depth=3
	s_cmp_eq_u32 s40, 1
	s_cselect_b64 vcc, -1, 0
	v_cndmask_b32_e32 v13, v41, v23, vcc
	v_cndmask_b32_e32 v12, v40, v22, vcc
	global_load_dwordx4 v[8:11], v[12:13], off nt
	s_cmp_eq_u32 s40, 0
	s_cselect_b64 s[40:41], -1, 0
	s_waitcnt vmcnt(0)
	scratch_store_dwordx4 off, v[8:11], s12
	s_nop 1
	v_lshl_add_u64 v[8:9], v[12:13], 0, s[60:61]
	v_cndmask_b32_e64 v41, v41, v9, s[40:41]
	v_cndmask_b32_e64 v40, v40, v8, s[40:41]
	v_cndmask_b32_e32 v23, v23, v9, vcc
	v_cndmask_b32_e32 v22, v22, v8, vcc
	s_mov_b64 s[40:41], 1
	s_and_b64 vcc, exec, s[50:51]
	s_mov_b64 s[50:51], 0
	s_mov_b32 s12, s86
	s_cbranch_vccnz .LBB5_1451
.LBB5_1452:                             ;   in Loop: Header=BB5_1413 Depth=2
	s_or_b64 exec, exec, s[48:49]
	scratch_load_dwordx4 v[8:11], off, s33 offset:160
	scratch_load_dwordx4 v[12:15], off, s33 offset:176
	s_waitcnt vmcnt(1)
	v_lshlrev_b32_e32 v57, 16, v8
	s_waitcnt vmcnt(0)
	v_lshlrev_b32_e32 v78, 16, v12
	v_max_f32_e32 v78, v78, v78
	v_max_f32_e32 v57, v57, v57
	v_min_f32_e32 v79, v57, v78
	v_max_f32_e32 v57, v57, v78
	v_cndmask_b32_e64 v78, v57, v79, s[28:29]
	v_and_b32_e32 v57, 0x7f800000, v78
	v_cmp_ne_u32_e32 vcc, s46, v57
                                        ; implicit-def: $vgpr57
	s_and_saveexec_b64 s[12:13], vcc
	s_xor_b64 s[40:41], exec, s[12:13]
; %bb.1453:                             ;   in Loop: Header=BB5_1413 Depth=2
	v_bfe_u32 v57, v78, 16, 1
	v_add3_u32 v57, v78, v57, s47
                                        ; implicit-def: $vgpr78
; %bb.1454:                             ;   in Loop: Header=BB5_1413 Depth=2
	s_andn2_saveexec_b64 s[40:41], s[40:41]
; %bb.1455:                             ;   in Loop: Header=BB5_1413 Depth=2
	v_or_b32_e32 v57, 0x10000, v78
	v_cmp_eq_u32_sdwa vcc, v78, v3 src0_sel:WORD_0 src1_sel:DWORD
	s_nop 1
	v_cndmask_b32_e32 v57, v57, v78, vcc
; %bb.1456:                             ;   in Loop: Header=BB5_1413 Depth=2
	s_or_b64 exec, exec, s[40:41]
	v_and_b32_e32 v8, 0xffff0000, v8
	v_and_b32_e32 v12, 0xffff0000, v12
	v_max_f32_e32 v12, v12, v12
	v_max_f32_e32 v8, v8, v8
	v_min_f32_e32 v78, v8, v12
	v_max_f32_e32 v8, v8, v12
	v_cndmask_b32_e64 v12, v8, v78, s[28:29]
	v_and_b32_e32 v8, 0x7f800000, v12
	v_cmp_ne_u32_e32 vcc, s46, v8
                                        ; implicit-def: $vgpr8
	s_and_saveexec_b64 s[12:13], vcc
	s_xor_b64 s[40:41], exec, s[12:13]
; %bb.1457:                             ;   in Loop: Header=BB5_1413 Depth=2
	v_bfe_u32 v8, v12, 16, 1
	v_add3_u32 v8, v12, v8, s47
                                        ; implicit-def: $vgpr12
; %bb.1458:                             ;   in Loop: Header=BB5_1413 Depth=2
	s_andn2_saveexec_b64 s[40:41], s[40:41]
; %bb.1459:                             ;   in Loop: Header=BB5_1413 Depth=2
	v_or_b32_e32 v8, 0x10000, v12
	v_cmp_eq_u32_sdwa vcc, v12, v3 src0_sel:WORD_0 src1_sel:DWORD
	s_nop 1
	v_cndmask_b32_e32 v8, v8, v12, vcc
; %bb.1460:                             ;   in Loop: Header=BB5_1413 Depth=2
	s_or_b64 exec, exec, s[40:41]
	v_lshlrev_b32_e32 v12, 16, v9
	v_lshlrev_b32_e32 v78, 16, v13
	v_max_f32_e32 v78, v78, v78
	v_max_f32_e32 v12, v12, v12
	v_min_f32_e32 v79, v12, v78
	v_max_f32_e32 v12, v12, v78
	v_cndmask_b32_e64 v78, v12, v79, s[28:29]
	v_and_b32_e32 v12, 0x7f800000, v78
	v_cmp_ne_u32_e32 vcc, s46, v12
                                        ; implicit-def: $vgpr12
	s_and_saveexec_b64 s[12:13], vcc
	s_xor_b64 s[40:41], exec, s[12:13]
; %bb.1461:                             ;   in Loop: Header=BB5_1413 Depth=2
	v_bfe_u32 v12, v78, 16, 1
	v_add3_u32 v12, v78, v12, s47
                                        ; implicit-def: $vgpr78
; %bb.1462:                             ;   in Loop: Header=BB5_1413 Depth=2
	s_andn2_saveexec_b64 s[40:41], s[40:41]
; %bb.1463:                             ;   in Loop: Header=BB5_1413 Depth=2
	v_or_b32_e32 v12, 0x10000, v78
	v_cmp_eq_u32_sdwa vcc, v78, v3 src0_sel:WORD_0 src1_sel:DWORD
	s_nop 1
	v_cndmask_b32_e32 v12, v12, v78, vcc
; %bb.1464:                             ;   in Loop: Header=BB5_1413 Depth=2
	s_or_b64 exec, exec, s[40:41]
	v_and_b32_e32 v9, 0xffff0000, v9
	v_and_b32_e32 v13, 0xffff0000, v13
	v_max_f32_e32 v13, v13, v13
	v_max_f32_e32 v9, v9, v9
	v_min_f32_e32 v78, v9, v13
	v_max_f32_e32 v9, v9, v13
	v_cndmask_b32_e64 v13, v9, v78, s[28:29]
	v_and_b32_e32 v9, 0x7f800000, v13
	v_cmp_ne_u32_e32 vcc, s46, v9
                                        ; implicit-def: $vgpr9
	s_and_saveexec_b64 s[12:13], vcc
	s_xor_b64 s[40:41], exec, s[12:13]
; %bb.1465:                             ;   in Loop: Header=BB5_1413 Depth=2
	v_bfe_u32 v9, v13, 16, 1
	v_add3_u32 v9, v13, v9, s47
                                        ; implicit-def: $vgpr13
; %bb.1466:                             ;   in Loop: Header=BB5_1413 Depth=2
	s_andn2_saveexec_b64 s[40:41], s[40:41]
; %bb.1467:                             ;   in Loop: Header=BB5_1413 Depth=2
	v_or_b32_e32 v9, 0x10000, v13
	v_cmp_eq_u32_sdwa vcc, v13, v3 src0_sel:WORD_0 src1_sel:DWORD
	s_nop 1
	v_cndmask_b32_e32 v9, v9, v13, vcc
; %bb.1468:                             ;   in Loop: Header=BB5_1413 Depth=2
	s_or_b64 exec, exec, s[40:41]
	v_lshlrev_b32_e32 v13, 16, v10
	v_lshlrev_b32_e32 v78, 16, v14
	v_max_f32_e32 v78, v78, v78
	v_max_f32_e32 v13, v13, v13
	v_min_f32_e32 v79, v13, v78
	v_max_f32_e32 v13, v13, v78
	v_cndmask_b32_e64 v78, v13, v79, s[28:29]
	v_and_b32_e32 v13, 0x7f800000, v78
	v_cmp_ne_u32_e32 vcc, s46, v13
                                        ; implicit-def: $vgpr13
	s_and_saveexec_b64 s[12:13], vcc
	s_xor_b64 s[40:41], exec, s[12:13]
; %bb.1469:                             ;   in Loop: Header=BB5_1413 Depth=2
	v_bfe_u32 v13, v78, 16, 1
	v_add3_u32 v13, v78, v13, s47
                                        ; implicit-def: $vgpr78
; %bb.1470:                             ;   in Loop: Header=BB5_1413 Depth=2
	s_andn2_saveexec_b64 s[40:41], s[40:41]
; %bb.1471:                             ;   in Loop: Header=BB5_1413 Depth=2
	v_or_b32_e32 v13, 0x10000, v78
	v_cmp_eq_u32_sdwa vcc, v78, v3 src0_sel:WORD_0 src1_sel:DWORD
	s_nop 1
	v_cndmask_b32_e32 v13, v13, v78, vcc
; %bb.1472:                             ;   in Loop: Header=BB5_1413 Depth=2
	s_or_b64 exec, exec, s[40:41]
	v_and_b32_e32 v10, 0xffff0000, v10
	v_and_b32_e32 v14, 0xffff0000, v14
	v_max_f32_e32 v14, v14, v14
	v_max_f32_e32 v10, v10, v10
	v_min_f32_e32 v78, v10, v14
	v_max_f32_e32 v10, v10, v14
	v_cndmask_b32_e64 v14, v10, v78, s[28:29]
	v_and_b32_e32 v10, 0x7f800000, v14
	v_cmp_ne_u32_e32 vcc, s46, v10
                                        ; implicit-def: $vgpr10
	s_and_saveexec_b64 s[12:13], vcc
	s_xor_b64 s[40:41], exec, s[12:13]
; %bb.1473:                             ;   in Loop: Header=BB5_1413 Depth=2
	v_bfe_u32 v10, v14, 16, 1
	v_add3_u32 v10, v14, v10, s47
                                        ; implicit-def: $vgpr14
; %bb.1474:                             ;   in Loop: Header=BB5_1413 Depth=2
	s_andn2_saveexec_b64 s[40:41], s[40:41]
; %bb.1475:                             ;   in Loop: Header=BB5_1413 Depth=2
	v_or_b32_e32 v10, 0x10000, v14
	v_cmp_eq_u32_sdwa vcc, v14, v3 src0_sel:WORD_0 src1_sel:DWORD
	s_nop 1
	v_cndmask_b32_e32 v10, v10, v14, vcc
; %bb.1476:                             ;   in Loop: Header=BB5_1413 Depth=2
	s_or_b64 exec, exec, s[40:41]
	v_lshlrev_b32_e32 v14, 16, v11
	v_lshlrev_b32_e32 v78, 16, v15
	v_max_f32_e32 v78, v78, v78
	v_max_f32_e32 v14, v14, v14
	v_min_f32_e32 v79, v14, v78
	v_max_f32_e32 v14, v14, v78
	v_cndmask_b32_e64 v78, v14, v79, s[28:29]
	v_and_b32_e32 v14, 0x7f800000, v78
	v_cmp_ne_u32_e32 vcc, s46, v14
                                        ; implicit-def: $vgpr14
	s_and_saveexec_b64 s[12:13], vcc
	s_xor_b64 s[40:41], exec, s[12:13]
; %bb.1477:                             ;   in Loop: Header=BB5_1413 Depth=2
	v_bfe_u32 v14, v78, 16, 1
	v_add3_u32 v14, v78, v14, s47
                                        ; implicit-def: $vgpr78
; %bb.1478:                             ;   in Loop: Header=BB5_1413 Depth=2
	s_andn2_saveexec_b64 s[40:41], s[40:41]
; %bb.1479:                             ;   in Loop: Header=BB5_1413 Depth=2
	v_or_b32_e32 v14, 0x10000, v78
	v_cmp_eq_u32_sdwa vcc, v78, v3 src0_sel:WORD_0 src1_sel:DWORD
	s_nop 1
	v_cndmask_b32_e32 v14, v14, v78, vcc
; %bb.1480:                             ;   in Loop: Header=BB5_1413 Depth=2
	s_or_b64 exec, exec, s[40:41]
	v_and_b32_e32 v11, 0xffff0000, v11
	v_and_b32_e32 v15, 0xffff0000, v15
	v_max_f32_e32 v15, v15, v15
	v_max_f32_e32 v11, v11, v11
	v_min_f32_e32 v78, v11, v15
	v_max_f32_e32 v11, v11, v15
	v_cndmask_b32_e64 v15, v11, v78, s[28:29]
	v_and_b32_e32 v11, 0x7f800000, v15
	v_cmp_ne_u32_e32 vcc, s46, v11
                                        ; implicit-def: $vgpr11
	s_and_saveexec_b64 s[12:13], vcc
	s_xor_b64 s[40:41], exec, s[12:13]
; %bb.1481:                             ;   in Loop: Header=BB5_1413 Depth=2
	v_bfe_u32 v11, v15, 16, 1
	v_add3_u32 v11, v15, v11, s47
                                        ; implicit-def: $vgpr15
; %bb.1482:                             ;   in Loop: Header=BB5_1413 Depth=2
	s_andn2_saveexec_b64 s[40:41], s[40:41]
; %bb.1483:                             ;   in Loop: Header=BB5_1413 Depth=2
	v_or_b32_e32 v11, 0x10000, v15
	v_cmp_eq_u32_sdwa vcc, v15, v3 src0_sel:WORD_0 src1_sel:DWORD
	s_nop 1
	v_cndmask_b32_e32 v11, v11, v15, vcc
; %bb.1484:                             ;   in Loop: Header=BB5_1413 Depth=2
	s_or_b64 exec, exec, s[40:41]
	v_lshrrev_b32_e32 v12, 16, v12
	v_and_or_b32 v9, v9, s44, v12
	v_lshrrev_b32_e32 v12, 16, v57
	v_and_or_b32 v8, v8, s44, v12
	;; [unrolled: 2-line block ×4, first 2 shown]
	v_sub_u32_e32 v47, v47, v52
	scratch_store_dwordx4 off, v[8:11], s33 offset:160
	global_store_dwordx4 v[118:119], v[8:11], off
	v_lshl_add_u64 v[118:119], v[118:119], 0, s[60:61]
	s_and_saveexec_b64 s[40:41], s[38:39]
	s_cbranch_execz .LBB5_1412
; %bb.1485:                             ;   in Loop: Header=BB5_1413 Depth=2
	v_lshl_add_u64 v[40:41], v[40:41], 0, v[80:81]
	v_lshl_add_u64 v[22:23], v[22:23], 0, v[80:81]
	;; [unrolled: 1-line block ×3, first 2 shown]
	v_sub_u32_e32 v17, v17, v61
	v_sub_u32_e32 v47, v47, v52
	s_branch .LBB5_1412
.LBB5_1486:                             ;   in Loop: Header=BB5_47 Depth=1
	s_or_b64 exec, exec, s[34:35]
	s_and_b64 s[28:29], s[36:37], exec
.LBB5_1487:                             ;   in Loop: Header=BB5_47 Depth=1
	s_or_b64 exec, exec, s[30:31]
	s_and_saveexec_b64 s[40:41], s[28:29]
	s_cbranch_execz .LBB5_1521
; %bb.1488:                             ;   in Loop: Header=BB5_47 Depth=1
	scratch_load_dwordx4 v[8:11], off, s33 offset:192
	scratch_load_dwordx4 v[12:15], off, s33 offset:208
	s_and_b32 s12, 0xffff, s52
	s_cmp_eq_u32 s12, 0
	s_cselect_b64 vcc, -1, 0
	s_waitcnt vmcnt(0)
	v_lshlrev_b32_e32 v17, 16, v8
	v_lshlrev_b32_e32 v22, 16, v12
	v_max_f32_e32 v22, v22, v22
	v_max_f32_e32 v17, v17, v17
	v_min_f32_e32 v23, v17, v22
	v_max_f32_e32 v17, v17, v22
	v_cndmask_b32_e32 v22, v17, v23, vcc
	v_and_b32_e32 v17, 0x7f800000, v22
	v_cmp_ne_u32_e64 s[28:29], s46, v17
                                        ; implicit-def: $vgpr17
	s_and_saveexec_b64 s[12:13], s[28:29]
	s_xor_b64 s[28:29], exec, s[12:13]
; %bb.1489:                             ;   in Loop: Header=BB5_47 Depth=1
	v_bfe_u32 v17, v22, 16, 1
	v_add3_u32 v17, v22, v17, s47
                                        ; implicit-def: $vgpr22
; %bb.1490:                             ;   in Loop: Header=BB5_47 Depth=1
	s_andn2_saveexec_b64 s[30:31], s[28:29]
; %bb.1491:                             ;   in Loop: Header=BB5_47 Depth=1
	v_or_b32_e32 v17, 0x10000, v22
	v_cmp_eq_u32_sdwa s[28:29], v22, v3 src0_sel:WORD_0 src1_sel:DWORD
	s_nop 1
	v_cndmask_b32_e64 v17, v17, v22, s[28:29]
; %bb.1492:                             ;   in Loop: Header=BB5_47 Depth=1
	s_or_b64 exec, exec, s[30:31]
	v_and_b32_e32 v8, 0xffff0000, v8
	v_and_b32_e32 v12, 0xffff0000, v12
	v_max_f32_e32 v12, v12, v12
	v_max_f32_e32 v8, v8, v8
	v_min_f32_e32 v22, v8, v12
	v_max_f32_e32 v8, v8, v12
	v_cndmask_b32_e32 v12, v8, v22, vcc
	v_and_b32_e32 v8, 0x7f800000, v12
	v_cmp_ne_u32_e64 s[28:29], s46, v8
                                        ; implicit-def: $vgpr8
	s_and_saveexec_b64 s[12:13], s[28:29]
	s_xor_b64 s[28:29], exec, s[12:13]
; %bb.1493:                             ;   in Loop: Header=BB5_47 Depth=1
	v_bfe_u32 v8, v12, 16, 1
	v_add3_u32 v8, v12, v8, s47
                                        ; implicit-def: $vgpr12
; %bb.1494:                             ;   in Loop: Header=BB5_47 Depth=1
	s_andn2_saveexec_b64 s[30:31], s[28:29]
; %bb.1495:                             ;   in Loop: Header=BB5_47 Depth=1
	v_or_b32_e32 v8, 0x10000, v12
	v_cmp_eq_u32_sdwa s[28:29], v12, v3 src0_sel:WORD_0 src1_sel:DWORD
	s_nop 1
	v_cndmask_b32_e64 v8, v8, v12, s[28:29]
; %bb.1496:                             ;   in Loop: Header=BB5_47 Depth=1
	s_or_b64 exec, exec, s[30:31]
	v_lshlrev_b32_e32 v12, 16, v9
	v_lshlrev_b32_e32 v22, 16, v13
	v_max_f32_e32 v22, v22, v22
	v_max_f32_e32 v12, v12, v12
	v_min_f32_e32 v23, v12, v22
	v_max_f32_e32 v12, v12, v22
	v_cndmask_b32_e32 v22, v12, v23, vcc
	v_and_b32_e32 v12, 0x7f800000, v22
	v_cmp_ne_u32_e64 s[28:29], s46, v12
                                        ; implicit-def: $vgpr12
	s_and_saveexec_b64 s[12:13], s[28:29]
	s_xor_b64 s[28:29], exec, s[12:13]
; %bb.1497:                             ;   in Loop: Header=BB5_47 Depth=1
	v_bfe_u32 v12, v22, 16, 1
	v_add3_u32 v12, v22, v12, s47
                                        ; implicit-def: $vgpr22
; %bb.1498:                             ;   in Loop: Header=BB5_47 Depth=1
	s_andn2_saveexec_b64 s[30:31], s[28:29]
; %bb.1499:                             ;   in Loop: Header=BB5_47 Depth=1
	v_or_b32_e32 v12, 0x10000, v22
	v_cmp_eq_u32_sdwa s[28:29], v22, v3 src0_sel:WORD_0 src1_sel:DWORD
	s_nop 1
	v_cndmask_b32_e64 v12, v12, v22, s[28:29]
; %bb.1500:                             ;   in Loop: Header=BB5_47 Depth=1
	s_or_b64 exec, exec, s[30:31]
	v_and_b32_e32 v9, 0xffff0000, v9
	v_and_b32_e32 v13, 0xffff0000, v13
	v_max_f32_e32 v13, v13, v13
	v_max_f32_e32 v9, v9, v9
	v_min_f32_e32 v22, v9, v13
	v_max_f32_e32 v9, v9, v13
	v_cndmask_b32_e32 v13, v9, v22, vcc
	v_and_b32_e32 v9, 0x7f800000, v13
	v_cmp_ne_u32_e64 s[28:29], s46, v9
                                        ; implicit-def: $vgpr9
	s_and_saveexec_b64 s[12:13], s[28:29]
	s_xor_b64 s[28:29], exec, s[12:13]
; %bb.1501:                             ;   in Loop: Header=BB5_47 Depth=1
	v_bfe_u32 v9, v13, 16, 1
	v_add3_u32 v9, v13, v9, s47
                                        ; implicit-def: $vgpr13
; %bb.1502:                             ;   in Loop: Header=BB5_47 Depth=1
	s_andn2_saveexec_b64 s[30:31], s[28:29]
; %bb.1503:                             ;   in Loop: Header=BB5_47 Depth=1
	v_or_b32_e32 v9, 0x10000, v13
	v_cmp_eq_u32_sdwa s[28:29], v13, v3 src0_sel:WORD_0 src1_sel:DWORD
	s_nop 1
	v_cndmask_b32_e64 v9, v9, v13, s[28:29]
; %bb.1504:                             ;   in Loop: Header=BB5_47 Depth=1
	s_or_b64 exec, exec, s[30:31]
	v_lshlrev_b32_e32 v13, 16, v10
	v_lshlrev_b32_e32 v22, 16, v14
	v_max_f32_e32 v22, v22, v22
	v_max_f32_e32 v13, v13, v13
	v_min_f32_e32 v23, v13, v22
	v_max_f32_e32 v13, v13, v22
	v_cndmask_b32_e32 v22, v13, v23, vcc
	v_and_b32_e32 v13, 0x7f800000, v22
	v_cmp_ne_u32_e64 s[28:29], s46, v13
                                        ; implicit-def: $vgpr13
	s_and_saveexec_b64 s[12:13], s[28:29]
	s_xor_b64 s[28:29], exec, s[12:13]
; %bb.1505:                             ;   in Loop: Header=BB5_47 Depth=1
	v_bfe_u32 v13, v22, 16, 1
	v_add3_u32 v13, v22, v13, s47
                                        ; implicit-def: $vgpr22
; %bb.1506:                             ;   in Loop: Header=BB5_47 Depth=1
	s_andn2_saveexec_b64 s[30:31], s[28:29]
; %bb.1507:                             ;   in Loop: Header=BB5_47 Depth=1
	v_or_b32_e32 v13, 0x10000, v22
	v_cmp_eq_u32_sdwa s[28:29], v22, v3 src0_sel:WORD_0 src1_sel:DWORD
	s_nop 1
	v_cndmask_b32_e64 v13, v13, v22, s[28:29]
; %bb.1508:                             ;   in Loop: Header=BB5_47 Depth=1
	s_or_b64 exec, exec, s[30:31]
	v_and_b32_e32 v10, 0xffff0000, v10
	v_and_b32_e32 v14, 0xffff0000, v14
	v_max_f32_e32 v14, v14, v14
	v_max_f32_e32 v10, v10, v10
	v_min_f32_e32 v22, v10, v14
	v_max_f32_e32 v10, v10, v14
	v_cndmask_b32_e32 v14, v10, v22, vcc
	v_and_b32_e32 v10, 0x7f800000, v14
	v_cmp_ne_u32_e64 s[28:29], s46, v10
                                        ; implicit-def: $vgpr10
	s_and_saveexec_b64 s[12:13], s[28:29]
	s_xor_b64 s[28:29], exec, s[12:13]
; %bb.1509:                             ;   in Loop: Header=BB5_47 Depth=1
	v_bfe_u32 v10, v14, 16, 1
	v_add3_u32 v10, v14, v10, s47
                                        ; implicit-def: $vgpr14
; %bb.1510:                             ;   in Loop: Header=BB5_47 Depth=1
	s_andn2_saveexec_b64 s[30:31], s[28:29]
; %bb.1511:                             ;   in Loop: Header=BB5_47 Depth=1
	v_or_b32_e32 v10, 0x10000, v14
	v_cmp_eq_u32_sdwa s[28:29], v14, v3 src0_sel:WORD_0 src1_sel:DWORD
	s_nop 1
	v_cndmask_b32_e64 v10, v10, v14, s[28:29]
; %bb.1512:                             ;   in Loop: Header=BB5_47 Depth=1
	s_or_b64 exec, exec, s[30:31]
	v_lshlrev_b32_e32 v14, 16, v11
	v_lshlrev_b32_e32 v22, 16, v15
	v_max_f32_e32 v22, v22, v22
	v_max_f32_e32 v14, v14, v14
	v_min_f32_e32 v23, v14, v22
	v_max_f32_e32 v14, v14, v22
	v_cndmask_b32_e32 v22, v14, v23, vcc
	v_and_b32_e32 v14, 0x7f800000, v22
	v_cmp_ne_u32_e64 s[28:29], s46, v14
                                        ; implicit-def: $vgpr14
	s_and_saveexec_b64 s[12:13], s[28:29]
	s_xor_b64 s[28:29], exec, s[12:13]
; %bb.1513:                             ;   in Loop: Header=BB5_47 Depth=1
	v_bfe_u32 v14, v22, 16, 1
	v_add3_u32 v14, v22, v14, s47
                                        ; implicit-def: $vgpr22
; %bb.1514:                             ;   in Loop: Header=BB5_47 Depth=1
	s_andn2_saveexec_b64 s[30:31], s[28:29]
; %bb.1515:                             ;   in Loop: Header=BB5_47 Depth=1
	v_or_b32_e32 v14, 0x10000, v22
	v_cmp_eq_u32_sdwa s[28:29], v22, v3 src0_sel:WORD_0 src1_sel:DWORD
	s_nop 1
	v_cndmask_b32_e64 v14, v14, v22, s[28:29]
; %bb.1516:                             ;   in Loop: Header=BB5_47 Depth=1
	s_or_b64 exec, exec, s[30:31]
	v_and_b32_e32 v11, 0xffff0000, v11
	v_and_b32_e32 v15, 0xffff0000, v15
	v_max_f32_e32 v15, v15, v15
	v_max_f32_e32 v11, v11, v11
	v_min_f32_e32 v22, v11, v15
	v_max_f32_e32 v11, v11, v15
	v_cndmask_b32_e32 v15, v11, v22, vcc
	v_and_b32_e32 v11, 0x7f800000, v15
	v_cmp_ne_u32_e32 vcc, s46, v11
                                        ; implicit-def: $vgpr11
	s_and_saveexec_b64 s[12:13], vcc
	s_xor_b64 s[28:29], exec, s[12:13]
; %bb.1517:                             ;   in Loop: Header=BB5_47 Depth=1
	v_bfe_u32 v11, v15, 16, 1
	v_add3_u32 v11, v15, v11, s47
                                        ; implicit-def: $vgpr15
; %bb.1518:                             ;   in Loop: Header=BB5_47 Depth=1
	s_andn2_saveexec_b64 s[28:29], s[28:29]
; %bb.1519:                             ;   in Loop: Header=BB5_47 Depth=1
	v_or_b32_e32 v11, 0x10000, v15
	v_cmp_eq_u32_sdwa vcc, v15, v3 src0_sel:WORD_0 src1_sel:DWORD
	s_nop 1
	v_cndmask_b32_e32 v11, v11, v15, vcc
; %bb.1520:                             ;   in Loop: Header=BB5_47 Depth=1
	s_or_b64 exec, exec, s[28:29]
	v_lshrrev_b32_e32 v12, 16, v12
	v_and_or_b32 v9, v9, s44, v12
	v_lshrrev_b32_e32 v12, 16, v17
	v_and_or_b32 v8, v8, s44, v12
	;; [unrolled: 2-line block ×4, first 2 shown]
	global_store_dwordx4 v[118:119], v[8:11], off
.LBB5_1521:                             ;   in Loop: Header=BB5_47 Depth=1
	s_or_b64 exec, exec, s[40:41]
	s_nop 0
	v_and_b32_e32 v9, 14, v42
	v_cndmask_b32_e64 v17, v46, v9, s[26:27]
	v_cmp_ne_u32_e32 vcc, 0, v17
	s_mov_b64 s[40:41], s[94:95]
                                        ; implicit-def: $vgpr14
                                        ; implicit-def: $vgpr8
                                        ; implicit-def: $vgpr15
	s_and_saveexec_b64 s[28:29], vcc
	s_cbranch_execz .LBB5_1523
; %bb.1522:                             ;   in Loop: Header=BB5_47 Depth=1
	v_sub_u32_e32 v8, v46, v9
	v_cndmask_b32_e64 v8, 0, v8, s[26:27]
	v_cmp_lt_i32_e32 vcc, 0, v47
	v_add3_u32 v14, v45, v43, v8
	s_or_b64 s[40:41], s[94:95], exec
	v_cndmask_b32_e32 v8, 0, v52, vcc
	v_sub_u32_e32 v8, v8, v47
	v_lshl_add_u32 v8, v8, 6, v44
	v_ashrrev_i32_e32 v9, 31, v8
	v_lshrrev_b32_e32 v9, 26, v9
	v_add_u32_e32 v9, v8, v9
	v_and_b32_e32 v9, 0xffffffc0, v9
	v_sub_u32_e32 v15, v8, v9
.LBB5_1523:                             ;   in Loop: Header=BB5_47 Depth=1
	s_or_b64 exec, exec, s[28:29]
	s_andn2_b64 s[12:13], s[94:95], exec
	s_and_b64 s[26:27], s[40:41], exec
	s_or_b64 s[94:95], s[12:13], s[26:27]
.LBB5_1524:                             ;   in Loop: Header=BB5_47 Depth=1
	s_or_b64 exec, exec, s[42:43]
	s_and_saveexec_b64 s[42:43], s[94:95]
	s_cbranch_execz .LBB5_1608
.LBB5_1525:                             ;   in Loop: Header=BB5_47 Depth=1
	v_ashrrev_i32_e32 v9, 31, v8
	v_lshrrev_b32_e32 v9, 26, v9
	v_add_u32_e32 v8, v8, v9
	v_ashrrev_i32_e32 v8, 6, v8
	v_lshlrev_b32_e32 v9, 9, v8
	v_lshlrev_b32_e32 v10, 1, v15
	v_add3_u32 v12, v14, v10, v9
	v_ashrrev_i32_e32 v9, 31, v17
	v_lshrrev_b32_e32 v9, 23, v9
	v_add_u32_e32 v9, v17, v9
	v_ashrrev_i32_e32 v22, 9, v9
	v_ashrrev_i32_e32 v13, 31, v12
	v_sub_u32_e32 v23, v22, v8
	v_lshl_add_u64 v[8:9], v[20:21], 0, v[12:13]
	v_cmp_lt_i32_e32 vcc, 0, v23
	v_mov_b32_e32 v47, 0
	s_mov_b64 s[26:27], 0
	v_mov_b32_e32 v44, 0
	v_mov_b32_e32 v118, 0
	;; [unrolled: 1-line block ×7, first 2 shown]
	s_and_saveexec_b64 s[28:29], vcc
	s_cbranch_execz .LBB5_1565
; %bb.1526:                             ;   in Loop: Header=BB5_47 Depth=1
	s_trap 2
	ds_read_b64 v[118:119], v0
	s_and_b32 s12, s52, 0xff
	s_cmp_eq_u32 s12, 0
	v_lshl_add_u64 v[10:11], v[12:13], 0, v[18:19]
	s_mov_b64 s[30:31], 0
	s_waitcnt lgkmcnt(0)
	v_lshl_add_u64 v[12:13], v[118:119], 0, v[12:13]
	s_mov_b64 s[94:95], 0
	s_cselect_b64 vcc, -1, 0
                                        ; implicit-def: $sgpr40_sgpr41
                                        ; implicit-def: $vgpr78
                                        ; implicit-def: $vgpr46
                                        ; implicit-def: $vgpr43
                                        ; implicit-def: $vgpr42
                                        ; implicit-def: $vgpr118
                                        ; implicit-def: $vgpr119
                                        ; implicit-def: $vgpr40
                                        ; implicit-def: $vgpr41
	s_branch .LBB5_1528
.LBB5_1527:                             ;   in Loop: Header=BB5_1528 Depth=2
	s_or_b64 exec, exec, s[34:35]
	flat_store_short_d16_hi v[8:9], v89 nt
	flat_store_short_d16_hi v[8:9], v79 offset:128 nt
	flat_store_short_d16_hi v[8:9], v47 offset:256 nt
	;; [unrolled: 1-line block ×3, first 2 shown]
	v_lshl_add_u64 v[44:45], v[10:11], 0, v[70:71]
	v_cndmask_b32_e64 v10, v10, v44, s[30:31]
	v_cndmask_b32_e64 v44, 0, v52, s[30:31]
	v_sub_u32_e32 v23, v23, v44
	v_cmp_gt_i32_e64 s[26:27], 1, v23
	s_or_b64 s[94:95], s[26:27], s[94:95]
	v_lshl_add_u64 v[88:89], v[12:13], 0, v[70:71]
	v_cndmask_b32_e64 v91, 0, v87, s[30:31]
	v_cndmask_b32_e64 v90, v74, v86, s[30:31]
	s_andn2_b64 s[12:13], s[40:41], exec
	s_and_b64 s[26:27], s[30:31], exec
	v_lshl_add_u64 v[8:9], v[8:9], 0, v[90:91]
	v_cndmask_b32_e64 v11, v11, v45, s[30:31]
	v_cndmask_b32_e64 v13, v13, v89, s[30:31]
	v_cndmask_b32_e64 v12, v12, v88, s[30:31]
	s_or_b64 s[40:41], s[12:13], s[26:27]
	s_andn2_b64 exec, exec, s[94:95]
	s_cbranch_execz .LBB5_1564
.LBB5_1528:                             ;   Parent Loop BB5_47 Depth=1
                                        ; =>  This Inner Loop Header: Depth=2
	flat_load_ushort v89, v[10:11] nt
	flat_load_ushort v79, v[10:11] offset:128 nt
	flat_load_ushort v47, v[10:11] offset:256 nt
	;; [unrolled: 1-line block ×3, first 2 shown]
	flat_load_ushort v90, v[12:13] nt
	flat_load_ushort v88, v[12:13] offset:128 nt
	flat_load_ushort v57, v[12:13] offset:256 nt
	;; [unrolled: 1-line block ×3, first 2 shown]
	s_and_saveexec_b64 s[34:35], s[30:31]
	s_cbranch_execz .LBB5_1546
; %bb.1529:                             ;   in Loop: Header=BB5_1528 Depth=2
	v_lshlrev_b32_e32 v78, 16, v78
	v_lshlrev_b32_e32 v91, 16, v118
	v_max_f32_e32 v91, v91, v91
	v_max_f32_e32 v78, v78, v78
	v_min_f32_e32 v92, v78, v91
	v_max_f32_e32 v78, v78, v91
	v_cndmask_b32_e32 v91, v78, v92, vcc
	v_and_b32_e32 v78, 0x7f800000, v91
	v_cmp_ne_u32_e64 s[26:27], s46, v78
                                        ; implicit-def: $vgpr78
	s_and_saveexec_b64 s[12:13], s[26:27]
	s_xor_b64 s[26:27], exec, s[12:13]
; %bb.1530:                             ;   in Loop: Header=BB5_1528 Depth=2
	v_bfe_u32 v78, v91, 16, 1
	v_add3_u32 v78, v91, v78, s47
                                        ; implicit-def: $vgpr91
; %bb.1531:                             ;   in Loop: Header=BB5_1528 Depth=2
	s_andn2_saveexec_b64 s[30:31], s[26:27]
; %bb.1532:                             ;   in Loop: Header=BB5_1528 Depth=2
	v_or_b32_e32 v78, 0x10000, v91
	v_cmp_eq_u32_sdwa s[26:27], v91, v3 src0_sel:WORD_0 src1_sel:DWORD
	s_nop 1
	v_cndmask_b32_e64 v78, v78, v91, s[26:27]
; %bb.1533:                             ;   in Loop: Header=BB5_1528 Depth=2
	s_or_b64 exec, exec, s[30:31]
	v_lshlrev_b32_e32 v46, 16, v46
	v_lshlrev_b32_e32 v91, 16, v119
	v_max_f32_e32 v91, v91, v91
	v_max_f32_e32 v46, v46, v46
	v_min_f32_e32 v92, v46, v91
	v_max_f32_e32 v46, v46, v91
	v_cndmask_b32_e32 v91, v46, v92, vcc
	v_and_b32_e32 v46, 0x7f800000, v91
	v_cmp_ne_u32_e64 s[26:27], s46, v46
                                        ; implicit-def: $vgpr46
	s_and_saveexec_b64 s[12:13], s[26:27]
	s_xor_b64 s[26:27], exec, s[12:13]
; %bb.1534:                             ;   in Loop: Header=BB5_1528 Depth=2
	v_bfe_u32 v46, v91, 16, 1
	v_add3_u32 v46, v91, v46, s47
                                        ; implicit-def: $vgpr91
; %bb.1535:                             ;   in Loop: Header=BB5_1528 Depth=2
	s_andn2_saveexec_b64 s[30:31], s[26:27]
; %bb.1536:                             ;   in Loop: Header=BB5_1528 Depth=2
	v_or_b32_e32 v46, 0x10000, v91
	v_cmp_eq_u32_sdwa s[26:27], v91, v3 src0_sel:WORD_0 src1_sel:DWORD
	s_nop 1
	v_cndmask_b32_e64 v46, v46, v91, s[26:27]
; %bb.1537:                             ;   in Loop: Header=BB5_1528 Depth=2
	s_or_b64 exec, exec, s[30:31]
	v_lshlrev_b32_e32 v43, 16, v43
	v_lshlrev_b32_e32 v91, 16, v40
	v_max_f32_e32 v91, v91, v91
	v_max_f32_e32 v43, v43, v43
	v_min_f32_e32 v92, v43, v91
	v_max_f32_e32 v43, v43, v91
	v_cndmask_b32_e32 v91, v43, v92, vcc
	v_and_b32_e32 v43, 0x7f800000, v91
	v_cmp_ne_u32_e64 s[26:27], s46, v43
                                        ; implicit-def: $vgpr43
	s_and_saveexec_b64 s[12:13], s[26:27]
	s_xor_b64 s[26:27], exec, s[12:13]
; %bb.1538:                             ;   in Loop: Header=BB5_1528 Depth=2
	v_bfe_u32 v43, v91, 16, 1
	v_add3_u32 v43, v91, v43, s47
                                        ; implicit-def: $vgpr91
; %bb.1539:                             ;   in Loop: Header=BB5_1528 Depth=2
	s_andn2_saveexec_b64 s[30:31], s[26:27]
; %bb.1540:                             ;   in Loop: Header=BB5_1528 Depth=2
	v_or_b32_e32 v43, 0x10000, v91
	v_cmp_eq_u32_sdwa s[26:27], v91, v3 src0_sel:WORD_0 src1_sel:DWORD
	s_nop 1
	v_cndmask_b32_e64 v43, v43, v91, s[26:27]
; %bb.1541:                             ;   in Loop: Header=BB5_1528 Depth=2
	s_or_b64 exec, exec, s[30:31]
	v_lshlrev_b32_e32 v42, 16, v42
	v_lshlrev_b32_e32 v91, 16, v41
	v_max_f32_e32 v91, v91, v91
	v_max_f32_e32 v42, v42, v42
	v_min_f32_e32 v92, v42, v91
	v_max_f32_e32 v42, v42, v91
	v_cndmask_b32_e32 v91, v42, v92, vcc
	v_and_b32_e32 v42, 0x7f800000, v91
	v_cmp_ne_u32_e64 s[26:27], s46, v42
                                        ; implicit-def: $vgpr42
	s_and_saveexec_b64 s[12:13], s[26:27]
	s_xor_b64 s[26:27], exec, s[12:13]
; %bb.1542:                             ;   in Loop: Header=BB5_1528 Depth=2
	v_bfe_u32 v42, v91, 16, 1
	v_add3_u32 v42, v91, v42, s47
                                        ; implicit-def: $vgpr91
; %bb.1543:                             ;   in Loop: Header=BB5_1528 Depth=2
	s_andn2_saveexec_b64 s[30:31], s[26:27]
; %bb.1544:                             ;   in Loop: Header=BB5_1528 Depth=2
	v_or_b32_e32 v42, 0x10000, v91
	v_cmp_eq_u32_sdwa s[26:27], v91, v3 src0_sel:WORD_0 src1_sel:DWORD
	s_nop 1
	v_cndmask_b32_e64 v42, v42, v91, s[26:27]
; %bb.1545:                             ;   in Loop: Header=BB5_1528 Depth=2
	s_or_b64 exec, exec, s[30:31]
	v_lshrrev_b32_e32 v78, 16, v78
	v_lshrrev_b32_e32 v43, 16, v43
	;; [unrolled: 1-line block ×4, first 2 shown]
	flat_store_short v[8:9], v78 nt
	flat_store_short v[8:9], v46 offset:128 nt
	flat_store_short v[8:9], v43 offset:256 nt
	;; [unrolled: 1-line block ×3, first 2 shown]
	v_lshl_add_u64 v[8:9], v[8:9], 0, v[86:87]
.LBB5_1546:                             ;   in Loop: Header=BB5_1528 Depth=2
	s_or_b64 exec, exec, s[34:35]
	v_sub_u32_e32 v23, v23, v52
	v_lshl_add_u64 v[10:11], v[10:11], 0, v[86:87]
	v_lshl_add_u64 v[12:13], v[12:13], 0, v[86:87]
	v_cmp_lt_i32_e64 s[30:31], 0, v23
	s_and_saveexec_b64 s[26:27], s[30:31]
	s_cbranch_execz .LBB5_1548
; %bb.1547:                             ;   in Loop: Header=BB5_1528 Depth=2
	flat_load_ushort v78, v[10:11] nt
	flat_load_ushort v46, v[10:11] offset:128 nt
	flat_load_ushort v43, v[10:11] offset:256 nt
	;; [unrolled: 1-line block ×3, first 2 shown]
	flat_load_ushort v118, v[12:13] nt
	flat_load_ushort v119, v[12:13] offset:128 nt
	flat_load_ushort v40, v[12:13] offset:256 nt
	;; [unrolled: 1-line block ×3, first 2 shown]
	v_lshl_add_u64 v[10:11], v[10:11], 0, s[62:63]
	v_lshl_add_u64 v[12:13], v[12:13], 0, s[62:63]
.LBB5_1548:                             ;   in Loop: Header=BB5_1528 Depth=2
	s_or_b64 exec, exec, s[26:27]
	s_waitcnt vmcnt(0) lgkmcnt(0)
	v_lshlrev_b32_e32 v89, 16, v89
	v_lshlrev_b32_e32 v90, 16, v90
	v_max_f32_e32 v90, v90, v90
	v_max_f32_e32 v89, v89, v89
	v_min_f32_e32 v91, v89, v90
	v_max_f32_e32 v89, v89, v90
	v_cndmask_b32_e32 v90, v89, v91, vcc
	v_and_b32_e32 v89, 0x7f800000, v90
	v_cmp_ne_u32_e64 s[26:27], s46, v89
                                        ; implicit-def: $vgpr89
	s_and_saveexec_b64 s[12:13], s[26:27]
	s_xor_b64 s[26:27], exec, s[12:13]
; %bb.1549:                             ;   in Loop: Header=BB5_1528 Depth=2
	v_bfe_u32 v89, v90, 16, 1
	v_add3_u32 v89, v90, v89, s47
                                        ; implicit-def: $vgpr90
; %bb.1550:                             ;   in Loop: Header=BB5_1528 Depth=2
	s_andn2_saveexec_b64 s[34:35], s[26:27]
; %bb.1551:                             ;   in Loop: Header=BB5_1528 Depth=2
	v_or_b32_e32 v89, 0x10000, v90
	v_cmp_eq_u32_sdwa s[26:27], v90, v3 src0_sel:WORD_0 src1_sel:DWORD
	s_nop 1
	v_cndmask_b32_e64 v89, v89, v90, s[26:27]
; %bb.1552:                             ;   in Loop: Header=BB5_1528 Depth=2
	s_or_b64 exec, exec, s[34:35]
	v_lshlrev_b32_e32 v79, 16, v79
	v_lshlrev_b32_e32 v88, 16, v88
	v_max_f32_e32 v88, v88, v88
	v_max_f32_e32 v79, v79, v79
	v_min_f32_e32 v90, v79, v88
	v_max_f32_e32 v79, v79, v88
	v_cndmask_b32_e32 v88, v79, v90, vcc
	v_and_b32_e32 v79, 0x7f800000, v88
	v_cmp_ne_u32_e64 s[26:27], s46, v79
                                        ; implicit-def: $vgpr79
	s_and_saveexec_b64 s[12:13], s[26:27]
	s_xor_b64 s[26:27], exec, s[12:13]
; %bb.1553:                             ;   in Loop: Header=BB5_1528 Depth=2
	v_bfe_u32 v79, v88, 16, 1
	v_add3_u32 v79, v88, v79, s47
                                        ; implicit-def: $vgpr88
; %bb.1554:                             ;   in Loop: Header=BB5_1528 Depth=2
	s_andn2_saveexec_b64 s[34:35], s[26:27]
; %bb.1555:                             ;   in Loop: Header=BB5_1528 Depth=2
	v_or_b32_e32 v79, 0x10000, v88
	v_cmp_eq_u32_sdwa s[26:27], v88, v3 src0_sel:WORD_0 src1_sel:DWORD
	s_nop 1
	v_cndmask_b32_e64 v79, v79, v88, s[26:27]
; %bb.1556:                             ;   in Loop: Header=BB5_1528 Depth=2
	s_or_b64 exec, exec, s[34:35]
	v_lshlrev_b32_e32 v47, 16, v47
	v_lshlrev_b32_e32 v57, 16, v57
	v_max_f32_e32 v57, v57, v57
	v_max_f32_e32 v47, v47, v47
	v_min_f32_e32 v88, v47, v57
	v_max_f32_e32 v47, v47, v57
	v_cndmask_b32_e32 v57, v47, v88, vcc
	v_and_b32_e32 v47, 0x7f800000, v57
	v_cmp_ne_u32_e64 s[26:27], s46, v47
                                        ; implicit-def: $vgpr47
	s_and_saveexec_b64 s[12:13], s[26:27]
	s_xor_b64 s[26:27], exec, s[12:13]
; %bb.1557:                             ;   in Loop: Header=BB5_1528 Depth=2
	v_bfe_u32 v47, v57, 16, 1
	v_add3_u32 v47, v57, v47, s47
                                        ; implicit-def: $vgpr57
; %bb.1558:                             ;   in Loop: Header=BB5_1528 Depth=2
	s_andn2_saveexec_b64 s[34:35], s[26:27]
; %bb.1559:                             ;   in Loop: Header=BB5_1528 Depth=2
	v_or_b32_e32 v47, 0x10000, v57
	v_cmp_eq_u32_sdwa s[26:27], v57, v3 src0_sel:WORD_0 src1_sel:DWORD
	s_nop 1
	v_cndmask_b32_e64 v47, v47, v57, s[26:27]
; %bb.1560:                             ;   in Loop: Header=BB5_1528 Depth=2
	s_or_b64 exec, exec, s[34:35]
	v_lshlrev_b32_e32 v44, 16, v44
	v_lshlrev_b32_e32 v45, 16, v45
	v_max_f32_e32 v45, v45, v45
	v_max_f32_e32 v44, v44, v44
	v_min_f32_e32 v57, v44, v45
	v_max_f32_e32 v44, v44, v45
	v_cndmask_b32_e32 v45, v44, v57, vcc
	v_and_b32_e32 v44, 0x7f800000, v45
	v_cmp_ne_u32_e64 s[26:27], s46, v44
                                        ; implicit-def: $vgpr44
	s_and_saveexec_b64 s[12:13], s[26:27]
	s_xor_b64 s[26:27], exec, s[12:13]
; %bb.1561:                             ;   in Loop: Header=BB5_1528 Depth=2
	v_bfe_u32 v44, v45, 16, 1
	v_add3_u32 v44, v45, v44, s47
                                        ; implicit-def: $vgpr45
; %bb.1562:                             ;   in Loop: Header=BB5_1528 Depth=2
	s_andn2_saveexec_b64 s[34:35], s[26:27]
	s_cbranch_execz .LBB5_1527
; %bb.1563:                             ;   in Loop: Header=BB5_1528 Depth=2
	v_or_b32_e32 v44, 0x10000, v45
	v_cmp_eq_u32_sdwa s[26:27], v45, v3 src0_sel:WORD_0 src1_sel:DWORD
	s_nop 1
	v_cndmask_b32_e64 v44, v44, v45, s[26:27]
	s_branch .LBB5_1527
.LBB5_1564:                             ;   in Loop: Header=BB5_47 Depth=1
	s_or_b64 exec, exec, s[94:95]
	v_lshlrev_b32_e32 v47, 16, v78
	v_lshlrev_b32_e32 v57, 16, v118
	;; [unrolled: 1-line block ×8, first 2 shown]
	s_and_b64 s[26:27], s[40:41], exec
.LBB5_1565:                             ;   in Loop: Header=BB5_47 Depth=1
	s_or_b64 exec, exec, s[28:29]
	s_and_saveexec_b64 s[28:29], s[26:27]
	s_cbranch_execz .LBB5_1583
; %bb.1566:                             ;   in Loop: Header=BB5_47 Depth=1
	s_and_b32 s12, s52, 0xff
	s_cmp_eq_u32 s12, 0
	v_max_f32_e32 v12, v57, v57
	v_max_f32_e32 v13, v47, v47
	v_min_f32_e32 v40, v13, v12
	v_max_f32_e32 v12, v13, v12
	s_cselect_b64 vcc, -1, 0
	v_cndmask_b32_e32 v13, v12, v40, vcc
	v_and_b32_e32 v12, 0x7f800000, v13
	v_cmp_ne_u32_e64 s[26:27], s46, v12
                                        ; implicit-def: $vgpr12
	s_and_saveexec_b64 s[12:13], s[26:27]
	s_xor_b64 s[26:27], exec, s[12:13]
; %bb.1567:                             ;   in Loop: Header=BB5_47 Depth=1
	v_bfe_u32 v12, v13, 16, 1
	v_add3_u32 v12, v13, v12, s47
                                        ; implicit-def: $vgpr13
; %bb.1568:                             ;   in Loop: Header=BB5_47 Depth=1
	s_andn2_saveexec_b64 s[40:41], s[26:27]
; %bb.1569:                             ;   in Loop: Header=BB5_47 Depth=1
	v_or_b32_e32 v12, 0x10000, v13
	v_cmp_eq_u32_sdwa s[26:27], v13, v3 src0_sel:WORD_0 src1_sel:DWORD
	s_nop 1
	v_cndmask_b32_e64 v12, v12, v13, s[26:27]
; %bb.1570:                             ;   in Loop: Header=BB5_47 Depth=1
	s_or_b64 exec, exec, s[40:41]
	v_max_f32_e32 v13, v45, v45
	v_max_f32_e32 v40, v44, v44
	v_min_f32_e32 v41, v40, v13
	v_max_f32_e32 v13, v40, v13
	v_cndmask_b32_e32 v40, v13, v41, vcc
	v_and_b32_e32 v13, 0x7f800000, v40
	v_cmp_ne_u32_e64 s[26:27], s46, v13
                                        ; implicit-def: $vgpr13
	s_and_saveexec_b64 s[12:13], s[26:27]
	s_xor_b64 s[26:27], exec, s[12:13]
; %bb.1571:                             ;   in Loop: Header=BB5_47 Depth=1
	v_bfe_u32 v13, v40, 16, 1
	v_add3_u32 v13, v40, v13, s47
                                        ; implicit-def: $vgpr40
; %bb.1572:                             ;   in Loop: Header=BB5_47 Depth=1
	s_andn2_saveexec_b64 s[40:41], s[26:27]
; %bb.1573:                             ;   in Loop: Header=BB5_47 Depth=1
	v_or_b32_e32 v13, 0x10000, v40
	v_cmp_eq_u32_sdwa s[26:27], v40, v3 src0_sel:WORD_0 src1_sel:DWORD
	s_nop 1
	v_cndmask_b32_e64 v13, v13, v40, s[26:27]
; %bb.1574:                             ;   in Loop: Header=BB5_47 Depth=1
	s_or_b64 exec, exec, s[40:41]
	v_max_f32_e32 v119, v119, v119
	v_max_f32_e32 v118, v118, v118
	v_min_f32_e32 v40, v118, v119
	v_max_f32_e32 v118, v118, v119
	v_cndmask_b32_e32 v119, v118, v40, vcc
	v_and_b32_e32 v118, 0x7f800000, v119
	v_cmp_ne_u32_e64 s[26:27], s46, v118
                                        ; implicit-def: $vgpr118
	s_and_saveexec_b64 s[12:13], s[26:27]
	s_xor_b64 s[26:27], exec, s[12:13]
; %bb.1575:                             ;   in Loop: Header=BB5_47 Depth=1
	v_bfe_u32 v118, v119, 16, 1
	v_add3_u32 v118, v119, v118, s47
                                        ; implicit-def: $vgpr119
; %bb.1576:                             ;   in Loop: Header=BB5_47 Depth=1
	s_andn2_saveexec_b64 s[40:41], s[26:27]
; %bb.1577:                             ;   in Loop: Header=BB5_47 Depth=1
	v_or_b32_e32 v118, 0x10000, v119
	v_cmp_eq_u32_sdwa s[26:27], v119, v3 src0_sel:WORD_0 src1_sel:DWORD
	s_nop 1
	v_cndmask_b32_e64 v118, v118, v119, s[26:27]
; %bb.1578:                             ;   in Loop: Header=BB5_47 Depth=1
	s_or_b64 exec, exec, s[40:41]
	v_max_f32_e32 v11, v11, v11
	v_max_f32_e32 v10, v10, v10
	v_min_f32_e32 v119, v10, v11
	v_max_f32_e32 v10, v10, v11
	v_cndmask_b32_e32 v11, v10, v119, vcc
	v_and_b32_e32 v10, 0x7f800000, v11
	v_cmp_ne_u32_e32 vcc, s46, v10
                                        ; implicit-def: $vgpr10
	s_and_saveexec_b64 s[12:13], vcc
	s_xor_b64 s[26:27], exec, s[12:13]
; %bb.1579:                             ;   in Loop: Header=BB5_47 Depth=1
	v_bfe_u32 v10, v11, 16, 1
	v_add3_u32 v10, v11, v10, s47
                                        ; implicit-def: $vgpr11
; %bb.1580:                             ;   in Loop: Header=BB5_47 Depth=1
	s_andn2_saveexec_b64 s[26:27], s[26:27]
; %bb.1581:                             ;   in Loop: Header=BB5_47 Depth=1
	v_or_b32_e32 v10, 0x10000, v11
	v_cmp_eq_u32_sdwa vcc, v11, v3 src0_sel:WORD_0 src1_sel:DWORD
	s_nop 1
	v_cndmask_b32_e32 v10, v10, v11, vcc
; %bb.1582:                             ;   in Loop: Header=BB5_47 Depth=1
	s_or_b64 exec, exec, s[26:27]
	flat_store_short_d16_hi v[8:9], v12 nt
	flat_store_short_d16_hi v[8:9], v13 offset:128 nt
	flat_store_short_d16_hi v[8:9], v118 offset:256 nt
	;; [unrolled: 1-line block ×3, first 2 shown]
.LBB5_1583:                             ;   in Loop: Header=BB5_47 Depth=1
	s_or_b64 exec, exec, s[28:29]
	v_lshlrev_b32_e32 v8, 9, v22
	v_cmp_ne_u32_e32 vcc, v17, v8
	s_and_b64 exec, exec, vcc
	s_cbranch_execz .LBB5_1608
; %bb.1584:                             ;   in Loop: Header=BB5_47 Depth=1
	v_lshlrev_b32_e32 v9, 6, v23
	v_sub_u32_e32 v9, v15, v9
	v_ashrrev_i32_e32 v10, 31, v9
	v_lshrrev_b32_e32 v10, 26, v10
	v_add_u32_e32 v10, v9, v10
	v_and_b32_e32 v11, 0x7fffffc0, v10
	v_sub_u32_e32 v9, v9, v11
	v_lshlrev_b32_e32 v10, 1, v10
	v_and_b32_e32 v10, 0xffffff80, v10
	v_lshlrev_b32_e32 v9, 1, v9
	v_add3_u32 v8, v10, v9, v8
	v_sub_u32_e32 v15, v17, v8
	v_cmp_lt_i32_e32 vcc, 1, v15
	s_and_b64 exec, exec, vcc
	s_cbranch_execz .LBB5_1608
; %bb.1585:                             ;   in Loop: Header=BB5_47 Depth=1
	s_trap 2
	ds_read_b64 v[10:11], v0
	v_add_u32_e32 v22, v8, v14
	s_and_b32 s12, s52, 0xff
	v_ashrrev_i32_e32 v23, 31, v22
	s_cmp_eq_u32 s12, 0
	v_lshl_add_u64 v[8:9], v[20:21], 0, v[22:23]
	v_lshl_add_u64 v[12:13], v[22:23], 0, v[18:19]
	s_waitcnt lgkmcnt(0)
	v_lshl_add_u64 v[10:11], v[10:11], 0, v[22:23]
	s_mov_b64 s[34:35], 0
	s_mov_b64 s[94:95], 0
	s_cselect_b64 s[26:27], -1, 0
                                        ; implicit-def: $sgpr30_sgpr31
	s_branch .LBB5_1587
.LBB5_1586:                             ;   in Loop: Header=BB5_1587 Depth=2
	s_or_b64 exec, exec, s[28:29]
	v_lshrrev_b32_e32 v15, 16, v17
	scratch_store_short off, v15, s33 offset:160
	flat_store_short v[8:9], v15 nt
	v_cndmask_b32_e64 v15, 0, v62, s[34:35]
	v_sub_u32_e32 v15, v14, v15
	v_cmp_gt_i32_e32 vcc, 2, v15
	s_or_b64 s[94:95], vcc, s[94:95]
	v_lshl_add_u64 v[18:19], v[12:13], 0, v[82:83]
	v_lshl_add_u64 v[20:21], v[10:11], 0, v[82:83]
	v_cndmask_b32_e64 v23, 0, v99, s[34:35]
	v_cndmask_b32_e64 v22, v75, v98, s[34:35]
	s_andn2_b64 s[12:13], s[30:31], exec
	s_and_b64 s[28:29], s[34:35], exec
	v_lshl_add_u64 v[8:9], v[8:9], 0, v[22:23]
	v_cndmask_b32_e64 v11, v11, v21, s[34:35]
	v_cndmask_b32_e64 v10, v10, v20, s[34:35]
	;; [unrolled: 1-line block ×4, first 2 shown]
	s_or_b64 s[30:31], s[12:13], s[28:29]
	s_andn2_b64 exec, exec, s[94:95]
	s_cbranch_execz .LBB5_1602
.LBB5_1587:                             ;   Parent Loop BB5_47 Depth=1
                                        ; =>  This Loop Header: Depth=2
                                        ;       Child Loop BB5_1588 Depth 3
                                        ;       Child Loop BB5_1597 Depth 3
	s_add_i32 s13, s33, 0xa0
	s_mov_b32 s12, s13
	s_mov_b64 s[36:37], -1
	s_mov_b64 s[38:39], 0
.LBB5_1588:                             ;   Parent Loop BB5_47 Depth=1
                                        ;     Parent Loop BB5_1587 Depth=2
                                        ; =>    This Inner Loop Header: Depth=3
	s_cmp_eq_u32 s38, 1
	s_cselect_b64 vcc, -1, 0
	v_cndmask_b32_e32 v19, v13, v11, vcc
	v_cndmask_b32_e32 v18, v12, v10, vcc
	flat_load_ushort v14, v[18:19] nt
	s_cmp_eq_u32 s38, 0
	s_cselect_b64 s[28:29], -1, 0
	s_and_b64 s[40:41], exec, s[36:37]
	v_lshl_add_u64 v[18:19], v[18:19], 0, s[72:73]
	s_add_i32 s13, s33, 0xc0
	s_mov_b64 s[38:39], 1
	s_mov_b64 s[36:37], 0
	v_cndmask_b32_e32 v11, v11, v19, vcc
	v_cndmask_b32_e32 v10, v10, v18, vcc
	v_cndmask_b32_e64 v13, v13, v19, s[28:29]
	v_cndmask_b32_e64 v12, v12, v18, s[28:29]
	s_mov_b64 vcc, s[40:41]
	s_waitcnt vmcnt(0) lgkmcnt(0)
	scratch_store_short off, v14, s12
	s_mov_b32 s12, s13
	s_cbranch_vccnz .LBB5_1588
; %bb.1589:                             ;   in Loop: Header=BB5_1587 Depth=2
	s_and_saveexec_b64 s[28:29], s[34:35]
	s_cbranch_execz .LBB5_1595
; %bb.1590:                             ;   in Loop: Header=BB5_1587 Depth=2
	scratch_load_ushort v14, off, s33 offset:144
	scratch_load_ushort v17, off, s33 offset:146
	s_waitcnt vmcnt(1)
	v_lshlrev_b32_e32 v14, 16, v14
	s_waitcnt vmcnt(0)
	v_lshlrev_b32_e32 v17, 16, v17
	v_max_f32_e32 v17, v17, v17
	v_max_f32_e32 v14, v14, v14
	v_min_f32_e32 v18, v14, v17
	v_max_f32_e32 v14, v14, v17
	v_cndmask_b32_e64 v14, v14, v18, s[26:27]
	v_and_b32_e32 v17, 0x7f800000, v14
	v_cmp_ne_u32_e32 vcc, s46, v17
                                        ; implicit-def: $vgpr17
	s_and_saveexec_b64 s[12:13], vcc
	s_xor_b64 s[40:41], exec, s[12:13]
; %bb.1591:                             ;   in Loop: Header=BB5_1587 Depth=2
	v_bfe_u32 v17, v14, 16, 1
	v_add3_u32 v17, v14, v17, s47
                                        ; implicit-def: $vgpr14
; %bb.1592:                             ;   in Loop: Header=BB5_1587 Depth=2
	s_andn2_saveexec_b64 s[40:41], s[40:41]
; %bb.1593:                             ;   in Loop: Header=BB5_1587 Depth=2
	v_or_b32_e32 v17, 0x10000, v14
	v_cmp_eq_u32_sdwa vcc, v14, v3 src0_sel:WORD_0 src1_sel:DWORD
	s_nop 1
	v_cndmask_b32_e32 v17, v17, v14, vcc
; %bb.1594:                             ;   in Loop: Header=BB5_1587 Depth=2
	s_or_b64 exec, exec, s[40:41]
	v_lshrrev_b32_e32 v14, 16, v17
	scratch_store_short off, v14, s33 offset:144
	flat_store_short v[8:9], v14 nt
	v_lshl_add_u64 v[8:9], v[8:9], 0, v[98:99]
.LBB5_1595:                             ;   in Loop: Header=BB5_1587 Depth=2
	s_or_b64 exec, exec, s[28:29]
	v_sub_u32_e32 v14, v15, v62
	v_lshl_add_u64 v[12:13], v[12:13], 0, v[82:83]
	v_lshl_add_u64 v[10:11], v[10:11], 0, v[82:83]
	v_cmp_lt_i32_e64 s[34:35], 1, v14
	s_and_saveexec_b64 s[36:37], s[34:35]
	s_cbranch_execz .LBB5_1598
; %bb.1596:                             ;   in Loop: Header=BB5_1587 Depth=2
	s_add_i32 s13, s33, 0x90
	s_mov_b32 s12, s13
	s_mov_b64 s[48:49], 0
	s_mov_b64 s[38:39], -1
.LBB5_1597:                             ;   Parent Loop BB5_47 Depth=1
                                        ;     Parent Loop BB5_1587 Depth=2
                                        ; =>    This Inner Loop Header: Depth=3
	s_cmp_eq_u32 s48, 1
	s_cselect_b64 vcc, -1, 0
	v_cndmask_b32_e32 v19, v13, v11, vcc
	v_cndmask_b32_e32 v18, v12, v10, vcc
	flat_load_ushort v15, v[18:19] nt
	s_cmp_eq_u32 s48, 0
	s_cselect_b64 s[28:29], -1, 0
	s_and_b64 s[40:41], exec, s[38:39]
	v_lshl_add_u64 v[18:19], v[18:19], 0, s[72:73]
	s_add_i32 s13, s33, 0x92
	s_mov_b64 s[48:49], 1
	s_mov_b64 s[38:39], 0
	v_cndmask_b32_e64 v13, v13, v19, s[28:29]
	v_cndmask_b32_e64 v12, v12, v18, s[28:29]
	v_cndmask_b32_e32 v11, v11, v19, vcc
	v_cndmask_b32_e32 v10, v10, v18, vcc
	s_mov_b64 vcc, s[40:41]
	s_waitcnt vmcnt(0) lgkmcnt(0)
	scratch_store_short off, v15, s12
	s_mov_b32 s12, s13
	s_cbranch_vccnz .LBB5_1597
.LBB5_1598:                             ;   in Loop: Header=BB5_1587 Depth=2
	s_or_b64 exec, exec, s[36:37]
	scratch_load_ushort v15, off, s33 offset:160
	scratch_load_ushort v17, off, s33 offset:192
	s_waitcnt vmcnt(0)
	v_lshlrev_b32_e32 v15, 16, v15
	v_lshlrev_b32_e32 v17, 16, v17
	v_max_f32_e32 v17, v17, v17
	v_max_f32_e32 v15, v15, v15
	v_min_f32_e32 v18, v15, v17
	v_max_f32_e32 v15, v15, v17
	v_cndmask_b32_e64 v15, v15, v18, s[26:27]
	v_and_b32_e32 v17, 0x7f800000, v15
	v_cmp_ne_u32_e32 vcc, s46, v17
                                        ; implicit-def: $vgpr17
	s_and_saveexec_b64 s[12:13], vcc
	s_xor_b64 s[28:29], exec, s[12:13]
; %bb.1599:                             ;   in Loop: Header=BB5_1587 Depth=2
	v_bfe_u32 v17, v15, 16, 1
	v_add3_u32 v17, v15, v17, s47
                                        ; implicit-def: $vgpr15
; %bb.1600:                             ;   in Loop: Header=BB5_1587 Depth=2
	s_andn2_saveexec_b64 s[28:29], s[28:29]
	s_cbranch_execz .LBB5_1586
; %bb.1601:                             ;   in Loop: Header=BB5_1587 Depth=2
	v_or_b32_e32 v17, 0x10000, v15
	v_cmp_eq_u32_sdwa vcc, v15, v3 src0_sel:WORD_0 src1_sel:DWORD
	s_nop 1
	v_cndmask_b32_e32 v17, v17, v15, vcc
	s_branch .LBB5_1586
.LBB5_1602:                             ;   in Loop: Header=BB5_47 Depth=1
	s_or_b64 exec, exec, s[94:95]
	s_and_b64 exec, exec, s[30:31]
	s_cbranch_execz .LBB5_1608
; %bb.1603:                             ;   in Loop: Header=BB5_47 Depth=1
	scratch_load_ushort v10, off, s33 offset:144
	scratch_load_ushort v11, off, s33 offset:146
	s_waitcnt vmcnt(0)
	v_lshlrev_b32_e32 v10, 16, v10
	v_lshlrev_b32_e32 v11, 16, v11
	v_max_f32_e32 v11, v11, v11
	v_max_f32_e32 v10, v10, v10
	v_min_f32_e32 v12, v10, v11
	v_max_f32_e32 v10, v10, v11
	v_cndmask_b32_e64 v10, v10, v12, s[26:27]
	v_and_b32_e32 v11, 0x7f800000, v10
	v_cmp_ne_u32_e32 vcc, s46, v11
                                        ; implicit-def: $vgpr11
	s_and_saveexec_b64 s[12:13], vcc
	s_xor_b64 s[26:27], exec, s[12:13]
; %bb.1604:                             ;   in Loop: Header=BB5_47 Depth=1
	v_bfe_u32 v11, v10, 16, 1
	v_add3_u32 v11, v10, v11, s47
                                        ; implicit-def: $vgpr10
; %bb.1605:                             ;   in Loop: Header=BB5_47 Depth=1
	s_andn2_saveexec_b64 s[26:27], s[26:27]
; %bb.1606:                             ;   in Loop: Header=BB5_47 Depth=1
	v_or_b32_e32 v11, 0x10000, v10
	v_cmp_eq_u32_sdwa vcc, v10, v3 src0_sel:WORD_0 src1_sel:DWORD
	s_nop 1
	v_cndmask_b32_e32 v11, v11, v10, vcc
; %bb.1607:                             ;   in Loop: Header=BB5_47 Depth=1
	s_or_b64 exec, exec, s[26:27]
	flat_store_short_d16_hi v[8:9], v11 nt
.LBB5_1608:                             ;   in Loop: Header=BB5_47 Depth=1
	s_or_b64 exec, exec, s[42:43]
	v_cmp_lt_i32_e64 s[26:27], 0, v2
	s_and_saveexec_b64 s[28:29], s[6:7]
	s_cbranch_execz .LBB5_1627
.LBB5_1609:                             ;   in Loop: Header=BB5_47 Depth=1
	s_and_saveexec_b64 s[12:13], s[56:57]
	s_xor_b64 s[40:41], exec, s[12:13]
	s_cbranch_execz .LBB5_1624
; %bb.1610:                             ;   in Loop: Header=BB5_47 Depth=1
	s_and_saveexec_b64 s[42:43], s[14:15]
	s_cbranch_execz .LBB5_1623
; %bb.1611:                             ;   in Loop: Header=BB5_47 Depth=1
	s_mov_b64 s[30:31], exec
	v_mbcnt_lo_u32_b32 v2, s30, 0
	v_mbcnt_hi_u32_b32 v2, s31, v2
	v_cmp_eq_u32_e32 vcc, 0, v2
	s_waitcnt lgkmcnt(0)
	s_and_saveexec_b64 s[94:95], vcc
	s_cbranch_execz .LBB5_1613
; %bb.1612:                             ;   in Loop: Header=BB5_47 Depth=1
	s_bcnt1_i32_b64 s12, s[30:31]
	v_mov_b32_e32 v2, s12
	ds_add_u64 v0, v[2:3]
	s_trap 2
.LBB5_1613:                             ;   in Loop: Header=BB5_47 Depth=1
	s_or_b64 exec, exec, s[94:95]
	s_trap 2
	ds_read_b64 v[8:9], v0
	s_waitcnt lgkmcnt(0)
	v_lshl_add_u64 v[38:39], v[38:39], 0, v[52:53]
	v_cmp_lt_u64_e32 vcc, v[8:9], v[38:39]
	s_and_saveexec_b64 s[94:95], vcc
	s_cbranch_execz .LBB5_1622
; %bb.1614:                             ;   in Loop: Header=BB5_47 Depth=1
	s_mov_b32 s12, 0
	s_mov_b64 s[30:31], 0
                                        ; implicit-def: $sgpr34_sgpr35
                                        ; implicit-def: $sgpr36_sgpr37
	s_branch .LBB5_1616
.LBB5_1615:                             ;   in Loop: Header=BB5_1616 Depth=2
	s_or_b64 exec, exec, s[48:49]
	s_and_b64 vcc, exec, vcc
	s_or_b64 s[30:31], vcc, s[30:31]
	s_andn2_b64 vcc, s[34:35], exec
	s_and_b64 s[34:35], s[36:37], exec
	s_or_b64 s[34:35], vcc, s[34:35]
	s_andn2_b64 exec, exec, s[30:31]
	s_cbranch_execz .LBB5_1620
.LBB5_1616:                             ;   Parent Loop BB5_47 Depth=1
                                        ; =>  This Inner Loop Header: Depth=2
	s_add_i32 s12, s12, 1
	s_cmpk_lg_i32 s12, 0x2710
	s_cselect_b64 s[38:39], -1, 0
	s_and_b64 vcc, exec, s[38:39]
	s_cbranch_vccz .LBB5_1618
; %bb.1617:                             ;   in Loop: Header=BB5_1616 Depth=2
	s_mov_b64 vcc, -1
	s_or_b64 s[36:37], s[36:37], exec
	s_and_saveexec_b64 s[48:49], s[38:39]
	s_cbranch_execz .LBB5_1615
	s_branch .LBB5_1619
.LBB5_1618:                             ;   in Loop: Header=BB5_1616 Depth=2
	s_trap 2
	ds_read_b64 v[8:9], v0
	s_andn2_b64 s[38:39], s[38:39], exec
	s_mov_b32 s12, 0
	s_waitcnt vmcnt(0) lgkmcnt(0)
	flat_load_dword v2, v[8:9] sc0 sc1
	s_waitcnt vmcnt(0) lgkmcnt(0)
	buffer_inv sc0 sc1
	v_cmp_eq_u32_e32 vcc, 0, v2
	s_and_b64 vcc, vcc, exec
	s_or_b64 s[38:39], s[38:39], vcc
	s_mov_b64 vcc, -1
	s_or_b64 s[36:37], s[36:37], exec
	s_and_saveexec_b64 s[48:49], s[38:39]
	s_cbranch_execz .LBB5_1615
.LBB5_1619:                             ;   in Loop: Header=BB5_1616 Depth=2
	s_sleep 1
	s_trap 2
	ds_read_b64 v[8:9], v0
	s_waitcnt lgkmcnt(0)
	s_andn2_b64 s[36:37], s[36:37], exec
	v_cmp_ge_u64_e32 vcc, v[8:9], v[38:39]
	s_orn2_b64 vcc, vcc, exec
	s_branch .LBB5_1615
.LBB5_1620:                             ;   in Loop: Header=BB5_47 Depth=1
	s_or_b64 exec, exec, s[30:31]
	s_and_saveexec_b64 s[12:13], s[34:35]
	s_xor_b64 s[12:13], exec, s[12:13]
	s_cbranch_execz .LBB5_1622
; %bb.1621:                             ;   in Loop: Header=BB5_47 Depth=1
	ds_write_b32 v0, v63
	s_trap 2
.LBB5_1622:                             ;   in Loop: Header=BB5_47 Depth=1
	s_or_b64 exec, exec, s[94:95]
	;;#ASMSTART
	s_wakeup
	;;#ASMEND
.LBB5_1623:                             ;   in Loop: Header=BB5_47 Depth=1
	s_or_b64 exec, exec, s[42:43]
.LBB5_1624:                             ;   in Loop: Header=BB5_47 Depth=1
	s_andn2_saveexec_b64 s[40:41], s[40:41]
	s_cbranch_execz .LBB5_1626
; %bb.1625:                             ;   in Loop: Header=BB5_47 Depth=1
	s_waitcnt lgkmcnt(0)
	s_barrier
.LBB5_1626:                             ;   in Loop: Header=BB5_47 Depth=1
	s_or_b64 exec, exec, s[40:41]
.LBB5_1627:                             ;   in Loop: Header=BB5_47 Depth=1
	s_or_b64 exec, exec, s[28:29]
	v_and_b32_e32 v8, 16, v58
	s_and_saveexec_b64 s[12:13], s[22:23]
	s_xor_b64 s[28:29], exec, s[12:13]
	s_cbranch_execz .LBB5_1631
; %bb.1628:                             ;   in Loop: Header=BB5_47 Depth=1
	v_and_b32_e32 v2, 16, v58
	v_cmp_ne_u32_e32 vcc, 0, v2
	v_and_b32_e32 v8, 16, v58
	s_and_b64 s[12:13], vcc, s[26:27]
	s_and_saveexec_b64 s[26:27], s[12:13]
	s_cbranch_execz .LBB5_1630
; %bb.1629:                             ;   in Loop: Header=BB5_47 Depth=1
	v_mov_b32_e32 v8, 1
	buffer_wbl2 sc1
	s_waitcnt vmcnt(0) lgkmcnt(0)
	buffer_inv sc1
.LBB5_1630:                             ;   in Loop: Header=BB5_47 Depth=1
	s_or_b64 exec, exec, s[26:27]
.LBB5_1631:                             ;   in Loop: Header=BB5_47 Depth=1
	s_andn2_saveexec_b64 s[26:27], s[28:29]
	s_cbranch_execz .LBB5_1650
; %bb.1632:                             ;   in Loop: Header=BB5_47 Depth=1
	s_and_saveexec_b64 s[12:13], s[56:57]
	s_xor_b64 s[28:29], exec, s[12:13]
	s_cbranch_execz .LBB5_1647
; %bb.1633:                             ;   in Loop: Header=BB5_47 Depth=1
	s_and_saveexec_b64 s[40:41], s[14:15]
	s_cbranch_execz .LBB5_1646
; %bb.1634:                             ;   in Loop: Header=BB5_47 Depth=1
	s_mov_b64 s[94:95], exec
	v_mbcnt_lo_u32_b32 v2, s94, 0
	v_mbcnt_hi_u32_b32 v2, s95, v2
	v_cmp_eq_u32_e32 vcc, 0, v2
	;;#ASMSTART
	s_waitcnt lgkmcnt(0) vmcnt(0)
	;;#ASMEND
	s_and_saveexec_b64 s[42:43], vcc
	s_cbranch_execz .LBB5_1636
; %bb.1635:                             ;   in Loop: Header=BB5_47 Depth=1
	s_bcnt1_i32_b64 s12, s[94:95]
	v_mov_b32_e32 v2, s12
	s_waitcnt lgkmcnt(0)
	ds_add_u64 v0, v[2:3]
	s_trap 2
.LBB5_1636:                             ;   in Loop: Header=BB5_47 Depth=1
	s_or_b64 exec, exec, s[42:43]
	s_trap 2
	ds_read_b64 v[10:11], v0
	s_waitcnt lgkmcnt(0)
	v_lshl_add_u64 v[38:39], v[38:39], 0, v[52:53]
	v_cmp_lt_u64_e32 vcc, v[10:11], v[38:39]
	s_and_saveexec_b64 s[42:43], vcc
	s_cbranch_execz .LBB5_1645
; %bb.1637:                             ;   in Loop: Header=BB5_47 Depth=1
	s_mov_b32 s12, 0
	s_mov_b64 s[94:95], 0
                                        ; implicit-def: $sgpr30_sgpr31
                                        ; implicit-def: $sgpr34_sgpr35
	s_branch .LBB5_1639
.LBB5_1638:                             ;   in Loop: Header=BB5_1639 Depth=2
	s_or_b64 exec, exec, s[38:39]
	s_and_b64 vcc, exec, vcc
	s_or_b64 s[94:95], vcc, s[94:95]
	s_andn2_b64 vcc, s[30:31], exec
	s_and_b64 s[30:31], s[34:35], exec
	s_or_b64 s[30:31], vcc, s[30:31]
	s_andn2_b64 exec, exec, s[94:95]
	s_cbranch_execz .LBB5_1643
.LBB5_1639:                             ;   Parent Loop BB5_47 Depth=1
                                        ; =>  This Inner Loop Header: Depth=2
	s_add_i32 s12, s12, 1
	s_cmpk_lg_i32 s12, 0x2710
	s_cselect_b64 s[36:37], -1, 0
	s_and_b64 vcc, exec, s[36:37]
	s_cbranch_vccz .LBB5_1641
; %bb.1640:                             ;   in Loop: Header=BB5_1639 Depth=2
	s_mov_b64 vcc, -1
	s_or_b64 s[34:35], s[34:35], exec
	s_and_saveexec_b64 s[38:39], s[36:37]
	s_cbranch_execz .LBB5_1638
	s_branch .LBB5_1642
.LBB5_1641:                             ;   in Loop: Header=BB5_1639 Depth=2
	s_trap 2
	ds_read_b64 v[10:11], v0
	s_andn2_b64 s[36:37], s[36:37], exec
	s_mov_b32 s12, 0
	s_waitcnt vmcnt(0) lgkmcnt(0)
	flat_load_dword v2, v[10:11] sc0 sc1
	s_waitcnt vmcnt(0) lgkmcnt(0)
	buffer_inv sc0 sc1
	v_cmp_eq_u32_e32 vcc, 0, v2
	s_and_b64 vcc, vcc, exec
	s_or_b64 s[36:37], s[36:37], vcc
	s_mov_b64 vcc, -1
	s_or_b64 s[34:35], s[34:35], exec
	s_and_saveexec_b64 s[38:39], s[36:37]
	s_cbranch_execz .LBB5_1638
.LBB5_1642:                             ;   in Loop: Header=BB5_1639 Depth=2
	s_sleep 1
	s_trap 2
	ds_read_b64 v[10:11], v0
	s_waitcnt lgkmcnt(0)
	s_andn2_b64 s[34:35], s[34:35], exec
	v_cmp_ge_u64_e32 vcc, v[10:11], v[38:39]
	s_orn2_b64 vcc, vcc, exec
	s_branch .LBB5_1638
.LBB5_1643:                             ;   in Loop: Header=BB5_47 Depth=1
	s_or_b64 exec, exec, s[94:95]
	s_and_saveexec_b64 s[12:13], s[30:31]
	s_xor_b64 s[12:13], exec, s[12:13]
	s_cbranch_execz .LBB5_1645
; %bb.1644:                             ;   in Loop: Header=BB5_47 Depth=1
	ds_write_b32 v0, v63
	s_trap 2
.LBB5_1645:                             ;   in Loop: Header=BB5_47 Depth=1
	s_or_b64 exec, exec, s[42:43]
	;;#ASMSTART
	s_wakeup
	;;#ASMEND
.LBB5_1646:                             ;   in Loop: Header=BB5_47 Depth=1
	s_or_b64 exec, exec, s[40:41]
.LBB5_1647:                             ;   in Loop: Header=BB5_47 Depth=1
	s_andn2_saveexec_b64 s[28:29], s[28:29]
	s_cbranch_execz .LBB5_1649
; %bb.1648:                             ;   in Loop: Header=BB5_47 Depth=1
	;;#ASMSTART
	s_waitcnt lgkmcnt(0) vmcnt(0)
	;;#ASMEND
	s_barrier
.LBB5_1649:                             ;   in Loop: Header=BB5_47 Depth=1
	s_or_b64 exec, exec, s[28:29]
.LBB5_1650:                             ;   in Loop: Header=BB5_47 Depth=1
	s_or_b64 exec, exec, s[26:27]
	v_cmp_ne_u32_e32 vcc, 0, v8
	s_xor_b64 s[12:13], s[10:11], -1
	s_and_b64 s[12:13], vcc, s[12:13]
	s_and_saveexec_b64 s[26:27], s[12:13]
	s_cbranch_execz .LBB5_1652
; %bb.1651:                             ;   in Loop: Header=BB5_47 Depth=1
	flat_store_dword v[36:37], v63 sc0 sc1
.LBB5_1652:                             ;   in Loop: Header=BB5_47 Depth=1
	s_or_b64 exec, exec, s[26:27]
	v_and_b32_e32 v2, 48, v58
	v_cmp_ne_u32_e32 vcc, 0, v2
	s_and_saveexec_b64 s[26:27], vcc
	s_cbranch_execz .LBB5_1654
; %bb.1653:                             ;   in Loop: Header=BB5_47 Depth=1
	v_lshl_add_u64 v[112:113], v[112:113], 0, 4
	flat_store_dwordx2 v[32:33], v[112:113] sc0 sc1
.LBB5_1654:                             ;   in Loop: Header=BB5_47 Depth=1
	s_or_b64 exec, exec, s[26:27]
	v_mov_b32_e32 v2, v16
	s_or_b64 exec, exec, s[92:93]
	s_and_saveexec_b64 s[28:29], s[90:91]
	s_cbranch_execnz .LBB5_812
.LBB5_1655:                             ;   in Loop: Header=BB5_47 Depth=1
	s_or_b64 exec, exec, s[28:29]
	s_and_b64 vcc, exec, s[24:25]
	s_cbranch_vccnz .LBB5_1981
.LBB5_1656:                             ;   in Loop: Header=BB5_47 Depth=1
	s_mov_b32 s45, 1
.LBB5_1657:                             ;   Parent Loop BB5_47 Depth=1
                                        ; =>  This Loop Header: Depth=2
                                        ;       Child Loop BB5_1670 Depth 3
                                        ;       Child Loop BB5_1710 Depth 3
	;; [unrolled: 1-line block ×4, first 2 shown]
                                        ;         Child Loop BB5_1800 Depth 4
                                        ;         Child Loop BB5_1805 Depth 4
                                        ;       Child Loop BB5_1830 Depth 3
                                        ;       Child Loop BB5_1835 Depth 3
                                        ;         Child Loop BB5_1837 Depth 4
                                        ;         Child Loop BB5_1842 Depth 4
                                        ;       Child Loop BB5_1848 Depth 3
                                        ;       Child Loop BB5_1856 Depth 3
	;; [unrolled: 1-line block ×3, first 2 shown]
                                        ;         Child Loop BB5_1868 Depth 4
                                        ;         Child Loop BB5_1873 Depth 4
                                        ;       Child Loop BB5_1877 Depth 3
                                        ;       Child Loop BB5_1889 Depth 3
	;; [unrolled: 1-line block ×10, first 2 shown]
	s_sub_i32 s12, s64, s45
	s_cmp_ge_i32 s12, s54
	s_cselect_b32 s13, s54, 0
	s_sub_i32 s12, s12, s13
	s_ashr_i32 s13, s12, 31
	v_mul_lo_u32 v2, v102, s13
	v_mul_lo_u32 v10, v103, s12
	v_mad_u64_u32 v[8:9], s[12:13], v102, s12, 0
	v_add3_u32 v9, v9, v2, v10
	v_sub_co_u32_e32 v10, vcc, v114, v8
	s_nop 1
	v_subb_co_u32_e32 v11, vcc, v115, v9, vcc
	v_cmp_lt_i64_e32 vcc, v[102:103], v[10:11]
	s_nop 1
	v_cndmask_b32_e32 v2, v10, v102, vcc
	v_max_i32_e32 v78, 0, v2
	v_add_u32_e32 v10, 15, v78
	v_ashrrev_i32_e32 v11, 31, v10
	v_lshrrev_b32_e32 v11, 28, v11
	v_add_u32_e32 v10, v10, v11
	v_cmp_gt_i32_e32 vcc, 1, v2
	v_and_b32_e32 v10, -16, v10
	s_or_b64 s[40:41], s[2:3], vcc
	v_max_i32_e32 v118, s67, v10
	s_xor_b64 s[12:13], s[40:41], -1
	v_mov_b32_e32 v2, 0
	s_and_saveexec_b64 s[42:43], s[12:13]
	s_cbranch_execz .LBB5_1663
; %bb.1658:                             ;   in Loop: Header=BB5_1657 Depth=2
	s_and_saveexec_b64 s[24:25], s[0:1]
	s_cbranch_execz .LBB5_1660
; %bb.1659:                             ;   in Loop: Header=BB5_1657 Depth=2
	s_trap 2
	ds_read_b128 v[10:13], v0
	v_lshl_add_u64 v[8:9], v[8:9], 0, v[116:117]
	v_lshlrev_b64 v[8:9], 1, v[8:9]
	s_waitcnt lgkmcnt(0)
	v_lshl_add_u64 v[10:11], v[10:11], 0, v[8:9]
	v_lshl_add_u64 v[8:9], v[12:13], 0, v[8:9]
	v_cmp_ne_u64_e32 vcc, 0, v[12:13]
	ds_write_b64 v0, v[10:11]
	s_nop 0
	v_cndmask_b32_e32 v9, 0, v9, vcc
	v_cndmask_b32_e32 v8, 0, v8, vcc
	ds_write_b64 v0, v[8:9]
.LBB5_1660:                             ;   in Loop: Header=BB5_1657 Depth=2
	s_or_b64 exec, exec, s[24:25]
	v_and_b32_e32 v2, 12, v58
	v_min_i32_e32 v118, v118, v78
	v_cmp_ne_u32_e32 vcc, 0, v2
	s_and_saveexec_b64 s[26:27], vcc
	s_cbranch_execz .LBB5_1702
; %bb.1661:                             ;   in Loop: Header=BB5_1657 Depth=2
	v_and_b32_e32 v2, 8, v58
	s_waitcnt vmcnt(0) lgkmcnt(0)
	v_lshl_add_u64 v[10:11], v[48:49], 0, v[2:3]
	v_lshl_add_u64 v[8:9], v[112:113], 0, 4
	v_cmp_lt_u64_e32 vcc, v[10:11], v[8:9]
	s_and_saveexec_b64 s[28:29], vcc
	s_cbranch_execz .LBB5_1689
; %bb.1662:                             ;   in Loop: Header=BB5_1657 Depth=2
	v_and_b32_e32 v10, 64, v58
	s_mov_b32 s12, 0
	v_cmp_eq_u32_e32 vcc, 0, v10
	s_mov_b64 s[90:91], 0
                                        ; implicit-def: $sgpr92_sgpr93
                                        ; implicit-def: $sgpr94_sgpr95
                                        ; implicit-def: $sgpr30_sgpr31
	s_branch .LBB5_1670
.LBB5_1663:                             ;   in Loop: Header=BB5_1657 Depth=2
	s_or_b64 exec, exec, s[42:43]
	s_and_saveexec_b64 s[26:27], s[40:41]
	s_cbranch_execz .LBB5_1979
.LBB5_1664:                             ;   in Loop: Header=BB5_1657 Depth=2
	v_sub_u32_e32 v2, v78, v2
	v_min_i32_e32 v8, v118, v2
	v_and_b32_e32 v2, 12, v58
	v_cmp_ne_u32_e32 vcc, 0, v2
	s_and_saveexec_b64 s[28:29], vcc
	s_cbranch_execz .LBB5_1681
; %bb.1665:                             ;   in Loop: Header=BB5_1657 Depth=2
	v_and_b32_e32 v2, 8, v58
	s_waitcnt vmcnt(0) lgkmcnt(0)
	v_lshl_add_u64 v[12:13], v[48:49], 0, v[2:3]
	v_lshl_add_u64 v[10:11], v[112:113], 0, 4
	v_cmp_lt_u64_e32 vcc, v[12:13], v[10:11]
	s_and_saveexec_b64 s[40:41], vcc
	s_cbranch_execz .LBB5_1717
; %bb.1666:                             ;   in Loop: Header=BB5_1657 Depth=2
	v_and_b32_e32 v9, 64, v58
	s_mov_b32 s12, 0
	v_cmp_eq_u32_e32 vcc, 0, v9
	s_mov_b64 s[42:43], 0
                                        ; implicit-def: $sgpr90_sgpr91
                                        ; implicit-def: $sgpr92_sgpr93
                                        ; implicit-def: $sgpr94_sgpr95
	s_branch .LBB5_1677
.LBB5_1667:                             ;   in Loop: Header=BB5_1670 Depth=3
	s_waitcnt vmcnt(0) lgkmcnt(0)
	v_lshl_add_u64 v[12:13], v[48:49], 0, v[2:3]
	v_cmp_ge_u64_e64 s[24:25], v[12:13], v[8:9]
	s_or_b64 s[38:39], s[38:39], exec
	s_orn2_b64 s[36:37], s[24:25], exec
.LBB5_1668:                             ;   in Loop: Header=BB5_1670 Depth=3
	s_or_b64 exec, exec, s[50:51]
	s_andn2_b64 s[24:25], s[30:31], exec
	s_and_b64 s[30:31], s[38:39], exec
	s_or_b64 s[30:31], s[24:25], s[30:31]
	s_andn2_b64 s[24:25], s[94:95], exec
	s_and_b64 s[94:95], s[36:37], exec
	s_or_b64 s[94:95], s[24:25], s[94:95]
.LBB5_1669:                             ;   in Loop: Header=BB5_1670 Depth=3
	s_or_b64 exec, exec, s[34:35]
	s_and_b64 s[24:25], exec, s[94:95]
	s_or_b64 s[90:91], s[24:25], s[90:91]
	s_andn2_b64 s[24:25], s[92:93], exec
	s_and_b64 s[92:93], s[30:31], exec
	s_or_b64 s[92:93], s[24:25], s[92:93]
	s_andn2_b64 exec, exec, s[90:91]
	s_cbranch_execz .LBB5_1686
.LBB5_1670:                             ;   Parent Loop BB5_47 Depth=1
                                        ;     Parent Loop BB5_1657 Depth=2
                                        ; =>    This Inner Loop Header: Depth=3
	s_sleep 1
	s_waitcnt vmcnt(0) lgkmcnt(0)
	flat_load_dwordx2 v[48:49], v[32:33] sc0 sc1
	s_or_b64 s[30:31], s[30:31], exec
	s_or_b64 s[94:95], s[94:95], exec
                                        ; implicit-def: $vgpr10
	s_and_saveexec_b64 s[34:35], vcc
	s_cbranch_execz .LBB5_1669
; %bb.1671:                             ;   in Loop: Header=BB5_1670 Depth=3
	s_cmpk_lt_i32 s12, 0x270f
	s_cselect_b64 s[48:49], -1, 0
	s_cmpk_gt_i32 s12, 0x270e
	s_mov_b64 s[36:37], -1
	s_cbranch_scc0 .LBB5_1673
; %bb.1672:                             ;   in Loop: Header=BB5_1670 Depth=3
	s_trap 2
	ds_read_b64 v[10:11], v0
	s_andn2_b64 s[48:49], s[48:49], exec
	s_mov_b32 s12, 0
	s_mov_b64 s[38:39], 0
	s_waitcnt vmcnt(0) lgkmcnt(0)
	flat_load_dword v10, v[10:11] sc0 sc1
	s_waitcnt vmcnt(0) lgkmcnt(0)
	buffer_inv sc0 sc1
	v_cmp_eq_u32_e64 s[24:25], 0, v10
	s_and_b64 s[24:25], s[24:25], exec
	s_or_b64 s[48:49], s[48:49], s[24:25]
	s_and_saveexec_b64 s[50:51], s[48:49]
	s_cbranch_execz .LBB5_1668
	s_branch .LBB5_1667
.LBB5_1673:                             ;   in Loop: Header=BB5_1670 Depth=3
	s_add_i32 s12, s12, 1
	s_mov_b64 s[38:39], -1
                                        ; implicit-def: $vgpr10
	s_and_saveexec_b64 s[50:51], s[48:49]
	s_cbranch_execz .LBB5_1668
	s_branch .LBB5_1667
.LBB5_1674:                             ;   in Loop: Header=BB5_1677 Depth=3
	s_waitcnt vmcnt(0) lgkmcnt(0)
	v_lshl_add_u64 v[12:13], v[48:49], 0, v[2:3]
	v_cmp_ge_u64_e64 s[24:25], v[12:13], v[10:11]
	s_or_b64 s[36:37], s[36:37], exec
	s_orn2_b64 s[34:35], s[24:25], exec
.LBB5_1675:                             ;   in Loop: Header=BB5_1677 Depth=3
	s_or_b64 exec, exec, s[48:49]
	s_andn2_b64 s[24:25], s[94:95], exec
	s_and_b64 s[94:95], s[36:37], exec
	s_or_b64 s[94:95], s[24:25], s[94:95]
	s_andn2_b64 s[24:25], s[92:93], exec
	s_and_b64 s[92:93], s[34:35], exec
	s_or_b64 s[92:93], s[24:25], s[92:93]
.LBB5_1676:                             ;   in Loop: Header=BB5_1677 Depth=3
	s_or_b64 exec, exec, s[30:31]
	s_and_b64 s[24:25], exec, s[92:93]
	s_or_b64 s[42:43], s[24:25], s[42:43]
	s_andn2_b64 s[24:25], s[90:91], exec
	s_and_b64 s[90:91], s[94:95], exec
	s_or_b64 s[90:91], s[24:25], s[90:91]
	s_andn2_b64 exec, exec, s[42:43]
	s_cbranch_execz .LBB5_1714
.LBB5_1677:                             ;   Parent Loop BB5_47 Depth=1
                                        ;     Parent Loop BB5_1657 Depth=2
                                        ; =>    This Inner Loop Header: Depth=3
	s_sleep 1
	s_waitcnt vmcnt(0) lgkmcnt(0)
	flat_load_dwordx2 v[48:49], v[32:33] sc0 sc1
	s_or_b64 s[94:95], s[94:95], exec
	s_or_b64 s[92:93], s[92:93], exec
                                        ; implicit-def: $vgpr9
	s_and_saveexec_b64 s[30:31], vcc
	s_cbranch_execz .LBB5_1676
; %bb.1678:                             ;   in Loop: Header=BB5_1677 Depth=3
	s_cmpk_lt_i32 s12, 0x270f
	s_cselect_b64 s[38:39], -1, 0
	s_cmpk_gt_i32 s12, 0x270e
	s_mov_b64 s[34:35], -1
	s_cbranch_scc0 .LBB5_1680
; %bb.1679:                             ;   in Loop: Header=BB5_1677 Depth=3
	s_trap 2
	ds_read_b64 v[12:13], v0
	s_andn2_b64 s[38:39], s[38:39], exec
	s_mov_b32 s12, 0
	s_mov_b64 s[36:37], 0
	s_waitcnt vmcnt(0) lgkmcnt(0)
	flat_load_dword v9, v[12:13] sc0 sc1
	s_waitcnt vmcnt(0) lgkmcnt(0)
	buffer_inv sc0 sc1
	v_cmp_eq_u32_e64 s[24:25], 0, v9
	s_and_b64 s[24:25], s[24:25], exec
	s_or_b64 s[38:39], s[38:39], s[24:25]
	s_and_saveexec_b64 s[48:49], s[38:39]
	s_cbranch_execz .LBB5_1675
	s_branch .LBB5_1674
.LBB5_1680:                             ;   in Loop: Header=BB5_1677 Depth=3
	s_add_i32 s12, s12, 1
	s_mov_b64 s[36:37], -1
                                        ; implicit-def: $vgpr9
	s_and_saveexec_b64 s[48:49], s[38:39]
	s_cbranch_execz .LBB5_1675
	s_branch .LBB5_1674
.LBB5_1681:                             ;   in Loop: Header=BB5_1657 Depth=2
	s_or_b64 exec, exec, s[28:29]
	s_and_saveexec_b64 s[24:25], s[6:7]
	s_cbranch_execnz .LBB5_1730
.LBB5_1682:                             ;   in Loop: Header=BB5_1657 Depth=2
	s_or_b64 exec, exec, s[24:25]
                                        ; implicit-def: $vgpr2
	s_and_saveexec_b64 s[12:13], s[22:23]
	s_xor_b64 s[24:25], exec, s[12:13]
	s_cbranch_execz .LBB5_1767
.LBB5_1683:                             ;   in Loop: Header=BB5_1657 Depth=2
	s_trap 2
	ds_read_b32 v9, v0
	v_cmp_lt_i32_e32 vcc, 0, v8
	v_and_b32_e32 v8, 16, v58
	v_and_b32_e32 v2, 16, v58
	s_waitcnt lgkmcnt(0)
	v_readfirstlane_b32 s12, v9
	s_cmp_eq_u32 s12, 0
	s_cselect_b64 s[12:13], -1, 0
	s_and_b64 s[12:13], vcc, s[12:13]
	v_cmp_ne_u32_e32 vcc, 0, v8
	s_and_b64 s[12:13], vcc, s[12:13]
	s_and_saveexec_b64 s[28:29], s[12:13]
	s_cbranch_execz .LBB5_1685
; %bb.1684:                             ;   in Loop: Header=BB5_1657 Depth=2
	v_mov_b32_e32 v2, 1
	buffer_wbl2 sc1
	s_waitcnt vmcnt(0)
	buffer_inv sc1
.LBB5_1685:                             ;   in Loop: Header=BB5_1657 Depth=2
	s_or_b64 exec, exec, s[28:29]
	s_andn2_saveexec_b64 s[24:25], s[24:25]
	s_cbranch_execz .LBB5_1822
	s_branch .LBB5_1768
.LBB5_1686:                             ;   in Loop: Header=BB5_1657 Depth=2
	s_or_b64 exec, exec, s[90:91]
	s_xor_b64 s[12:13], s[92:93], -1
	s_and_saveexec_b64 s[24:25], s[12:13]
	s_xor_b64 s[24:25], exec, s[24:25]
	s_cbranch_execz .LBB5_1688
; %bb.1687:                             ;   in Loop: Header=BB5_1657 Depth=2
	v_or_b32_e32 v58, 64, v58
	s_waitcnt lgkmcnt(0)
	ds_write_b32 v0, v10
	s_trap 2
.LBB5_1688:                             ;   in Loop: Header=BB5_1657 Depth=2
	s_or_b64 exec, exec, s[24:25]
.LBB5_1689:                             ;   in Loop: Header=BB5_1657 Depth=2
	s_or_b64 exec, exec, s[28:29]
	v_and_b32_e32 v10, 0x108, v58
	v_cmp_ne_u32_e32 vcc, s99, v10
	;;#ASMSTART
	s_wakeup
	;;#ASMEND
                                        ; implicit-def: $vgpr10_vgpr11
	s_and_saveexec_b64 s[12:13], vcc
	s_xor_b64 s[24:25], exec, s[12:13]
; %bb.1690:                             ;   in Loop: Header=BB5_1657 Depth=2
	v_and_b32_e32 v10, 7, v112
	v_mov_b32_e32 v11, v3
                                        ; implicit-def: $vgpr112_vgpr113
; %bb.1691:                             ;   in Loop: Header=BB5_1657 Depth=2
	s_andn2_saveexec_b64 s[24:25], s[24:25]
	s_cbranch_execz .LBB5_1693
; %bb.1692:                             ;   in Loop: Header=BB5_1657 Depth=2
	v_and_b32_e32 v10, 7, v112
	v_ashrrev_i32_e32 v119, 31, v118
	v_mov_b32_e32 v11, v3
	v_mad_u64_u32 v[12:13], s[12:13], v10, 24, v[6:7]
	v_lshlrev_b64 v[14:15], 1, v[118:119]
	flat_store_dwordx2 v[12:13], v[14:15] offset:8
.LBB5_1693:                             ;   in Loop: Header=BB5_1657 Depth=2
	s_or_b64 exec, exec, s[24:25]
	v_and_b32_e32 v12, 0x100, v58
	v_cmp_ne_u32_e32 vcc, 0, v12
	s_mov_b64 s[24:25], -1
                                        ; implicit-def: $vgpr12_vgpr13
	s_and_saveexec_b64 s[28:29], vcc
	s_cbranch_execz .LBB5_1697
; %bb.1694:                             ;   in Loop: Header=BB5_1657 Depth=2
	v_mad_u64_u32 v[14:15], s[12:13], v10, 24, v[6:7]
	v_mov_b32_e32 v12, v15
	v_mad_u64_u32 v[12:13], s[12:13], v11, 24, v[12:13]
	v_mov_b32_e32 v15, v12
	flat_load_dword v12, v[14:15]
	s_waitcnt vmcnt(0) lgkmcnt(0)
	v_cmp_ne_u32_e32 vcc, 1, v12
	v_cmp_eq_u32_e64 s[24:25], 1, v12
                                        ; implicit-def: $vgpr12_vgpr13
	s_and_saveexec_b64 s[90:91], s[24:25]
	s_cbranch_execz .LBB5_1696
; %bb.1695:                             ;   in Loop: Header=BB5_1657 Depth=2
	flat_load_dword v12, v[14:15] offset:4 sc0 sc1
	s_waitcnt vmcnt(0) lgkmcnt(0)
	v_ashrrev_i32_e32 v13, 31, v12
	v_lshrrev_b64 v[12:13], 1, v[12:13]
.LBB5_1696:                             ;   in Loop: Header=BB5_1657 Depth=2
	s_or_b64 exec, exec, s[90:91]
	s_orn2_b64 s[24:25], vcc, exec
.LBB5_1697:                             ;   in Loop: Header=BB5_1657 Depth=2
	s_or_b64 exec, exec, s[28:29]
	s_and_saveexec_b64 s[28:29], s[24:25]
; %bb.1698:                             ;   in Loop: Header=BB5_1657 Depth=2
	v_mul_lo_u32 v11, v11, v30
	v_mul_lo_u32 v14, v10, v51
	v_mad_u64_u32 v[12:13], s[12:13], v10, v30, 0
	v_add3_u32 v13, v13, v14, v11
; %bb.1699:                             ;   in Loop: Header=BB5_1657 Depth=2
	s_or_b64 exec, exec, s[28:29]
	v_cmp_eq_u32_e32 vcc, 0, v2
	v_lshl_add_u64 v[10:11], v[12:13], 1, v[34:35]
	s_nop 0
	v_cndmask_b32_e32 v2, v76, v77, vcc
	v_add_u32_e32 v2, v0, v2
	ds_write_b64 v2, v[10:11] offset:584
	v_and_b32_e32 v2, 0x2000, v58
	v_cmp_ne_u32_e32 vcc, 0, v2
	s_and_saveexec_b64 s[24:25], vcc
	s_cbranch_execz .LBB5_1701
; %bb.1700:                             ;   in Loop: Header=BB5_1657 Depth=2
	ds_read_b64 v[10:11], v0 offset:872
	s_waitcnt lgkmcnt(0)
	v_lshl_add_u64 v[10:11], v[10:11], 0, 1
	ds_write_b64 v0, v[10:11] offset:872
.LBB5_1701:                             ;   in Loop: Header=BB5_1657 Depth=2
	s_or_b64 exec, exec, s[24:25]
	v_mov_b64_e32 v[112:113], v[8:9]
.LBB5_1702:                             ;   in Loop: Header=BB5_1657 Depth=2
	s_or_b64 exec, exec, s[26:27]
	s_and_saveexec_b64 s[24:25], s[6:7]
	s_cbranch_execz .LBB5_1748
; %bb.1703:                             ;   in Loop: Header=BB5_1657 Depth=2
	s_and_saveexec_b64 s[12:13], s[56:57]
	s_xor_b64 s[26:27], exec, s[12:13]
	s_cbranch_execz .LBB5_1745
; %bb.1704:                             ;   in Loop: Header=BB5_1657 Depth=2
	s_and_saveexec_b64 s[28:29], s[14:15]
	s_cbranch_execz .LBB5_1744
; %bb.1705:                             ;   in Loop: Header=BB5_1657 Depth=2
	s_mov_b64 s[92:93], exec
	v_mbcnt_lo_u32_b32 v2, s92, 0
	v_mbcnt_hi_u32_b32 v2, s93, v2
	v_cmp_eq_u32_e32 vcc, 0, v2
	s_waitcnt lgkmcnt(0)
	s_and_saveexec_b64 s[90:91], vcc
	s_cbranch_execz .LBB5_1707
; %bb.1706:                             ;   in Loop: Header=BB5_1657 Depth=2
	s_bcnt1_i32_b64 s12, s[92:93]
	v_mov_b32_e32 v2, s12
	ds_add_u64 v0, v[2:3]
	s_trap 2
.LBB5_1707:                             ;   in Loop: Header=BB5_1657 Depth=2
	s_or_b64 exec, exec, s[90:91]
	s_trap 2
	ds_read_b64 v[8:9], v0
	s_waitcnt lgkmcnt(0)
	v_lshl_add_u64 v[38:39], v[38:39], 0, v[52:53]
	v_cmp_lt_u64_e32 vcc, v[8:9], v[38:39]
	s_and_saveexec_b64 s[90:91], vcc
	s_cbranch_execz .LBB5_1743
; %bb.1708:                             ;   in Loop: Header=BB5_1657 Depth=2
	s_mov_b32 s12, 0
	s_mov_b64 s[92:93], 0
                                        ; implicit-def: $sgpr94_sgpr95
                                        ; implicit-def: $sgpr30_sgpr31
	s_branch .LBB5_1710
.LBB5_1709:                             ;   in Loop: Header=BB5_1710 Depth=3
	s_or_b64 exec, exec, s[36:37]
	s_and_b64 vcc, exec, vcc
	s_or_b64 s[92:93], vcc, s[92:93]
	s_andn2_b64 s[94:95], s[94:95], exec
	s_and_b64 vcc, s[30:31], exec
	s_or_b64 s[94:95], s[94:95], vcc
	s_andn2_b64 exec, exec, s[92:93]
	s_cbranch_execz .LBB5_1741
.LBB5_1710:                             ;   Parent Loop BB5_47 Depth=1
                                        ;     Parent Loop BB5_1657 Depth=2
                                        ; =>    This Inner Loop Header: Depth=3
	s_add_i32 s12, s12, 1
	s_cmpk_lg_i32 s12, 0x2710
	s_cselect_b64 s[34:35], -1, 0
	s_and_b64 vcc, exec, s[34:35]
	s_cbranch_vccz .LBB5_1712
; %bb.1711:                             ;   in Loop: Header=BB5_1710 Depth=3
	s_mov_b64 vcc, -1
	s_or_b64 s[30:31], s[30:31], exec
	s_and_saveexec_b64 s[36:37], s[34:35]
	s_cbranch_execz .LBB5_1709
	s_branch .LBB5_1713
.LBB5_1712:                             ;   in Loop: Header=BB5_1710 Depth=3
	s_trap 2
	ds_read_b64 v[8:9], v0
	s_andn2_b64 s[34:35], s[34:35], exec
	s_mov_b32 s12, 0
	s_waitcnt vmcnt(0) lgkmcnt(0)
	flat_load_dword v2, v[8:9] sc0 sc1
	s_waitcnt vmcnt(0) lgkmcnt(0)
	buffer_inv sc0 sc1
	v_cmp_eq_u32_e32 vcc, 0, v2
	s_and_b64 vcc, vcc, exec
	s_or_b64 s[34:35], s[34:35], vcc
	s_mov_b64 vcc, -1
	s_or_b64 s[30:31], s[30:31], exec
	s_and_saveexec_b64 s[36:37], s[34:35]
	s_cbranch_execz .LBB5_1709
.LBB5_1713:                             ;   in Loop: Header=BB5_1710 Depth=3
	s_sleep 1
	s_trap 2
	ds_read_b64 v[8:9], v0
	s_waitcnt lgkmcnt(0)
	s_andn2_b64 s[30:31], s[30:31], exec
	v_cmp_ge_u64_e32 vcc, v[8:9], v[38:39]
	s_orn2_b64 vcc, vcc, exec
	s_branch .LBB5_1709
.LBB5_1714:                             ;   in Loop: Header=BB5_1657 Depth=2
	s_or_b64 exec, exec, s[42:43]
	s_xor_b64 s[12:13], s[90:91], -1
	s_and_saveexec_b64 s[24:25], s[12:13]
	s_xor_b64 s[24:25], exec, s[24:25]
	s_cbranch_execz .LBB5_1716
; %bb.1715:                             ;   in Loop: Header=BB5_1657 Depth=2
	v_or_b32_e32 v58, 64, v58
	s_waitcnt lgkmcnt(0)
	ds_write_b32 v0, v9
	s_trap 2
.LBB5_1716:                             ;   in Loop: Header=BB5_1657 Depth=2
	s_or_b64 exec, exec, s[24:25]
.LBB5_1717:                             ;   in Loop: Header=BB5_1657 Depth=2
	s_or_b64 exec, exec, s[40:41]
	v_and_b32_e32 v9, 0x108, v58
	v_cmp_ne_u32_e32 vcc, s99, v9
	;;#ASMSTART
	s_wakeup
	;;#ASMEND
                                        ; implicit-def: $vgpr12_vgpr13
	s_and_saveexec_b64 s[12:13], vcc
	s_xor_b64 s[24:25], exec, s[12:13]
; %bb.1718:                             ;   in Loop: Header=BB5_1657 Depth=2
	v_and_b32_e32 v12, 7, v112
	v_mov_b32_e32 v13, v3
                                        ; implicit-def: $vgpr112_vgpr113
; %bb.1719:                             ;   in Loop: Header=BB5_1657 Depth=2
	s_andn2_saveexec_b64 s[24:25], s[24:25]
	s_cbranch_execz .LBB5_1721
; %bb.1720:                             ;   in Loop: Header=BB5_1657 Depth=2
	v_and_b32_e32 v12, 7, v112
	v_ashrrev_i32_e32 v9, 31, v8
	v_mov_b32_e32 v13, v3
	v_mad_u64_u32 v[14:15], s[12:13], v12, 24, v[6:7]
	v_lshlrev_b64 v[16:17], 1, v[8:9]
	flat_store_dwordx2 v[14:15], v[16:17] offset:8
.LBB5_1721:                             ;   in Loop: Header=BB5_1657 Depth=2
	s_or_b64 exec, exec, s[24:25]
	v_and_b32_e32 v9, 0x100, v58
	v_cmp_ne_u32_e32 vcc, 0, v9
	s_mov_b64 s[24:25], -1
                                        ; implicit-def: $vgpr14_vgpr15
	s_and_saveexec_b64 s[40:41], vcc
	s_cbranch_execz .LBB5_1725
; %bb.1722:                             ;   in Loop: Header=BB5_1657 Depth=2
	v_mad_u64_u32 v[16:17], s[12:13], v12, 24, v[6:7]
	v_mov_b32_e32 v14, v17
	v_mad_u64_u32 v[14:15], s[12:13], v13, 24, v[14:15]
	v_mov_b32_e32 v17, v14
	flat_load_dword v9, v[16:17]
                                        ; implicit-def: $vgpr14_vgpr15
	s_waitcnt vmcnt(0) lgkmcnt(0)
	v_cmp_ne_u32_e32 vcc, 1, v9
	v_cmp_eq_u32_e64 s[24:25], 1, v9
	s_and_saveexec_b64 s[42:43], s[24:25]
	s_cbranch_execz .LBB5_1724
; %bb.1723:                             ;   in Loop: Header=BB5_1657 Depth=2
	flat_load_dword v14, v[16:17] offset:4 sc0 sc1
	s_waitcnt vmcnt(0) lgkmcnt(0)
	v_ashrrev_i32_e32 v15, 31, v14
	v_lshrrev_b64 v[14:15], 1, v[14:15]
.LBB5_1724:                             ;   in Loop: Header=BB5_1657 Depth=2
	s_or_b64 exec, exec, s[42:43]
	s_orn2_b64 s[24:25], vcc, exec
.LBB5_1725:                             ;   in Loop: Header=BB5_1657 Depth=2
	s_or_b64 exec, exec, s[40:41]
	s_and_saveexec_b64 s[40:41], s[24:25]
; %bb.1726:                             ;   in Loop: Header=BB5_1657 Depth=2
	v_mul_lo_u32 v9, v13, v30
	v_mul_lo_u32 v13, v12, v51
	v_mad_u64_u32 v[14:15], s[12:13], v12, v30, 0
	v_add3_u32 v15, v15, v13, v9
; %bb.1727:                             ;   in Loop: Header=BB5_1657 Depth=2
	s_or_b64 exec, exec, s[40:41]
	v_cmp_eq_u32_e32 vcc, 0, v2
	v_lshl_add_u64 v[12:13], v[14:15], 1, v[34:35]
	s_nop 0
	v_cndmask_b32_e32 v2, v76, v77, vcc
	v_add_u32_e32 v2, v0, v2
	ds_write_b64 v2, v[12:13] offset:584
	v_and_b32_e32 v2, 0x2000, v58
	v_cmp_ne_u32_e32 vcc, 0, v2
	s_and_saveexec_b64 s[24:25], vcc
	s_cbranch_execz .LBB5_1729
; %bb.1728:                             ;   in Loop: Header=BB5_1657 Depth=2
	ds_read_b64 v[12:13], v0 offset:872
	s_waitcnt lgkmcnt(0)
	v_lshl_add_u64 v[12:13], v[12:13], 0, 1
	ds_write_b64 v0, v[12:13] offset:872
.LBB5_1729:                             ;   in Loop: Header=BB5_1657 Depth=2
	s_or_b64 exec, exec, s[24:25]
	v_mov_b64_e32 v[112:113], v[10:11]
	s_or_b64 exec, exec, s[28:29]
	s_and_saveexec_b64 s[24:25], s[6:7]
	s_cbranch_execz .LBB5_1682
.LBB5_1730:                             ;   in Loop: Header=BB5_1657 Depth=2
	s_and_saveexec_b64 s[12:13], s[56:57]
	s_xor_b64 s[28:29], exec, s[12:13]
	s_cbranch_execz .LBB5_1764
; %bb.1731:                             ;   in Loop: Header=BB5_1657 Depth=2
	s_and_saveexec_b64 s[40:41], s[14:15]
	s_cbranch_execz .LBB5_1763
; %bb.1732:                             ;   in Loop: Header=BB5_1657 Depth=2
	s_mov_b64 s[90:91], exec
	v_mbcnt_lo_u32_b32 v2, s90, 0
	v_mbcnt_hi_u32_b32 v2, s91, v2
	v_cmp_eq_u32_e32 vcc, 0, v2
	s_waitcnt lgkmcnt(0)
	s_and_saveexec_b64 s[42:43], vcc
	s_cbranch_execz .LBB5_1734
; %bb.1733:                             ;   in Loop: Header=BB5_1657 Depth=2
	s_bcnt1_i32_b64 s12, s[90:91]
	v_mov_b32_e32 v2, s12
	ds_add_u64 v0, v[2:3]
	s_trap 2
.LBB5_1734:                             ;   in Loop: Header=BB5_1657 Depth=2
	s_or_b64 exec, exec, s[42:43]
	s_trap 2
	ds_read_b64 v[10:11], v0
	s_waitcnt lgkmcnt(0)
	v_lshl_add_u64 v[38:39], v[38:39], 0, v[52:53]
	v_cmp_lt_u64_e32 vcc, v[10:11], v[38:39]
	s_and_saveexec_b64 s[42:43], vcc
	s_cbranch_execz .LBB5_1762
; %bb.1735:                             ;   in Loop: Header=BB5_1657 Depth=2
	s_mov_b32 s12, 0
	s_mov_b64 s[90:91], 0
                                        ; implicit-def: $sgpr92_sgpr93
                                        ; implicit-def: $sgpr94_sgpr95
	s_branch .LBB5_1737
.LBB5_1736:                             ;   in Loop: Header=BB5_1737 Depth=3
	s_or_b64 exec, exec, s[34:35]
	s_and_b64 vcc, exec, vcc
	s_or_b64 s[90:91], vcc, s[90:91]
	s_andn2_b64 s[92:93], s[92:93], exec
	s_and_b64 vcc, s[94:95], exec
	s_or_b64 s[92:93], s[92:93], vcc
	s_andn2_b64 exec, exec, s[90:91]
	s_cbranch_execz .LBB5_1760
.LBB5_1737:                             ;   Parent Loop BB5_47 Depth=1
                                        ;     Parent Loop BB5_1657 Depth=2
                                        ; =>    This Inner Loop Header: Depth=3
	s_add_i32 s12, s12, 1
	s_cmpk_lg_i32 s12, 0x2710
	s_cselect_b64 s[30:31], -1, 0
	s_and_b64 vcc, exec, s[30:31]
	s_cbranch_vccz .LBB5_1739
; %bb.1738:                             ;   in Loop: Header=BB5_1737 Depth=3
	s_mov_b64 vcc, -1
	s_or_b64 s[94:95], s[94:95], exec
	s_and_saveexec_b64 s[34:35], s[30:31]
	s_cbranch_execz .LBB5_1736
	s_branch .LBB5_1740
.LBB5_1739:                             ;   in Loop: Header=BB5_1737 Depth=3
	s_trap 2
	ds_read_b64 v[10:11], v0
	s_andn2_b64 s[30:31], s[30:31], exec
	s_mov_b32 s12, 0
	s_waitcnt vmcnt(0) lgkmcnt(0)
	flat_load_dword v2, v[10:11] sc0 sc1
	s_waitcnt vmcnt(0) lgkmcnt(0)
	buffer_inv sc0 sc1
	v_cmp_eq_u32_e32 vcc, 0, v2
	s_and_b64 vcc, vcc, exec
	s_or_b64 s[30:31], s[30:31], vcc
	s_mov_b64 vcc, -1
	s_or_b64 s[94:95], s[94:95], exec
	s_and_saveexec_b64 s[34:35], s[30:31]
	s_cbranch_execz .LBB5_1736
.LBB5_1740:                             ;   in Loop: Header=BB5_1737 Depth=3
	s_sleep 1
	s_trap 2
	ds_read_b64 v[10:11], v0
	s_waitcnt lgkmcnt(0)
	s_andn2_b64 s[94:95], s[94:95], exec
	v_cmp_ge_u64_e32 vcc, v[10:11], v[38:39]
	s_orn2_b64 vcc, vcc, exec
	s_branch .LBB5_1736
.LBB5_1741:                             ;   in Loop: Header=BB5_1657 Depth=2
	s_or_b64 exec, exec, s[92:93]
	s_and_saveexec_b64 s[12:13], s[94:95]
	s_xor_b64 s[12:13], exec, s[12:13]
	s_cbranch_execz .LBB5_1743
; %bb.1742:                             ;   in Loop: Header=BB5_1657 Depth=2
	ds_write_b32 v0, v63
	s_trap 2
.LBB5_1743:                             ;   in Loop: Header=BB5_1657 Depth=2
	s_or_b64 exec, exec, s[90:91]
	;;#ASMSTART
	s_wakeup
	;;#ASMEND
.LBB5_1744:                             ;   in Loop: Header=BB5_1657 Depth=2
	s_or_b64 exec, exec, s[28:29]
.LBB5_1745:                             ;   in Loop: Header=BB5_1657 Depth=2
	s_andn2_saveexec_b64 s[26:27], s[26:27]
	s_cbranch_execz .LBB5_1747
; %bb.1746:                             ;   in Loop: Header=BB5_1657 Depth=2
	s_waitcnt lgkmcnt(0)
	s_barrier
.LBB5_1747:                             ;   in Loop: Header=BB5_1657 Depth=2
	s_or_b64 exec, exec, s[26:27]
.LBB5_1748:                             ;   in Loop: Header=BB5_1657 Depth=2
	s_or_b64 exec, exec, s[24:25]
	s_trap 2
	ds_read_b32 v8, v0
	v_and_b32_e32 v2, 0x4000, v58
	v_cmp_ne_u32_e32 vcc, 0, v2
	s_xor_b64 s[12:13], s[4:5], -1
	s_and_b64 s[12:13], s[12:13], vcc
	s_and_saveexec_b64 s[24:25], s[12:13]
	s_cbranch_execz .LBB5_1786
; %bb.1749:                             ;   in Loop: Header=BB5_1657 Depth=2
	s_and_saveexec_b64 s[12:13], s[56:57]
	s_xor_b64 s[26:27], exec, s[12:13]
	s_cbranch_execz .LBB5_1783
; %bb.1750:                             ;   in Loop: Header=BB5_1657 Depth=2
	s_and_saveexec_b64 s[28:29], s[14:15]
	s_cbranch_execz .LBB5_1782
; %bb.1751:                             ;   in Loop: Header=BB5_1657 Depth=2
	s_mov_b64 s[92:93], exec
	v_mbcnt_lo_u32_b32 v2, s92, 0
	v_mbcnt_hi_u32_b32 v2, s93, v2
	v_cmp_eq_u32_e32 vcc, 0, v2
	s_waitcnt lgkmcnt(0)
	s_and_saveexec_b64 s[90:91], vcc
	s_cbranch_execz .LBB5_1753
; %bb.1752:                             ;   in Loop: Header=BB5_1657 Depth=2
	s_bcnt1_i32_b64 s12, s[92:93]
	v_mov_b32_e32 v2, s12
	ds_add_u64 v0, v[2:3]
	s_trap 2
.LBB5_1753:                             ;   in Loop: Header=BB5_1657 Depth=2
	s_or_b64 exec, exec, s[90:91]
	s_trap 2
	ds_read_b64 v[10:11], v0
	s_waitcnt lgkmcnt(0)
	v_lshl_add_u64 v[38:39], v[38:39], 0, v[52:53]
	v_cmp_lt_u64_e32 vcc, v[10:11], v[38:39]
	s_and_saveexec_b64 s[90:91], vcc
	s_cbranch_execz .LBB5_1781
; %bb.1754:                             ;   in Loop: Header=BB5_1657 Depth=2
	s_mov_b32 s12, 0
	s_mov_b64 s[92:93], 0
                                        ; implicit-def: $sgpr94_sgpr95
                                        ; implicit-def: $sgpr30_sgpr31
	s_branch .LBB5_1756
.LBB5_1755:                             ;   in Loop: Header=BB5_1756 Depth=3
	s_or_b64 exec, exec, s[36:37]
	s_and_b64 vcc, exec, vcc
	s_or_b64 s[92:93], vcc, s[92:93]
	s_andn2_b64 s[94:95], s[94:95], exec
	s_and_b64 vcc, s[30:31], exec
	s_or_b64 s[94:95], s[94:95], vcc
	s_andn2_b64 exec, exec, s[92:93]
	s_cbranch_execz .LBB5_1779
.LBB5_1756:                             ;   Parent Loop BB5_47 Depth=1
                                        ;     Parent Loop BB5_1657 Depth=2
                                        ; =>    This Inner Loop Header: Depth=3
	s_add_i32 s12, s12, 1
	s_cmpk_lg_i32 s12, 0x2710
	s_cselect_b64 s[34:35], -1, 0
	s_and_b64 vcc, exec, s[34:35]
	s_cbranch_vccz .LBB5_1758
; %bb.1757:                             ;   in Loop: Header=BB5_1756 Depth=3
	s_mov_b64 vcc, -1
	s_or_b64 s[30:31], s[30:31], exec
	s_and_saveexec_b64 s[36:37], s[34:35]
	s_cbranch_execz .LBB5_1755
	s_branch .LBB5_1759
.LBB5_1758:                             ;   in Loop: Header=BB5_1756 Depth=3
	s_trap 2
	ds_read_b64 v[10:11], v0
	s_andn2_b64 s[34:35], s[34:35], exec
	s_mov_b32 s12, 0
	s_waitcnt vmcnt(0) lgkmcnt(0)
	flat_load_dword v2, v[10:11] sc0 sc1
	s_waitcnt vmcnt(0) lgkmcnt(0)
	buffer_inv sc0 sc1
	v_cmp_eq_u32_e32 vcc, 0, v2
	s_and_b64 vcc, vcc, exec
	s_or_b64 s[34:35], s[34:35], vcc
	s_mov_b64 vcc, -1
	s_or_b64 s[30:31], s[30:31], exec
	s_and_saveexec_b64 s[36:37], s[34:35]
	s_cbranch_execz .LBB5_1755
.LBB5_1759:                             ;   in Loop: Header=BB5_1756 Depth=3
	s_sleep 1
	s_trap 2
	ds_read_b64 v[10:11], v0
	s_waitcnt lgkmcnt(0)
	s_andn2_b64 s[30:31], s[30:31], exec
	v_cmp_ge_u64_e32 vcc, v[10:11], v[38:39]
	s_orn2_b64 vcc, vcc, exec
	s_branch .LBB5_1755
.LBB5_1760:                             ;   in Loop: Header=BB5_1657 Depth=2
	s_or_b64 exec, exec, s[90:91]
	s_and_saveexec_b64 s[12:13], s[92:93]
	s_xor_b64 s[12:13], exec, s[12:13]
	s_cbranch_execz .LBB5_1762
; %bb.1761:                             ;   in Loop: Header=BB5_1657 Depth=2
	ds_write_b32 v0, v63
	s_trap 2
.LBB5_1762:                             ;   in Loop: Header=BB5_1657 Depth=2
	s_or_b64 exec, exec, s[42:43]
	;;#ASMSTART
	s_wakeup
	;;#ASMEND
.LBB5_1763:                             ;   in Loop: Header=BB5_1657 Depth=2
	s_or_b64 exec, exec, s[40:41]
.LBB5_1764:                             ;   in Loop: Header=BB5_1657 Depth=2
	s_andn2_saveexec_b64 s[28:29], s[28:29]
	s_cbranch_execz .LBB5_1766
; %bb.1765:                             ;   in Loop: Header=BB5_1657 Depth=2
	s_waitcnt lgkmcnt(0)
	s_barrier
.LBB5_1766:                             ;   in Loop: Header=BB5_1657 Depth=2
	s_or_b64 exec, exec, s[28:29]
	s_or_b64 exec, exec, s[24:25]
                                        ; implicit-def: $vgpr2
	s_and_saveexec_b64 s[12:13], s[22:23]
	s_xor_b64 s[24:25], exec, s[12:13]
	s_cbranch_execnz .LBB5_1683
.LBB5_1767:                             ;   in Loop: Header=BB5_1657 Depth=2
	s_andn2_saveexec_b64 s[24:25], s[24:25]
	s_cbranch_execz .LBB5_1822
.LBB5_1768:                             ;   in Loop: Header=BB5_1657 Depth=2
	s_and_saveexec_b64 s[12:13], s[56:57]
	s_xor_b64 s[28:29], exec, s[12:13]
	s_cbranch_execz .LBB5_1819
; %bb.1769:                             ;   in Loop: Header=BB5_1657 Depth=2
	s_and_saveexec_b64 s[40:41], s[14:15]
	s_cbranch_execz .LBB5_1818
; %bb.1770:                             ;   in Loop: Header=BB5_1657 Depth=2
	s_mov_b64 s[90:91], exec
	v_mbcnt_lo_u32_b32 v2, s90, 0
	v_mbcnt_hi_u32_b32 v2, s91, v2
	v_cmp_eq_u32_e32 vcc, 0, v2
	;;#ASMSTART
	s_waitcnt lgkmcnt(0) vmcnt(0)
	;;#ASMEND
	s_and_saveexec_b64 s[42:43], vcc
	s_cbranch_execz .LBB5_1772
; %bb.1771:                             ;   in Loop: Header=BB5_1657 Depth=2
	s_bcnt1_i32_b64 s12, s[90:91]
	v_mov_b32_e32 v2, s12
	s_waitcnt lgkmcnt(0)
	ds_add_u64 v0, v[2:3]
	s_trap 2
.LBB5_1772:                             ;   in Loop: Header=BB5_1657 Depth=2
	s_or_b64 exec, exec, s[42:43]
	s_trap 2
	ds_read_b64 v[8:9], v0
	s_waitcnt lgkmcnt(0)
	v_lshl_add_u64 v[38:39], v[38:39], 0, v[52:53]
	v_cmp_lt_u64_e32 vcc, v[8:9], v[38:39]
	s_and_saveexec_b64 s[42:43], vcc
	s_cbranch_execz .LBB5_1817
; %bb.1773:                             ;   in Loop: Header=BB5_1657 Depth=2
	s_mov_b32 s12, 0
	s_mov_b64 s[90:91], 0
                                        ; implicit-def: $sgpr92_sgpr93
                                        ; implicit-def: $sgpr94_sgpr95
	s_branch .LBB5_1775
.LBB5_1774:                             ;   in Loop: Header=BB5_1775 Depth=3
	s_or_b64 exec, exec, s[34:35]
	s_and_b64 vcc, exec, vcc
	s_or_b64 s[90:91], vcc, s[90:91]
	s_andn2_b64 s[92:93], s[92:93], exec
	s_and_b64 vcc, s[94:95], exec
	s_or_b64 s[92:93], s[92:93], vcc
	s_andn2_b64 exec, exec, s[90:91]
	s_cbranch_execz .LBB5_1815
.LBB5_1775:                             ;   Parent Loop BB5_47 Depth=1
                                        ;     Parent Loop BB5_1657 Depth=2
                                        ; =>    This Inner Loop Header: Depth=3
	s_add_i32 s12, s12, 1
	s_cmpk_lg_i32 s12, 0x2710
	s_cselect_b64 s[30:31], -1, 0
	s_and_b64 vcc, exec, s[30:31]
	s_cbranch_vccz .LBB5_1777
; %bb.1776:                             ;   in Loop: Header=BB5_1775 Depth=3
	s_mov_b64 vcc, -1
	s_or_b64 s[94:95], s[94:95], exec
	s_and_saveexec_b64 s[34:35], s[30:31]
	s_cbranch_execz .LBB5_1774
	s_branch .LBB5_1778
.LBB5_1777:                             ;   in Loop: Header=BB5_1775 Depth=3
	s_trap 2
	ds_read_b64 v[8:9], v0
	s_andn2_b64 s[30:31], s[30:31], exec
	s_mov_b32 s12, 0
	s_waitcnt vmcnt(0) lgkmcnt(0)
	flat_load_dword v2, v[8:9] sc0 sc1
	s_waitcnt vmcnt(0) lgkmcnt(0)
	buffer_inv sc0 sc1
	v_cmp_eq_u32_e32 vcc, 0, v2
	s_and_b64 vcc, vcc, exec
	s_or_b64 s[30:31], s[30:31], vcc
	s_mov_b64 vcc, -1
	s_or_b64 s[94:95], s[94:95], exec
	s_and_saveexec_b64 s[34:35], s[30:31]
	s_cbranch_execz .LBB5_1774
.LBB5_1778:                             ;   in Loop: Header=BB5_1775 Depth=3
	s_sleep 1
	s_trap 2
	ds_read_b64 v[8:9], v0
	s_waitcnt lgkmcnt(0)
	s_andn2_b64 s[94:95], s[94:95], exec
	v_cmp_ge_u64_e32 vcc, v[8:9], v[38:39]
	s_orn2_b64 vcc, vcc, exec
	s_branch .LBB5_1774
.LBB5_1779:                             ;   in Loop: Header=BB5_1657 Depth=2
	s_or_b64 exec, exec, s[92:93]
	s_and_saveexec_b64 s[12:13], s[94:95]
	s_xor_b64 s[12:13], exec, s[12:13]
	s_cbranch_execz .LBB5_1781
; %bb.1780:                             ;   in Loop: Header=BB5_1657 Depth=2
	ds_write_b32 v0, v63
	s_trap 2
.LBB5_1781:                             ;   in Loop: Header=BB5_1657 Depth=2
	s_or_b64 exec, exec, s[90:91]
	;;#ASMSTART
	s_wakeup
	;;#ASMEND
.LBB5_1782:                             ;   in Loop: Header=BB5_1657 Depth=2
	s_or_b64 exec, exec, s[28:29]
.LBB5_1783:                             ;   in Loop: Header=BB5_1657 Depth=2
	s_andn2_saveexec_b64 s[26:27], s[26:27]
	s_cbranch_execz .LBB5_1785
; %bb.1784:                             ;   in Loop: Header=BB5_1657 Depth=2
	s_waitcnt lgkmcnt(0)
	s_barrier
.LBB5_1785:                             ;   in Loop: Header=BB5_1657 Depth=2
	s_or_b64 exec, exec, s[26:27]
.LBB5_1786:                             ;   in Loop: Header=BB5_1657 Depth=2
	s_or_b64 exec, exec, s[24:25]
	s_trap 2
	ds_read_b64 v[40:41], v0
	s_waitcnt lgkmcnt(0)
	v_cmp_eq_u64_e32 vcc, 0, v[40:41]
	s_cbranch_vccnz .LBB5_1808
; %bb.1787:                             ;   in Loop: Header=BB5_1657 Depth=2
	s_trap 2
	ds_read_b64 v[42:43], v0
	s_waitcnt lgkmcnt(0)
	v_cmp_eq_u64_e32 vcc, 0, v[42:43]
	s_cbranch_vccnz .LBB5_1808
; %bb.1788:                             ;   in Loop: Header=BB5_1657 Depth=2
	s_trap 2
	ds_read_b64 v[16:17], v0
	v_cmp_eq_u32_e32 vcc, 0, v8
	s_mov_b64 s[24:25], -1
	s_nop 0
	v_cndmask_b32_e32 v2, 0, v118, vcc
	s_waitcnt lgkmcnt(0)
	v_cmp_ne_u64_e32 vcc, 0, v[16:17]
	v_lshlrev_b32_e32 v119, 1, v2
	s_cbranch_vccz .LBB5_1879
; %bb.1789:                             ;   in Loop: Header=BB5_1657 Depth=2
	s_and_saveexec_b64 s[26:27], s[18:19]
	s_cbranch_execz .LBB5_1791
; %bb.1790:                             ;   in Loop: Header=BB5_1657 Depth=2
	ds_read_b32 v8, v0 offset:720
	s_waitcnt lgkmcnt(0)
	v_and_b32_e32 v8, 15, v8
	v_cmp_eq_u32_e32 vcc, 0, v8
	s_orn2_b64 s[24:25], vcc, exec
.LBB5_1791:                             ;   in Loop: Header=BB5_1657 Depth=2
	s_or_b64 exec, exec, s[26:27]
	s_and_saveexec_b64 s[26:27], s[20:21]
	s_cbranch_execz .LBB5_1793
; %bb.1792:                             ;   in Loop: Header=BB5_1657 Depth=2
	ds_read_b32 v8, v0 offset:784
	s_waitcnt lgkmcnt(0)
	v_and_b32_e32 v8, 15, v8
	v_cmp_eq_u32_e32 vcc, 0, v8
	s_and_b64 s[12:13], s[24:25], vcc
	s_andn2_b64 s[24:25], s[24:25], exec
	s_and_b64 s[12:13], s[12:13], exec
	s_or_b64 s[24:25], s[24:25], s[12:13]
.LBB5_1793:                             ;   in Loop: Header=BB5_1657 Depth=2
	s_or_b64 exec, exec, s[26:27]
	s_xor_b64 s[12:13], s[24:25], -1
	v_cndmask_b32_e64 v8, 0, 1, s[12:13]
	s_mov_b64 s[26:27], -1
	v_cmp_ne_u32_e32 vcc, 0, v8
	s_cbranch_vccz .LBB5_1813
; %bb.1794:                             ;   in Loop: Header=BB5_1657 Depth=2
	s_mov_b64 s[90:91], -1
	v_mov_b32_e32 v18, 0
	s_cbranch_execnz .LBB5_1814
.LBB5_1795:                             ;   in Loop: Header=BB5_1657 Depth=2
	v_ashrrev_i32_e32 v8, 31, v119
	v_lshrrev_b32_e32 v8, 22, v8
	v_add_u32_e32 v8, v119, v8
	v_and_b32_e32 v45, 0xfffffc00, v8
	v_ashrrev_i32_e32 v9, 10, v8
	v_sub_u32_e32 v46, v119, v45
	v_sub_u32_e32 v8, v9, v60
	v_cmp_lt_i32_e64 s[24:25], 15, v46
	v_sub_u32_e32 v44, v119, v54
	v_lshl_add_u64 v[18:19], v[42:43], 0, v[54:55]
	v_addc_co_u32_e64 v47, vcc, 0, v8, s[24:25]
	v_lshl_add_u64 v[20:21], v[16:17], 0, v[54:55]
	v_cmp_lt_i32_e32 vcc, 15, v44
	s_mov_b64 s[26:27], 0
                                        ; implicit-def: $vgpr8_vgpr9
	s_and_saveexec_b64 s[92:93], vcc
	s_cbranch_execz .LBB5_1828
; %bb.1796:                             ;   in Loop: Header=BB5_1657 Depth=2
	v_lshl_add_u64 v[22:23], v[40:41], 0, v[54:55]
	s_mov_b64 s[34:35], 0
	s_mov_b64 s[94:95], 0
                                        ; implicit-def: $sgpr30_sgpr31
                                        ; implicit-def: $vgpr8_vgpr9
	s_branch .LBB5_1798
.LBB5_1797:                             ;   in Loop: Header=BB5_1798 Depth=3
	s_or_b64 exec, exec, s[26:27]
	v_cmp_gt_i32_e32 vcc, 16, v44
	s_or_b64 s[94:95], vcc, s[94:95]
	s_andn2_b64 s[12:13], s[30:31], exec
	s_and_b64 s[26:27], s[34:35], exec
	s_or_b64 s[30:31], s[12:13], s[26:27]
	s_andn2_b64 exec, exec, s[94:95]
	s_cbranch_execz .LBB5_1827
.LBB5_1798:                             ;   Parent Loop BB5_47 Depth=1
                                        ;     Parent Loop BB5_1657 Depth=2
                                        ; =>    This Loop Header: Depth=3
                                        ;         Child Loop BB5_1800 Depth 4
                                        ;         Child Loop BB5_1805 Depth 4
	global_load_dwordx4 v[12:15], v[22:23], off nt
	s_and_saveexec_b64 s[36:37], s[34:35]
	s_cbranch_execz .LBB5_1802
; %bb.1799:                             ;   in Loop: Header=BB5_1798 Depth=3
	s_mov_b64 s[38:39], 0
	s_mov_b64 s[34:35], -1
.LBB5_1800:                             ;   Parent Loop BB5_47 Depth=1
                                        ;     Parent Loop BB5_1657 Depth=2
                                        ;       Parent Loop BB5_1798 Depth=3
                                        ; =>      This Inner Loop Header: Depth=4
	s_cmp_eq_u32 s38, 1
	s_cselect_b64 vcc, -1, 0
	v_cndmask_b32_e32 v57, v19, v21, vcc
	s_cmp_eq_u32 s38, 0
	v_cndmask_b32_e32 v56, v18, v20, vcc
	global_store_dwordx4 v[56:57], v[8:11], off
	v_lshl_add_u64 v[56:57], v[56:57], 0, s[60:61]
	s_cselect_b64 s[26:27], -1, 0
	s_and_b64 s[28:29], exec, s[34:35]
	s_mov_b64 s[38:39], 1
	s_mov_b64 s[34:35], 0
	v_cndmask_b32_e32 v21, v21, v57, vcc
	v_cndmask_b32_e32 v20, v20, v56, vcc
	v_cndmask_b32_e64 v19, v19, v57, s[26:27]
	v_cndmask_b32_e64 v18, v18, v56, s[26:27]
	s_mov_b64 vcc, s[28:29]
	s_cbranch_vccnz .LBB5_1800
; %bb.1801:                             ;   in Loop: Header=BB5_1798 Depth=3
	v_lshl_add_u64 v[18:19], v[18:19], 0, v[80:81]
	v_lshl_add_u64 v[20:21], v[20:21], 0, v[80:81]
.LBB5_1802:                             ;   in Loop: Header=BB5_1798 Depth=3
	s_or_b64 exec, exec, s[36:37]
	v_sub_u32_e32 v44, v44, v61
	v_lshl_add_u64 v[22:23], v[96:97], 0, v[22:23]
	v_cmp_lt_i32_e64 s[34:35], 15, v44
	s_and_saveexec_b64 s[26:27], s[34:35]
	s_cbranch_execz .LBB5_1804
; %bb.1803:                             ;   in Loop: Header=BB5_1798 Depth=3
	global_load_dwordx4 v[8:11], v[22:23], off nt
	v_lshl_add_u64 v[22:23], v[22:23], 0, s[60:61]
.LBB5_1804:                             ;   in Loop: Header=BB5_1798 Depth=3
	s_or_b64 exec, exec, s[26:27]
	s_mov_b64 s[38:39], 0
	s_mov_b64 s[36:37], -1
	s_waitcnt vmcnt(0)
.LBB5_1805:                             ;   Parent Loop BB5_47 Depth=1
                                        ;     Parent Loop BB5_1657 Depth=2
                                        ;       Parent Loop BB5_1798 Depth=3
                                        ; =>      This Inner Loop Header: Depth=4
	s_cmp_eq_u32 s38, 1
	s_cselect_b64 vcc, -1, 0
	v_cndmask_b32_e32 v57, v19, v21, vcc
	s_cmp_eq_u32 s38, 0
	v_cndmask_b32_e32 v56, v18, v20, vcc
	global_store_dwordx4 v[56:57], v[12:15], off
	v_lshl_add_u64 v[56:57], v[56:57], 0, s[60:61]
	s_cselect_b64 s[26:27], -1, 0
	s_and_b64 s[28:29], exec, s[36:37]
	s_mov_b64 s[38:39], 1
	s_mov_b64 s[36:37], 0
	v_cndmask_b32_e32 v21, v21, v57, vcc
	v_cndmask_b32_e32 v20, v20, v56, vcc
	v_cndmask_b32_e64 v19, v19, v57, s[26:27]
	v_cndmask_b32_e64 v18, v18, v56, s[26:27]
	s_mov_b64 vcc, s[28:29]
	s_cbranch_vccnz .LBB5_1805
; %bb.1806:                             ;   in Loop: Header=BB5_1798 Depth=3
	v_sub_u32_e32 v47, v47, v52
	s_and_saveexec_b64 s[26:27], s[34:35]
	s_cbranch_execz .LBB5_1797
; %bb.1807:                             ;   in Loop: Header=BB5_1798 Depth=3
	v_lshl_add_u64 v[18:19], v[18:19], 0, v[80:81]
	v_lshl_add_u64 v[20:21], v[20:21], 0, v[80:81]
	;; [unrolled: 1-line block ×3, first 2 shown]
	v_sub_u32_e32 v44, v44, v61
	v_sub_u32_e32 v47, v47, v52
	s_branch .LBB5_1797
.LBB5_1808:                             ;   in Loop: Header=BB5_1657 Depth=2
	s_mov_b64 s[24:25], 0
	s_and_saveexec_b64 s[26:27], s[6:7]
	s_cbranch_execnz .LBB5_1937
.LBB5_1809:                             ;   in Loop: Header=BB5_1657 Depth=2
	s_or_b64 exec, exec, s[26:27]
                                        ; implicit-def: $vgpr2
	s_and_saveexec_b64 s[12:13], s[22:23]
	s_xor_b64 s[26:27], exec, s[12:13]
	s_cbranch_execz .LBB5_1955
.LBB5_1810:                             ;   in Loop: Header=BB5_1657 Depth=2
	v_and_b32_e32 v8, 16, v58
	v_cmp_ne_u32_e32 vcc, 0, v8
	v_and_b32_e32 v2, 16, v58
	s_and_b64 s[12:13], vcc, s[24:25]
	s_and_saveexec_b64 s[24:25], s[12:13]
	s_cbranch_execz .LBB5_1812
; %bb.1811:                             ;   in Loop: Header=BB5_1657 Depth=2
	v_mov_b32_e32 v2, 1
	buffer_wbl2 sc1
	s_waitcnt vmcnt(0) lgkmcnt(0)
	buffer_inv sc1
.LBB5_1812:                             ;   in Loop: Header=BB5_1657 Depth=2
	s_or_b64 exec, exec, s[24:25]
	s_andn2_saveexec_b64 s[24:25], s[26:27]
	s_cbranch_execz .LBB5_1974
	s_branch .LBB5_1956
.LBB5_1813:                             ;   in Loop: Header=BB5_1657 Depth=2
	s_mov_b64 s[90:91], 0
	s_andn2_b64 vcc, exec, s[26:27]
	v_mov_b32_e32 v18, 0
	s_cbranch_vccz .LBB5_1795
.LBB5_1814:                             ;   in Loop: Header=BB5_1657 Depth=2
	v_mov_b32_e32 v19, v119
	v_mov_b32_e32 v8, v0
	;; [unrolled: 1-line block ×3, first 2 shown]
	s_and_saveexec_b64 s[28:29], s[90:91]
	s_cbranch_execnz .LBB5_1853
	s_branch .LBB5_1878
.LBB5_1815:                             ;   in Loop: Header=BB5_1657 Depth=2
	s_or_b64 exec, exec, s[90:91]
	s_and_saveexec_b64 s[12:13], s[92:93]
	s_xor_b64 s[12:13], exec, s[12:13]
	s_cbranch_execz .LBB5_1817
; %bb.1816:                             ;   in Loop: Header=BB5_1657 Depth=2
	ds_write_b32 v0, v63
	s_trap 2
.LBB5_1817:                             ;   in Loop: Header=BB5_1657 Depth=2
	s_or_b64 exec, exec, s[42:43]
	;;#ASMSTART
	s_wakeup
	;;#ASMEND
.LBB5_1818:                             ;   in Loop: Header=BB5_1657 Depth=2
	s_or_b64 exec, exec, s[40:41]
.LBB5_1819:                             ;   in Loop: Header=BB5_1657 Depth=2
	s_andn2_saveexec_b64 s[28:29], s[28:29]
	s_cbranch_execz .LBB5_1821
; %bb.1820:                             ;   in Loop: Header=BB5_1657 Depth=2
	;;#ASMSTART
	s_waitcnt lgkmcnt(0) vmcnt(0)
	;;#ASMEND
	s_barrier
.LBB5_1821:                             ;   in Loop: Header=BB5_1657 Depth=2
	s_or_b64 exec, exec, s[28:29]
	v_and_b32_e32 v2, 16, v58
.LBB5_1822:                             ;   in Loop: Header=BB5_1657 Depth=2
	s_or_b64 exec, exec, s[24:25]
	v_cmp_ne_u32_e32 vcc, 0, v2
	s_xor_b64 s[12:13], s[10:11], -1
	s_and_b64 s[12:13], vcc, s[12:13]
	s_and_saveexec_b64 s[24:25], s[12:13]
	s_cbranch_execz .LBB5_1824
; %bb.1823:                             ;   in Loop: Header=BB5_1657 Depth=2
	flat_store_dword v[36:37], v63 sc0 sc1
.LBB5_1824:                             ;   in Loop: Header=BB5_1657 Depth=2
	s_or_b64 exec, exec, s[24:25]
	v_and_b32_e32 v2, 48, v58
	v_cmp_ne_u32_e32 vcc, 0, v2
	s_and_saveexec_b64 s[24:25], vcc
	s_cbranch_execz .LBB5_1826
; %bb.1825:                             ;   in Loop: Header=BB5_1657 Depth=2
	v_lshl_add_u64 v[112:113], v[112:113], 0, 4
	flat_store_dwordx2 v[32:33], v[112:113] sc0 sc1
.LBB5_1826:                             ;   in Loop: Header=BB5_1657 Depth=2
	s_or_b64 exec, exec, s[24:25]
	s_or_b64 exec, exec, s[26:27]
	s_add_i32 s12, s45, 1
	s_cmp_eq_u32 s45, s98
	s_cbranch_scc0 .LBB5_1980
	s_branch .LBB5_1981
.LBB5_1827:                             ;   in Loop: Header=BB5_1657 Depth=2
	s_or_b64 exec, exec, s[94:95]
	s_and_b64 s[26:27], s[30:31], exec
.LBB5_1828:                             ;   in Loop: Header=BB5_1657 Depth=2
	s_or_b64 exec, exec, s[92:93]
	s_and_saveexec_b64 s[92:93], s[26:27]
	s_cbranch_execz .LBB5_1831
; %bb.1829:                             ;   in Loop: Header=BB5_1657 Depth=2
	s_mov_b64 s[30:31], 0
	s_mov_b64 s[94:95], -1
.LBB5_1830:                             ;   Parent Loop BB5_47 Depth=1
                                        ;     Parent Loop BB5_1657 Depth=2
                                        ; =>    This Inner Loop Header: Depth=3
	s_cmp_eq_u32 s30, 1
	s_cselect_b64 vcc, -1, 0
	v_cndmask_b32_e32 v13, v19, v21, vcc
	s_cmp_eq_u32 s30, 0
	v_cndmask_b32_e32 v12, v18, v20, vcc
	global_store_dwordx4 v[12:13], v[8:11], off
	v_lshl_add_u64 v[12:13], v[12:13], 0, s[60:61]
	s_cselect_b64 s[26:27], -1, 0
	s_and_b64 s[28:29], exec, s[94:95]
	s_mov_b64 s[30:31], 1
	s_mov_b64 s[94:95], 0
	v_cndmask_b32_e32 v21, v21, v13, vcc
	v_cndmask_b32_e32 v20, v20, v12, vcc
	v_cndmask_b32_e64 v19, v19, v13, s[26:27]
	v_cndmask_b32_e64 v18, v18, v12, s[26:27]
	s_mov_b64 vcc, s[28:29]
	s_cbranch_vccnz .LBB5_1830
.LBB5_1831:                             ;   in Loop: Header=BB5_1657 Depth=2
	s_or_b64 exec, exec, s[92:93]
	v_and_b32_e32 v9, 14, v119
	v_cndmask_b32_e64 v44, v46, v9, s[24:25]
	v_cmp_ne_u32_e32 vcc, 0, v44
                                        ; implicit-def: $vgpr19
                                        ; implicit-def: $vgpr18
                                        ; implicit-def: $vgpr8
                                        ; implicit-def: $vgpr20
	s_and_saveexec_b64 s[92:93], vcc
	s_cbranch_execz .LBB5_1852
; %bb.1832:                             ;   in Loop: Header=BB5_1657 Depth=2
	v_sub_u32_e32 v8, v46, v9
	v_cndmask_b32_e64 v8, 0, v8, s[24:25]
	v_cmp_lt_i32_e32 vcc, 0, v47
	v_add_u32_e32 v45, v8, v45
	s_mov_b64 s[26:27], 0
	v_cndmask_b32_e32 v8, 0, v52, vcc
	v_sub_u32_e32 v8, v8, v47
	v_lshl_or_b32 v8, v8, 6, v59
	v_ashrrev_i32_e32 v9, 31, v8
	v_lshrrev_b32_e32 v9, 26, v9
	v_add_u32_e32 v9, v8, v9
	v_ashrrev_i32_e32 v12, 6, v9
	v_and_b32_e32 v9, 0xffffffc0, v9
	v_sub_u32_e32 v46, v8, v9
	v_lshlrev_b32_e32 v8, 4, v46
	v_lshl_add_u32 v8, v12, 10, v8
	v_add_u32_e32 v10, v8, v45
	v_sub_u32_e32 v79, v44, v8
	v_ashrrev_i32_e32 v8, 31, v44
	v_lshrrev_b32_e32 v8, 22, v8
	v_add_u32_e32 v8, v44, v8
	v_and_b32_e32 v47, 0xfffffc00, v8
	v_sub_u32_e32 v56, v44, v47
	v_ashrrev_i32_e32 v9, 10, v8
	v_cmp_lt_i32_e64 s[24:25], 15, v56
	v_ashrrev_i32_e32 v11, 31, v10
	v_lshl_add_u64 v[18:19], v[10:11], 0, v[42:43]
	v_addc_co_u32_e64 v8, vcc, 0, v9, s[24:25]
	v_lshl_add_u64 v[20:21], v[10:11], 0, v[16:17]
	v_sub_u32_e32 v57, v8, v12
	v_cmp_lt_i32_e32 vcc, 15, v79
                                        ; implicit-def: $vgpr8_vgpr9
	s_and_saveexec_b64 s[94:95], vcc
	s_cbranch_execz .LBB5_1846
; %bb.1833:                             ;   in Loop: Header=BB5_1657 Depth=2
	v_lshl_add_u64 v[22:23], v[10:11], 0, v[40:41]
	s_mov_b64 s[36:37], 0
	s_mov_b64 s[30:31], 0
                                        ; implicit-def: $sgpr34_sgpr35
                                        ; implicit-def: $vgpr8_vgpr9
	s_branch .LBB5_1835
.LBB5_1834:                             ;   in Loop: Header=BB5_1835 Depth=3
	s_or_b64 exec, exec, s[26:27]
	v_cmp_gt_i32_e32 vcc, 16, v79
	s_or_b64 s[30:31], vcc, s[30:31]
	s_andn2_b64 s[12:13], s[34:35], exec
	s_and_b64 s[26:27], s[36:37], exec
	s_or_b64 s[34:35], s[12:13], s[26:27]
	s_andn2_b64 exec, exec, s[30:31]
	s_cbranch_execz .LBB5_1845
.LBB5_1835:                             ;   Parent Loop BB5_47 Depth=1
                                        ;     Parent Loop BB5_1657 Depth=2
                                        ; =>    This Loop Header: Depth=3
                                        ;         Child Loop BB5_1837 Depth 4
                                        ;         Child Loop BB5_1842 Depth 4
	global_load_dwordx4 v[12:15], v[22:23], off nt
	s_and_saveexec_b64 s[38:39], s[36:37]
	s_cbranch_execz .LBB5_1839
; %bb.1836:                             ;   in Loop: Header=BB5_1835 Depth=3
	s_mov_b64 s[48:49], 0
	s_mov_b64 s[36:37], -1
.LBB5_1837:                             ;   Parent Loop BB5_47 Depth=1
                                        ;     Parent Loop BB5_1657 Depth=2
                                        ;       Parent Loop BB5_1835 Depth=3
                                        ; =>      This Inner Loop Header: Depth=4
	s_cmp_eq_u32 s48, 1
	s_cselect_b64 vcc, -1, 0
	v_cndmask_b32_e32 v89, v19, v21, vcc
	s_cmp_eq_u32 s48, 0
	v_cndmask_b32_e32 v88, v18, v20, vcc
	global_store_dwordx4 v[88:89], v[8:11], off
	v_lshl_add_u64 v[88:89], v[88:89], 0, s[60:61]
	s_cselect_b64 s[26:27], -1, 0
	s_and_b64 s[28:29], exec, s[36:37]
	s_mov_b64 s[48:49], 1
	s_mov_b64 s[36:37], 0
	v_cndmask_b32_e32 v21, v21, v89, vcc
	v_cndmask_b32_e32 v20, v20, v88, vcc
	v_cndmask_b32_e64 v19, v19, v89, s[26:27]
	v_cndmask_b32_e64 v18, v18, v88, s[26:27]
	s_mov_b64 vcc, s[28:29]
	s_cbranch_vccnz .LBB5_1837
; %bb.1838:                             ;   in Loop: Header=BB5_1835 Depth=3
	v_lshl_add_u64 v[18:19], v[18:19], 0, v[80:81]
	v_lshl_add_u64 v[20:21], v[20:21], 0, v[80:81]
.LBB5_1839:                             ;   in Loop: Header=BB5_1835 Depth=3
	s_or_b64 exec, exec, s[38:39]
	v_sub_u32_e32 v79, v79, v61
	v_lshl_add_u64 v[22:23], v[96:97], 0, v[22:23]
	v_cmp_lt_i32_e64 s[36:37], 15, v79
	s_and_saveexec_b64 s[26:27], s[36:37]
	s_cbranch_execz .LBB5_1841
; %bb.1840:                             ;   in Loop: Header=BB5_1835 Depth=3
	global_load_dwordx4 v[8:11], v[22:23], off nt
	v_lshl_add_u64 v[22:23], v[22:23], 0, s[60:61]
.LBB5_1841:                             ;   in Loop: Header=BB5_1835 Depth=3
	s_or_b64 exec, exec, s[26:27]
	s_mov_b64 s[48:49], 0
	s_mov_b64 s[38:39], -1
	s_waitcnt vmcnt(0)
.LBB5_1842:                             ;   Parent Loop BB5_47 Depth=1
                                        ;     Parent Loop BB5_1657 Depth=2
                                        ;       Parent Loop BB5_1835 Depth=3
                                        ; =>      This Inner Loop Header: Depth=4
	s_cmp_eq_u32 s48, 1
	s_cselect_b64 vcc, -1, 0
	v_cndmask_b32_e32 v89, v19, v21, vcc
	s_cmp_eq_u32 s48, 0
	v_cndmask_b32_e32 v88, v18, v20, vcc
	global_store_dwordx4 v[88:89], v[12:15], off
	v_lshl_add_u64 v[88:89], v[88:89], 0, s[60:61]
	s_cselect_b64 s[26:27], -1, 0
	s_and_b64 s[28:29], exec, s[38:39]
	s_mov_b64 s[48:49], 1
	s_mov_b64 s[38:39], 0
	v_cndmask_b32_e32 v21, v21, v89, vcc
	v_cndmask_b32_e32 v20, v20, v88, vcc
	v_cndmask_b32_e64 v19, v19, v89, s[26:27]
	v_cndmask_b32_e64 v18, v18, v88, s[26:27]
	s_mov_b64 vcc, s[28:29]
	s_cbranch_vccnz .LBB5_1842
; %bb.1843:                             ;   in Loop: Header=BB5_1835 Depth=3
	v_sub_u32_e32 v57, v57, v52
	s_and_saveexec_b64 s[26:27], s[36:37]
	s_cbranch_execz .LBB5_1834
; %bb.1844:                             ;   in Loop: Header=BB5_1835 Depth=3
	v_lshl_add_u64 v[18:19], v[18:19], 0, v[80:81]
	v_lshl_add_u64 v[20:21], v[20:21], 0, v[80:81]
	;; [unrolled: 1-line block ×3, first 2 shown]
	v_sub_u32_e32 v79, v79, v61
	v_sub_u32_e32 v57, v57, v52
	s_branch .LBB5_1834
.LBB5_1845:                             ;   in Loop: Header=BB5_1657 Depth=2
	s_or_b64 exec, exec, s[30:31]
	s_and_b64 s[26:27], s[34:35], exec
.LBB5_1846:                             ;   in Loop: Header=BB5_1657 Depth=2
	s_or_b64 exec, exec, s[94:95]
	s_and_saveexec_b64 s[94:95], s[26:27]
	s_cbranch_execz .LBB5_1849
; %bb.1847:                             ;   in Loop: Header=BB5_1657 Depth=2
	s_mov_b64 s[34:35], 0
	s_mov_b64 s[30:31], -1
.LBB5_1848:                             ;   Parent Loop BB5_47 Depth=1
                                        ;     Parent Loop BB5_1657 Depth=2
                                        ; =>    This Inner Loop Header: Depth=3
	s_cmp_eq_u32 s34, 1
	s_cselect_b64 vcc, -1, 0
	v_cndmask_b32_e32 v13, v19, v21, vcc
	s_cmp_eq_u32 s34, 0
	v_cndmask_b32_e32 v12, v18, v20, vcc
	global_store_dwordx4 v[12:13], v[8:11], off
	v_lshl_add_u64 v[12:13], v[12:13], 0, s[60:61]
	s_cselect_b64 s[26:27], -1, 0
	s_and_b64 s[28:29], exec, s[30:31]
	s_mov_b64 s[34:35], 1
	s_mov_b64 s[30:31], 0
	v_cndmask_b32_e32 v21, v21, v13, vcc
	v_cndmask_b32_e32 v20, v20, v12, vcc
	v_cndmask_b32_e64 v19, v19, v13, s[26:27]
	v_cndmask_b32_e64 v18, v18, v12, s[26:27]
	s_mov_b64 vcc, s[28:29]
	s_cbranch_vccnz .LBB5_1848
.LBB5_1849:                             ;   in Loop: Header=BB5_1657 Depth=2
	s_or_b64 exec, exec, s[94:95]
	v_and_b32_e32 v9, 14, v44
	v_cndmask_b32_e64 v19, v56, v9, s[24:25]
	v_cmp_ne_u32_e32 vcc, 0, v19
	s_mov_b64 s[26:27], s[90:91]
                                        ; implicit-def: $vgpr18
                                        ; implicit-def: $vgpr8
                                        ; implicit-def: $vgpr20
	s_and_saveexec_b64 s[28:29], vcc
	s_cbranch_execz .LBB5_1851
; %bb.1850:                             ;   in Loop: Header=BB5_1657 Depth=2
	v_sub_u32_e32 v8, v56, v9
	v_cndmask_b32_e64 v8, 0, v8, s[24:25]
	v_cmp_lt_i32_e32 vcc, 0, v57
	v_add3_u32 v18, v47, v45, v8
	s_or_b64 s[26:27], s[90:91], exec
	v_cndmask_b32_e32 v8, 0, v52, vcc
	v_sub_u32_e32 v8, v8, v57
	v_lshl_add_u32 v8, v8, 6, v46
	v_ashrrev_i32_e32 v9, 31, v8
	v_lshrrev_b32_e32 v9, 26, v9
	v_add_u32_e32 v9, v8, v9
	v_and_b32_e32 v9, 0xffffffc0, v9
	v_sub_u32_e32 v20, v8, v9
.LBB5_1851:                             ;   in Loop: Header=BB5_1657 Depth=2
	s_or_b64 exec, exec, s[28:29]
	s_andn2_b64 s[12:13], s[90:91], exec
	s_and_b64 s[24:25], s[26:27], exec
	s_or_b64 s[90:91], s[12:13], s[24:25]
.LBB5_1852:                             ;   in Loop: Header=BB5_1657 Depth=2
	s_or_b64 exec, exec, s[92:93]
	s_and_saveexec_b64 s[28:29], s[90:91]
	s_cbranch_execz .LBB5_1878
.LBB5_1853:                             ;   in Loop: Header=BB5_1657 Depth=2
	v_ashrrev_i32_e32 v9, 31, v8
	v_lshrrev_b32_e32 v9, 26, v9
	v_add_u32_e32 v8, v8, v9
	v_ashrrev_i32_e32 v14, 6, v8
	v_lshlrev_b32_e32 v8, 9, v14
	v_lshlrev_b32_e32 v9, 1, v20
	v_add3_u32 v12, v18, v9, v8
	v_ashrrev_i32_e32 v8, 31, v19
	v_lshrrev_b32_e32 v8, 23, v8
	v_add_u32_e32 v8, v19, v8
	v_ashrrev_i32_e32 v21, 9, v8
	v_ashrrev_i32_e32 v13, 31, v12
	v_sub_u32_e32 v14, v21, v14
	v_lshl_add_u64 v[10:11], v[42:43], 0, v[12:13]
	v_lshl_add_u64 v[8:9], v[16:17], 0, v[12:13]
	v_cmp_lt_i32_e32 vcc, 0, v14
	s_mov_b64 s[26:27], 0
                                        ; implicit-def: $vgpr22
                                        ; implicit-def: $vgpr23
                                        ; implicit-def: $vgpr44
                                        ; implicit-def: $vgpr45
	s_and_saveexec_b64 s[24:25], vcc
	s_cbranch_execz .LBB5_1861
; %bb.1854:                             ;   in Loop: Header=BB5_1657 Depth=2
	v_lshl_add_u64 v[12:13], v[12:13], 0, v[40:41]
	s_mov_b64 s[92:93], 0
                                        ; implicit-def: $sgpr90_sgpr91
                                        ; implicit-def: $vgpr22
                                        ; implicit-def: $vgpr23
                                        ; implicit-def: $vgpr44
                                        ; implicit-def: $vgpr45
	s_branch .LBB5_1856
.LBB5_1855:                             ;   in Loop: Header=BB5_1856 Depth=3
	s_or_b64 exec, exec, s[94:95]
	v_lshl_add_u64 v[12:13], v[12:13], 0, v[14:15]
	v_sub_u32_e32 v14, v79, v88
	v_cmp_gt_i32_e32 vcc, 1, v14
	s_waitcnt vmcnt(0) lgkmcnt(0)
	flat_store_short v[10:11], v46 nt
	flat_store_short v[10:11], v47 offset:128 nt
	flat_store_short v[10:11], v56 offset:256 nt
	;; [unrolled: 1-line block ×3, first 2 shown]
	v_lshl_add_u64 v[10:11], v[10:11], 0, s[62:63]
	flat_store_short v[8:9], v46 nt
	flat_store_short v[8:9], v47 offset:128 nt
	flat_store_short v[8:9], v56 offset:256 nt
	;; [unrolled: 1-line block ×3, first 2 shown]
	v_lshl_add_u64 v[8:9], v[8:9], 0, s[62:63]
	s_or_b64 s[26:27], vcc, s[26:27]
	v_lshl_add_u64 v[46:47], v[10:11], 0, v[70:71]
	v_lshl_add_u64 v[56:57], v[8:9], 0, v[70:71]
	s_andn2_b64 s[12:13], s[90:91], exec
	s_and_b64 s[90:91], s[92:93], exec
	v_cndmask_b32_e64 v11, v11, v47, s[92:93]
	v_cndmask_b32_e64 v10, v10, v46, s[92:93]
	;; [unrolled: 1-line block ×4, first 2 shown]
	s_or_b64 s[90:91], s[12:13], s[90:91]
	s_andn2_b64 exec, exec, s[26:27]
	s_cbranch_execz .LBB5_1860
.LBB5_1856:                             ;   Parent Loop BB5_47 Depth=1
                                        ;     Parent Loop BB5_1657 Depth=2
                                        ; =>    This Inner Loop Header: Depth=3
	flat_load_ushort v46, v[12:13] nt
	flat_load_ushort v47, v[12:13] offset:128 nt
	flat_load_ushort v56, v[12:13] offset:256 nt
	;; [unrolled: 1-line block ×3, first 2 shown]
	s_and_saveexec_b64 s[94:95], s[92:93]
	s_cbranch_execz .LBB5_1858
; %bb.1857:                             ;   in Loop: Header=BB5_1856 Depth=3
	flat_store_short v[10:11], v22 nt
	flat_store_short v[10:11], v23 offset:128 nt
	flat_store_short v[10:11], v44 offset:256 nt
	flat_store_short v[10:11], v45 offset:384 nt
	flat_store_short v[8:9], v22 nt
	flat_store_short v[8:9], v23 offset:128 nt
	flat_store_short v[8:9], v44 offset:256 nt
	;; [unrolled: 1-line block ×3, first 2 shown]
	v_lshl_add_u64 v[10:11], v[10:11], 0, v[86:87]
	v_lshl_add_u64 v[8:9], v[8:9], 0, v[86:87]
.LBB5_1858:                             ;   in Loop: Header=BB5_1856 Depth=3
	s_or_b64 exec, exec, s[94:95]
	v_sub_u32_e32 v79, v14, v52
	v_lshl_add_u64 v[12:13], v[12:13], 0, v[86:87]
	v_mov_b32_e32 v88, 0
	v_cmp_lt_i32_e64 s[92:93], 0, v79
	v_mov_b64_e32 v[14:15], 0
	s_and_saveexec_b64 s[94:95], s[92:93]
	s_cbranch_execz .LBB5_1855
; %bb.1859:                             ;   in Loop: Header=BB5_1856 Depth=3
	flat_load_ushort v22, v[12:13] nt
	flat_load_ushort v23, v[12:13] offset:128 nt
	flat_load_ushort v44, v[12:13] offset:256 nt
	;; [unrolled: 1-line block ×3, first 2 shown]
	v_lshl_add_u64 v[12:13], v[12:13], 0, s[62:63]
	v_mov_b32_e32 v88, v52
	v_mov_b64_e32 v[14:15], v[70:71]
	s_branch .LBB5_1855
.LBB5_1860:                             ;   in Loop: Header=BB5_1657 Depth=2
	s_or_b64 exec, exec, s[26:27]
	s_and_b64 s[26:27], s[90:91], exec
.LBB5_1861:                             ;   in Loop: Header=BB5_1657 Depth=2
	s_or_b64 exec, exec, s[24:25]
	s_and_saveexec_b64 s[24:25], s[26:27]
	s_cbranch_execz .LBB5_1863
; %bb.1862:                             ;   in Loop: Header=BB5_1657 Depth=2
	flat_store_short v[10:11], v22 nt
	flat_store_short v[10:11], v23 offset:128 nt
	flat_store_short v[10:11], v44 offset:256 nt
	flat_store_short v[10:11], v45 offset:384 nt
	flat_store_short v[8:9], v22 nt
	flat_store_short v[8:9], v23 offset:128 nt
	flat_store_short v[8:9], v44 offset:256 nt
	;; [unrolled: 1-line block ×3, first 2 shown]
.LBB5_1863:                             ;   in Loop: Header=BB5_1657 Depth=2
	s_or_b64 exec, exec, s[24:25]
	v_lshlrev_b32_e32 v8, 9, v21
	v_cmp_ne_u32_e32 vcc, v19, v8
	s_and_b64 exec, exec, vcc
	s_cbranch_execz .LBB5_1878
; %bb.1864:                             ;   in Loop: Header=BB5_1657 Depth=2
	v_lshlrev_b32_e32 v9, 6, v14
	v_sub_u32_e32 v9, v20, v9
	v_ashrrev_i32_e32 v10, 31, v9
	v_lshrrev_b32_e32 v10, 26, v10
	v_add_u32_e32 v10, v9, v10
	v_and_b32_e32 v11, 0x7fffffc0, v10
	v_sub_u32_e32 v9, v9, v11
	v_lshlrev_b32_e32 v10, 1, v10
	v_and_b32_e32 v10, 0xffffff80, v10
	v_lshlrev_b32_e32 v9, 1, v9
	v_add3_u32 v8, v10, v9, v8
	v_sub_u32_e32 v19, v19, v8
	v_cmp_lt_i32_e32 vcc, 1, v19
	s_and_b64 exec, exec, vcc
	s_cbranch_execz .LBB5_1878
; %bb.1865:                             ;   in Loop: Header=BB5_1657 Depth=2
	v_add_u32_e32 v12, v8, v18
	v_ashrrev_i32_e32 v13, 31, v12
	v_lshl_add_u64 v[8:9], v[42:43], 0, v[12:13]
	v_lshl_add_u64 v[10:11], v[16:17], 0, v[12:13]
	;; [unrolled: 1-line block ×3, first 2 shown]
	s_mov_b64 s[94:95], 0
	s_mov_b64 s[90:91], 0
                                        ; implicit-def: $sgpr92_sgpr93
                                        ; implicit-def: $vgpr18
.LBB5_1866:                             ;   Parent Loop BB5_47 Depth=1
                                        ;     Parent Loop BB5_1657 Depth=2
                                        ; =>    This Loop Header: Depth=3
                                        ;         Child Loop BB5_1868 Depth 4
                                        ;         Child Loop BB5_1873 Depth 4
	flat_load_ushort v14, v[12:13] nt
	s_and_saveexec_b64 s[30:31], s[94:95]
	s_cbranch_execz .LBB5_1870
; %bb.1867:                             ;   in Loop: Header=BB5_1866 Depth=3
	s_mov_b64 s[34:35], 0
	s_mov_b64 s[94:95], -1
.LBB5_1868:                             ;   Parent Loop BB5_47 Depth=1
                                        ;     Parent Loop BB5_1657 Depth=2
                                        ;       Parent Loop BB5_1866 Depth=3
                                        ; =>      This Inner Loop Header: Depth=4
	s_cmp_eq_u32 s34, 1
	s_cselect_b64 vcc, -1, 0
	v_cndmask_b32_e32 v17, v9, v11, vcc
	s_cmp_eq_u32 s34, 0
	v_cndmask_b32_e32 v16, v8, v10, vcc
	flat_store_short v[16:17], v18 nt
	v_lshl_add_u64 v[16:17], v[16:17], 0, s[72:73]
	s_cselect_b64 s[24:25], -1, 0
	s_and_b64 s[26:27], exec, s[94:95]
	s_mov_b64 s[34:35], 1
	s_mov_b64 s[94:95], 0
	v_cndmask_b32_e32 v11, v11, v17, vcc
	v_cndmask_b32_e32 v10, v10, v16, vcc
	v_cndmask_b32_e64 v9, v9, v17, s[24:25]
	v_cndmask_b32_e64 v8, v8, v16, s[24:25]
	s_mov_b64 vcc, s[26:27]
	s_cbranch_vccnz .LBB5_1868
; %bb.1869:                             ;   in Loop: Header=BB5_1866 Depth=3
	v_lshl_add_u64 v[8:9], v[8:9], 0, v[82:83]
	v_lshl_add_u64 v[10:11], v[10:11], 0, v[82:83]
.LBB5_1870:                             ;   in Loop: Header=BB5_1866 Depth=3
	s_or_b64 exec, exec, s[30:31]
	v_sub_u32_e32 v19, v19, v62
	v_lshl_add_u64 v[12:13], v[98:99], 0, v[12:13]
	v_cmp_lt_i32_e64 s[94:95], 1, v19
	s_and_saveexec_b64 s[24:25], s[94:95]
	s_cbranch_execz .LBB5_1872
; %bb.1871:                             ;   in Loop: Header=BB5_1866 Depth=3
	flat_load_ushort v18, v[12:13] nt
	v_lshl_add_u64 v[12:13], v[12:13], 0, s[72:73]
.LBB5_1872:                             ;   in Loop: Header=BB5_1866 Depth=3
	s_or_b64 exec, exec, s[24:25]
	s_mov_b64 s[34:35], 0
	s_mov_b64 s[30:31], -1
	s_waitcnt vmcnt(0)
.LBB5_1873:                             ;   Parent Loop BB5_47 Depth=1
                                        ;     Parent Loop BB5_1657 Depth=2
                                        ;       Parent Loop BB5_1866 Depth=3
                                        ; =>      This Inner Loop Header: Depth=4
	s_cmp_eq_u32 s34, 1
	s_cselect_b64 vcc, -1, 0
	v_cndmask_b32_e32 v17, v9, v11, vcc
	s_cmp_eq_u32 s34, 0
	v_cndmask_b32_e32 v16, v8, v10, vcc
	s_waitcnt lgkmcnt(0)
	flat_store_short v[16:17], v14 nt
	v_lshl_add_u64 v[16:17], v[16:17], 0, s[72:73]
	s_cselect_b64 s[24:25], -1, 0
	s_and_b64 s[26:27], exec, s[30:31]
	s_mov_b64 s[34:35], 1
	s_mov_b64 s[30:31], 0
	v_cndmask_b32_e32 v11, v11, v17, vcc
	v_cndmask_b32_e32 v10, v10, v16, vcc
	v_cndmask_b32_e64 v9, v9, v17, s[24:25]
	v_cndmask_b32_e64 v8, v8, v16, s[24:25]
	s_mov_b64 vcc, s[26:27]
	s_cbranch_vccnz .LBB5_1873
; %bb.1874:                             ;   in Loop: Header=BB5_1866 Depth=3
	v_cndmask_b32_e64 v21, 0, v83, s[94:95]
	v_cndmask_b32_e64 v20, 0, v82, s[94:95]
	v_lshl_add_u64 v[12:13], v[12:13], 0, v[20:21]
	v_cndmask_b32_e64 v20, 0, v62, s[94:95]
	v_sub_u32_e32 v19, v19, v20
	v_cmp_gt_i32_e32 vcc, 2, v19
	s_or_b64 s[90:91], vcc, s[90:91]
	v_lshl_add_u64 v[14:15], v[8:9], 0, v[82:83]
	v_lshl_add_u64 v[16:17], v[10:11], 0, v[82:83]
	s_andn2_b64 s[12:13], s[92:93], exec
	s_and_b64 s[24:25], s[94:95], exec
	v_cndmask_b32_e64 v11, v11, v17, s[94:95]
	v_cndmask_b32_e64 v10, v10, v16, s[94:95]
	;; [unrolled: 1-line block ×4, first 2 shown]
	s_or_b64 s[92:93], s[12:13], s[24:25]
	s_andn2_b64 exec, exec, s[90:91]
	s_cbranch_execnz .LBB5_1866
; %bb.1875:                             ;   in Loop: Header=BB5_1657 Depth=2
	s_or_b64 exec, exec, s[90:91]
	s_and_b64 exec, exec, s[92:93]
	s_cbranch_execz .LBB5_1878
; %bb.1876:                             ;   in Loop: Header=BB5_1657 Depth=2
	s_mov_b64 s[92:93], 0
	s_mov_b64 s[90:91], -1
.LBB5_1877:                             ;   Parent Loop BB5_47 Depth=1
                                        ;     Parent Loop BB5_1657 Depth=2
                                        ; =>    This Inner Loop Header: Depth=3
	s_cmp_eq_u32 s92, 1
	s_cselect_b64 vcc, -1, 0
	v_cndmask_b32_e32 v9, v15, v17, vcc
	s_cmp_eq_u32 s92, 0
	v_cndmask_b32_e32 v8, v14, v16, vcc
	flat_store_short v[8:9], v18 nt
	v_lshl_add_u64 v[8:9], v[8:9], 0, s[72:73]
	s_cselect_b64 s[24:25], -1, 0
	s_and_b64 s[26:27], exec, s[90:91]
	s_mov_b64 s[92:93], 1
	s_mov_b64 s[90:91], 0
	v_cndmask_b32_e64 v15, v15, v9, s[24:25]
	v_cndmask_b32_e64 v14, v14, v8, s[24:25]
	v_cndmask_b32_e32 v17, v17, v9, vcc
	v_cndmask_b32_e32 v16, v16, v8, vcc
	s_mov_b64 vcc, s[26:27]
	s_cbranch_vccnz .LBB5_1877
.LBB5_1878:                             ;   in Loop: Header=BB5_1657 Depth=2
	s_or_b64 exec, exec, s[28:29]
	s_mov_b64 s[24:25], 0
.LBB5_1879:                             ;   in Loop: Header=BB5_1657 Depth=2
	s_and_b64 vcc, exec, s[24:25]
	s_cbranch_vccz .LBB5_1893
; %bb.1880:                             ;   in Loop: Header=BB5_1657 Depth=2
	s_mov_b64 s[24:25], -1
	s_and_saveexec_b64 s[26:27], s[18:19]
	s_cbranch_execz .LBB5_1882
; %bb.1881:                             ;   in Loop: Header=BB5_1657 Depth=2
	ds_read_b32 v8, v0 offset:720
	s_waitcnt lgkmcnt(0)
	v_and_b32_e32 v8, 15, v8
	v_cmp_eq_u32_e32 vcc, 0, v8
	s_orn2_b64 s[24:25], vcc, exec
.LBB5_1882:                             ;   in Loop: Header=BB5_1657 Depth=2
	s_or_b64 exec, exec, s[26:27]
	s_and_saveexec_b64 s[26:27], s[16:17]
	s_cbranch_execz .LBB5_1884
; %bb.1883:                             ;   in Loop: Header=BB5_1657 Depth=2
	ds_read_b32 v8, v0 offset:784
	s_waitcnt lgkmcnt(0)
	v_and_b32_e32 v8, 15, v8
	v_cmp_eq_u32_e32 vcc, 0, v8
	s_and_b64 s[12:13], s[24:25], vcc
	s_andn2_b64 s[24:25], s[24:25], exec
	s_and_b64 s[12:13], s[12:13], exec
	s_or_b64 s[24:25], s[24:25], s[12:13]
.LBB5_1884:                             ;   in Loop: Header=BB5_1657 Depth=2
	s_or_b64 exec, exec, s[26:27]
	s_xor_b64 s[12:13], s[24:25], -1
	v_cndmask_b32_e64 v8, 0, 1, s[12:13]
	s_mov_b64 s[28:29], -1
	v_cmp_ne_u32_e32 vcc, 0, v8
	s_cbranch_vccz .LBB5_1894
; %bb.1885:                             ;   in Loop: Header=BB5_1657 Depth=2
	s_mov_b64 s[26:27], -1
	v_mov_b32_e32 v14, 0
	s_cbranch_execnz .LBB5_1895
.LBB5_1886:                             ;   in Loop: Header=BB5_1657 Depth=2
	v_ashrrev_i32_e32 v8, 31, v119
	v_lshrrev_b32_e32 v8, 21, v8
	v_add_u32_e32 v8, v119, v8
	v_ashrrev_i32_e32 v79, 11, v8
	v_sub_u32_e32 v56, v79, v60
	v_lshl_add_u64 v[44:45], v[42:43], 0, v[66:67]
	v_cmp_lt_i32_e32 vcc, 0, v56
	s_mov_b64 s[28:29], 0
                                        ; implicit-def: $vgpr8_vgpr9
                                        ; implicit-def: $vgpr12_vgpr13
	s_and_saveexec_b64 s[24:25], vcc
	s_cbranch_execz .LBB5_1897
; %bb.1887:                             ;   in Loop: Header=BB5_1657 Depth=2
	v_lshl_add_u64 v[46:47], v[40:41], 0, v[66:67]
	s_mov_b64 s[92:93], 0
                                        ; implicit-def: $sgpr90_sgpr91
                                        ; implicit-def: $vgpr8_vgpr9
                                        ; implicit-def: $vgpr12_vgpr13
	s_branch .LBB5_1889
.LBB5_1888:                             ;   in Loop: Header=BB5_1889 Depth=3
	s_or_b64 exec, exec, s[94:95]
	s_waitcnt vmcnt(0)
	global_store_dwordx4 v[44:45], v[16:19], off
	global_store_dwordx4 v[44:45], v[20:23], off offset:1024
	v_lshl_add_u64 v[46:47], v[46:47], 0, v[56:57]
	v_lshl_add_u64 v[16:17], v[44:45], 0, v[56:57]
	v_sub_u32_e32 v56, v88, v89
	v_cmp_gt_i32_e32 vcc, 1, v56
	s_or_b64 s[28:29], vcc, s[28:29]
	s_andn2_b64 s[12:13], s[90:91], exec
	s_and_b64 s[90:91], s[92:93], exec
	v_lshl_add_u64 v[44:45], v[16:17], 0, s[58:59]
	s_or_b64 s[90:91], s[12:13], s[90:91]
	s_andn2_b64 exec, exec, s[28:29]
	s_cbranch_execz .LBB5_1896
.LBB5_1889:                             ;   Parent Loop BB5_47 Depth=1
                                        ;     Parent Loop BB5_1657 Depth=2
                                        ; =>    This Inner Loop Header: Depth=3
	global_load_dwordx4 v[16:19], v[46:47], off nt
	global_load_dwordx4 v[20:23], v[46:47], off offset:1024 nt
	s_and_saveexec_b64 s[94:95], s[92:93]
	s_cbranch_execz .LBB5_1891
; %bb.1890:                             ;   in Loop: Header=BB5_1889 Depth=3
	v_lshl_add_u64 v[88:89], v[44:45], 0, v[84:85]
	global_store_dwordx4 v[44:45], v[8:11], off
	global_store_dwordx4 v[44:45], v[12:15], off offset:1024
	v_mov_b64_e32 v[44:45], v[88:89]
.LBB5_1891:                             ;   in Loop: Header=BB5_1889 Depth=3
	s_or_b64 exec, exec, s[94:95]
	v_sub_u32_e32 v88, v56, v52
	v_lshl_add_u64 v[46:47], v[46:47], 0, v[84:85]
	v_mov_b32_e32 v89, 0
	v_cmp_lt_i32_e64 s[92:93], 0, v88
	v_mov_b64_e32 v[56:57], 0
	s_and_saveexec_b64 s[94:95], s[92:93]
	s_cbranch_execz .LBB5_1888
; %bb.1892:                             ;   in Loop: Header=BB5_1889 Depth=3
	global_load_dwordx4 v[8:11], v[46:47], off nt
	global_load_dwordx4 v[12:15], v[46:47], off offset:1024 nt
	v_lshl_add_u64 v[46:47], v[46:47], 0, s[58:59]
	v_mov_b32_e32 v89, v52
	v_mov_b64_e32 v[56:57], v[68:69]
	s_branch .LBB5_1888
.LBB5_1893:                             ;   in Loop: Header=BB5_1657 Depth=2
	v_cmp_lt_i32_e64 s[24:25], 0, v2
	s_and_saveexec_b64 s[26:27], s[6:7]
	s_cbranch_execnz .LBB5_1937
	s_branch .LBB5_1809
.LBB5_1894:                             ;   in Loop: Header=BB5_1657 Depth=2
	s_mov_b64 s[26:27], 0
	s_andn2_b64 vcc, exec, s[28:29]
	v_mov_b32_e32 v14, 0
	s_cbranch_vccz .LBB5_1886
.LBB5_1895:                             ;   in Loop: Header=BB5_1657 Depth=2
	v_mov_b32_e32 v8, v0
	v_mov_b32_e32 v15, v59
	s_and_saveexec_b64 s[24:25], s[26:27]
	s_cbranch_execnz .LBB5_1916
	s_branch .LBB5_1936
.LBB5_1896:                             ;   in Loop: Header=BB5_1657 Depth=2
	s_or_b64 exec, exec, s[28:29]
	s_and_b64 s[28:29], s[90:91], exec
.LBB5_1897:                             ;   in Loop: Header=BB5_1657 Depth=2
	s_or_b64 exec, exec, s[24:25]
	s_and_saveexec_b64 s[24:25], s[28:29]
	s_cbranch_execz .LBB5_1899
; %bb.1898:                             ;   in Loop: Header=BB5_1657 Depth=2
	global_store_dwordx4 v[44:45], v[8:11], off
	global_store_dwordx4 v[44:45], v[12:15], off offset:1024
.LBB5_1899:                             ;   in Loop: Header=BB5_1657 Depth=2
	s_or_b64 exec, exec, s[24:25]
	v_lshlrev_b32_e32 v20, 11, v79
	v_cmp_ne_u32_e32 vcc, v119, v20
                                        ; implicit-def: $vgpr14
                                        ; implicit-def: $vgpr8
                                        ; implicit-def: $vgpr15
	s_and_saveexec_b64 s[28:29], vcc
	s_cbranch_execz .LBB5_1915
; %bb.1900:                             ;   in Loop: Header=BB5_1657 Depth=2
	v_lshlrev_b32_e32 v9, 6, v56
	v_sub_u32_e32 v9, v59, v9
	v_ashrrev_i32_e32 v10, 31, v9
	v_lshrrev_b32_e32 v10, 26, v10
	v_add_u32_e32 v10, v9, v10
	v_ashrrev_i32_e32 v11, 6, v10
	v_and_b32_e32 v10, 0xffffffc0, v10
	v_sub_u32_e32 v21, v9, v10
	v_lshlrev_b32_e32 v9, 4, v21
	v_sub_u32_e32 v8, v119, v20
	v_lshl_add_u32 v9, v11, 10, v9
	v_add_u32_e32 v10, v9, v20
	v_sub_u32_e32 v45, v8, v9
	v_ashrrev_i32_e32 v9, 31, v8
	v_lshrrev_b32_e32 v9, 22, v9
	v_add_u32_e32 v9, v8, v9
	v_and_b32_e32 v22, 0xfffffc00, v9
	v_sub_u32_e32 v44, v8, v22
	v_ashrrev_i32_e32 v12, 10, v9
	v_cmp_lt_i32_e32 vcc, 15, v44
	s_mov_b64 s[92:93], 0
	s_nop 0
	v_addc_co_u32_e64 v8, s[24:25], 0, v12, vcc
	v_sub_u32_e32 v23, v8, v11
	v_ashrrev_i32_e32 v11, 31, v10
	v_lshl_add_u64 v[16:17], v[10:11], 0, v[42:43]
	v_cmp_lt_i32_e64 s[24:25], 15, v45
                                        ; implicit-def: $vgpr8_vgpr9
	s_and_saveexec_b64 s[90:91], s[24:25]
	s_cbranch_execz .LBB5_1910
; %bb.1901:                             ;   in Loop: Header=BB5_1657 Depth=2
	v_lshl_add_u64 v[18:19], v[10:11], 0, v[40:41]
	s_mov_b64 s[30:31], 0
                                        ; implicit-def: $sgpr94_sgpr95
                                        ; implicit-def: $vgpr8_vgpr9
	s_branch .LBB5_1903
.LBB5_1902:                             ;   in Loop: Header=BB5_1903 Depth=3
	s_or_b64 exec, exec, s[24:25]
	v_cmp_gt_i32_e64 s[24:25], 16, v45
	s_or_b64 s[92:93], s[24:25], s[92:93]
	s_andn2_b64 s[12:13], s[94:95], exec
	s_and_b64 s[24:25], s[30:31], exec
	s_or_b64 s[94:95], s[12:13], s[24:25]
	s_andn2_b64 exec, exec, s[92:93]
	s_cbranch_execz .LBB5_1909
.LBB5_1903:                             ;   Parent Loop BB5_47 Depth=1
                                        ;     Parent Loop BB5_1657 Depth=2
                                        ; =>    This Inner Loop Header: Depth=3
	global_load_dwordx4 v[12:15], v[18:19], off nt
	s_and_saveexec_b64 s[24:25], s[30:31]
	s_cbranch_execz .LBB5_1905
; %bb.1904:                             ;   in Loop: Header=BB5_1903 Depth=3
	v_lshl_add_u64 v[46:47], v[16:17], 0, v[96:97]
	global_store_dwordx4 v[16:17], v[8:11], off
	v_mov_b64_e32 v[16:17], v[46:47]
.LBB5_1905:                             ;   in Loop: Header=BB5_1903 Depth=3
	s_or_b64 exec, exec, s[24:25]
	v_sub_u32_e32 v45, v45, v61
	v_lshl_add_u64 v[18:19], v[18:19], 0, v[96:97]
	v_cmp_lt_i32_e64 s[30:31], 15, v45
	s_and_saveexec_b64 s[24:25], s[30:31]
	s_cbranch_execz .LBB5_1907
; %bb.1906:                             ;   in Loop: Header=BB5_1903 Depth=3
	global_load_dwordx4 v[8:11], v[18:19], off nt
	v_lshl_add_u64 v[18:19], v[18:19], 0, s[60:61]
.LBB5_1907:                             ;   in Loop: Header=BB5_1903 Depth=3
	s_or_b64 exec, exec, s[24:25]
	v_sub_u32_e32 v23, v23, v52
	s_waitcnt vmcnt(0)
	global_store_dwordx4 v[16:17], v[12:15], off
	v_lshl_add_u64 v[16:17], v[16:17], 0, s[60:61]
	s_and_saveexec_b64 s[24:25], s[30:31]
	s_cbranch_execz .LBB5_1902
; %bb.1908:                             ;   in Loop: Header=BB5_1903 Depth=3
	v_sub_u32_e32 v23, v23, v52
	v_sub_u32_e32 v45, v45, v61
	v_lshl_add_u64 v[18:19], v[18:19], 0, v[80:81]
	v_lshl_add_u64 v[16:17], v[16:17], 0, v[80:81]
	s_branch .LBB5_1902
.LBB5_1909:                             ;   in Loop: Header=BB5_1657 Depth=2
	s_or_b64 exec, exec, s[92:93]
	s_and_b64 s[92:93], s[94:95], exec
.LBB5_1910:                             ;   in Loop: Header=BB5_1657 Depth=2
	s_or_b64 exec, exec, s[90:91]
	s_and_saveexec_b64 s[24:25], s[92:93]
	s_cbranch_execz .LBB5_1912
; %bb.1911:                             ;   in Loop: Header=BB5_1657 Depth=2
	global_store_dwordx4 v[16:17], v[8:11], off
.LBB5_1912:                             ;   in Loop: Header=BB5_1657 Depth=2
	s_or_b64 exec, exec, s[24:25]
	s_nop 0
	v_and_b32_e32 v9, 14, v119
	v_cndmask_b32_e32 v119, v44, v9, vcc
	v_cmp_ne_u32_e64 s[24:25], 0, v119
	s_mov_b64 s[92:93], s[26:27]
                                        ; implicit-def: $vgpr14
                                        ; implicit-def: $vgpr8
                                        ; implicit-def: $vgpr15
	s_and_saveexec_b64 s[90:91], s[24:25]
	s_cbranch_execz .LBB5_1914
; %bb.1913:                             ;   in Loop: Header=BB5_1657 Depth=2
	v_sub_u32_e32 v8, v44, v9
	v_cndmask_b32_e32 v8, 0, v8, vcc
	v_cmp_lt_i32_e32 vcc, 0, v23
	v_add3_u32 v14, v22, v20, v8
	s_or_b64 s[92:93], s[26:27], exec
	v_cndmask_b32_e32 v8, 0, v52, vcc
	v_sub_u32_e32 v8, v8, v23
	v_lshl_add_u32 v8, v8, 6, v21
	v_ashrrev_i32_e32 v9, 31, v8
	v_lshrrev_b32_e32 v9, 26, v9
	v_add_u32_e32 v9, v8, v9
	v_and_b32_e32 v9, 0xffffffc0, v9
	v_sub_u32_e32 v15, v8, v9
.LBB5_1914:                             ;   in Loop: Header=BB5_1657 Depth=2
	s_or_b64 exec, exec, s[90:91]
	s_andn2_b64 s[12:13], s[26:27], exec
	s_and_b64 s[24:25], s[92:93], exec
	s_or_b64 s[26:27], s[12:13], s[24:25]
.LBB5_1915:                             ;   in Loop: Header=BB5_1657 Depth=2
	s_or_b64 exec, exec, s[28:29]
	s_and_saveexec_b64 s[24:25], s[26:27]
	s_cbranch_execz .LBB5_1936
.LBB5_1916:                             ;   in Loop: Header=BB5_1657 Depth=2
	v_ashrrev_i32_e32 v9, 31, v8
	v_lshrrev_b32_e32 v9, 26, v9
	v_add_u32_e32 v8, v8, v9
	v_ashrrev_i32_e32 v8, 6, v8
	v_lshlrev_b32_e32 v9, 9, v8
	v_lshlrev_b32_e32 v10, 1, v15
	v_add3_u32 v10, v14, v10, v9
	v_ashrrev_i32_e32 v9, 31, v119
	v_lshrrev_b32_e32 v9, 23, v9
	v_add_u32_e32 v9, v119, v9
	v_ashrrev_i32_e32 v16, 9, v9
	v_sub_u32_e32 v12, v16, v8
	v_ashrrev_i32_e32 v11, 31, v10
	v_lshl_add_u64 v[8:9], v[42:43], 0, v[10:11]
	v_cmp_lt_i32_e32 vcc, 0, v12
	s_mov_b64 s[28:29], 0
                                        ; implicit-def: $vgpr17
                                        ; implicit-def: $vgpr18
                                        ; implicit-def: $vgpr19
                                        ; implicit-def: $vgpr20
	s_and_saveexec_b64 s[26:27], vcc
	s_cbranch_execz .LBB5_1924
; %bb.1917:                             ;   in Loop: Header=BB5_1657 Depth=2
	v_lshl_add_u64 v[10:11], v[10:11], 0, v[40:41]
	s_mov_b64 s[92:93], 0
                                        ; implicit-def: $sgpr90_sgpr91
                                        ; implicit-def: $vgpr17
                                        ; implicit-def: $vgpr18
                                        ; implicit-def: $vgpr19
                                        ; implicit-def: $vgpr20
	s_branch .LBB5_1919
.LBB5_1918:                             ;   in Loop: Header=BB5_1919 Depth=3
	s_or_b64 exec, exec, s[94:95]
	s_waitcnt vmcnt(0) lgkmcnt(0)
	flat_store_short v[8:9], v21 nt
	flat_store_short v[8:9], v22 offset:128 nt
	flat_store_short v[8:9], v23 offset:256 nt
	;; [unrolled: 1-line block ×3, first 2 shown]
	v_lshl_add_u64 v[8:9], v[8:9], 0, v[12:13]
	v_lshl_add_u64 v[10:11], v[10:11], 0, v[12:13]
	v_sub_u32_e32 v12, v45, v46
	v_cmp_gt_i32_e32 vcc, 1, v12
	s_or_b64 s[28:29], vcc, s[28:29]
	s_andn2_b64 s[12:13], s[90:91], exec
	s_and_b64 s[90:91], s[92:93], exec
	v_lshl_add_u64 v[8:9], v[8:9], 0, s[62:63]
	s_or_b64 s[90:91], s[12:13], s[90:91]
	s_andn2_b64 exec, exec, s[28:29]
	s_cbranch_execz .LBB5_1923
.LBB5_1919:                             ;   Parent Loop BB5_47 Depth=1
                                        ;     Parent Loop BB5_1657 Depth=2
                                        ; =>    This Inner Loop Header: Depth=3
	flat_load_ushort v21, v[10:11] nt
	flat_load_ushort v22, v[10:11] offset:128 nt
	flat_load_ushort v23, v[10:11] offset:256 nt
	;; [unrolled: 1-line block ×3, first 2 shown]
	s_and_saveexec_b64 s[94:95], s[92:93]
	s_cbranch_execz .LBB5_1921
; %bb.1920:                             ;   in Loop: Header=BB5_1919 Depth=3
	flat_store_short v[8:9], v17 nt
	flat_store_short v[8:9], v18 offset:128 nt
	flat_store_short v[8:9], v19 offset:256 nt
	;; [unrolled: 1-line block ×3, first 2 shown]
	v_lshl_add_u64 v[8:9], v[8:9], 0, v[86:87]
.LBB5_1921:                             ;   in Loop: Header=BB5_1919 Depth=3
	s_or_b64 exec, exec, s[94:95]
	v_sub_u32_e32 v45, v12, v52
	v_lshl_add_u64 v[10:11], v[10:11], 0, v[86:87]
	v_mov_b32_e32 v46, 0
	v_cmp_lt_i32_e64 s[92:93], 0, v45
	v_mov_b64_e32 v[12:13], 0
	s_and_saveexec_b64 s[94:95], s[92:93]
	s_cbranch_execz .LBB5_1918
; %bb.1922:                             ;   in Loop: Header=BB5_1919 Depth=3
	flat_load_ushort v17, v[10:11] nt
	flat_load_ushort v18, v[10:11] offset:128 nt
	flat_load_ushort v19, v[10:11] offset:256 nt
	;; [unrolled: 1-line block ×3, first 2 shown]
	v_lshl_add_u64 v[10:11], v[10:11], 0, s[62:63]
	v_mov_b32_e32 v46, v52
	v_mov_b64_e32 v[12:13], v[70:71]
	s_branch .LBB5_1918
.LBB5_1923:                             ;   in Loop: Header=BB5_1657 Depth=2
	s_or_b64 exec, exec, s[28:29]
	s_and_b64 s[28:29], s[90:91], exec
.LBB5_1924:                             ;   in Loop: Header=BB5_1657 Depth=2
	s_or_b64 exec, exec, s[26:27]
	s_and_saveexec_b64 s[26:27], s[28:29]
	s_cbranch_execz .LBB5_1926
; %bb.1925:                             ;   in Loop: Header=BB5_1657 Depth=2
	flat_store_short v[8:9], v17 nt
	flat_store_short v[8:9], v18 offset:128 nt
	flat_store_short v[8:9], v19 offset:256 nt
	;; [unrolled: 1-line block ×3, first 2 shown]
.LBB5_1926:                             ;   in Loop: Header=BB5_1657 Depth=2
	s_or_b64 exec, exec, s[26:27]
	v_lshlrev_b32_e32 v8, 9, v16
	v_cmp_ne_u32_e32 vcc, v119, v8
	s_and_b64 exec, exec, vcc
	s_cbranch_execz .LBB5_1936
; %bb.1927:                             ;   in Loop: Header=BB5_1657 Depth=2
	v_lshlrev_b32_e32 v9, 6, v12
	v_sub_u32_e32 v9, v15, v9
	v_ashrrev_i32_e32 v10, 31, v9
	v_lshrrev_b32_e32 v10, 26, v10
	v_add_u32_e32 v10, v9, v10
	v_and_b32_e32 v11, 0x7fffffc0, v10
	v_sub_u32_e32 v9, v9, v11
	v_lshlrev_b32_e32 v10, 1, v10
	v_and_b32_e32 v10, 0xffffff80, v10
	v_lshlrev_b32_e32 v9, 1, v9
	v_add3_u32 v8, v10, v9, v8
	v_sub_u32_e32 v12, v119, v8
	v_cmp_lt_i32_e32 vcc, 1, v12
	s_and_b64 exec, exec, vcc
	s_cbranch_execz .LBB5_1936
; %bb.1928:                             ;   in Loop: Header=BB5_1657 Depth=2
	v_add_u32_e32 v10, v8, v14
	v_ashrrev_i32_e32 v11, 31, v10
	v_lshl_add_u64 v[8:9], v[42:43], 0, v[10:11]
	v_lshl_add_u64 v[10:11], v[10:11], 0, v[40:41]
	s_mov_b64 s[90:91], 0
	s_mov_b64 s[26:27], 0
                                        ; implicit-def: $sgpr28_sgpr29
                                        ; implicit-def: $vgpr14
	s_branch .LBB5_1930
.LBB5_1929:                             ;   in Loop: Header=BB5_1930 Depth=3
	s_or_b64 exec, exec, s[92:93]
	s_waitcnt vmcnt(0) lgkmcnt(0)
	flat_store_short v[8:9], v15 nt
	v_lshl_add_u64 v[8:9], v[8:9], 0, v[12:13]
	v_lshl_add_u64 v[10:11], v[10:11], 0, v[12:13]
	v_sub_u32_e32 v12, v16, v17
	v_cmp_gt_i32_e32 vcc, 2, v12
	s_or_b64 s[26:27], vcc, s[26:27]
	s_andn2_b64 s[12:13], s[28:29], exec
	s_and_b64 s[28:29], s[90:91], exec
	v_lshl_add_u64 v[8:9], v[8:9], 0, s[72:73]
	s_or_b64 s[28:29], s[12:13], s[28:29]
	s_andn2_b64 exec, exec, s[26:27]
	s_cbranch_execz .LBB5_1934
.LBB5_1930:                             ;   Parent Loop BB5_47 Depth=1
                                        ;     Parent Loop BB5_1657 Depth=2
                                        ; =>    This Inner Loop Header: Depth=3
	flat_load_ushort v15, v[10:11] nt
	s_and_saveexec_b64 s[92:93], s[90:91]
	s_cbranch_execz .LBB5_1932
; %bb.1931:                             ;   in Loop: Header=BB5_1930 Depth=3
	v_lshl_add_u64 v[16:17], v[8:9], 0, v[98:99]
	flat_store_short v[8:9], v14 nt
	v_mov_b64_e32 v[8:9], v[16:17]
.LBB5_1932:                             ;   in Loop: Header=BB5_1930 Depth=3
	s_or_b64 exec, exec, s[92:93]
	v_sub_u32_e32 v16, v12, v62
	v_lshl_add_u64 v[10:11], v[10:11], 0, v[98:99]
	v_cmp_lt_i32_e64 s[90:91], 1, v16
	v_mov_b64_e32 v[12:13], 0
	v_mov_b32_e32 v17, 0
	s_and_saveexec_b64 s[92:93], s[90:91]
	s_cbranch_execz .LBB5_1929
; %bb.1933:                             ;   in Loop: Header=BB5_1930 Depth=3
	flat_load_ushort v14, v[10:11] nt
	v_lshl_add_u64 v[10:11], v[10:11], 0, s[72:73]
	v_mov_b32_e32 v17, v62
	v_mov_b64_e32 v[12:13], v[82:83]
	s_branch .LBB5_1929
.LBB5_1934:                             ;   in Loop: Header=BB5_1657 Depth=2
	s_or_b64 exec, exec, s[26:27]
	s_and_b64 exec, exec, s[28:29]
	s_cbranch_execz .LBB5_1936
; %bb.1935:                             ;   in Loop: Header=BB5_1657 Depth=2
	flat_store_short v[8:9], v14 nt
.LBB5_1936:                             ;   in Loop: Header=BB5_1657 Depth=2
	s_or_b64 exec, exec, s[24:25]
	v_cmp_lt_i32_e64 s[24:25], 0, v2
	s_and_saveexec_b64 s[26:27], s[6:7]
	s_cbranch_execz .LBB5_1809
.LBB5_1937:                             ;   in Loop: Header=BB5_1657 Depth=2
	s_and_saveexec_b64 s[12:13], s[56:57]
	s_xor_b64 s[28:29], exec, s[12:13]
	s_cbranch_execz .LBB5_1952
; %bb.1938:                             ;   in Loop: Header=BB5_1657 Depth=2
	s_and_saveexec_b64 s[90:91], s[14:15]
	s_cbranch_execz .LBB5_1951
; %bb.1939:                             ;   in Loop: Header=BB5_1657 Depth=2
	s_mov_b64 s[94:95], exec
	v_mbcnt_lo_u32_b32 v2, s94, 0
	v_mbcnt_hi_u32_b32 v2, s95, v2
	v_cmp_eq_u32_e32 vcc, 0, v2
	s_waitcnt lgkmcnt(0)
	s_and_saveexec_b64 s[92:93], vcc
	s_cbranch_execz .LBB5_1941
; %bb.1940:                             ;   in Loop: Header=BB5_1657 Depth=2
	s_bcnt1_i32_b64 s12, s[94:95]
	v_mov_b32_e32 v2, s12
	ds_add_u64 v0, v[2:3]
	s_trap 2
.LBB5_1941:                             ;   in Loop: Header=BB5_1657 Depth=2
	s_or_b64 exec, exec, s[92:93]
	s_trap 2
	ds_read_b64 v[8:9], v0
	s_waitcnt lgkmcnt(0)
	v_lshl_add_u64 v[38:39], v[38:39], 0, v[52:53]
	v_cmp_lt_u64_e32 vcc, v[8:9], v[38:39]
	s_and_saveexec_b64 s[92:93], vcc
	s_cbranch_execz .LBB5_1950
; %bb.1942:                             ;   in Loop: Header=BB5_1657 Depth=2
	s_mov_b32 s12, 0
	s_mov_b64 s[94:95], 0
                                        ; implicit-def: $sgpr30_sgpr31
                                        ; implicit-def: $sgpr34_sgpr35
	s_branch .LBB5_1944
.LBB5_1943:                             ;   in Loop: Header=BB5_1944 Depth=3
	s_or_b64 exec, exec, s[38:39]
	s_and_b64 vcc, exec, vcc
	s_or_b64 s[94:95], vcc, s[94:95]
	s_andn2_b64 vcc, s[30:31], exec
	s_and_b64 s[30:31], s[34:35], exec
	s_or_b64 s[30:31], vcc, s[30:31]
	s_andn2_b64 exec, exec, s[94:95]
	s_cbranch_execz .LBB5_1948
.LBB5_1944:                             ;   Parent Loop BB5_47 Depth=1
                                        ;     Parent Loop BB5_1657 Depth=2
                                        ; =>    This Inner Loop Header: Depth=3
	s_add_i32 s12, s12, 1
	s_cmpk_lg_i32 s12, 0x2710
	s_cselect_b64 s[36:37], -1, 0
	s_and_b64 vcc, exec, s[36:37]
	s_cbranch_vccz .LBB5_1946
; %bb.1945:                             ;   in Loop: Header=BB5_1944 Depth=3
	s_mov_b64 vcc, -1
	s_or_b64 s[34:35], s[34:35], exec
	s_and_saveexec_b64 s[38:39], s[36:37]
	s_cbranch_execz .LBB5_1943
	s_branch .LBB5_1947
.LBB5_1946:                             ;   in Loop: Header=BB5_1944 Depth=3
	s_trap 2
	ds_read_b64 v[8:9], v0
	s_andn2_b64 s[36:37], s[36:37], exec
	s_mov_b32 s12, 0
	s_waitcnt vmcnt(0) lgkmcnt(0)
	flat_load_dword v2, v[8:9] sc0 sc1
	s_waitcnt vmcnt(0) lgkmcnt(0)
	buffer_inv sc0 sc1
	v_cmp_eq_u32_e32 vcc, 0, v2
	s_and_b64 vcc, vcc, exec
	s_or_b64 s[36:37], s[36:37], vcc
	s_mov_b64 vcc, -1
	s_or_b64 s[34:35], s[34:35], exec
	s_and_saveexec_b64 s[38:39], s[36:37]
	s_cbranch_execz .LBB5_1943
.LBB5_1947:                             ;   in Loop: Header=BB5_1944 Depth=3
	s_sleep 1
	s_trap 2
	ds_read_b64 v[8:9], v0
	s_waitcnt lgkmcnt(0)
	s_andn2_b64 s[34:35], s[34:35], exec
	v_cmp_ge_u64_e32 vcc, v[8:9], v[38:39]
	s_orn2_b64 vcc, vcc, exec
	s_branch .LBB5_1943
.LBB5_1948:                             ;   in Loop: Header=BB5_1657 Depth=2
	s_or_b64 exec, exec, s[94:95]
	s_and_saveexec_b64 s[12:13], s[30:31]
	s_xor_b64 s[12:13], exec, s[12:13]
	s_cbranch_execz .LBB5_1950
; %bb.1949:                             ;   in Loop: Header=BB5_1657 Depth=2
	ds_write_b32 v0, v63
	s_trap 2
.LBB5_1950:                             ;   in Loop: Header=BB5_1657 Depth=2
	s_or_b64 exec, exec, s[92:93]
	;;#ASMSTART
	s_wakeup
	;;#ASMEND
.LBB5_1951:                             ;   in Loop: Header=BB5_1657 Depth=2
	s_or_b64 exec, exec, s[90:91]
.LBB5_1952:                             ;   in Loop: Header=BB5_1657 Depth=2
	s_andn2_saveexec_b64 s[28:29], s[28:29]
	s_cbranch_execz .LBB5_1954
; %bb.1953:                             ;   in Loop: Header=BB5_1657 Depth=2
	s_waitcnt lgkmcnt(0)
	s_barrier
.LBB5_1954:                             ;   in Loop: Header=BB5_1657 Depth=2
	s_or_b64 exec, exec, s[28:29]
	s_or_b64 exec, exec, s[26:27]
                                        ; implicit-def: $vgpr2
	s_and_saveexec_b64 s[12:13], s[22:23]
	s_xor_b64 s[26:27], exec, s[12:13]
	s_cbranch_execnz .LBB5_1810
.LBB5_1955:                             ;   in Loop: Header=BB5_1657 Depth=2
	s_andn2_saveexec_b64 s[24:25], s[26:27]
	s_cbranch_execz .LBB5_1974
.LBB5_1956:                             ;   in Loop: Header=BB5_1657 Depth=2
	s_and_saveexec_b64 s[12:13], s[56:57]
	s_xor_b64 s[26:27], exec, s[12:13]
	s_cbranch_execz .LBB5_1971
; %bb.1957:                             ;   in Loop: Header=BB5_1657 Depth=2
	s_and_saveexec_b64 s[28:29], s[14:15]
	s_cbranch_execz .LBB5_1970
; %bb.1958:                             ;   in Loop: Header=BB5_1657 Depth=2
	s_mov_b64 s[92:93], exec
	v_mbcnt_lo_u32_b32 v2, s92, 0
	v_mbcnt_hi_u32_b32 v2, s93, v2
	v_cmp_eq_u32_e32 vcc, 0, v2
	;;#ASMSTART
	s_waitcnt lgkmcnt(0) vmcnt(0)
	;;#ASMEND
	s_and_saveexec_b64 s[90:91], vcc
	s_cbranch_execz .LBB5_1960
; %bb.1959:                             ;   in Loop: Header=BB5_1657 Depth=2
	s_bcnt1_i32_b64 s12, s[92:93]
	v_mov_b32_e32 v2, s12
	s_waitcnt lgkmcnt(0)
	ds_add_u64 v0, v[2:3]
	s_trap 2
.LBB5_1960:                             ;   in Loop: Header=BB5_1657 Depth=2
	s_or_b64 exec, exec, s[90:91]
	s_trap 2
	ds_read_b64 v[8:9], v0
	s_waitcnt lgkmcnt(0)
	v_lshl_add_u64 v[38:39], v[38:39], 0, v[52:53]
	v_cmp_lt_u64_e32 vcc, v[8:9], v[38:39]
	s_and_saveexec_b64 s[90:91], vcc
	s_cbranch_execz .LBB5_1969
; %bb.1961:                             ;   in Loop: Header=BB5_1657 Depth=2
	s_mov_b32 s12, 0
	s_mov_b64 s[92:93], 0
                                        ; implicit-def: $sgpr94_sgpr95
                                        ; implicit-def: $sgpr30_sgpr31
	s_branch .LBB5_1963
.LBB5_1962:                             ;   in Loop: Header=BB5_1963 Depth=3
	s_or_b64 exec, exec, s[36:37]
	s_and_b64 vcc, exec, vcc
	s_or_b64 s[92:93], vcc, s[92:93]
	s_andn2_b64 s[94:95], s[94:95], exec
	s_and_b64 vcc, s[30:31], exec
	s_or_b64 s[94:95], s[94:95], vcc
	s_andn2_b64 exec, exec, s[92:93]
	s_cbranch_execz .LBB5_1967
.LBB5_1963:                             ;   Parent Loop BB5_47 Depth=1
                                        ;     Parent Loop BB5_1657 Depth=2
                                        ; =>    This Inner Loop Header: Depth=3
	s_add_i32 s12, s12, 1
	s_cmpk_lg_i32 s12, 0x2710
	s_cselect_b64 s[34:35], -1, 0
	s_and_b64 vcc, exec, s[34:35]
	s_cbranch_vccz .LBB5_1965
; %bb.1964:                             ;   in Loop: Header=BB5_1963 Depth=3
	s_mov_b64 vcc, -1
	s_or_b64 s[30:31], s[30:31], exec
	s_and_saveexec_b64 s[36:37], s[34:35]
	s_cbranch_execz .LBB5_1962
	s_branch .LBB5_1966
.LBB5_1965:                             ;   in Loop: Header=BB5_1963 Depth=3
	s_trap 2
	ds_read_b64 v[8:9], v0
	s_andn2_b64 s[34:35], s[34:35], exec
	s_mov_b32 s12, 0
	s_waitcnt vmcnt(0) lgkmcnt(0)
	flat_load_dword v2, v[8:9] sc0 sc1
	s_waitcnt vmcnt(0) lgkmcnt(0)
	buffer_inv sc0 sc1
	v_cmp_eq_u32_e32 vcc, 0, v2
	s_and_b64 vcc, vcc, exec
	s_or_b64 s[34:35], s[34:35], vcc
	s_mov_b64 vcc, -1
	s_or_b64 s[30:31], s[30:31], exec
	s_and_saveexec_b64 s[36:37], s[34:35]
	s_cbranch_execz .LBB5_1962
.LBB5_1966:                             ;   in Loop: Header=BB5_1963 Depth=3
	s_sleep 1
	s_trap 2
	ds_read_b64 v[8:9], v0
	s_waitcnt lgkmcnt(0)
	s_andn2_b64 s[30:31], s[30:31], exec
	v_cmp_ge_u64_e32 vcc, v[8:9], v[38:39]
	s_orn2_b64 vcc, vcc, exec
	s_branch .LBB5_1962
.LBB5_1967:                             ;   in Loop: Header=BB5_1657 Depth=2
	s_or_b64 exec, exec, s[92:93]
	s_and_saveexec_b64 s[12:13], s[94:95]
	s_xor_b64 s[12:13], exec, s[12:13]
	s_cbranch_execz .LBB5_1969
; %bb.1968:                             ;   in Loop: Header=BB5_1657 Depth=2
	ds_write_b32 v0, v63
	s_trap 2
.LBB5_1969:                             ;   in Loop: Header=BB5_1657 Depth=2
	s_or_b64 exec, exec, s[90:91]
	;;#ASMSTART
	s_wakeup
	;;#ASMEND
.LBB5_1970:                             ;   in Loop: Header=BB5_1657 Depth=2
	s_or_b64 exec, exec, s[28:29]
.LBB5_1971:                             ;   in Loop: Header=BB5_1657 Depth=2
	s_andn2_saveexec_b64 s[26:27], s[26:27]
	s_cbranch_execz .LBB5_1973
; %bb.1972:                             ;   in Loop: Header=BB5_1657 Depth=2
	;;#ASMSTART
	s_waitcnt lgkmcnt(0) vmcnt(0)
	;;#ASMEND
	s_barrier
.LBB5_1973:                             ;   in Loop: Header=BB5_1657 Depth=2
	s_or_b64 exec, exec, s[26:27]
	v_and_b32_e32 v2, 16, v58
.LBB5_1974:                             ;   in Loop: Header=BB5_1657 Depth=2
	s_or_b64 exec, exec, s[24:25]
	v_cmp_ne_u32_e32 vcc, 0, v2
	s_xor_b64 s[12:13], s[10:11], -1
	s_and_b64 s[12:13], vcc, s[12:13]
	s_and_saveexec_b64 s[24:25], s[12:13]
	s_cbranch_execz .LBB5_1976
; %bb.1975:                             ;   in Loop: Header=BB5_1657 Depth=2
	flat_store_dword v[36:37], v63 sc0 sc1
.LBB5_1976:                             ;   in Loop: Header=BB5_1657 Depth=2
	s_or_b64 exec, exec, s[24:25]
	v_and_b32_e32 v2, 48, v58
	v_cmp_ne_u32_e32 vcc, 0, v2
	s_and_saveexec_b64 s[24:25], vcc
	s_cbranch_execz .LBB5_1978
; %bb.1977:                             ;   in Loop: Header=BB5_1657 Depth=2
	v_lshl_add_u64 v[112:113], v[112:113], 0, 4
	flat_store_dwordx2 v[32:33], v[112:113] sc0 sc1
.LBB5_1978:                             ;   in Loop: Header=BB5_1657 Depth=2
	s_or_b64 exec, exec, s[24:25]
	v_mov_b32_e32 v2, v118
	s_or_b64 exec, exec, s[42:43]
	s_and_saveexec_b64 s[26:27], s[40:41]
	s_cbranch_execnz .LBB5_1664
.LBB5_1979:                             ;   in Loop: Header=BB5_1657 Depth=2
	s_or_b64 exec, exec, s[26:27]
	s_add_i32 s12, s45, 1
	s_cmp_eq_u32 s45, s98
	s_cbranch_scc1 .LBB5_1981
.LBB5_1980:                             ;   in Loop: Header=BB5_1657 Depth=2
	s_mov_b32 s45, s12
	s_branch .LBB5_1657
.LBB5_1981:                             ;   in Loop: Header=BB5_47 Depth=1
	v_mul_lo_u32 v2, v103, s96
	v_mul_lo_u32 v10, v102, s97
	v_mad_u64_u32 v[8:9], s[12:13], v102, s96, 0
	v_add3_u32 v9, v9, v10, v2
	v_sub_co_u32_e32 v10, vcc, v114, v8
	v_mov_b32_e32 v14, 0
	s_nop 0
	v_subb_co_u32_e32 v11, vcc, v115, v9, vcc
	v_cmp_lt_i64_e32 vcc, v[102:103], v[10:11]
	s_nop 1
	v_cndmask_b32_e32 v2, v10, v102, vcc
	v_max_i32_e32 v44, 0, v2
	v_add_u32_e32 v10, 15, v44
	v_ashrrev_i32_e32 v11, 31, v10
	v_lshrrev_b32_e32 v11, 28, v11
	v_add_u32_e32 v10, v10, v11
	v_cmp_gt_i32_e32 vcc, 1, v2
	v_and_b32_e32 v10, -16, v10
	s_or_b64 s[26:27], s[2:3], vcc
	v_max_i32_e32 v45, s67, v10
	s_xor_b64 s[12:13], s[26:27], -1
	s_and_saveexec_b64 s[28:29], s[12:13]
	s_cbranch_execz .LBB5_2148
; %bb.1982:                             ;   in Loop: Header=BB5_47 Depth=1
	s_and_saveexec_b64 s[24:25], s[0:1]
	s_cbranch_execz .LBB5_1984
; %bb.1983:                             ;   in Loop: Header=BB5_47 Depth=1
	s_trap 2
	ds_read_b128 v[10:13], v0
	v_lshl_add_u64 v[8:9], v[8:9], 0, v[116:117]
	v_lshlrev_b64 v[8:9], 1, v[8:9]
	s_waitcnt lgkmcnt(0)
	v_lshl_add_u64 v[10:11], v[10:11], 0, v[8:9]
	v_lshl_add_u64 v[8:9], v[12:13], 0, v[8:9]
	v_cmp_ne_u64_e32 vcc, 0, v[12:13]
	ds_write_b64 v0, v[10:11]
	s_nop 0
	v_cndmask_b32_e32 v9, 0, v9, vcc
	v_cndmask_b32_e32 v8, 0, v8, vcc
	ds_write_b64 v0, v[8:9]
.LBB5_1984:                             ;   in Loop: Header=BB5_47 Depth=1
	s_or_b64 exec, exec, s[24:25]
	v_and_b32_e32 v2, 4, v58
	v_cmp_ne_u32_e32 vcc, 0, v2
	s_and_saveexec_b64 s[40:41], vcc
	s_cbranch_execz .LBB5_2006
; %bb.1985:                             ;   in Loop: Header=BB5_47 Depth=1
	v_lshl_add_u64 v[8:9], v[112:113], 0, 4
	s_waitcnt vmcnt(0) lgkmcnt(0)
	v_cmp_lt_u64_e32 vcc, v[48:49], v[8:9]
	s_and_saveexec_b64 s[42:43], vcc
	s_cbranch_execz .LBB5_1997
; %bb.1986:                             ;   in Loop: Header=BB5_47 Depth=1
	v_and_b32_e32 v2, 64, v58
	s_mov_b32 s12, 0
	v_cmp_eq_u32_e32 vcc, 0, v2
	s_mov_b64 s[90:91], 0
                                        ; implicit-def: $sgpr92_sgpr93
                                        ; implicit-def: $sgpr94_sgpr95
                                        ; implicit-def: $sgpr30_sgpr31
	s_branch .LBB5_1990
.LBB5_1987:                             ;   in Loop: Header=BB5_1990 Depth=2
	s_waitcnt vmcnt(0) lgkmcnt(0)
	v_cmp_ge_u64_e64 s[24:25], v[48:49], v[8:9]
	s_or_b64 s[38:39], s[38:39], exec
	s_orn2_b64 s[36:37], s[24:25], exec
.LBB5_1988:                             ;   in Loop: Header=BB5_1990 Depth=2
	s_or_b64 exec, exec, s[50:51]
	s_andn2_b64 s[24:25], s[30:31], exec
	s_and_b64 s[30:31], s[38:39], exec
	s_or_b64 s[30:31], s[24:25], s[30:31]
	s_andn2_b64 s[24:25], s[94:95], exec
	s_and_b64 s[94:95], s[36:37], exec
	s_or_b64 s[94:95], s[24:25], s[94:95]
.LBB5_1989:                             ;   in Loop: Header=BB5_1990 Depth=2
	s_or_b64 exec, exec, s[34:35]
	s_and_b64 s[24:25], exec, s[94:95]
	s_or_b64 s[90:91], s[24:25], s[90:91]
	s_andn2_b64 s[24:25], s[92:93], exec
	s_and_b64 s[92:93], s[30:31], exec
	s_or_b64 s[92:93], s[24:25], s[92:93]
	s_andn2_b64 exec, exec, s[90:91]
	s_cbranch_execz .LBB5_1994
.LBB5_1990:                             ;   Parent Loop BB5_47 Depth=1
                                        ; =>  This Inner Loop Header: Depth=2
	s_sleep 1
	s_waitcnt vmcnt(0) lgkmcnt(0)
	flat_load_dwordx2 v[48:49], v[32:33] sc0 sc1
	s_or_b64 s[30:31], s[30:31], exec
	s_or_b64 s[94:95], s[94:95], exec
                                        ; implicit-def: $vgpr2
	s_and_saveexec_b64 s[34:35], vcc
	s_cbranch_execz .LBB5_1989
; %bb.1991:                             ;   in Loop: Header=BB5_1990 Depth=2
	s_cmpk_lt_i32 s12, 0x270f
	s_cselect_b64 s[48:49], -1, 0
	s_cmpk_gt_i32 s12, 0x270e
	s_mov_b64 s[36:37], -1
	s_cbranch_scc0 .LBB5_1993
; %bb.1992:                             ;   in Loop: Header=BB5_1990 Depth=2
	s_trap 2
	ds_read_b64 v[10:11], v0
	s_andn2_b64 s[48:49], s[48:49], exec
	s_mov_b32 s12, 0
	s_mov_b64 s[38:39], 0
	s_waitcnt vmcnt(0) lgkmcnt(0)
	flat_load_dword v2, v[10:11] sc0 sc1
	s_waitcnt vmcnt(0) lgkmcnt(0)
	buffer_inv sc0 sc1
	v_cmp_eq_u32_e64 s[24:25], 0, v2
	s_and_b64 s[24:25], s[24:25], exec
	s_or_b64 s[48:49], s[48:49], s[24:25]
	s_and_saveexec_b64 s[50:51], s[48:49]
	s_cbranch_execz .LBB5_1988
	s_branch .LBB5_1987
.LBB5_1993:                             ;   in Loop: Header=BB5_1990 Depth=2
	s_add_i32 s12, s12, 1
	s_mov_b64 s[38:39], -1
                                        ; implicit-def: $vgpr2
	s_and_saveexec_b64 s[50:51], s[48:49]
	s_cbranch_execz .LBB5_1988
	s_branch .LBB5_1987
.LBB5_1994:                             ;   in Loop: Header=BB5_47 Depth=1
	s_or_b64 exec, exec, s[90:91]
	s_xor_b64 s[12:13], s[92:93], -1
	s_and_saveexec_b64 s[24:25], s[12:13]
	s_xor_b64 s[24:25], exec, s[24:25]
	s_cbranch_execz .LBB5_1996
; %bb.1995:                             ;   in Loop: Header=BB5_47 Depth=1
	v_or_b32_e32 v58, 64, v58
	s_waitcnt lgkmcnt(0)
	ds_write_b32 v0, v2
	s_trap 2
.LBB5_1996:                             ;   in Loop: Header=BB5_47 Depth=1
	s_or_b64 exec, exec, s[24:25]
.LBB5_1997:                             ;   in Loop: Header=BB5_47 Depth=1
	s_or_b64 exec, exec, s[42:43]
	v_and_b32_e32 v2, 0x100, v58
	v_cmp_ne_u32_e32 vcc, 0, v2
	v_and_b32_e32 v2, 7, v112
	s_mov_b64 s[24:25], -1
	;;#ASMSTART
	s_wakeup
	;;#ASMEND
                                        ; implicit-def: $vgpr10_vgpr11
	s_and_saveexec_b64 s[42:43], vcc
	s_cbranch_execz .LBB5_2001
; %bb.1998:                             ;   in Loop: Header=BB5_47 Depth=1
	v_mad_u64_u32 v[12:13], s[12:13], v2, 24, v[6:7]
	flat_load_dword v10, v[12:13]
	s_waitcnt vmcnt(0) lgkmcnt(0)
	v_cmp_ne_u32_e32 vcc, 1, v10
	v_cmp_eq_u32_e64 s[24:25], 1, v10
                                        ; implicit-def: $vgpr10_vgpr11
	s_and_saveexec_b64 s[90:91], s[24:25]
	s_cbranch_execz .LBB5_2000
; %bb.1999:                             ;   in Loop: Header=BB5_47 Depth=1
	flat_load_dword v10, v[12:13] offset:4 sc0 sc1
	s_waitcnt vmcnt(0) lgkmcnt(0)
	v_ashrrev_i32_e32 v11, 31, v10
	v_lshrrev_b64 v[10:11], 1, v[10:11]
.LBB5_2000:                             ;   in Loop: Header=BB5_47 Depth=1
	s_or_b64 exec, exec, s[90:91]
	s_orn2_b64 s[24:25], vcc, exec
.LBB5_2001:                             ;   in Loop: Header=BB5_47 Depth=1
	s_or_b64 exec, exec, s[42:43]
	s_and_saveexec_b64 s[42:43], s[24:25]
; %bb.2002:                             ;   in Loop: Header=BB5_47 Depth=1
	v_mad_i64_i32 v[10:11], s[12:13], v2, v30, 0
; %bb.2003:                             ;   in Loop: Header=BB5_47 Depth=1
	s_or_b64 exec, exec, s[42:43]
	v_and_b32_e32 v2, 0x2000, v58
	v_lshl_add_u64 v[10:11], v[10:11], 1, v[34:35]
	v_cmp_ne_u32_e32 vcc, 0, v2
	ds_write_b64 v0, v[10:11] offset:720
	s_and_saveexec_b64 s[24:25], vcc
	s_cbranch_execz .LBB5_2005
; %bb.2004:                             ;   in Loop: Header=BB5_47 Depth=1
	ds_read_b64 v[10:11], v0 offset:872
	s_waitcnt lgkmcnt(0)
	v_lshl_add_u64 v[10:11], v[10:11], 0, 1
	ds_write_b64 v0, v[10:11] offset:872
.LBB5_2005:                             ;   in Loop: Header=BB5_47 Depth=1
	s_or_b64 exec, exec, s[24:25]
	v_mov_b64_e32 v[112:113], v[8:9]
.LBB5_2006:                             ;   in Loop: Header=BB5_47 Depth=1
	s_or_b64 exec, exec, s[40:41]
	s_and_saveexec_b64 s[24:25], s[6:7]
	s_cbranch_execz .LBB5_2025
; %bb.2007:                             ;   in Loop: Header=BB5_47 Depth=1
	s_and_saveexec_b64 s[12:13], s[56:57]
	s_xor_b64 s[40:41], exec, s[12:13]
	s_cbranch_execz .LBB5_2022
; %bb.2008:                             ;   in Loop: Header=BB5_47 Depth=1
	s_and_saveexec_b64 s[42:43], s[14:15]
	s_cbranch_execz .LBB5_2021
; %bb.2009:                             ;   in Loop: Header=BB5_47 Depth=1
	s_mov_b64 s[92:93], exec
	v_mbcnt_lo_u32_b32 v2, s92, 0
	v_mbcnt_hi_u32_b32 v2, s93, v2
	v_cmp_eq_u32_e32 vcc, 0, v2
	s_waitcnt lgkmcnt(0)
	s_and_saveexec_b64 s[90:91], vcc
	s_cbranch_execz .LBB5_2011
; %bb.2010:                             ;   in Loop: Header=BB5_47 Depth=1
	s_bcnt1_i32_b64 s12, s[92:93]
	v_mov_b32_e32 v2, s12
	ds_add_u64 v0, v[2:3]
	s_trap 2
.LBB5_2011:                             ;   in Loop: Header=BB5_47 Depth=1
	s_or_b64 exec, exec, s[90:91]
	s_trap 2
	ds_read_b64 v[8:9], v0
	s_waitcnt lgkmcnt(0)
	v_lshl_add_u64 v[38:39], v[38:39], 0, v[52:53]
	v_cmp_lt_u64_e32 vcc, v[8:9], v[38:39]
	s_and_saveexec_b64 s[90:91], vcc
	s_cbranch_execz .LBB5_2020
; %bb.2012:                             ;   in Loop: Header=BB5_47 Depth=1
	s_mov_b32 s12, 0
	s_mov_b64 s[92:93], 0
                                        ; implicit-def: $sgpr94_sgpr95
                                        ; implicit-def: $sgpr30_sgpr31
	s_branch .LBB5_2014
.LBB5_2013:                             ;   in Loop: Header=BB5_2014 Depth=2
	s_or_b64 exec, exec, s[36:37]
	s_and_b64 vcc, exec, vcc
	s_or_b64 s[92:93], vcc, s[92:93]
	s_andn2_b64 s[94:95], s[94:95], exec
	s_and_b64 vcc, s[30:31], exec
	s_or_b64 s[94:95], s[94:95], vcc
	s_andn2_b64 exec, exec, s[92:93]
	s_cbranch_execz .LBB5_2018
.LBB5_2014:                             ;   Parent Loop BB5_47 Depth=1
                                        ; =>  This Inner Loop Header: Depth=2
	s_add_i32 s12, s12, 1
	s_cmpk_lg_i32 s12, 0x2710
	s_cselect_b64 s[34:35], -1, 0
	s_and_b64 vcc, exec, s[34:35]
	s_cbranch_vccz .LBB5_2016
; %bb.2015:                             ;   in Loop: Header=BB5_2014 Depth=2
	s_mov_b64 vcc, -1
	s_or_b64 s[30:31], s[30:31], exec
	s_and_saveexec_b64 s[36:37], s[34:35]
	s_cbranch_execz .LBB5_2013
	s_branch .LBB5_2017
.LBB5_2016:                             ;   in Loop: Header=BB5_2014 Depth=2
	s_trap 2
	ds_read_b64 v[8:9], v0
	s_andn2_b64 s[34:35], s[34:35], exec
	s_mov_b32 s12, 0
	s_waitcnt vmcnt(0) lgkmcnt(0)
	flat_load_dword v2, v[8:9] sc0 sc1
	s_waitcnt vmcnt(0) lgkmcnt(0)
	buffer_inv sc0 sc1
	v_cmp_eq_u32_e32 vcc, 0, v2
	s_and_b64 vcc, vcc, exec
	s_or_b64 s[34:35], s[34:35], vcc
	s_mov_b64 vcc, -1
	s_or_b64 s[30:31], s[30:31], exec
	s_and_saveexec_b64 s[36:37], s[34:35]
	s_cbranch_execz .LBB5_2013
.LBB5_2017:                             ;   in Loop: Header=BB5_2014 Depth=2
	s_sleep 1
	s_trap 2
	ds_read_b64 v[8:9], v0
	s_waitcnt lgkmcnt(0)
	s_andn2_b64 s[30:31], s[30:31], exec
	v_cmp_ge_u64_e32 vcc, v[8:9], v[38:39]
	s_orn2_b64 vcc, vcc, exec
	s_branch .LBB5_2013
.LBB5_2018:                             ;   in Loop: Header=BB5_47 Depth=1
	s_or_b64 exec, exec, s[92:93]
	s_and_saveexec_b64 s[12:13], s[94:95]
	s_xor_b64 s[12:13], exec, s[12:13]
	s_cbranch_execz .LBB5_2020
; %bb.2019:                             ;   in Loop: Header=BB5_47 Depth=1
	ds_write_b32 v0, v63
	s_trap 2
.LBB5_2020:                             ;   in Loop: Header=BB5_47 Depth=1
	s_or_b64 exec, exec, s[90:91]
	;;#ASMSTART
	s_wakeup
	;;#ASMEND
.LBB5_2021:                             ;   in Loop: Header=BB5_47 Depth=1
	s_or_b64 exec, exec, s[42:43]
.LBB5_2022:                             ;   in Loop: Header=BB5_47 Depth=1
	s_andn2_saveexec_b64 s[40:41], s[40:41]
	s_cbranch_execz .LBB5_2024
; %bb.2023:                             ;   in Loop: Header=BB5_47 Depth=1
	s_waitcnt lgkmcnt(0)
	s_barrier
.LBB5_2024:                             ;   in Loop: Header=BB5_47 Depth=1
	s_or_b64 exec, exec, s[40:41]
.LBB5_2025:                             ;   in Loop: Header=BB5_47 Depth=1
	s_or_b64 exec, exec, s[24:25]
	s_trap 2
	ds_read_b32 v8, v0
	v_and_b32_e32 v2, 0x4000, v58
	v_cmp_ne_u32_e32 vcc, 0, v2
	s_xor_b64 s[12:13], s[4:5], -1
	s_and_b64 s[12:13], s[12:13], vcc
	s_and_saveexec_b64 s[24:25], s[12:13]
	s_cbranch_execz .LBB5_2044
; %bb.2026:                             ;   in Loop: Header=BB5_47 Depth=1
	s_and_saveexec_b64 s[12:13], s[56:57]
	s_xor_b64 s[40:41], exec, s[12:13]
	s_cbranch_execz .LBB5_2041
; %bb.2027:                             ;   in Loop: Header=BB5_47 Depth=1
	s_and_saveexec_b64 s[42:43], s[14:15]
	s_cbranch_execz .LBB5_2040
; %bb.2028:                             ;   in Loop: Header=BB5_47 Depth=1
	s_mov_b64 s[92:93], exec
	v_mbcnt_lo_u32_b32 v2, s92, 0
	v_mbcnt_hi_u32_b32 v2, s93, v2
	v_cmp_eq_u32_e32 vcc, 0, v2
	s_waitcnt lgkmcnt(0)
	s_and_saveexec_b64 s[90:91], vcc
	s_cbranch_execz .LBB5_2030
; %bb.2029:                             ;   in Loop: Header=BB5_47 Depth=1
	s_bcnt1_i32_b64 s12, s[92:93]
	v_mov_b32_e32 v2, s12
	ds_add_u64 v0, v[2:3]
	s_trap 2
.LBB5_2030:                             ;   in Loop: Header=BB5_47 Depth=1
	s_or_b64 exec, exec, s[90:91]
	s_trap 2
	ds_read_b64 v[10:11], v0
	s_waitcnt lgkmcnt(0)
	v_lshl_add_u64 v[38:39], v[38:39], 0, v[52:53]
	v_cmp_lt_u64_e32 vcc, v[10:11], v[38:39]
	s_and_saveexec_b64 s[90:91], vcc
	s_cbranch_execz .LBB5_2039
; %bb.2031:                             ;   in Loop: Header=BB5_47 Depth=1
	s_mov_b32 s12, 0
	s_mov_b64 s[92:93], 0
                                        ; implicit-def: $sgpr94_sgpr95
                                        ; implicit-def: $sgpr30_sgpr31
	s_branch .LBB5_2033
.LBB5_2032:                             ;   in Loop: Header=BB5_2033 Depth=2
	s_or_b64 exec, exec, s[36:37]
	s_and_b64 vcc, exec, vcc
	s_or_b64 s[92:93], vcc, s[92:93]
	s_andn2_b64 s[94:95], s[94:95], exec
	s_and_b64 vcc, s[30:31], exec
	s_or_b64 s[94:95], s[94:95], vcc
	s_andn2_b64 exec, exec, s[92:93]
	s_cbranch_execz .LBB5_2037
.LBB5_2033:                             ;   Parent Loop BB5_47 Depth=1
                                        ; =>  This Inner Loop Header: Depth=2
	s_add_i32 s12, s12, 1
	s_cmpk_lg_i32 s12, 0x2710
	s_cselect_b64 s[34:35], -1, 0
	s_and_b64 vcc, exec, s[34:35]
	s_cbranch_vccz .LBB5_2035
; %bb.2034:                             ;   in Loop: Header=BB5_2033 Depth=2
	s_mov_b64 vcc, -1
	s_or_b64 s[30:31], s[30:31], exec
	s_and_saveexec_b64 s[36:37], s[34:35]
	s_cbranch_execz .LBB5_2032
	s_branch .LBB5_2036
.LBB5_2035:                             ;   in Loop: Header=BB5_2033 Depth=2
	s_trap 2
	ds_read_b64 v[10:11], v0
	s_andn2_b64 s[34:35], s[34:35], exec
	s_mov_b32 s12, 0
	s_waitcnt vmcnt(0) lgkmcnt(0)
	flat_load_dword v2, v[10:11] sc0 sc1
	s_waitcnt vmcnt(0) lgkmcnt(0)
	buffer_inv sc0 sc1
	v_cmp_eq_u32_e32 vcc, 0, v2
	s_and_b64 vcc, vcc, exec
	s_or_b64 s[34:35], s[34:35], vcc
	s_mov_b64 vcc, -1
	s_or_b64 s[30:31], s[30:31], exec
	s_and_saveexec_b64 s[36:37], s[34:35]
	s_cbranch_execz .LBB5_2032
.LBB5_2036:                             ;   in Loop: Header=BB5_2033 Depth=2
	s_sleep 1
	s_trap 2
	ds_read_b64 v[10:11], v0
	s_waitcnt lgkmcnt(0)
	s_andn2_b64 s[30:31], s[30:31], exec
	v_cmp_ge_u64_e32 vcc, v[10:11], v[38:39]
	s_orn2_b64 vcc, vcc, exec
	s_branch .LBB5_2032
.LBB5_2037:                             ;   in Loop: Header=BB5_47 Depth=1
	s_or_b64 exec, exec, s[92:93]
	s_and_saveexec_b64 s[12:13], s[94:95]
	s_xor_b64 s[12:13], exec, s[12:13]
	s_cbranch_execz .LBB5_2039
; %bb.2038:                             ;   in Loop: Header=BB5_47 Depth=1
	ds_write_b32 v0, v63
	s_trap 2
.LBB5_2039:                             ;   in Loop: Header=BB5_47 Depth=1
	s_or_b64 exec, exec, s[90:91]
	;;#ASMSTART
	s_wakeup
	;;#ASMEND
.LBB5_2040:                             ;   in Loop: Header=BB5_47 Depth=1
	s_or_b64 exec, exec, s[42:43]
.LBB5_2041:                             ;   in Loop: Header=BB5_47 Depth=1
	s_andn2_saveexec_b64 s[40:41], s[40:41]
	s_cbranch_execz .LBB5_2043
; %bb.2042:                             ;   in Loop: Header=BB5_47 Depth=1
	s_waitcnt lgkmcnt(0)
	s_barrier
.LBB5_2043:                             ;   in Loop: Header=BB5_47 Depth=1
	s_or_b64 exec, exec, s[40:41]
.LBB5_2044:                             ;   in Loop: Header=BB5_47 Depth=1
	s_or_b64 exec, exec, s[24:25]
	s_trap 2
	ds_read_b64 v[114:115], v0
	v_min_i32_e32 v45, v45, v44
	s_waitcnt lgkmcnt(0)
	v_cmp_eq_u64_e32 vcc, 0, v[114:115]
	s_cbranch_vccnz .LBB5_2052
; %bb.2045:                             ;   in Loop: Header=BB5_47 Depth=1
	s_trap 2
	ds_read_b64 v[116:117], v0
	s_waitcnt lgkmcnt(0)
	v_cmp_eq_u64_e32 vcc, 0, v[116:117]
	s_cbranch_vccnz .LBB5_2052
; %bb.2046:                             ;   in Loop: Header=BB5_47 Depth=1
	s_mov_b64 s[40:41], -1
	s_and_saveexec_b64 s[24:25], s[18:19]
	s_cbranch_execz .LBB5_2048
; %bb.2047:                             ;   in Loop: Header=BB5_47 Depth=1
	ds_read_b32 v2, v0 offset:720
	s_waitcnt lgkmcnt(0)
	v_and_b32_e32 v2, 15, v2
	v_cmp_eq_u32_e32 vcc, 0, v2
	s_orn2_b64 s[40:41], vcc, exec
.LBB5_2048:                             ;   in Loop: Header=BB5_47 Depth=1
	s_or_b64 exec, exec, s[24:25]
	s_and_saveexec_b64 s[24:25], s[16:17]
	s_cbranch_execz .LBB5_2050
; %bb.2049:                             ;   in Loop: Header=BB5_47 Depth=1
	ds_read_b32 v2, v0 offset:784
	s_waitcnt lgkmcnt(0)
	v_and_b32_e32 v2, 15, v2
	v_cmp_eq_u32_e32 vcc, 0, v2
	s_and_b64 s[12:13], s[40:41], vcc
	s_andn2_b64 s[40:41], s[40:41], exec
	s_and_b64 s[12:13], s[12:13], exec
	s_or_b64 s[40:41], s[40:41], s[12:13]
.LBB5_2050:                             ;   in Loop: Header=BB5_47 Depth=1
	s_or_b64 exec, exec, s[24:25]
	s_xor_b64 s[12:13], s[40:41], -1
	v_cndmask_b32_e64 v2, 0, 1, s[12:13]
	v_cmp_eq_u32_e64 s[24:25], 0, v8
	s_mov_b64 s[42:43], -1
	v_cmp_ne_u32_e32 vcc, 0, v2
	s_cbranch_vccz .LBB5_2057
; %bb.2051:                             ;   in Loop: Header=BB5_47 Depth=1
	s_mov_b64 s[42:43], 0
	s_mov_b64 s[40:41], -1
	s_branch .LBB5_2058
.LBB5_2052:                             ;   in Loop: Header=BB5_47 Depth=1
	s_mov_b64 s[24:25], 0
	s_and_saveexec_b64 s[40:41], s[6:7]
	s_cbranch_execnz .LBB5_2108
.LBB5_2053:                             ;   in Loop: Header=BB5_47 Depth=1
	s_or_b64 exec, exec, s[40:41]
	s_and_saveexec_b64 s[12:13], s[22:23]
	s_xor_b64 s[40:41], exec, s[12:13]
	s_cbranch_execz .LBB5_2126
.LBB5_2054:                             ;   in Loop: Header=BB5_47 Depth=1
	v_and_b32_e32 v2, 16, v58
	v_cmp_ne_u32_e32 vcc, 0, v2
	s_and_b64 s[12:13], vcc, s[24:25]
	s_and_saveexec_b64 s[24:25], s[12:13]
	s_cbranch_execz .LBB5_2056
; %bb.2055:                             ;   in Loop: Header=BB5_47 Depth=1
	buffer_wbl2 sc1
	s_waitcnt vmcnt(0) lgkmcnt(0)
	buffer_inv sc1
.LBB5_2056:                             ;   in Loop: Header=BB5_47 Depth=1
	s_or_b64 exec, exec, s[24:25]
	s_andn2_saveexec_b64 s[24:25], s[40:41]
	s_cbranch_execz .LBB5_2145
	s_branch .LBB5_2127
.LBB5_2057:                             ;   in Loop: Header=BB5_47 Depth=1
	s_mov_b64 s[40:41], 0
.LBB5_2058:                             ;   in Loop: Header=BB5_47 Depth=1
	v_cndmask_b32_e64 v2, 0, v45, s[24:25]
	v_lshlrev_b32_e32 v46, 1, v2
	s_andn2_b64 vcc, exec, s[42:43]
	v_mov_b32_e32 v14, 0
	s_cbranch_vccnz .LBB5_2066
; %bb.2059:                             ;   in Loop: Header=BB5_47 Depth=1
	v_ashrrev_i32_e32 v8, 31, v46
	v_lshrrev_b32_e32 v8, 21, v8
	v_add_u32_e32 v8, v46, v8
	v_ashrrev_i32_e32 v47, 11, v8
	v_sub_u32_e32 v42, v47, v60
	v_lshl_add_u64 v[118:119], v[116:117], 0, v[66:67]
	v_cmp_lt_i32_e32 vcc, 0, v42
	s_mov_b64 s[42:43], 0
                                        ; implicit-def: $vgpr8_vgpr9
                                        ; implicit-def: $vgpr12_vgpr13
	s_and_saveexec_b64 s[24:25], vcc
	s_cbranch_execz .LBB5_2068
; %bb.2060:                             ;   in Loop: Header=BB5_47 Depth=1
	v_lshl_add_u64 v[40:41], v[114:115], 0, v[66:67]
	s_mov_b64 s[92:93], 0
                                        ; implicit-def: $sgpr90_sgpr91
                                        ; implicit-def: $vgpr8_vgpr9
                                        ; implicit-def: $vgpr12_vgpr13
	s_branch .LBB5_2062
.LBB5_2061:                             ;   in Loop: Header=BB5_2062 Depth=2
	s_or_b64 exec, exec, s[94:95]
	s_waitcnt vmcnt(0)
	global_store_dwordx4 v[118:119], v[16:19], off
	global_store_dwordx4 v[118:119], v[20:23], off offset:1024
	v_lshl_add_u64 v[40:41], v[40:41], 0, v[42:43]
	v_lshl_add_u64 v[16:17], v[118:119], 0, v[42:43]
	v_sub_u32_e32 v42, v56, v57
	v_cmp_gt_i32_e32 vcc, 1, v42
	s_or_b64 s[42:43], vcc, s[42:43]
	s_andn2_b64 s[12:13], s[90:91], exec
	s_and_b64 s[90:91], s[92:93], exec
	v_lshl_add_u64 v[118:119], v[16:17], 0, s[58:59]
	s_or_b64 s[90:91], s[12:13], s[90:91]
	s_andn2_b64 exec, exec, s[42:43]
	s_cbranch_execz .LBB5_2067
.LBB5_2062:                             ;   Parent Loop BB5_47 Depth=1
                                        ; =>  This Inner Loop Header: Depth=2
	global_load_dwordx4 v[16:19], v[40:41], off nt
	global_load_dwordx4 v[20:23], v[40:41], off offset:1024 nt
	s_and_saveexec_b64 s[94:95], s[92:93]
	s_cbranch_execz .LBB5_2064
; %bb.2063:                             ;   in Loop: Header=BB5_2062 Depth=2
	v_lshl_add_u64 v[56:57], v[118:119], 0, v[84:85]
	global_store_dwordx4 v[118:119], v[8:11], off
	global_store_dwordx4 v[118:119], v[12:15], off offset:1024
	v_mov_b64_e32 v[118:119], v[56:57]
.LBB5_2064:                             ;   in Loop: Header=BB5_2062 Depth=2
	s_or_b64 exec, exec, s[94:95]
	v_sub_u32_e32 v56, v42, v52
	v_lshl_add_u64 v[40:41], v[40:41], 0, v[84:85]
	v_mov_b32_e32 v57, 0
	v_cmp_lt_i32_e64 s[92:93], 0, v56
	v_mov_b64_e32 v[42:43], 0
	s_and_saveexec_b64 s[94:95], s[92:93]
	s_cbranch_execz .LBB5_2061
; %bb.2065:                             ;   in Loop: Header=BB5_2062 Depth=2
	global_load_dwordx4 v[8:11], v[40:41], off nt
	global_load_dwordx4 v[12:15], v[40:41], off offset:1024 nt
	v_lshl_add_u64 v[40:41], v[40:41], 0, s[58:59]
	v_mov_b32_e32 v57, v52
	v_mov_b64_e32 v[42:43], v[68:69]
	s_branch .LBB5_2061
.LBB5_2066:                             ;   in Loop: Header=BB5_47 Depth=1
	v_mov_b32_e32 v8, v0
	v_mov_b32_e32 v15, v59
	s_and_saveexec_b64 s[24:25], s[40:41]
	s_cbranch_execnz .LBB5_2087
	s_branch .LBB5_2107
.LBB5_2067:                             ;   in Loop: Header=BB5_47 Depth=1
	s_or_b64 exec, exec, s[42:43]
	s_and_b64 s[42:43], s[90:91], exec
.LBB5_2068:                             ;   in Loop: Header=BB5_47 Depth=1
	s_or_b64 exec, exec, s[24:25]
	s_and_saveexec_b64 s[24:25], s[42:43]
	s_cbranch_execz .LBB5_2070
; %bb.2069:                             ;   in Loop: Header=BB5_47 Depth=1
	global_store_dwordx4 v[118:119], v[8:11], off
	global_store_dwordx4 v[118:119], v[12:15], off offset:1024
.LBB5_2070:                             ;   in Loop: Header=BB5_47 Depth=1
	s_or_b64 exec, exec, s[24:25]
	v_lshlrev_b32_e32 v20, 11, v47
	v_cmp_ne_u32_e32 vcc, v46, v20
                                        ; implicit-def: $vgpr14
                                        ; implicit-def: $vgpr8
                                        ; implicit-def: $vgpr15
	s_and_saveexec_b64 s[42:43], vcc
	s_cbranch_execz .LBB5_2086
; %bb.2071:                             ;   in Loop: Header=BB5_47 Depth=1
	v_lshlrev_b32_e32 v9, 6, v42
	v_sub_u32_e32 v9, v59, v9
	v_ashrrev_i32_e32 v10, 31, v9
	v_lshrrev_b32_e32 v10, 26, v10
	v_add_u32_e32 v10, v9, v10
	v_ashrrev_i32_e32 v11, 6, v10
	v_and_b32_e32 v10, 0xffffffc0, v10
	v_sub_u32_e32 v21, v9, v10
	v_lshlrev_b32_e32 v9, 4, v21
	v_sub_u32_e32 v8, v46, v20
	v_lshl_add_u32 v9, v11, 10, v9
	v_add_u32_e32 v10, v9, v20
	v_sub_u32_e32 v119, v8, v9
	v_ashrrev_i32_e32 v9, 31, v8
	v_lshrrev_b32_e32 v9, 22, v9
	v_add_u32_e32 v9, v8, v9
	v_and_b32_e32 v22, 0xfffffc00, v9
	v_sub_u32_e32 v118, v8, v22
	v_ashrrev_i32_e32 v12, 10, v9
	v_cmp_lt_i32_e32 vcc, 15, v118
	s_mov_b64 s[92:93], 0
	s_nop 0
	v_addc_co_u32_e64 v8, s[24:25], 0, v12, vcc
	v_sub_u32_e32 v23, v8, v11
	v_ashrrev_i32_e32 v11, 31, v10
	v_lshl_add_u64 v[16:17], v[10:11], 0, v[116:117]
	v_cmp_lt_i32_e64 s[24:25], 15, v119
                                        ; implicit-def: $vgpr8_vgpr9
	s_and_saveexec_b64 s[90:91], s[24:25]
	s_cbranch_execz .LBB5_2081
; %bb.2072:                             ;   in Loop: Header=BB5_47 Depth=1
	v_lshl_add_u64 v[18:19], v[10:11], 0, v[114:115]
	s_mov_b64 s[30:31], 0
                                        ; implicit-def: $sgpr94_sgpr95
                                        ; implicit-def: $vgpr8_vgpr9
	s_branch .LBB5_2074
.LBB5_2073:                             ;   in Loop: Header=BB5_2074 Depth=2
	s_or_b64 exec, exec, s[24:25]
	v_cmp_gt_i32_e64 s[24:25], 16, v119
	s_or_b64 s[92:93], s[24:25], s[92:93]
	s_andn2_b64 s[12:13], s[94:95], exec
	s_and_b64 s[24:25], s[30:31], exec
	s_or_b64 s[94:95], s[12:13], s[24:25]
	s_andn2_b64 exec, exec, s[92:93]
	s_cbranch_execz .LBB5_2080
.LBB5_2074:                             ;   Parent Loop BB5_47 Depth=1
                                        ; =>  This Inner Loop Header: Depth=2
	global_load_dwordx4 v[12:15], v[18:19], off nt
	s_and_saveexec_b64 s[24:25], s[30:31]
	s_cbranch_execz .LBB5_2076
; %bb.2075:                             ;   in Loop: Header=BB5_2074 Depth=2
	v_lshl_add_u64 v[40:41], v[16:17], 0, v[96:97]
	global_store_dwordx4 v[16:17], v[8:11], off
	v_mov_b64_e32 v[16:17], v[40:41]
.LBB5_2076:                             ;   in Loop: Header=BB5_2074 Depth=2
	s_or_b64 exec, exec, s[24:25]
	v_sub_u32_e32 v119, v119, v61
	v_lshl_add_u64 v[18:19], v[18:19], 0, v[96:97]
	v_cmp_lt_i32_e64 s[30:31], 15, v119
	s_and_saveexec_b64 s[24:25], s[30:31]
	s_cbranch_execz .LBB5_2078
; %bb.2077:                             ;   in Loop: Header=BB5_2074 Depth=2
	global_load_dwordx4 v[8:11], v[18:19], off nt
	v_lshl_add_u64 v[18:19], v[18:19], 0, s[60:61]
.LBB5_2078:                             ;   in Loop: Header=BB5_2074 Depth=2
	s_or_b64 exec, exec, s[24:25]
	v_sub_u32_e32 v23, v23, v52
	s_waitcnt vmcnt(0)
	global_store_dwordx4 v[16:17], v[12:15], off
	v_lshl_add_u64 v[16:17], v[16:17], 0, s[60:61]
	s_and_saveexec_b64 s[24:25], s[30:31]
	s_cbranch_execz .LBB5_2073
; %bb.2079:                             ;   in Loop: Header=BB5_2074 Depth=2
	v_sub_u32_e32 v23, v23, v52
	v_sub_u32_e32 v119, v119, v61
	v_lshl_add_u64 v[18:19], v[18:19], 0, v[80:81]
	v_lshl_add_u64 v[16:17], v[16:17], 0, v[80:81]
	s_branch .LBB5_2073
.LBB5_2080:                             ;   in Loop: Header=BB5_47 Depth=1
	s_or_b64 exec, exec, s[92:93]
	s_and_b64 s[92:93], s[94:95], exec
.LBB5_2081:                             ;   in Loop: Header=BB5_47 Depth=1
	s_or_b64 exec, exec, s[90:91]
	s_and_saveexec_b64 s[24:25], s[92:93]
	s_cbranch_execz .LBB5_2083
; %bb.2082:                             ;   in Loop: Header=BB5_47 Depth=1
	global_store_dwordx4 v[16:17], v[8:11], off
.LBB5_2083:                             ;   in Loop: Header=BB5_47 Depth=1
	s_or_b64 exec, exec, s[24:25]
	s_nop 0
	v_and_b32_e32 v9, 14, v46
	v_cndmask_b32_e32 v46, v118, v9, vcc
	v_cmp_ne_u32_e64 s[24:25], 0, v46
	s_mov_b64 s[92:93], s[40:41]
                                        ; implicit-def: $vgpr14
                                        ; implicit-def: $vgpr8
                                        ; implicit-def: $vgpr15
	s_and_saveexec_b64 s[90:91], s[24:25]
	s_cbranch_execz .LBB5_2085
; %bb.2084:                             ;   in Loop: Header=BB5_47 Depth=1
	v_sub_u32_e32 v8, v118, v9
	v_cndmask_b32_e32 v8, 0, v8, vcc
	v_cmp_lt_i32_e32 vcc, 0, v23
	v_add3_u32 v14, v22, v20, v8
	s_or_b64 s[92:93], s[40:41], exec
	v_cndmask_b32_e32 v8, 0, v52, vcc
	v_sub_u32_e32 v8, v8, v23
	v_lshl_add_u32 v8, v8, 6, v21
	v_ashrrev_i32_e32 v9, 31, v8
	v_lshrrev_b32_e32 v9, 26, v9
	v_add_u32_e32 v9, v8, v9
	v_and_b32_e32 v9, 0xffffffc0, v9
	v_sub_u32_e32 v15, v8, v9
.LBB5_2085:                             ;   in Loop: Header=BB5_47 Depth=1
	s_or_b64 exec, exec, s[90:91]
	s_andn2_b64 s[12:13], s[40:41], exec
	s_and_b64 s[24:25], s[92:93], exec
	s_or_b64 s[40:41], s[12:13], s[24:25]
.LBB5_2086:                             ;   in Loop: Header=BB5_47 Depth=1
	s_or_b64 exec, exec, s[42:43]
	s_and_saveexec_b64 s[24:25], s[40:41]
	s_cbranch_execz .LBB5_2107
.LBB5_2087:                             ;   in Loop: Header=BB5_47 Depth=1
	v_ashrrev_i32_e32 v9, 31, v8
	v_lshrrev_b32_e32 v9, 26, v9
	v_add_u32_e32 v8, v8, v9
	v_ashrrev_i32_e32 v8, 6, v8
	v_lshlrev_b32_e32 v9, 9, v8
	v_lshlrev_b32_e32 v10, 1, v15
	v_add3_u32 v10, v14, v10, v9
	v_ashrrev_i32_e32 v9, 31, v46
	v_lshrrev_b32_e32 v9, 23, v9
	v_add_u32_e32 v9, v46, v9
	v_ashrrev_i32_e32 v16, 9, v9
	v_sub_u32_e32 v12, v16, v8
	v_ashrrev_i32_e32 v11, 31, v10
	v_lshl_add_u64 v[8:9], v[116:117], 0, v[10:11]
	v_cmp_lt_i32_e32 vcc, 0, v12
	s_mov_b64 s[42:43], 0
                                        ; implicit-def: $vgpr17
                                        ; implicit-def: $vgpr18
                                        ; implicit-def: $vgpr19
                                        ; implicit-def: $vgpr20
	s_and_saveexec_b64 s[40:41], vcc
	s_cbranch_execz .LBB5_2095
; %bb.2088:                             ;   in Loop: Header=BB5_47 Depth=1
	v_lshl_add_u64 v[10:11], v[10:11], 0, v[114:115]
	s_mov_b64 s[92:93], 0
                                        ; implicit-def: $sgpr90_sgpr91
                                        ; implicit-def: $vgpr17
                                        ; implicit-def: $vgpr18
                                        ; implicit-def: $vgpr19
                                        ; implicit-def: $vgpr20
	s_branch .LBB5_2090
.LBB5_2089:                             ;   in Loop: Header=BB5_2090 Depth=2
	s_or_b64 exec, exec, s[94:95]
	s_waitcnt vmcnt(0) lgkmcnt(0)
	flat_store_short v[8:9], v21 nt
	flat_store_short v[8:9], v22 offset:128 nt
	flat_store_short v[8:9], v23 offset:256 nt
	;; [unrolled: 1-line block ×3, first 2 shown]
	v_lshl_add_u64 v[8:9], v[8:9], 0, v[12:13]
	v_lshl_add_u64 v[10:11], v[10:11], 0, v[12:13]
	v_sub_u32_e32 v12, v119, v40
	v_cmp_gt_i32_e32 vcc, 1, v12
	s_or_b64 s[42:43], vcc, s[42:43]
	s_andn2_b64 s[12:13], s[90:91], exec
	s_and_b64 s[90:91], s[92:93], exec
	v_lshl_add_u64 v[8:9], v[8:9], 0, s[62:63]
	s_or_b64 s[90:91], s[12:13], s[90:91]
	s_andn2_b64 exec, exec, s[42:43]
	s_cbranch_execz .LBB5_2094
.LBB5_2090:                             ;   Parent Loop BB5_47 Depth=1
                                        ; =>  This Inner Loop Header: Depth=2
	flat_load_ushort v21, v[10:11] nt
	flat_load_ushort v22, v[10:11] offset:128 nt
	flat_load_ushort v23, v[10:11] offset:256 nt
	;; [unrolled: 1-line block ×3, first 2 shown]
	s_and_saveexec_b64 s[94:95], s[92:93]
	s_cbranch_execz .LBB5_2092
; %bb.2091:                             ;   in Loop: Header=BB5_2090 Depth=2
	flat_store_short v[8:9], v17 nt
	flat_store_short v[8:9], v18 offset:128 nt
	flat_store_short v[8:9], v19 offset:256 nt
	;; [unrolled: 1-line block ×3, first 2 shown]
	v_lshl_add_u64 v[8:9], v[8:9], 0, v[86:87]
.LBB5_2092:                             ;   in Loop: Header=BB5_2090 Depth=2
	s_or_b64 exec, exec, s[94:95]
	v_sub_u32_e32 v119, v12, v52
	v_lshl_add_u64 v[10:11], v[10:11], 0, v[86:87]
	v_mov_b32_e32 v40, 0
	v_cmp_lt_i32_e64 s[92:93], 0, v119
	v_mov_b64_e32 v[12:13], 0
	s_and_saveexec_b64 s[94:95], s[92:93]
	s_cbranch_execz .LBB5_2089
; %bb.2093:                             ;   in Loop: Header=BB5_2090 Depth=2
	flat_load_ushort v17, v[10:11] nt
	flat_load_ushort v18, v[10:11] offset:128 nt
	flat_load_ushort v19, v[10:11] offset:256 nt
	;; [unrolled: 1-line block ×3, first 2 shown]
	v_lshl_add_u64 v[10:11], v[10:11], 0, s[62:63]
	v_mov_b32_e32 v40, v52
	v_mov_b64_e32 v[12:13], v[70:71]
	s_branch .LBB5_2089
.LBB5_2094:                             ;   in Loop: Header=BB5_47 Depth=1
	s_or_b64 exec, exec, s[42:43]
	s_and_b64 s[42:43], s[90:91], exec
.LBB5_2095:                             ;   in Loop: Header=BB5_47 Depth=1
	s_or_b64 exec, exec, s[40:41]
	s_and_saveexec_b64 s[40:41], s[42:43]
	s_cbranch_execz .LBB5_2097
; %bb.2096:                             ;   in Loop: Header=BB5_47 Depth=1
	flat_store_short v[8:9], v17 nt
	flat_store_short v[8:9], v18 offset:128 nt
	flat_store_short v[8:9], v19 offset:256 nt
	;; [unrolled: 1-line block ×3, first 2 shown]
.LBB5_2097:                             ;   in Loop: Header=BB5_47 Depth=1
	s_or_b64 exec, exec, s[40:41]
	v_lshlrev_b32_e32 v8, 9, v16
	v_cmp_ne_u32_e32 vcc, v46, v8
	s_and_b64 exec, exec, vcc
	s_cbranch_execz .LBB5_2107
; %bb.2098:                             ;   in Loop: Header=BB5_47 Depth=1
	v_lshlrev_b32_e32 v9, 6, v12
	v_sub_u32_e32 v9, v15, v9
	v_ashrrev_i32_e32 v10, 31, v9
	v_lshrrev_b32_e32 v10, 26, v10
	v_add_u32_e32 v10, v9, v10
	v_and_b32_e32 v11, 0x7fffffc0, v10
	v_sub_u32_e32 v9, v9, v11
	v_lshlrev_b32_e32 v10, 1, v10
	v_and_b32_e32 v10, 0xffffff80, v10
	v_lshlrev_b32_e32 v9, 1, v9
	v_add3_u32 v8, v10, v9, v8
	v_sub_u32_e32 v12, v46, v8
	v_cmp_lt_i32_e32 vcc, 1, v12
	s_and_b64 exec, exec, vcc
	s_cbranch_execz .LBB5_2107
; %bb.2099:                             ;   in Loop: Header=BB5_47 Depth=1
	v_add_u32_e32 v10, v8, v14
	v_ashrrev_i32_e32 v11, 31, v10
	v_lshl_add_u64 v[8:9], v[116:117], 0, v[10:11]
	v_lshl_add_u64 v[10:11], v[10:11], 0, v[114:115]
	s_mov_b64 s[90:91], 0
	s_mov_b64 s[40:41], 0
                                        ; implicit-def: $sgpr42_sgpr43
                                        ; implicit-def: $vgpr14
	s_branch .LBB5_2101
.LBB5_2100:                             ;   in Loop: Header=BB5_2101 Depth=2
	s_or_b64 exec, exec, s[92:93]
	s_waitcnt vmcnt(0) lgkmcnt(0)
	flat_store_short v[8:9], v15 nt
	v_lshl_add_u64 v[8:9], v[8:9], 0, v[12:13]
	v_lshl_add_u64 v[10:11], v[10:11], 0, v[12:13]
	v_sub_u32_e32 v12, v16, v17
	v_cmp_gt_i32_e32 vcc, 2, v12
	s_or_b64 s[40:41], vcc, s[40:41]
	s_andn2_b64 s[12:13], s[42:43], exec
	s_and_b64 s[42:43], s[90:91], exec
	v_lshl_add_u64 v[8:9], v[8:9], 0, s[72:73]
	s_or_b64 s[42:43], s[12:13], s[42:43]
	s_andn2_b64 exec, exec, s[40:41]
	s_cbranch_execz .LBB5_2105
.LBB5_2101:                             ;   Parent Loop BB5_47 Depth=1
                                        ; =>  This Inner Loop Header: Depth=2
	flat_load_ushort v15, v[10:11] nt
	s_and_saveexec_b64 s[92:93], s[90:91]
	s_cbranch_execz .LBB5_2103
; %bb.2102:                             ;   in Loop: Header=BB5_2101 Depth=2
	v_lshl_add_u64 v[16:17], v[8:9], 0, v[98:99]
	flat_store_short v[8:9], v14 nt
	v_mov_b64_e32 v[8:9], v[16:17]
.LBB5_2103:                             ;   in Loop: Header=BB5_2101 Depth=2
	s_or_b64 exec, exec, s[92:93]
	v_sub_u32_e32 v16, v12, v62
	v_lshl_add_u64 v[10:11], v[10:11], 0, v[98:99]
	v_cmp_lt_i32_e64 s[90:91], 1, v16
	v_mov_b64_e32 v[12:13], 0
	v_mov_b32_e32 v17, 0
	s_and_saveexec_b64 s[92:93], s[90:91]
	s_cbranch_execz .LBB5_2100
; %bb.2104:                             ;   in Loop: Header=BB5_2101 Depth=2
	flat_load_ushort v14, v[10:11] nt
	v_lshl_add_u64 v[10:11], v[10:11], 0, s[72:73]
	v_mov_b32_e32 v17, v62
	v_mov_b64_e32 v[12:13], v[82:83]
	s_branch .LBB5_2100
.LBB5_2105:                             ;   in Loop: Header=BB5_47 Depth=1
	s_or_b64 exec, exec, s[40:41]
	s_and_b64 exec, exec, s[42:43]
	s_cbranch_execz .LBB5_2107
; %bb.2106:                             ;   in Loop: Header=BB5_47 Depth=1
	flat_store_short v[8:9], v14 nt
.LBB5_2107:                             ;   in Loop: Header=BB5_47 Depth=1
	s_or_b64 exec, exec, s[24:25]
	v_cmp_lt_i32_e64 s[24:25], 0, v2
	s_and_saveexec_b64 s[40:41], s[6:7]
	s_cbranch_execz .LBB5_2053
.LBB5_2108:                             ;   in Loop: Header=BB5_47 Depth=1
	s_and_saveexec_b64 s[12:13], s[56:57]
	s_xor_b64 s[42:43], exec, s[12:13]
	s_cbranch_execz .LBB5_2123
; %bb.2109:                             ;   in Loop: Header=BB5_47 Depth=1
	s_and_saveexec_b64 s[90:91], s[14:15]
	s_cbranch_execz .LBB5_2122
; %bb.2110:                             ;   in Loop: Header=BB5_47 Depth=1
	s_mov_b64 s[94:95], exec
	v_mbcnt_lo_u32_b32 v2, s94, 0
	v_mbcnt_hi_u32_b32 v2, s95, v2
	v_cmp_eq_u32_e32 vcc, 0, v2
	s_waitcnt lgkmcnt(0)
	s_and_saveexec_b64 s[92:93], vcc
	s_cbranch_execz .LBB5_2112
; %bb.2111:                             ;   in Loop: Header=BB5_47 Depth=1
	s_bcnt1_i32_b64 s12, s[94:95]
	v_mov_b32_e32 v2, s12
	ds_add_u64 v0, v[2:3]
	s_trap 2
.LBB5_2112:                             ;   in Loop: Header=BB5_47 Depth=1
	s_or_b64 exec, exec, s[92:93]
	s_trap 2
	ds_read_b64 v[8:9], v0
	s_waitcnt lgkmcnt(0)
	v_lshl_add_u64 v[38:39], v[38:39], 0, v[52:53]
	v_cmp_lt_u64_e32 vcc, v[8:9], v[38:39]
	s_and_saveexec_b64 s[92:93], vcc
	s_cbranch_execz .LBB5_2121
; %bb.2113:                             ;   in Loop: Header=BB5_47 Depth=1
	s_mov_b32 s12, 0
	s_mov_b64 s[94:95], 0
                                        ; implicit-def: $sgpr30_sgpr31
                                        ; implicit-def: $sgpr34_sgpr35
	s_branch .LBB5_2115
.LBB5_2114:                             ;   in Loop: Header=BB5_2115 Depth=2
	s_or_b64 exec, exec, s[38:39]
	s_and_b64 vcc, exec, vcc
	s_or_b64 s[94:95], vcc, s[94:95]
	s_andn2_b64 vcc, s[30:31], exec
	s_and_b64 s[30:31], s[34:35], exec
	s_or_b64 s[30:31], vcc, s[30:31]
	s_andn2_b64 exec, exec, s[94:95]
	s_cbranch_execz .LBB5_2119
.LBB5_2115:                             ;   Parent Loop BB5_47 Depth=1
                                        ; =>  This Inner Loop Header: Depth=2
	s_add_i32 s12, s12, 1
	s_cmpk_lg_i32 s12, 0x2710
	s_cselect_b64 s[36:37], -1, 0
	s_and_b64 vcc, exec, s[36:37]
	s_cbranch_vccz .LBB5_2117
; %bb.2116:                             ;   in Loop: Header=BB5_2115 Depth=2
	s_mov_b64 vcc, -1
	s_or_b64 s[34:35], s[34:35], exec
	s_and_saveexec_b64 s[38:39], s[36:37]
	s_cbranch_execz .LBB5_2114
	s_branch .LBB5_2118
.LBB5_2117:                             ;   in Loop: Header=BB5_2115 Depth=2
	s_trap 2
	ds_read_b64 v[8:9], v0
	s_andn2_b64 s[36:37], s[36:37], exec
	s_mov_b32 s12, 0
	s_waitcnt vmcnt(0) lgkmcnt(0)
	flat_load_dword v2, v[8:9] sc0 sc1
	s_waitcnt vmcnt(0) lgkmcnt(0)
	buffer_inv sc0 sc1
	v_cmp_eq_u32_e32 vcc, 0, v2
	s_and_b64 vcc, vcc, exec
	s_or_b64 s[36:37], s[36:37], vcc
	s_mov_b64 vcc, -1
	s_or_b64 s[34:35], s[34:35], exec
	s_and_saveexec_b64 s[38:39], s[36:37]
	s_cbranch_execz .LBB5_2114
.LBB5_2118:                             ;   in Loop: Header=BB5_2115 Depth=2
	s_sleep 1
	s_trap 2
	ds_read_b64 v[8:9], v0
	s_waitcnt lgkmcnt(0)
	s_andn2_b64 s[34:35], s[34:35], exec
	v_cmp_ge_u64_e32 vcc, v[8:9], v[38:39]
	s_orn2_b64 vcc, vcc, exec
	s_branch .LBB5_2114
.LBB5_2119:                             ;   in Loop: Header=BB5_47 Depth=1
	s_or_b64 exec, exec, s[94:95]
	s_and_saveexec_b64 s[12:13], s[30:31]
	s_xor_b64 s[12:13], exec, s[12:13]
	s_cbranch_execz .LBB5_2121
; %bb.2120:                             ;   in Loop: Header=BB5_47 Depth=1
	ds_write_b32 v0, v63
	s_trap 2
.LBB5_2121:                             ;   in Loop: Header=BB5_47 Depth=1
	s_or_b64 exec, exec, s[92:93]
	;;#ASMSTART
	s_wakeup
	;;#ASMEND
.LBB5_2122:                             ;   in Loop: Header=BB5_47 Depth=1
	s_or_b64 exec, exec, s[90:91]
.LBB5_2123:                             ;   in Loop: Header=BB5_47 Depth=1
	s_andn2_saveexec_b64 s[42:43], s[42:43]
	s_cbranch_execz .LBB5_2125
; %bb.2124:                             ;   in Loop: Header=BB5_47 Depth=1
	s_waitcnt lgkmcnt(0)
	s_barrier
.LBB5_2125:                             ;   in Loop: Header=BB5_47 Depth=1
	s_or_b64 exec, exec, s[42:43]
	s_or_b64 exec, exec, s[40:41]
	s_and_saveexec_b64 s[12:13], s[22:23]
	s_xor_b64 s[40:41], exec, s[12:13]
	s_cbranch_execnz .LBB5_2054
.LBB5_2126:                             ;   in Loop: Header=BB5_47 Depth=1
	s_andn2_saveexec_b64 s[24:25], s[40:41]
	s_cbranch_execz .LBB5_2145
.LBB5_2127:                             ;   in Loop: Header=BB5_47 Depth=1
	s_and_saveexec_b64 s[12:13], s[56:57]
	s_xor_b64 s[40:41], exec, s[12:13]
	s_cbranch_execz .LBB5_2142
; %bb.2128:                             ;   in Loop: Header=BB5_47 Depth=1
	s_and_saveexec_b64 s[42:43], s[14:15]
	s_cbranch_execz .LBB5_2141
; %bb.2129:                             ;   in Loop: Header=BB5_47 Depth=1
	s_mov_b64 s[92:93], exec
	v_mbcnt_lo_u32_b32 v2, s92, 0
	v_mbcnt_hi_u32_b32 v2, s93, v2
	v_cmp_eq_u32_e32 vcc, 0, v2
	;;#ASMSTART
	s_waitcnt lgkmcnt(0) vmcnt(0)
	;;#ASMEND
	s_and_saveexec_b64 s[90:91], vcc
	s_cbranch_execz .LBB5_2131
; %bb.2130:                             ;   in Loop: Header=BB5_47 Depth=1
	s_bcnt1_i32_b64 s12, s[92:93]
	v_mov_b32_e32 v2, s12
	s_waitcnt lgkmcnt(0)
	ds_add_u64 v0, v[2:3]
	s_trap 2
.LBB5_2131:                             ;   in Loop: Header=BB5_47 Depth=1
	s_or_b64 exec, exec, s[90:91]
	s_trap 2
	ds_read_b64 v[8:9], v0
	s_waitcnt lgkmcnt(0)
	v_lshl_add_u64 v[38:39], v[38:39], 0, v[52:53]
	v_cmp_lt_u64_e32 vcc, v[8:9], v[38:39]
	s_and_saveexec_b64 s[90:91], vcc
	s_cbranch_execz .LBB5_2140
; %bb.2132:                             ;   in Loop: Header=BB5_47 Depth=1
	s_mov_b32 s12, 0
	s_mov_b64 s[92:93], 0
                                        ; implicit-def: $sgpr94_sgpr95
                                        ; implicit-def: $sgpr30_sgpr31
	s_branch .LBB5_2134
.LBB5_2133:                             ;   in Loop: Header=BB5_2134 Depth=2
	s_or_b64 exec, exec, s[36:37]
	s_and_b64 vcc, exec, vcc
	s_or_b64 s[92:93], vcc, s[92:93]
	s_andn2_b64 s[94:95], s[94:95], exec
	s_and_b64 vcc, s[30:31], exec
	s_or_b64 s[94:95], s[94:95], vcc
	s_andn2_b64 exec, exec, s[92:93]
	s_cbranch_execz .LBB5_2138
.LBB5_2134:                             ;   Parent Loop BB5_47 Depth=1
                                        ; =>  This Inner Loop Header: Depth=2
	s_add_i32 s12, s12, 1
	s_cmpk_lg_i32 s12, 0x2710
	s_cselect_b64 s[34:35], -1, 0
	s_and_b64 vcc, exec, s[34:35]
	s_cbranch_vccz .LBB5_2136
; %bb.2135:                             ;   in Loop: Header=BB5_2134 Depth=2
	s_mov_b64 vcc, -1
	s_or_b64 s[30:31], s[30:31], exec
	s_and_saveexec_b64 s[36:37], s[34:35]
	s_cbranch_execz .LBB5_2133
	s_branch .LBB5_2137
.LBB5_2136:                             ;   in Loop: Header=BB5_2134 Depth=2
	s_trap 2
	ds_read_b64 v[8:9], v0
	s_andn2_b64 s[34:35], s[34:35], exec
	s_mov_b32 s12, 0
	s_waitcnt vmcnt(0) lgkmcnt(0)
	flat_load_dword v2, v[8:9] sc0 sc1
	s_waitcnt vmcnt(0) lgkmcnt(0)
	buffer_inv sc0 sc1
	v_cmp_eq_u32_e32 vcc, 0, v2
	s_and_b64 vcc, vcc, exec
	s_or_b64 s[34:35], s[34:35], vcc
	s_mov_b64 vcc, -1
	s_or_b64 s[30:31], s[30:31], exec
	s_and_saveexec_b64 s[36:37], s[34:35]
	s_cbranch_execz .LBB5_2133
.LBB5_2137:                             ;   in Loop: Header=BB5_2134 Depth=2
	s_sleep 1
	s_trap 2
	ds_read_b64 v[8:9], v0
	s_waitcnt lgkmcnt(0)
	s_andn2_b64 s[30:31], s[30:31], exec
	v_cmp_ge_u64_e32 vcc, v[8:9], v[38:39]
	s_orn2_b64 vcc, vcc, exec
	s_branch .LBB5_2133
.LBB5_2138:                             ;   in Loop: Header=BB5_47 Depth=1
	s_or_b64 exec, exec, s[92:93]
	s_and_saveexec_b64 s[12:13], s[94:95]
	s_xor_b64 s[12:13], exec, s[12:13]
	s_cbranch_execz .LBB5_2140
; %bb.2139:                             ;   in Loop: Header=BB5_47 Depth=1
	ds_write_b32 v0, v63
	s_trap 2
.LBB5_2140:                             ;   in Loop: Header=BB5_47 Depth=1
	s_or_b64 exec, exec, s[90:91]
	;;#ASMSTART
	s_wakeup
	;;#ASMEND
.LBB5_2141:                             ;   in Loop: Header=BB5_47 Depth=1
	s_or_b64 exec, exec, s[42:43]
.LBB5_2142:                             ;   in Loop: Header=BB5_47 Depth=1
	s_andn2_saveexec_b64 s[40:41], s[40:41]
	s_cbranch_execz .LBB5_2144
; %bb.2143:                             ;   in Loop: Header=BB5_47 Depth=1
	;;#ASMSTART
	s_waitcnt lgkmcnt(0) vmcnt(0)
	;;#ASMEND
	s_barrier
.LBB5_2144:                             ;   in Loop: Header=BB5_47 Depth=1
	s_or_b64 exec, exec, s[40:41]
.LBB5_2145:                             ;   in Loop: Header=BB5_47 Depth=1
	s_or_b64 exec, exec, s[24:25]
	v_and_b32_e32 v2, 32, v58
	v_cmp_ne_u32_e32 vcc, 0, v2
	s_and_saveexec_b64 s[24:25], vcc
	s_cbranch_execz .LBB5_2147
; %bb.2146:                             ;   in Loop: Header=BB5_47 Depth=1
	v_lshl_add_u64 v[112:113], v[112:113], 0, 4
	flat_store_dwordx2 v[32:33], v[112:113] sc0 sc1
.LBB5_2147:                             ;   in Loop: Header=BB5_47 Depth=1
	s_or_b64 exec, exec, s[24:25]
	v_mov_b32_e32 v14, v45
.LBB5_2148:                             ;   in Loop: Header=BB5_47 Depth=1
	s_or_b64 exec, exec, s[28:29]
	s_and_saveexec_b64 s[28:29], s[26:27]
	s_cbranch_execz .LBB5_46
; %bb.2149:                             ;   in Loop: Header=BB5_47 Depth=1
	v_and_b32_e32 v2, 4, v58
	v_cmp_ne_u32_e32 vcc, 0, v2
	s_and_saveexec_b64 s[26:27], vcc
	s_cbranch_execz .LBB5_2159
; %bb.2150:                             ;   in Loop: Header=BB5_47 Depth=1
	v_lshl_add_u64 v[8:9], v[112:113], 0, 4
	s_waitcnt vmcnt(0) lgkmcnt(0)
	v_cmp_lt_u64_e32 vcc, v[48:49], v[8:9]
	s_and_saveexec_b64 s[40:41], vcc
	s_cbranch_execz .LBB5_2174
; %bb.2151:                             ;   in Loop: Header=BB5_47 Depth=1
	v_and_b32_e32 v2, 64, v58
	s_mov_b32 s12, 0
	v_cmp_eq_u32_e32 vcc, 0, v2
	s_mov_b64 s[42:43], 0
                                        ; implicit-def: $sgpr90_sgpr91
                                        ; implicit-def: $sgpr92_sgpr93
                                        ; implicit-def: $sgpr94_sgpr95
	s_branch .LBB5_2155
.LBB5_2152:                             ;   in Loop: Header=BB5_2155 Depth=2
	s_waitcnt vmcnt(0) lgkmcnt(0)
	v_cmp_ge_u64_e64 s[24:25], v[48:49], v[8:9]
	s_or_b64 s[36:37], s[36:37], exec
	s_orn2_b64 s[34:35], s[24:25], exec
.LBB5_2153:                             ;   in Loop: Header=BB5_2155 Depth=2
	s_or_b64 exec, exec, s[48:49]
	s_andn2_b64 s[24:25], s[94:95], exec
	s_and_b64 s[94:95], s[36:37], exec
	s_or_b64 s[94:95], s[24:25], s[94:95]
	s_andn2_b64 s[24:25], s[92:93], exec
	s_and_b64 s[92:93], s[34:35], exec
	s_or_b64 s[92:93], s[24:25], s[92:93]
.LBB5_2154:                             ;   in Loop: Header=BB5_2155 Depth=2
	s_or_b64 exec, exec, s[30:31]
	s_and_b64 s[24:25], exec, s[92:93]
	s_or_b64 s[42:43], s[24:25], s[42:43]
	s_andn2_b64 s[24:25], s[90:91], exec
	s_and_b64 s[90:91], s[94:95], exec
	s_or_b64 s[90:91], s[24:25], s[90:91]
	s_andn2_b64 exec, exec, s[42:43]
	s_cbranch_execz .LBB5_2171
.LBB5_2155:                             ;   Parent Loop BB5_47 Depth=1
                                        ; =>  This Inner Loop Header: Depth=2
	s_sleep 1
	s_waitcnt vmcnt(0) lgkmcnt(0)
	flat_load_dwordx2 v[48:49], v[32:33] sc0 sc1
	s_or_b64 s[94:95], s[94:95], exec
	s_or_b64 s[92:93], s[92:93], exec
                                        ; implicit-def: $vgpr2
	s_and_saveexec_b64 s[30:31], vcc
	s_cbranch_execz .LBB5_2154
; %bb.2156:                             ;   in Loop: Header=BB5_2155 Depth=2
	s_cmpk_lt_i32 s12, 0x270f
	s_cselect_b64 s[38:39], -1, 0
	s_cmpk_gt_i32 s12, 0x270e
	s_mov_b64 s[34:35], -1
	s_cbranch_scc0 .LBB5_2158
; %bb.2157:                             ;   in Loop: Header=BB5_2155 Depth=2
	s_trap 2
	ds_read_b64 v[10:11], v0
	s_andn2_b64 s[38:39], s[38:39], exec
	s_mov_b32 s12, 0
	s_mov_b64 s[36:37], 0
	s_waitcnt vmcnt(0) lgkmcnt(0)
	flat_load_dword v2, v[10:11] sc0 sc1
	s_waitcnt vmcnt(0) lgkmcnt(0)
	buffer_inv sc0 sc1
	v_cmp_eq_u32_e64 s[24:25], 0, v2
	s_and_b64 s[24:25], s[24:25], exec
	s_or_b64 s[38:39], s[38:39], s[24:25]
	s_and_saveexec_b64 s[48:49], s[38:39]
	s_cbranch_execz .LBB5_2153
	s_branch .LBB5_2152
.LBB5_2158:                             ;   in Loop: Header=BB5_2155 Depth=2
	s_add_i32 s12, s12, 1
	s_mov_b64 s[36:37], -1
                                        ; implicit-def: $vgpr2
	s_and_saveexec_b64 s[48:49], s[38:39]
	s_cbranch_execz .LBB5_2153
	s_branch .LBB5_2152
.LBB5_2159:                             ;   in Loop: Header=BB5_47 Depth=1
	s_or_b64 exec, exec, s[26:27]
	s_and_saveexec_b64 s[24:25], s[6:7]
	s_cbranch_execz .LBB5_2183
.LBB5_2160:                             ;   in Loop: Header=BB5_47 Depth=1
	s_and_saveexec_b64 s[12:13], s[56:57]
	s_xor_b64 s[26:27], exec, s[12:13]
	s_cbranch_execz .LBB5_2191
; %bb.2161:                             ;   in Loop: Header=BB5_47 Depth=1
	s_and_saveexec_b64 s[40:41], s[14:15]
	s_cbranch_execz .LBB5_2190
; %bb.2162:                             ;   in Loop: Header=BB5_47 Depth=1
	s_mov_b64 s[90:91], exec
	v_mbcnt_lo_u32_b32 v2, s90, 0
	v_mbcnt_hi_u32_b32 v2, s91, v2
	v_cmp_eq_u32_e32 vcc, 0, v2
	s_waitcnt lgkmcnt(0)
	s_and_saveexec_b64 s[42:43], vcc
	s_cbranch_execz .LBB5_2164
; %bb.2163:                             ;   in Loop: Header=BB5_47 Depth=1
	s_bcnt1_i32_b64 s12, s[90:91]
	v_mov_b32_e32 v2, s12
	ds_add_u64 v0, v[2:3]
	s_trap 2
.LBB5_2164:                             ;   in Loop: Header=BB5_47 Depth=1
	s_or_b64 exec, exec, s[42:43]
	s_trap 2
	ds_read_b64 v[8:9], v0
	s_waitcnt lgkmcnt(0)
	v_lshl_add_u64 v[38:39], v[38:39], 0, v[52:53]
	v_cmp_lt_u64_e32 vcc, v[8:9], v[38:39]
	s_and_saveexec_b64 s[42:43], vcc
	s_cbranch_execz .LBB5_2189
; %bb.2165:                             ;   in Loop: Header=BB5_47 Depth=1
	s_mov_b32 s12, 0
	s_mov_b64 s[90:91], 0
                                        ; implicit-def: $sgpr92_sgpr93
                                        ; implicit-def: $sgpr94_sgpr95
	s_branch .LBB5_2167
.LBB5_2166:                             ;   in Loop: Header=BB5_2167 Depth=2
	s_or_b64 exec, exec, s[34:35]
	s_and_b64 vcc, exec, vcc
	s_or_b64 s[90:91], vcc, s[90:91]
	s_andn2_b64 s[92:93], s[92:93], exec
	s_and_b64 vcc, s[94:95], exec
	s_or_b64 s[92:93], s[92:93], vcc
	s_andn2_b64 exec, exec, s[90:91]
	s_cbranch_execz .LBB5_2187
.LBB5_2167:                             ;   Parent Loop BB5_47 Depth=1
                                        ; =>  This Inner Loop Header: Depth=2
	s_add_i32 s12, s12, 1
	s_cmpk_lg_i32 s12, 0x2710
	s_cselect_b64 s[30:31], -1, 0
	s_and_b64 vcc, exec, s[30:31]
	s_cbranch_vccz .LBB5_2169
; %bb.2168:                             ;   in Loop: Header=BB5_2167 Depth=2
	s_mov_b64 vcc, -1
	s_or_b64 s[94:95], s[94:95], exec
	s_and_saveexec_b64 s[34:35], s[30:31]
	s_cbranch_execz .LBB5_2166
	s_branch .LBB5_2170
.LBB5_2169:                             ;   in Loop: Header=BB5_2167 Depth=2
	s_trap 2
	ds_read_b64 v[8:9], v0
	s_andn2_b64 s[30:31], s[30:31], exec
	s_mov_b32 s12, 0
	s_waitcnt vmcnt(0) lgkmcnt(0)
	flat_load_dword v2, v[8:9] sc0 sc1
	s_waitcnt vmcnt(0) lgkmcnt(0)
	buffer_inv sc0 sc1
	v_cmp_eq_u32_e32 vcc, 0, v2
	s_and_b64 vcc, vcc, exec
	s_or_b64 s[30:31], s[30:31], vcc
	s_mov_b64 vcc, -1
	s_or_b64 s[94:95], s[94:95], exec
	s_and_saveexec_b64 s[34:35], s[30:31]
	s_cbranch_execz .LBB5_2166
.LBB5_2170:                             ;   in Loop: Header=BB5_2167 Depth=2
	s_sleep 1
	s_trap 2
	ds_read_b64 v[8:9], v0
	s_waitcnt lgkmcnt(0)
	s_andn2_b64 s[94:95], s[94:95], exec
	v_cmp_ge_u64_e32 vcc, v[8:9], v[38:39]
	s_orn2_b64 vcc, vcc, exec
	s_branch .LBB5_2166
.LBB5_2171:                             ;   in Loop: Header=BB5_47 Depth=1
	s_or_b64 exec, exec, s[42:43]
	s_xor_b64 s[12:13], s[90:91], -1
	s_and_saveexec_b64 s[24:25], s[12:13]
	s_xor_b64 s[24:25], exec, s[24:25]
	s_cbranch_execz .LBB5_2173
; %bb.2172:                             ;   in Loop: Header=BB5_47 Depth=1
	v_or_b32_e32 v58, 64, v58
	s_waitcnt lgkmcnt(0)
	ds_write_b32 v0, v2
	s_trap 2
.LBB5_2173:                             ;   in Loop: Header=BB5_47 Depth=1
	s_or_b64 exec, exec, s[24:25]
.LBB5_2174:                             ;   in Loop: Header=BB5_47 Depth=1
	s_or_b64 exec, exec, s[40:41]
	v_and_b32_e32 v2, 0x100, v58
	v_cmp_ne_u32_e32 vcc, 0, v2
	v_and_b32_e32 v2, 7, v112
	s_mov_b64 s[24:25], -1
	;;#ASMSTART
	s_wakeup
	;;#ASMEND
                                        ; implicit-def: $vgpr10_vgpr11
	s_and_saveexec_b64 s[40:41], vcc
	s_cbranch_execz .LBB5_2178
; %bb.2175:                             ;   in Loop: Header=BB5_47 Depth=1
	v_mad_u64_u32 v[12:13], s[12:13], v2, 24, v[6:7]
	flat_load_dword v10, v[12:13]
	s_waitcnt vmcnt(0) lgkmcnt(0)
	v_cmp_ne_u32_e32 vcc, 1, v10
	v_cmp_eq_u32_e64 s[24:25], 1, v10
                                        ; implicit-def: $vgpr10_vgpr11
	s_and_saveexec_b64 s[42:43], s[24:25]
	s_cbranch_execz .LBB5_2177
; %bb.2176:                             ;   in Loop: Header=BB5_47 Depth=1
	flat_load_dword v10, v[12:13] offset:4 sc0 sc1
	s_waitcnt vmcnt(0) lgkmcnt(0)
	v_ashrrev_i32_e32 v11, 31, v10
	v_lshrrev_b64 v[10:11], 1, v[10:11]
.LBB5_2177:                             ;   in Loop: Header=BB5_47 Depth=1
	s_or_b64 exec, exec, s[42:43]
	s_orn2_b64 s[24:25], vcc, exec
.LBB5_2178:                             ;   in Loop: Header=BB5_47 Depth=1
	s_or_b64 exec, exec, s[40:41]
	s_and_saveexec_b64 s[40:41], s[24:25]
; %bb.2179:                             ;   in Loop: Header=BB5_47 Depth=1
	v_mad_i64_i32 v[10:11], s[12:13], v2, v30, 0
; %bb.2180:                             ;   in Loop: Header=BB5_47 Depth=1
	s_or_b64 exec, exec, s[40:41]
	v_and_b32_e32 v2, 0x2000, v58
	v_lshl_add_u64 v[10:11], v[10:11], 1, v[34:35]
	v_cmp_ne_u32_e32 vcc, 0, v2
	ds_write_b64 v0, v[10:11] offset:720
	s_and_saveexec_b64 s[24:25], vcc
	s_cbranch_execz .LBB5_2182
; %bb.2181:                             ;   in Loop: Header=BB5_47 Depth=1
	ds_read_b64 v[10:11], v0 offset:872
	s_waitcnt lgkmcnt(0)
	v_lshl_add_u64 v[10:11], v[10:11], 0, 1
	ds_write_b64 v0, v[10:11] offset:872
.LBB5_2182:                             ;   in Loop: Header=BB5_47 Depth=1
	s_or_b64 exec, exec, s[24:25]
	v_mov_b64_e32 v[112:113], v[8:9]
	s_or_b64 exec, exec, s[26:27]
	s_and_saveexec_b64 s[24:25], s[6:7]
	s_cbranch_execnz .LBB5_2160
.LBB5_2183:                             ;   in Loop: Header=BB5_47 Depth=1
	s_or_b64 exec, exec, s[24:25]
	s_and_saveexec_b64 s[12:13], s[22:23]
	s_xor_b64 s[24:25], exec, s[12:13]
	s_cbranch_execz .LBB5_2194
.LBB5_2184:                             ;   in Loop: Header=BB5_47 Depth=1
	s_trap 2
	ds_read_b32 v2, v0
	v_sub_u32_e32 v8, v44, v14
	v_min_i32_e32 v8, v45, v8
	v_cmp_lt_i32_e32 vcc, 0, v8
	s_waitcnt lgkmcnt(0)
	v_readfirstlane_b32 s12, v2
	s_cmp_eq_u32 s12, 0
	s_cselect_b64 s[12:13], -1, 0
	v_and_b32_e32 v2, 16, v58
	s_and_b64 s[12:13], vcc, s[12:13]
	v_cmp_ne_u32_e32 vcc, 0, v2
	s_and_b64 s[12:13], vcc, s[12:13]
	s_and_saveexec_b64 s[26:27], s[12:13]
	s_cbranch_execz .LBB5_2186
; %bb.2185:                             ;   in Loop: Header=BB5_47 Depth=1
	buffer_wbl2 sc1
	s_waitcnt vmcnt(0)
	buffer_inv sc1
.LBB5_2186:                             ;   in Loop: Header=BB5_47 Depth=1
	s_or_b64 exec, exec, s[26:27]
	s_andn2_saveexec_b64 s[24:25], s[24:25]
	s_cbranch_execz .LBB5_2213
	s_branch .LBB5_2195
.LBB5_2187:                             ;   in Loop: Header=BB5_47 Depth=1
	s_or_b64 exec, exec, s[90:91]
	s_and_saveexec_b64 s[12:13], s[92:93]
	s_xor_b64 s[12:13], exec, s[12:13]
	s_cbranch_execz .LBB5_2189
; %bb.2188:                             ;   in Loop: Header=BB5_47 Depth=1
	ds_write_b32 v0, v63
	s_trap 2
.LBB5_2189:                             ;   in Loop: Header=BB5_47 Depth=1
	s_or_b64 exec, exec, s[42:43]
	;;#ASMSTART
	s_wakeup
	;;#ASMEND
.LBB5_2190:                             ;   in Loop: Header=BB5_47 Depth=1
	s_or_b64 exec, exec, s[40:41]
.LBB5_2191:                             ;   in Loop: Header=BB5_47 Depth=1
	s_andn2_saveexec_b64 s[26:27], s[26:27]
	s_cbranch_execz .LBB5_2193
; %bb.2192:                             ;   in Loop: Header=BB5_47 Depth=1
	s_waitcnt lgkmcnt(0)
	s_barrier
.LBB5_2193:                             ;   in Loop: Header=BB5_47 Depth=1
	s_or_b64 exec, exec, s[26:27]
	s_or_b64 exec, exec, s[24:25]
	s_and_saveexec_b64 s[12:13], s[22:23]
	s_xor_b64 s[24:25], exec, s[12:13]
	s_cbranch_execnz .LBB5_2184
.LBB5_2194:                             ;   in Loop: Header=BB5_47 Depth=1
	s_andn2_saveexec_b64 s[24:25], s[24:25]
	s_cbranch_execz .LBB5_2213
.LBB5_2195:                             ;   in Loop: Header=BB5_47 Depth=1
	s_and_saveexec_b64 s[12:13], s[56:57]
	s_xor_b64 s[26:27], exec, s[12:13]
	s_cbranch_execz .LBB5_2210
; %bb.2196:                             ;   in Loop: Header=BB5_47 Depth=1
	s_and_saveexec_b64 s[40:41], s[14:15]
	s_cbranch_execz .LBB5_2209
; %bb.2197:                             ;   in Loop: Header=BB5_47 Depth=1
	s_mov_b64 s[90:91], exec
	v_mbcnt_lo_u32_b32 v2, s90, 0
	v_mbcnt_hi_u32_b32 v2, s91, v2
	v_cmp_eq_u32_e32 vcc, 0, v2
	;;#ASMSTART
	s_waitcnt lgkmcnt(0) vmcnt(0)
	;;#ASMEND
	s_and_saveexec_b64 s[42:43], vcc
	s_cbranch_execz .LBB5_2199
; %bb.2198:                             ;   in Loop: Header=BB5_47 Depth=1
	s_bcnt1_i32_b64 s12, s[90:91]
	v_mov_b32_e32 v2, s12
	s_waitcnt lgkmcnt(0)
	ds_add_u64 v0, v[2:3]
	s_trap 2
.LBB5_2199:                             ;   in Loop: Header=BB5_47 Depth=1
	s_or_b64 exec, exec, s[42:43]
	s_trap 2
	ds_read_b64 v[8:9], v0
	s_waitcnt lgkmcnt(0)
	v_lshl_add_u64 v[38:39], v[38:39], 0, v[52:53]
	v_cmp_lt_u64_e32 vcc, v[8:9], v[38:39]
	s_and_saveexec_b64 s[42:43], vcc
	s_cbranch_execz .LBB5_2208
; %bb.2200:                             ;   in Loop: Header=BB5_47 Depth=1
	s_mov_b32 s12, 0
	s_mov_b64 s[90:91], 0
                                        ; implicit-def: $sgpr92_sgpr93
                                        ; implicit-def: $sgpr94_sgpr95
	s_branch .LBB5_2202
.LBB5_2201:                             ;   in Loop: Header=BB5_2202 Depth=2
	s_or_b64 exec, exec, s[34:35]
	s_and_b64 vcc, exec, vcc
	s_or_b64 s[90:91], vcc, s[90:91]
	s_andn2_b64 s[92:93], s[92:93], exec
	s_and_b64 vcc, s[94:95], exec
	s_or_b64 s[92:93], s[92:93], vcc
	s_andn2_b64 exec, exec, s[90:91]
	s_cbranch_execz .LBB5_2206
.LBB5_2202:                             ;   Parent Loop BB5_47 Depth=1
                                        ; =>  This Inner Loop Header: Depth=2
	s_add_i32 s12, s12, 1
	s_cmpk_lg_i32 s12, 0x2710
	s_cselect_b64 s[30:31], -1, 0
	s_and_b64 vcc, exec, s[30:31]
	s_cbranch_vccz .LBB5_2204
; %bb.2203:                             ;   in Loop: Header=BB5_2202 Depth=2
	s_mov_b64 vcc, -1
	s_or_b64 s[94:95], s[94:95], exec
	s_and_saveexec_b64 s[34:35], s[30:31]
	s_cbranch_execz .LBB5_2201
	s_branch .LBB5_2205
.LBB5_2204:                             ;   in Loop: Header=BB5_2202 Depth=2
	s_trap 2
	ds_read_b64 v[8:9], v0
	s_andn2_b64 s[30:31], s[30:31], exec
	s_mov_b32 s12, 0
	s_waitcnt vmcnt(0) lgkmcnt(0)
	flat_load_dword v2, v[8:9] sc0 sc1
	s_waitcnt vmcnt(0) lgkmcnt(0)
	buffer_inv sc0 sc1
	v_cmp_eq_u32_e32 vcc, 0, v2
	s_and_b64 vcc, vcc, exec
	s_or_b64 s[30:31], s[30:31], vcc
	s_mov_b64 vcc, -1
	s_or_b64 s[94:95], s[94:95], exec
	s_and_saveexec_b64 s[34:35], s[30:31]
	s_cbranch_execz .LBB5_2201
.LBB5_2205:                             ;   in Loop: Header=BB5_2202 Depth=2
	s_sleep 1
	s_trap 2
	ds_read_b64 v[8:9], v0
	s_waitcnt lgkmcnt(0)
	s_andn2_b64 s[94:95], s[94:95], exec
	v_cmp_ge_u64_e32 vcc, v[8:9], v[38:39]
	s_orn2_b64 vcc, vcc, exec
	s_branch .LBB5_2201
.LBB5_2206:                             ;   in Loop: Header=BB5_47 Depth=1
	s_or_b64 exec, exec, s[90:91]
	s_and_saveexec_b64 s[12:13], s[92:93]
	s_xor_b64 s[12:13], exec, s[12:13]
	s_cbranch_execz .LBB5_2208
; %bb.2207:                             ;   in Loop: Header=BB5_47 Depth=1
	ds_write_b32 v0, v63
	s_trap 2
.LBB5_2208:                             ;   in Loop: Header=BB5_47 Depth=1
	s_or_b64 exec, exec, s[42:43]
	;;#ASMSTART
	s_wakeup
	;;#ASMEND
.LBB5_2209:                             ;   in Loop: Header=BB5_47 Depth=1
	s_or_b64 exec, exec, s[40:41]
.LBB5_2210:                             ;   in Loop: Header=BB5_47 Depth=1
	s_andn2_saveexec_b64 s[26:27], s[26:27]
	s_cbranch_execz .LBB5_2212
; %bb.2211:                             ;   in Loop: Header=BB5_47 Depth=1
	;;#ASMSTART
	s_waitcnt lgkmcnt(0) vmcnt(0)
	;;#ASMEND
	s_barrier
.LBB5_2212:                             ;   in Loop: Header=BB5_47 Depth=1
	s_or_b64 exec, exec, s[26:27]
.LBB5_2213:                             ;   in Loop: Header=BB5_47 Depth=1
	s_or_b64 exec, exec, s[24:25]
	v_and_b32_e32 v2, 32, v58
	v_cmp_ne_u32_e32 vcc, 0, v2
	s_and_saveexec_b64 s[24:25], vcc
	s_cbranch_execz .LBB5_45
; %bb.2214:                             ;   in Loop: Header=BB5_47 Depth=1
	v_lshl_add_u64 v[112:113], v[112:113], 0, 4
	flat_store_dwordx2 v[32:33], v[112:113] sc0 sc1
	s_branch .LBB5_45
.LBB5_2215:
	s_or_b64 exec, exec, s[74:75]
	v_readlane_b32 s8, v109, 4
	v_readlane_b32 s4, v109, 2
	;; [unrolled: 1-line block ×4, first 2 shown]
.LBB5_2216:
	s_or_b64 exec, exec, s[4:5]
	v_and_b32_e32 v0, 0x800, v58
	v_cmp_eq_u32_e32 vcc, 0, v0
	s_and_saveexec_b64 s[2:3], vcc
	s_cbranch_execz .LBB5_2249
; %bb.2217:
	v_and_b32_e32 v0, 48, v58
	v_cmp_ne_u32_e32 vcc, 0, v0
	s_and_saveexec_b64 s[0:1], vcc
	s_cbranch_execz .LBB5_2219
; %bb.2218:
	flat_store_dwordx2 v[28:29], v[112:113] offset:104
.LBB5_2219:
	s_or_b64 exec, exec, s[0:1]
	s_movk_i32 s0, 0x88
	v_and_b32_e32 v0, 0x88, v58
	v_cmp_eq_u32_e32 vcc, s0, v0
	s_and_saveexec_b64 s[4:5], vcc
	s_cbranch_execz .LBB5_2229
; %bb.2220:
	v_bitop3_b32 v0, v112, 4, 7 bitop3:0x6c
	v_mad_u64_u32 v[2:3], s[0:1], v0, 24, v[6:7]
	flat_load_dwordx2 v[4:5], v[2:3] offset:8 sc0 sc1
	s_waitcnt vmcnt(0)
	v_and_b32_e32 v0, 64, v58
	v_cmp_eq_u32_e64 s[0:1], 0, v0
	s_mov_b32 s18, 0
	s_waitcnt lgkmcnt(0)
	v_cmp_ne_u64_e32 vcc, -1, v[4:5]
	s_and_b64 s[0:1], vcc, s[0:1]
	s_and_b64 exec, exec, s[0:1]
	s_cbranch_execz .LBB5_2229
; %bb.2221:
	s_mov_b64 s[0:1], 0
                                        ; implicit-def: $sgpr6_sgpr7
                                        ; implicit-def: $sgpr10_sgpr11
	s_branch .LBB5_2224
.LBB5_2222:                             ;   in Loop: Header=BB5_2224 Depth=1
	flat_load_dwordx2 v[4:5], v[2:3] offset:8 sc0 sc1
	s_waitcnt vmcnt(0)
	s_andn2_b64 s[10:11], s[10:11], exec
	s_waitcnt lgkmcnt(0)
	v_cmp_eq_u64_e32 vcc, -1, v[4:5]
	s_orn2_b64 s[14:15], vcc, exec
.LBB5_2223:                             ;   in Loop: Header=BB5_2224 Depth=1
	s_or_b64 exec, exec, s[16:17]
	s_and_b64 s[12:13], exec, s[14:15]
	s_or_b64 s[0:1], s[12:13], s[0:1]
	s_andn2_b64 s[6:7], s[6:7], exec
	s_and_b64 s[12:13], s[10:11], exec
	s_or_b64 s[6:7], s[6:7], s[12:13]
	s_andn2_b64 exec, exec, s[0:1]
	s_cbranch_execz .LBB5_2227
.LBB5_2224:                             ; =>This Inner Loop Header: Depth=1
	s_cmpk_lt_i32 s18, 0x270f
	s_cselect_b64 s[12:13], -1, 0
	s_and_b64 vcc, exec, s[12:13]
	s_cbranch_vccnz .LBB5_2226
; %bb.2225:                             ;   in Loop: Header=BB5_2224 Depth=1
	s_trap 2
	ds_read_b64 v[4:5], v0
	s_andn2_b64 s[12:13], s[12:13], exec
	s_mov_b32 s18, 0
	s_waitcnt lgkmcnt(0)
	flat_load_dword v0, v[4:5] sc0 sc1
	s_waitcnt vmcnt(0) lgkmcnt(0)
	buffer_inv sc0 sc1
	v_cmp_eq_u32_e32 vcc, 0, v0
	s_and_b64 s[14:15], vcc, exec
	s_or_b64 s[12:13], s[12:13], s[14:15]
	s_mov_b64 s[14:15], -1
	s_or_b64 s[10:11], s[10:11], exec
	s_and_saveexec_b64 s[16:17], s[12:13]
	s_cbranch_execz .LBB5_2223
	s_branch .LBB5_2222
.LBB5_2226:                             ;   in Loop: Header=BB5_2224 Depth=1
	s_add_i32 s18, s18, 1
                                        ; implicit-def: $vgpr0
	s_mov_b64 s[14:15], -1
	s_or_b64 s[10:11], s[10:11], exec
	s_and_saveexec_b64 s[16:17], s[12:13]
	s_cbranch_execz .LBB5_2223
	s_branch .LBB5_2222
.LBB5_2227:
	s_or_b64 exec, exec, s[0:1]
	s_and_saveexec_b64 s[0:1], s[6:7]
	s_xor_b64 s[0:1], exec, s[0:1]
	s_cbranch_execz .LBB5_2229
; %bb.2228:
	ds_write_b32 v0, v0
	s_trap 2
.LBB5_2229:
	s_or_b64 exec, exec, s[4:5]
	v_and_b32_e32 v0, 0x2000, v58
	v_cmp_ne_u32_e32 vcc, 0, v0
	s_and_saveexec_b64 s[0:1], vcc
	s_cbranch_execz .LBB5_2231
; %bb.2230:
	ds_read_b64 v[2:3], v0 offset:872
	s_waitcnt lgkmcnt(0)
	flat_store_dwordx2 v[26:27], v[2:3] offset:16
.LBB5_2231:
	s_or_b64 exec, exec, s[0:1]
	v_cmp_ne_u32_e32 vcc, 64, v1
	s_and_b64 exec, exec, vcc
	s_cbranch_execz .LBB5_2249
; %bb.2232:
	v_cmp_ne_u32_sdwa s[0:1], v1, v50 src0_sel:DWORD src1_sel:WORD_0
	s_and_saveexec_b64 s[4:5], s[0:1]
	s_xor_b64 s[0:1], exec, s[4:5]
	s_cbranch_execz .LBB5_2247
; %bb.2233:
	v_and_b32_e32 v0, 63, v31
	v_cmp_eq_u32_e32 vcc, 0, v0
	s_and_saveexec_b64 s[4:5], vcc
	s_cbranch_execz .LBB5_2246
; %bb.2234:
	s_mov_b64 s[10:11], exec
	v_mbcnt_lo_u32_b32 v0, s10, 0
	v_mbcnt_hi_u32_b32 v0, s11, v0
	v_cmp_eq_u32_e32 vcc, 0, v0
	s_waitcnt lgkmcnt(0)
	s_and_saveexec_b64 s[6:7], vcc
	s_cbranch_execz .LBB5_2236
; %bb.2235:
	s_bcnt1_i32_b64 s10, s[10:11]
	v_mov_b32_e32 v2, s10
	v_mov_b32_e32 v3, 0
	ds_add_u64 v0, v[2:3]
	s_trap 2
.LBB5_2236:
	s_or_b64 exec, exec, s[6:7]
	s_trap 2
	ds_read_b64 v[2:3], v0
	s_waitcnt lgkmcnt(0)
	v_lshrrev_b32_e32 v0, 6, v1
	v_mov_b32_e32 v1, 0
	v_lshl_add_u64 v[0:1], v[38:39], 0, v[0:1]
	v_cmp_lt_u64_e32 vcc, v[2:3], v[0:1]
	s_and_saveexec_b64 s[6:7], vcc
	s_cbranch_execz .LBB5_2245
; %bb.2237:
	s_mov_b32 s22, 0
	s_mov_b64 s[10:11], 0
                                        ; implicit-def: $sgpr12_sgpr13
                                        ; implicit-def: $sgpr14_sgpr15
	s_branch .LBB5_2239
.LBB5_2238:                             ;   in Loop: Header=BB5_2239 Depth=1
	s_or_b64 exec, exec, s[18:19]
	s_and_b64 s[16:17], exec, s[20:21]
	s_or_b64 s[10:11], s[16:17], s[10:11]
	s_andn2_b64 s[12:13], s[12:13], exec
	s_and_b64 s[16:17], s[14:15], exec
	s_or_b64 s[12:13], s[12:13], s[16:17]
	s_andn2_b64 exec, exec, s[10:11]
	s_cbranch_execz .LBB5_2243
.LBB5_2239:                             ; =>This Inner Loop Header: Depth=1
	s_add_i32 s22, s22, 1
	s_cmpk_lg_i32 s22, 0x2710
	s_cselect_b64 s[16:17], -1, 0
	s_and_b64 vcc, exec, s[16:17]
	s_cbranch_vccz .LBB5_2241
; %bb.2240:                             ;   in Loop: Header=BB5_2239 Depth=1
	s_mov_b64 s[20:21], -1
	s_or_b64 s[14:15], s[14:15], exec
	s_and_saveexec_b64 s[18:19], s[16:17]
	s_cbranch_execz .LBB5_2238
	s_branch .LBB5_2242
.LBB5_2241:                             ;   in Loop: Header=BB5_2239 Depth=1
	s_trap 2
	ds_read_b64 v[2:3], v0
	s_andn2_b64 s[16:17], s[16:17], exec
	s_mov_b32 s22, 0
	s_waitcnt vmcnt(0) lgkmcnt(0)
	flat_load_dword v2, v[2:3] sc0 sc1
	s_waitcnt vmcnt(0) lgkmcnt(0)
	buffer_inv sc0 sc1
	v_cmp_eq_u32_e32 vcc, 0, v2
	s_and_b64 s[18:19], vcc, exec
	s_or_b64 s[16:17], s[16:17], s[18:19]
	s_mov_b64 s[20:21], -1
	s_or_b64 s[14:15], s[14:15], exec
	s_and_saveexec_b64 s[18:19], s[16:17]
	s_cbranch_execz .LBB5_2238
.LBB5_2242:                             ;   in Loop: Header=BB5_2239 Depth=1
	s_sleep 1
	s_trap 2
	ds_read_b64 v[2:3], v0
	s_waitcnt lgkmcnt(0)
	s_andn2_b64 s[14:15], s[14:15], exec
	v_cmp_ge_u64_e32 vcc, v[2:3], v[0:1]
	s_orn2_b64 s[20:21], vcc, exec
	s_branch .LBB5_2238
.LBB5_2243:
	s_or_b64 exec, exec, s[10:11]
	s_and_saveexec_b64 s[14:15], s[12:13]
	s_xor_b64 s[12:13], exec, s[14:15]
	s_cbranch_execz .LBB5_2245
; %bb.2244:
	v_mov_b32_e32 v0, 1
	ds_write_b32 v0, v0
	s_trap 2
.LBB5_2245:
	s_or_b64 exec, exec, s[6:7]
	;;#ASMSTART
	s_wakeup
	;;#ASMEND
.LBB5_2246:
	s_or_b64 exec, exec, s[4:5]
.LBB5_2247:
	s_andn2_saveexec_b64 s[0:1], s[0:1]
	s_cbranch_execz .LBB5_2249
; %bb.2248:
	s_waitcnt lgkmcnt(0)
	s_barrier
.LBB5_2249:
	s_or_b64 exec, exec, s[2:3]
.LBB5_2250:
	v_readlane_b32 s0, v109, 0
	v_readlane_b32 s1, v109, 1
	s_andn2_saveexec_b64 s[22:23], s[0:1]
	s_cbranch_execz .LBB5_2252
; %bb.2251:
	s_getpc_b64 s[0:1]
	s_add_u32 s0, s0, __PRETTY_FUNCTION__._ZN10PrimitivesI12hip_bfloat1610FuncMinMaxIS0_E12FanSymmetricILi1EELi0E11ProtoSimpleILi1ELi4ELi0ELi1ELi0ELi0EELi0ELb0ELi0ELi1ELi0EEC2EiiPKiS9_PKvPvmhhhP15ncclDevWorkCollP14ncclDevWorkP2pii@rel32@lo+4
	s_addc_u32 s1, s1, __PRETTY_FUNCTION__._ZN10PrimitivesI12hip_bfloat1610FuncMinMaxIS0_E12FanSymmetricILi1EELi0E11ProtoSimpleILi1ELi4ELi0ELi1ELi0ELi0EELi0ELb0ELi0ELi1ELi0EEC2EiiPKiS9_PKvPvmhhhP15ncclDevWorkCollP14ncclDevWorkP2pii@rel32@hi+12
	s_getpc_b64 s[2:3]
	s_add_u32 s2, s2, __assert_fail@rel32@lo+4
	s_addc_u32 s3, s3, __assert_fail@rel32@hi+12
	v_mov_b32_e32 v0, s0
	v_mov_b32_e32 v1, s1
	s_swappc_b64 s[30:31], s[2:3]
	; divergent unreachable
.LBB5_2252:
	s_or_b64 exec, exec, s[22:23]
	scratch_load_dword v107, off, s33       ; 4-byte Folded Reload
	scratch_load_dword v106, off, s33 offset:4 ; 4-byte Folded Reload
	scratch_load_dword v105, off, s33 offset:8 ; 4-byte Folded Reload
	;; [unrolled: 1-line block ×31, first 2 shown]
	s_waitcnt lgkmcnt(0)
	scratch_load_dword v43, off, s33 offset:128 ; 4-byte Folded Reload
	scratch_load_dword v42, off, s33 offset:132 ; 4-byte Folded Reload
	;; [unrolled: 1-line block ×4, first 2 shown]
	v_readlane_b32 s30, v108, 34
	v_readlane_b32 s31, v108, 35
	v_readlane_b32 s99, v108, 33
	v_readlane_b32 s98, v108, 32
	v_readlane_b32 s97, v108, 31
	v_readlane_b32 s96, v108, 30
	v_readlane_b32 s87, v108, 29
	v_readlane_b32 s86, v108, 28
	v_readlane_b32 s85, v108, 27
	v_readlane_b32 s84, v108, 26
	v_readlane_b32 s83, v108, 25
	v_readlane_b32 s82, v108, 24
	v_readlane_b32 s81, v108, 23
	v_readlane_b32 s80, v108, 22
	v_readlane_b32 s71, v108, 21
	v_readlane_b32 s70, v108, 20
	v_readlane_b32 s69, v108, 19
	v_readlane_b32 s68, v108, 18
	v_readlane_b32 s67, v108, 17
	v_readlane_b32 s66, v108, 16
	v_readlane_b32 s65, v108, 15
	v_readlane_b32 s64, v108, 14
	v_readlane_b32 s55, v108, 13
	v_readlane_b32 s54, v108, 12
	v_readlane_b32 s53, v108, 11
	v_readlane_b32 s52, v108, 10
	v_readlane_b32 s51, v108, 9
	v_readlane_b32 s50, v108, 8
	v_readlane_b32 s49, v108, 7
	v_readlane_b32 s48, v108, 6
	v_readlane_b32 s39, v108, 5
	v_readlane_b32 s38, v108, 4
	v_readlane_b32 s37, v108, 3
	v_readlane_b32 s36, v108, 2
	v_readlane_b32 s35, v108, 1
	v_readlane_b32 s34, v108, 0
	s_mov_b32 s32, s33
	v_readlane_b32 s0, v108, 36
	s_or_saveexec_b64 s[2:3], -1
	scratch_load_dword v108, off, s33 offset:224 ; 4-byte Folded Reload
	scratch_load_dword v109, off, s33 offset:228 ; 4-byte Folded Reload
	s_mov_b64 exec, s[2:3]
	s_mov_b32 s33, s0
	s_waitcnt vmcnt(0)
	s_setpc_b64 s[30:31]
.Lfunc_end5:
	.size	_ZN12_GLOBAL__N_17runRingI12hip_bfloat1610FuncMinMaxIS1_E11ProtoSimpleILi1ELi4ELi0ELi1ELi0ELi0EELi0ELi0ELi1ELi1EEEviiP15ncclDevWorkColl, .Lfunc_end5-_ZN12_GLOBAL__N_17runRingI12hip_bfloat1610FuncMinMaxIS1_E11ProtoSimpleILi1ELi4ELi0ELi1ELi0ELi0EELi0ELi0ELi1ELi1EEEviiP15ncclDevWorkColl
                                        ; -- End function
	.set .L_ZN12_GLOBAL__N_17runRingI12hip_bfloat1610FuncMinMaxIS1_E11ProtoSimpleILi1ELi4ELi0ELi1ELi0ELi0EELi0ELi0ELi1ELi1EEEviiP15ncclDevWorkColl.num_vgpr, max(120, .L__assert_fail.num_vgpr)
	.set .L_ZN12_GLOBAL__N_17runRingI12hip_bfloat1610FuncMinMaxIS1_E11ProtoSimpleILi1ELi4ELi0ELi1ELi0ELi0EELi0ELi0ELi1ELi1EEEviiP15ncclDevWorkColl.num_agpr, max(0, .L__assert_fail.num_agpr)
	.set .L_ZN12_GLOBAL__N_17runRingI12hip_bfloat1610FuncMinMaxIS1_E11ProtoSimpleILi1ELi4ELi0ELi1ELi0ELi0EELi0ELi0ELi1ELi1EEEviiP15ncclDevWorkColl.numbered_sgpr, max(100, .L__assert_fail.numbered_sgpr)
	.set .L_ZN12_GLOBAL__N_17runRingI12hip_bfloat1610FuncMinMaxIS1_E11ProtoSimpleILi1ELi4ELi0ELi1ELi0ELi0EELi0ELi0ELi1ELi1EEEviiP15ncclDevWorkColl.num_named_barrier, max(0, .L__assert_fail.num_named_barrier)
	.set .L_ZN12_GLOBAL__N_17runRingI12hip_bfloat1610FuncMinMaxIS1_E11ProtoSimpleILi1ELi4ELi0ELi1ELi0ELi0EELi0ELi0ELi1ELi1EEEviiP15ncclDevWorkColl.private_seg_size, 240+max(.L__assert_fail.private_seg_size)
	.set .L_ZN12_GLOBAL__N_17runRingI12hip_bfloat1610FuncMinMaxIS1_E11ProtoSimpleILi1ELi4ELi0ELi1ELi0ELi0EELi0ELi0ELi1ELi1EEEviiP15ncclDevWorkColl.uses_vcc, or(1, .L__assert_fail.uses_vcc)
	.set .L_ZN12_GLOBAL__N_17runRingI12hip_bfloat1610FuncMinMaxIS1_E11ProtoSimpleILi1ELi4ELi0ELi1ELi0ELi0EELi0ELi0ELi1ELi1EEEviiP15ncclDevWorkColl.uses_flat_scratch, or(0, .L__assert_fail.uses_flat_scratch)
	.set .L_ZN12_GLOBAL__N_17runRingI12hip_bfloat1610FuncMinMaxIS1_E11ProtoSimpleILi1ELi4ELi0ELi1ELi0ELi0EELi0ELi0ELi1ELi1EEEviiP15ncclDevWorkColl.has_dyn_sized_stack, or(0, .L__assert_fail.has_dyn_sized_stack)
	.set .L_ZN12_GLOBAL__N_17runRingI12hip_bfloat1610FuncMinMaxIS1_E11ProtoSimpleILi1ELi4ELi0ELi1ELi0ELi0EELi0ELi0ELi1ELi1EEEviiP15ncclDevWorkColl.has_recursion, or(1, .L__assert_fail.has_recursion)
	.set .L_ZN12_GLOBAL__N_17runRingI12hip_bfloat1610FuncMinMaxIS1_E11ProtoSimpleILi1ELi4ELi0ELi1ELi0ELi0EELi0ELi0ELi1ELi1EEEviiP15ncclDevWorkColl.has_indirect_call, or(0, .L__assert_fail.has_indirect_call)
	.section	.AMDGPU.csdata,"",@progbits
; Function info:
; codeLenInByte = 66108
; TotalNumSgprs: 106
; NumVgprs: 120
; NumAgprs: 0
; TotalNumVgprs: 120
; ScratchSize: 304
; MemoryBound: 1
	.text
	.p2align	2                               ; -- Begin function _ZN12_GLOBAL__N_17runRingI12hip_bfloat1610FuncMinMaxIS1_E11ProtoSimpleILi2ELi2ELi0ELi1ELi0ELi0EELi0ELi0ELi1ELi1EEEviiP15ncclDevWorkColl
	.type	_ZN12_GLOBAL__N_17runRingI12hip_bfloat1610FuncMinMaxIS1_E11ProtoSimpleILi2ELi2ELi0ELi1ELi0ELi0EELi0ELi0ELi1ELi1EEEviiP15ncclDevWorkColl,@function
_ZN12_GLOBAL__N_17runRingI12hip_bfloat1610FuncMinMaxIS1_E11ProtoSimpleILi2ELi2ELi0ELi1ELi0ELi0EELi0ELi0ELi1ELi1EEEviiP15ncclDevWorkColl: ; @_ZN12_GLOBAL__N_17runRingI12hip_bfloat1610FuncMinMaxIS1_E11ProtoSimpleILi2ELi2ELi0ELi1ELi0ELi0EELi0ELi0ELi1ELi1EEEviiP15ncclDevWorkColl
; %bb.0:
	s_waitcnt vmcnt(0) expcnt(0) lgkmcnt(0)
	s_mov_b32 s0, s33
	s_mov_b32 s33, s32
	s_or_saveexec_b64 s[2:3], -1
	scratch_store_dword off, v111, s33 offset:224 ; 4-byte Folded Spill
	scratch_store_dword off, v120, s33 offset:228 ; 4-byte Folded Spill
	s_mov_b64 exec, s[2:3]
	v_writelane_b32 v111, s0, 36
	s_addk_i32 s32, 0xf0
	scratch_store_dword off, v40, s33 offset:152 ; 4-byte Folded Spill
	scratch_store_dword off, v41, s33 offset:148 ; 4-byte Folded Spill
	;; [unrolled: 1-line block ×38, first 2 shown]
	scratch_store_dword off, v110, s33      ; 4-byte Folded Spill
	v_writelane_b32 v111, s34, 0
	v_writelane_b32 v111, s35, 1
	;; [unrolled: 1-line block ×35, first 2 shown]
	s_nop 1
	v_writelane_b32 v111, s31, 35
	s_trap 2
	flat_load_dword v9, v[2:3]
	ds_read_b32 v6, v0
	s_mov_b64 s[24:25], s[8:9]
                                        ; implicit-def: $vgpr14_vgpr15
                                        ; implicit-def: $vgpr24_vgpr25
                                        ; implicit-def: $vgpr4_vgpr5
	s_waitcnt lgkmcnt(0)
	v_readfirstlane_b32 s64, v6
	s_waitcnt vmcnt(0)
	v_cmp_ne_u32_sdwa s[0:1], v6, v9 src0_sel:DWORD src1_sel:BYTE_0
	s_and_saveexec_b64 s[2:3], s[0:1]
	s_xor_b64 s[0:1], exec, s[2:3]
	s_cbranch_execz .LBB6_6
; %bb.1:
	v_not_b32_sdwa v8, v9 dst_sel:DWORD dst_unused:UNUSED_PAD src0_sel:BYTE_0
	v_cmp_ne_u32_sdwa s[2:3], v6, v9 src0_sel:DWORD src1_sel:BYTE_1
                                        ; implicit-def: $vgpr14_vgpr15
                                        ; implicit-def: $vgpr24_vgpr25
                                        ; implicit-def: $vgpr4_vgpr5
	s_and_saveexec_b64 s[4:5], s[2:3]
	s_xor_b64 s[2:3], exec, s[4:5]
	s_cbranch_execz .LBB6_3
; %bb.2:
	flat_load_dwordx4 v[10:13], v[2:3] offset:72
	flat_load_dwordx2 v[4:5], v[2:3] offset:96
	v_add_u32_e32 v6, v6, v8
	v_ashrrev_i32_e32 v7, 31, v6
                                        ; implicit-def: $vgpr9
                                        ; implicit-def: $vgpr8
	s_waitcnt vmcnt(0) lgkmcnt(0)
	v_mul_lo_u32 v7, v12, v7
	v_mad_u64_u32 v[24:25], s[4:5], v12, v6, v[10:11]
	v_mul_lo_u32 v6, v13, v6
	v_lshrrev_b64 v[14:15], 13, v[4:5]
	v_add3_u32 v25, v6, v25, v7
	v_mov_b64_e32 v[4:5], v[12:13]
.LBB6_3:
	s_andn2_saveexec_b64 s[2:3], s[2:3]
	s_cbranch_execz .LBB6_5
; %bb.4:
	flat_load_dwordx4 v[10:13], v[2:3] offset:72
	flat_load_dwordx4 v[4:7], v[2:3] offset:88
	s_waitcnt vmcnt(0) lgkmcnt(0)
	v_add_u32_sdwa v6, v9, v8 dst_sel:DWORD dst_unused:UNUSED_PAD src0_sel:BYTE_1 src1_sel:DWORD
	v_ashrrev_i32_e32 v8, 31, v6
	v_mul_lo_u32 v8, v12, v8
	v_mad_u64_u32 v[24:25], s[4:5], v12, v6, v[10:11]
	v_mul_lo_u32 v6, v13, v6
	v_add3_u32 v25, v6, v25, v8
	v_lshrrev_b32_e32 v14, 2, v7
.LBB6_5:
	s_or_b64 exec, exec, s[2:3]
.LBB6_6:
	s_andn2_saveexec_b64 s[0:1], s[0:1]
	s_cbranch_execz .LBB6_8
; %bb.7:
	flat_load_dwordx2 v[6:7], v[2:3] offset:96
	flat_load_dwordx2 v[4:5], v[2:3] offset:72
	v_mov_b64_e32 v[24:25], 0
	s_waitcnt vmcnt(0) lgkmcnt(0)
	v_lshlrev_b64 v[14:15], 8, v[6:7]
.LBB6_8:
	s_or_b64 exec, exec, s[0:1]
	s_trap 2
	ds_read_b64 v[6:7], v0
	s_waitcnt lgkmcnt(0)
	v_cmp_ne_u32_e32 vcc, -1, v6
	s_nop 1
	v_cndmask_b32_e64 v15, 0, 1, vcc
	v_cmp_ne_u32_e32 vcc, -1, v7
	s_nop 1
	v_addc_co_u32_e64 v8, s[0:1], 0, v15, vcc
	v_lshlrev_b32_e32 v6, 1, v8
	v_cmp_le_u32_e64 s[0:1], v6, v1
	s_and_saveexec_b64 s[2:3], s[0:1]
	s_xor_b64 s[2:3], exec, s[2:3]
                                        ; implicit-def: $vgpr120 : SGPR spill to VGPR lane
	v_writelane_b32 v120, s2, 0
	s_nop 1
	v_writelane_b32 v120, s3, 1
	s_cbranch_execz .LBB6_2270
; %bb.9:
	flat_load_dwordx4 v[10:13], v[2:3] offset:16
	flat_load_dwordx2 v[16:17], v[2:3] offset:104
	flat_load_ushort v7, v[2:3] offset:8
	flat_load_dword v6, v[2:3] offset:4
	s_trap 2
	s_load_dword s0, s[24:25], 0x0
	v_mov_b32_e32 v9, 0
	v_mov_b32_e32 v62, 4
	s_waitcnt lgkmcnt(0)
	s_cmp_lt_u32 s12, s0
	s_cselect_b32 s0, 12, 18
	s_add_u32 s0, s24, s0
	s_addc_u32 s1, s25, 0
	global_load_ushort v50, v9, s[0:1]
	ds_read_b32 v9, v0
	v_cmp_ge_u32_e64 s[0:1], v0, v15
	s_waitcnt lgkmcnt(0)
	v_readfirstlane_b32 s8, v9
	s_and_saveexec_b64 s[2:3], s[0:1]
	s_cbranch_execz .LBB6_19
; %bb.10:
	v_cmp_ge_u32_e64 s[0:1], v0, v8
                                        ; implicit-def: $vgpr62
	s_and_saveexec_b64 s[4:5], s[0:1]
	s_xor_b64 s[0:1], exec, s[4:5]
	s_cbranch_execz .LBB6_16
; %bb.11:
	v_cndmask_b32_e64 v9, 0, 1, vcc
	v_sub_u32_e32 v9, v1, v9
	v_cmp_ge_u32_e32 vcc, v0, v9
	s_and_saveexec_b64 s[4:5], vcc
	s_xor_b64 s[4:5], exec, s[4:5]
; %bb.12:
                                        ; implicit-def: $vgpr8
; %bb.13:
	s_or_saveexec_b64 s[4:5], s[4:5]
	v_mov_b32_e32 v62, 16
	s_xor_b64 exec, exec, s[4:5]
; %bb.14:
	v_sub_u32_e32 v8, v1, v8
	v_cmp_lt_i32_e32 vcc, v0, v8
	s_nop 1
	v_cndmask_b32_e64 v62, 32, 0, vcc
; %bb.15:
	s_or_b64 exec, exec, s[4:5]
.LBB6_16:
	s_andn2_saveexec_b64 s[0:1], s[0:1]
; %bb.17:
	v_mov_b32_e32 v62, 8
; %bb.18:
	s_or_b64 exec, exec, s[0:1]
.LBB6_19:
	s_or_b64 exec, exec, s[2:3]
	v_and_b32_e32 v8, 36, v62
	v_cmp_ne_u32_e32 vcc, 0, v8
	v_mov_b32_e32 v8, -1
	s_and_saveexec_b64 s[0:1], vcc
	s_cbranch_execz .LBB6_21
; %bb.20:
	s_trap 2
	ds_read_b32 v8, v0
.LBB6_21:
	s_or_b64 exec, exec, s[0:1]
	v_and_b32_e32 v9, 24, v62
	v_cmp_ne_u32_e64 s[0:1], 0, v9
	s_and_saveexec_b64 s[2:3], s[0:1]
	s_cbranch_execz .LBB6_23
; %bb.22:
	s_trap 2
	s_waitcnt lgkmcnt(0)
	ds_read_b32 v8, v0
.LBB6_23:
	s_or_b64 exec, exec, s[2:3]
	s_waitcnt vmcnt(0)
	v_lshrrev_b64 v[6:7], 31, v[6:7]
	v_and_b32_e32 v20, 3, v6
	v_mov_b64_e32 v[28:29], 0
	v_mov_b64_e32 v[6:7], 0
                                        ; implicit-def: $vgpr26_vgpr27
                                        ; implicit-def: $vgpr30
                                        ; implicit-def: $vgpr112_vgpr113
                                        ; implicit-def: $vgpr34_vgpr35
                                        ; implicit-def: $vgpr48_vgpr49
                                        ; implicit-def: $vgpr32_vgpr33
	s_and_saveexec_b64 s[0:1], vcc
	s_cbranch_execz .LBB6_33
; %bb.24:
	s_trap 2
	ds_read_b64 v[6:7], v0
	s_waitcnt lgkmcnt(1)
	v_ashrrev_i32_e32 v9, 31, v8
	s_movk_i32 s2, 0xa8
                                        ; implicit-def: $vgpr26_vgpr27
	s_waitcnt lgkmcnt(0)
	v_lshl_add_u64 v[6:7], v[8:9], 3, v[6:7]
	flat_load_dwordx2 v[6:7], v[6:7]
	v_and_b32_e32 v9, 0xffff, v20
	s_waitcnt vmcnt(0) lgkmcnt(0)
	v_mad_u64_u32 v[18:19], s[2:3], v9, s2, v[6:7]
	flat_load_dword v6, v[18:19] offset:640
	s_waitcnt vmcnt(0) lgkmcnt(0)
	v_cmp_eq_u32_e32 vcc, 1, v6
	s_and_saveexec_b64 s[2:3], vcc
	s_cbranch_execz .LBB6_26
; %bb.25:
	flat_load_dwordx2 v[26:27], v[18:19] offset:648
	v_or_b32_e32 v62, 0x2000, v62
	s_waitcnt vmcnt(0) lgkmcnt(0)
	flat_load_dwordx2 v[6:7], v[26:27]
	s_trap 2
	s_waitcnt vmcnt(0) lgkmcnt(0)
	ds_write_b64 v0, v[6:7]
	flat_load_dwordx2 v[6:7], v[26:27] offset:8
	s_waitcnt vmcnt(0) lgkmcnt(0)
	ds_write_b64 v0, v[6:7]
	flat_load_dwordx2 v[6:7], v[26:27] offset:16
	s_waitcnt vmcnt(0) lgkmcnt(0)
	ds_write_b64 v0, v[6:7]
.LBB6_26:
	s_or_b64 exec, exec, s[2:3]
	flat_load_dwordx2 v[6:7], v[18:19] offset:608
	v_and_b32_e32 v9, 32, v62
	v_cmp_ne_u32_e32 vcc, 0, v9
                                        ; implicit-def: $vgpr32_vgpr33
	s_waitcnt vmcnt(0) lgkmcnt(0)
	v_lshl_add_u64 v[112:113], v[6:7], 0, 3
	v_and_b32_e32 v112, -4, v112
	s_and_saveexec_b64 s[2:3], vcc
	s_cbranch_execz .LBB6_28
; %bb.27:
	flat_load_dwordx2 v[32:33], v[18:19] offset:560
	s_waitcnt vmcnt(0) lgkmcnt(0)
	flat_store_dwordx2 v[32:33], v[112:113] sc0 sc1
.LBB6_28:
	s_or_b64 exec, exec, s[2:3]
	s_mov_b64 s[2:3], 0x1f8
	v_and_b32_e32 v6, 4, v62
	v_lshl_add_u64 v[28:29], v[18:19], 0, s[2:3]
	v_cmp_ne_u32_e32 vcc, 0, v6
	v_mov_b64_e32 v[6:7], 0
                                        ; implicit-def: $vgpr30
                                        ; implicit-def: $vgpr34_vgpr35
                                        ; implicit-def: $vgpr48_vgpr49
	s_and_saveexec_b64 s[2:3], vcc
	s_cbranch_execz .LBB6_32
; %bb.29:
	v_and_b32_e32 v6, 0x800, v62
	v_cmp_eq_u32_e32 vcc, 0, v6
	s_and_saveexec_b64 s[4:5], vcc
	s_cbranch_execz .LBB6_31
; %bb.30:
	s_trap 2
	ds_write_b64 v0, v[28:29]
.LBB6_31:
	s_or_b64 exec, exec, s[4:5]
	flat_load_dwordx2 v[32:33], v[18:19] offset:552
	s_waitcnt vmcnt(0) lgkmcnt(0)
	flat_load_dwordx2 v[48:49], v[32:33] sc0 sc1
	flat_load_dword v9, v[18:19] offset:576
	flat_load_dwordx2 v[6:7], v[18:19] offset:600
	flat_load_dwordx2 v[34:35], v[18:19] offset:520
	v_or_b32_e32 v18, 0x100, v62
	s_waitcnt vmcnt(0) lgkmcnt(0)
	v_ashrrev_i32_e32 v30, 1, v9
	v_cmp_eq_u64_e32 vcc, 0, v[6:7]
	s_nop 1
	v_cndmask_b32_e32 v62, v18, v62, vcc
.LBB6_32:
	s_or_b64 exec, exec, s[2:3]
.LBB6_33:
	s_or_b64 exec, exec, s[0:1]
	v_and_b32_e32 v9, 24, v62
	v_cmp_ne_u32_e32 vcc, 0, v9
                                        ; implicit-def: $vgpr36_vgpr37
	s_and_saveexec_b64 s[0:1], vcc
	s_cbranch_execz .LBB6_41
; %bb.34:
	s_trap 2
	ds_read_b64 v[6:7], v0
	s_waitcnt lgkmcnt(0)
	v_ashrrev_i32_e32 v9, 31, v8
	s_movk_i32 s2, 0xa8
	v_or_b32_e32 v18, 0x100, v62
                                        ; implicit-def: $vgpr36_vgpr37
	v_lshl_add_u64 v[6:7], v[8:9], 3, v[6:7]
	flat_load_dwordx2 v[6:7], v[6:7]
	v_and_b32_e32 v8, 0xffff, v20
	s_waitcnt vmcnt(0) lgkmcnt(0)
	v_mad_u64_u32 v[28:29], s[2:3], v8, s2, v[6:7]
	flat_load_dwordx4 v[6:9], v[28:29] offset:96
	s_waitcnt vmcnt(0) lgkmcnt(0)
	v_cmp_eq_u64_e32 vcc, 0, v[6:7]
	s_nop 1
	v_cndmask_b32_e32 v62, v18, v62, vcc
	v_and_b32_e32 v18, 16, v62
	v_cmp_ne_u32_e32 vcc, 0, v18
	s_and_saveexec_b64 s[2:3], vcc
	s_cbranch_execz .LBB6_36
; %bb.35:
	flat_load_dwordx2 v[32:33], v[28:29] offset:48
	flat_load_dwordx2 v[36:37], v[28:29] offset:120
	;; [unrolled: 1-line block ×3, first 2 shown]
.LBB6_36:
	s_or_b64 exec, exec, s[2:3]
	v_lshl_add_u64 v[112:113], v[8:9], 0, 3
	v_and_b32_e32 v8, 8, v62
	v_and_b32_e32 v112, -4, v112
	v_cmp_ne_u32_e32 vcc, 0, v8
	s_and_saveexec_b64 s[2:3], vcc
	s_cbranch_execz .LBB6_40
; %bb.37:
	v_and_b32_e32 v8, 0x800, v62
	v_cmp_eq_u32_e32 vcc, 0, v8
	s_and_saveexec_b64 s[4:5], vcc
	s_cbranch_execz .LBB6_39
; %bb.38:
	s_trap 2
	ds_write_b64 v0, v[28:29]
.LBB6_39:
	s_or_b64 exec, exec, s[4:5]
	s_waitcnt vmcnt(0) lgkmcnt(0)
	flat_load_dwordx2 v[32:33], v[28:29] offset:56
	s_waitcnt vmcnt(0) lgkmcnt(0)
	flat_load_dwordx2 v[48:49], v[32:33] sc0 sc1
	flat_load_dword v8, v[28:29] offset:72
	flat_load_dwordx2 v[34:35], v[28:29] offset:16
	s_waitcnt vmcnt(0) lgkmcnt(0)
	v_ashrrev_i32_e32 v30, 1, v8
.LBB6_40:
	s_or_b64 exec, exec, s[2:3]
.LBB6_41:
	s_or_b64 exec, exec, s[0:1]
	v_cmp_eq_u32_e64 s[0:1], 0, v0
	s_and_saveexec_b64 s[2:3], s[0:1]
	s_cbranch_execz .LBB6_43
; %bb.42:
	s_waitcnt lgkmcnt(0)
	flat_load_dwordx2 v[8:9], v[2:3] offset:32
	ds_write2_b64 v0, v[12:13], v[10:11] offset1:1
	s_trap 2
	s_waitcnt vmcnt(0) lgkmcnt(0)
	ds_write_b64 v0, v[8:9]
	ds_write_b64 v0, v[16:17]
.LBB6_43:
	s_or_b64 exec, exec, s[2:3]
	v_mov_b64_e32 v[38:39], 0
	v_cmp_lt_i64_e32 vcc, 0, v[4:5]
	s_mov_b64 s[2:3], exec
	v_writelane_b32 v120, s2, 2
	s_nop 1
	v_writelane_b32 v120, s3, 3
	s_and_b64 s[2:3], s[2:3], vcc
	s_mov_b64 exec, s[2:3]
	s_cbranch_execz .LBB6_2236
; %bb.44:
	s_waitcnt lgkmcnt(0)
	flat_load_dword v8, v[2:3] offset:4
	s_ashr_i32 s9, s8, 31
	s_lshr_b32 s9, s9, 29
	s_add_i32 s8, s8, s9
	s_ashr_i32 s65, s64, 31
	s_ashr_i32 s9, s8, 4
	v_writelane_b32 v120, s24, 4
	s_add_u32 s20, s64, -1
	s_addc_u32 s21, s65, -1
	v_writelane_b32 v120, s25, 5
	v_writelane_b32 v120, s20, 6
	s_add_i32 s66, s64, s64
	v_lshrrev_b32_e32 v52, 6, v1
	v_writelane_b32 v120, s21, 7
	s_not_b32 s20, s64
	s_cmp_gt_i32 s64, 0
	s_cselect_b32 s20, s20, -1
	s_ashr_i32 s8, s8, 31
	s_lshr_b32 s8, s8, 28
	s_add_i32 s67, s20, s66
	s_add_i32 s9, s9, s8
	s_ashr_i32 s68, s67, 31
	s_ashr_i32 s69, s9, 4
	s_cmp_gt_i32 s64, 2
	s_cselect_b64 s[74:75], -1, 0
	s_add_i32 s70, s33, 0xd0
	s_add_i32 s71, s33, 0xb0
	;; [unrolled: 1-line block ×13, first 2 shown]
	v_and_b32_e32 v2, 0x1fffff00, v14
	v_mov_b32_e32 v10, 0xfffff800
	v_mov_b32_e32 v11, 0xfffffe00
	v_lshlrev_b32_e32 v73, 10, v52
	v_lshlrev_b32_e32 v74, 7, v52
	v_and_b32_e32 v9, 63, v31
	v_and_b32_e32 v63, 63, v0
	v_mad_i64_i32 v[64:65], s[12:13], v2, s64, 0
	v_lshl_add_u32 v68, v52, 11, v10
	v_lshl_add_u32 v70, v52, 9, v11
	v_add_u32_e32 v80, 0xfffffc00, v73
	v_add_u32_e32 v82, 0xffffff80, v74
	v_mov_b32_e32 v3, 0
	v_cmp_ge_u32_e32 vcc, v0, v1
	v_lshrrev_b32_e32 v72, 6, v0
	s_mov_b64 s[46:47], 0x800
	s_mov_b64 s[56:57], 0x400
	;; [unrolled: 1-line block ×4, first 2 shown]
	v_cmp_eq_u32_e64 s[12:13], 0, v9
	v_lshlrev_b32_e32 v9, 4, v63
	v_ashrrev_i32_e32 v69, 31, v68
	v_ashrrev_i32_e32 v71, 31, v70
	;; [unrolled: 1-line block ×5, first 2 shown]
	v_cmp_eq_u32_e64 s[2:3], 64, v1
	v_cmp_ne_u32_e64 s[4:5], 64, v1
	v_cmp_ne_u32_sdwa s[44:45], v1, v50 src0_sel:DWORD src1_sel:WORD_0
	s_mov_b64 s[62:63], 0
	s_waitcnt vmcnt(0)
	v_cmp_eq_u64_e64 s[6:7], 0, v[36:37]
	v_cmp_ne_u64_e64 s[10:11], 0, v[36:37]
	v_lshlrev_b32_e32 v54, 4, v0
	v_mov_b32_e32 v53, v3
	v_cmp_eq_u32_e64 s[14:15], 0, v63
	v_cmp_lt_u32_e64 s[16:17], v63, v15
	v_mov_b32_e32 v67, v3
	v_cmp_le_u32_e64 s[18:19], v63, v15
	v_mov_b32_e32 v55, v3
	v_lshl_or_b32 v66, v72, 11, v9
	v_lshl_add_u64 v[84:85], v[68:69], 0, s[46:47]
	s_waitcnt lgkmcnt(0)
	v_and_b32_e32 v8, 1, v8
	v_cmp_eq_u32_e64 s[20:21], 1, v8
	s_xor_b64 s[76:77], s[20:21], -1
	s_cmp_ge_i32 s8, s64
	s_cselect_b32 s9, s64, 0
	s_sub_i32 s98, s8, s9
	v_lshl_add_u64 v[86:87], v[70:71], 0, s[58:59]
	v_lshl_add_u64 v[96:97], v[80:81], 0, s[56:57]
	v_lshl_add_u64 v[98:99], v[82:83], 0, s[60:61]
	s_ashr_i32 s99, s98, 31
	s_add_i32 s42, s64, -2
	v_mov_b64_e32 v[100:101], 0
	v_mov_b64_e32 v[38:39], 0
	s_xor_b64 s[78:79], vcc, -1
	v_mov_b32_e32 v75, 1
	s_movk_i32 s43, 0x108
	s_mov_b32 s40, 0x7f800000
	s_movk_i32 s41, 0x7fff
	s_mov_b32 s72, 0xffff0000
	v_mov_b32_e32 v108, v3
	v_mov_b32_e32 v109, v3
	;; [unrolled: 1-line block ×8, first 2 shown]
	v_mov_b64_e32 v[102:103], v[2:3]
	s_trap 2
	s_branch .LBB6_47
.LBB6_45:                               ;   in Loop: Header=BB6_47 Depth=1
	s_or_b64 exec, exec, s[26:27]
.LBB6_46:                               ;   in Loop: Header=BB6_47 Depth=1
	s_or_b64 exec, exec, s[24:25]
	v_lshl_add_u64 v[100:101], v[100:101], 0, v[64:65]
	v_cmp_ge_i64_e32 vcc, v[100:101], v[4:5]
	s_or_b64 s[62:63], vcc, s[62:63]
	s_andn2_b64 exec, exec, s[62:63]
	s_cbranch_execz .LBB6_2235
.LBB6_47:                               ; =>This Loop Header: Depth=1
                                        ;     Child Loop BB6_57 Depth 2
                                        ;       Child Loop BB6_65 Depth 3
                                        ;       Child Loop BB6_89 Depth 3
	;; [unrolled: 1-line block ×9, first 2 shown]
                                        ;     Child Loop BB6_228 Depth 2
                                        ;       Child Loop BB6_234 Depth 3
                                        ;       Child Loop BB6_258 Depth 3
	;; [unrolled: 1-line block ×3, first 2 shown]
                                        ;     Child Loop BB6_300 Depth 2
                                        ;       Child Loop BB6_303 Depth 3
                                        ;         Child Loop BB6_311 Depth 4
                                        ;         Child Loop BB6_339 Depth 4
	;; [unrolled: 1-line block ×4, first 2 shown]
                                        ;           Child Loop BB6_388 Depth 5
                                        ;           Child Loop BB6_425 Depth 5
                                        ;         Child Loop BB6_500 Depth 4
                                        ;           Child Loop BB6_501 Depth 5
                                        ;           Child Loop BB6_538 Depth 5
                                        ;         Child Loop BB6_615 Depth 4
                                        ;         Child Loop BB6_674 Depth 4
                                        ;           Child Loop BB6_675 Depth 5
                                        ;           Child Loop BB6_684 Depth 5
                                        ;         Child Loop BB6_703 Depth 4
                                        ;         Child Loop BB6_722 Depth 4
                                        ;       Child Loop BB6_741 Depth 3
                                        ;         Child Loop BB6_747 Depth 4
                                        ;         Child Loop BB6_775 Depth 4
	;; [unrolled: 1-line block ×3, first 2 shown]
                                        ;     Child Loop BB6_816 Depth 2
                                        ;       Child Loop BB6_824 Depth 3
                                        ;       Child Loop BB6_852 Depth 3
	;; [unrolled: 1-line block ×4, first 2 shown]
                                        ;         Child Loop BB6_895 Depth 4
                                        ;         Child Loop BB6_930 Depth 4
	;; [unrolled: 1-line block ×4, first 2 shown]
                                        ;       Child Loop BB6_1009 Depth 3
                                        ;       Child Loop BB6_1014 Depth 3
                                        ;         Child Loop BB6_1015 Depth 4
                                        ;         Child Loop BB6_1050 Depth 4
	;; [unrolled: 1-line block ×4, first 2 shown]
                                        ;       Child Loop BB6_1126 Depth 3
                                        ;       Child Loop BB6_1134 Depth 3
	;; [unrolled: 1-line block ×3, first 2 shown]
                                        ;         Child Loop BB6_1196 Depth 4
                                        ;         Child Loop BB6_1203 Depth 4
	;; [unrolled: 1-line block ×4, first 2 shown]
                                        ;       Child Loop BB6_1222 Depth 3
                                        ;       Child Loop BB6_1234 Depth 3
                                        ;         Child Loop BB6_1235 Depth 4
                                        ;         Child Loop BB6_1272 Depth 4
                                        ;       Child Loop BB6_1349 Depth 3
                                        ;         Child Loop BB6_1350 Depth 4
                                        ;         Child Loop BB6_1387 Depth 4
                                        ;       Child Loop BB6_1464 Depth 3
                                        ;       Child Loop BB6_1523 Depth 3
                                        ;         Child Loop BB6_1524 Depth 4
                                        ;         Child Loop BB6_1533 Depth 4
                                        ;       Child Loop BB6_1552 Depth 3
                                        ;       Child Loop BB6_1575 Depth 3
                                        ;     Child Loop BB6_1593 Depth 2
                                        ;       Child Loop BB6_1599 Depth 3
                                        ;       Child Loop BB6_1627 Depth 3
	;; [unrolled: 1-line block ×3, first 2 shown]
                                        ;     Child Loop BB6_1669 Depth 2
                                        ;       Child Loop BB6_1672 Depth 3
                                        ;         Child Loop BB6_1680 Depth 4
                                        ;         Child Loop BB6_1708 Depth 4
	;; [unrolled: 1-line block ×4, first 2 shown]
                                        ;           Child Loop BB6_1752 Depth 5
                                        ;           Child Loop BB6_1757 Depth 5
                                        ;         Child Loop BB6_1770 Depth 4
                                        ;         Child Loop BB6_1775 Depth 4
                                        ;           Child Loop BB6_1777 Depth 5
                                        ;           Child Loop BB6_1782 Depth 5
                                        ;         Child Loop BB6_1788 Depth 4
                                        ;         Child Loop BB6_1796 Depth 4
	;; [unrolled: 1-line block ×3, first 2 shown]
                                        ;           Child Loop BB6_1808 Depth 5
                                        ;           Child Loop BB6_1813 Depth 5
                                        ;         Child Loop BB6_1817 Depth 4
                                        ;         Child Loop BB6_1829 Depth 4
	;; [unrolled: 1-line block ×7, first 2 shown]
                                        ;       Child Loop BB6_1921 Depth 3
                                        ;         Child Loop BB6_1927 Depth 4
                                        ;         Child Loop BB6_1955 Depth 4
	;; [unrolled: 1-line block ×3, first 2 shown]
                                        ;     Child Loop BB6_2000 Depth 2
                                        ;       Child Loop BB6_2008 Depth 3
                                        ;       Child Loop BB6_2032 Depth 3
	;; [unrolled: 1-line block ×9, first 2 shown]
                                        ;     Child Loop BB6_2169 Depth 2
                                        ;       Child Loop BB6_2175 Depth 3
                                        ;       Child Loop BB6_2199 Depth 3
	;; [unrolled: 1-line block ×3, first 2 shown]
	v_sub_co_u32_e32 v114, vcc, v4, v100
	s_nop 1
	v_subb_co_u32_e32 v115, vcc, v5, v101, vcc
	v_cmp_lt_i64_e32 vcc, v[114:115], v[64:65]
	s_and_saveexec_b64 s[24:25], vcc
	s_cbranch_execz .LBB6_53
; %bb.48:                               ;   in Loop: Header=BB6_47 Depth=1
	v_readlane_b32 s8, v120, 6
	v_readlane_b32 s9, v120, 7
	v_mov_b32_e32 v10, v3
	s_nop 0
	v_lshl_add_u64 v[8:9], s[8:9], 0, v[114:115]
	v_or_b32_e32 v11, s65, v9
	v_cmp_ne_u64_e32 vcc, 0, v[10:11]
                                        ; implicit-def: $vgpr10_vgpr11
	s_and_saveexec_b64 s[8:9], vcc
	s_xor_b64 s[26:27], exec, s[8:9]
	s_cbranch_execz .LBB6_50
; %bb.49:                               ;   in Loop: Header=BB6_47 Depth=1
	s_ashr_i32 s28, s65, 31
	s_add_u32 s8, s64, s28
	s_mov_b32 s29, s28
	s_addc_u32 s9, s65, s28
	s_xor_b64 s[88:89], s[8:9], s[28:29]
	v_cvt_f32_u32_e32 v2, s88
	v_cvt_f32_u32_e32 v10, s89
	s_sub_u32 s22, 0, s88
	s_subb_u32 s23, 0, s89
	v_fmac_f32_e32 v2, 0x4f800000, v10
	v_rcp_f32_e32 v2, v2
	s_nop 0
	v_mul_f32_e32 v2, 0x5f7ffffc, v2
	v_mul_f32_e32 v10, 0x2f800000, v2
	v_trunc_f32_e32 v10, v10
	v_fmac_f32_e32 v2, 0xcf800000, v10
	v_cvt_u32_f32_e32 v10, v10
	v_cvt_u32_f32_e32 v2, v2
	v_readfirstlane_b32 s29, v10
	v_readfirstlane_b32 s8, v2
	s_mul_i32 s9, s22, s29
	s_mul_hi_u32 s90, s22, s8
	s_mul_i32 s73, s23, s8
	s_add_i32 s9, s90, s9
	s_add_i32 s9, s9, s73
	s_mul_i32 s91, s22, s8
	s_mul_i32 s90, s8, s9
	s_mul_hi_u32 s92, s8, s91
	s_mul_hi_u32 s73, s8, s9
	s_add_u32 s90, s92, s90
	s_addc_u32 s73, 0, s73
	s_mul_hi_u32 s93, s29, s91
	s_mul_i32 s91, s29, s91
	s_add_u32 s90, s90, s91
	s_mul_hi_u32 s92, s29, s9
	s_addc_u32 s73, s73, s93
	s_addc_u32 s90, s92, 0
	s_mul_i32 s9, s29, s9
	s_add_u32 s9, s73, s9
	s_addc_u32 s73, 0, s90
	s_add_u32 s90, s8, s9
	s_cselect_b64 s[8:9], -1, 0
	s_cmp_lg_u64 s[8:9], 0
	s_addc_u32 s29, s29, s73
	s_mul_i32 s8, s22, s29
	s_mul_hi_u32 s9, s22, s90
	s_add_i32 s8, s9, s8
	s_mul_i32 s23, s23, s90
	s_add_i32 s8, s8, s23
	s_mul_i32 s22, s22, s90
	s_mul_hi_u32 s23, s29, s22
	s_mul_i32 s73, s29, s22
	s_mul_i32 s92, s90, s8
	s_mul_hi_u32 s22, s90, s22
	s_mul_hi_u32 s91, s90, s8
	s_add_u32 s22, s22, s92
	s_addc_u32 s91, 0, s91
	s_add_u32 s22, s22, s73
	s_mul_hi_u32 s9, s29, s8
	s_addc_u32 s22, s91, s23
	s_addc_u32 s9, s9, 0
	s_mul_i32 s8, s29, s8
	s_add_u32 s8, s22, s8
	s_addc_u32 s22, 0, s9
	s_add_u32 s23, s90, s8
	v_ashrrev_i32_e32 v10, 31, v9
	s_cselect_b64 s[8:9], -1, 0
	v_mov_b32_e32 v11, v10
	s_cmp_lg_u64 s[8:9], 0
	v_lshl_add_u64 v[8:9], v[8:9], 0, v[10:11]
	s_addc_u32 s22, s29, s22
	v_xor_b32_e32 v16, v8, v10
	v_xor_b32_e32 v11, v9, v10
	v_mad_u64_u32 v[8:9], s[8:9], v16, s22, 0
	v_mul_hi_u32 v2, v16, s23
	v_lshl_add_u64 v[8:9], v[2:3], 0, v[8:9]
	v_mad_u64_u32 v[14:15], s[8:9], v11, s23, 0
	v_add_co_u32_e32 v2, vcc, v8, v14
	v_mad_u64_u32 v[12:13], s[8:9], v11, s22, 0
	s_nop 0
	v_addc_co_u32_e32 v2, vcc, v9, v15, vcc
	s_nop 1
	v_addc_co_u32_e32 v13, vcc, 0, v13, vcc
	v_lshl_add_u64 v[8:9], v[2:3], 0, v[12:13]
	v_mul_lo_u32 v2, s89, v8
	v_mul_lo_u32 v14, s88, v9
	v_mad_u64_u32 v[12:13], s[8:9], s88, v8, 0
	v_add3_u32 v2, v13, v14, v2
	v_sub_u32_e32 v13, v11, v2
	v_mov_b32_e32 v14, s89
	v_sub_co_u32_e32 v16, vcc, v16, v12
	s_nop 1
	v_subb_co_u32_e64 v12, s[22:23], v13, v14, vcc
	v_subrev_co_u32_e64 v13, s[22:23], s88, v16
	v_subb_co_u32_e32 v2, vcc, v11, v2, vcc
	s_nop 0
	v_subbrev_co_u32_e64 v12, s[22:23], 0, v12, s[22:23]
	v_cmp_le_u32_e64 s[22:23], s89, v12
	v_cmp_le_u32_e32 vcc, s89, v2
	s_nop 0
	v_cndmask_b32_e64 v14, 0, -1, s[22:23]
	v_cmp_le_u32_e64 s[22:23], s88, v13
	v_cndmask_b32_e64 v11, 0, -1, vcc
	v_cmp_le_u32_e32 vcc, s88, v16
	v_cndmask_b32_e64 v13, 0, -1, s[22:23]
	v_cmp_eq_u32_e64 s[22:23], s89, v12
	s_nop 1
	v_cndmask_b32_e64 v17, v14, v13, s[22:23]
	v_lshl_add_u64 v[12:13], v[8:9], 0, 2
	v_lshl_add_u64 v[14:15], v[8:9], 0, 1
	v_cmp_ne_u32_e64 s[22:23], 0, v17
	s_nop 1
	v_cndmask_b32_e64 v13, v15, v13, s[22:23]
	v_cndmask_b32_e64 v15, 0, -1, vcc
	v_cmp_eq_u32_e32 vcc, s89, v2
	s_nop 1
	v_cndmask_b32_e32 v2, v11, v15, vcc
	v_cmp_ne_u32_e32 vcc, 0, v2
	s_nop 1
	v_cndmask_b32_e32 v2, v9, v13, vcc
	v_cndmask_b32_e64 v9, v14, v12, s[22:23]
	v_cndmask_b32_e32 v8, v8, v9, vcc
	v_xor_b32_e32 v9, s28, v10
	v_xor_b32_e32 v8, v8, v9
	;; [unrolled: 1-line block ×3, first 2 shown]
	v_sub_co_u32_e32 v10, vcc, v8, v9
	s_nop 1
	v_subb_co_u32_e32 v11, vcc, v2, v9, vcc
                                        ; implicit-def: $vgpr8_vgpr9
.LBB6_50:                               ;   in Loop: Header=BB6_47 Depth=1
	s_andn2_saveexec_b64 s[22:23], s[26:27]
	s_cbranch_execz .LBB6_52
; %bb.51:                               ;   in Loop: Header=BB6_47 Depth=1
	v_cvt_f32_u32_e32 v2, s64
	s_sub_i32 s8, 0, s64
	v_rcp_iflag_f32_e32 v2, v2
	s_nop 0
	v_mul_f32_e32 v2, 0x4f7ffffe, v2
	v_cvt_u32_f32_e32 v2, v2
	v_mul_lo_u32 v9, s8, v2
	v_mul_hi_u32 v9, v2, v9
	v_add_u32_e32 v2, v2, v9
	v_mul_hi_u32 v2, v8, v2
	v_mul_lo_u32 v9, v2, s64
	v_sub_u32_e32 v8, v8, v9
	v_add_u32_e32 v10, 1, v2
	v_subrev_u32_e32 v9, s64, v8
	v_cmp_le_u32_e32 vcc, s64, v8
	s_nop 1
	v_cndmask_b32_e32 v8, v8, v9, vcc
	v_cndmask_b32_e32 v2, v2, v10, vcc
	v_add_u32_e32 v9, 1, v2
	v_cmp_le_u32_e32 vcc, s64, v8
	s_nop 1
	v_cndmask_b32_e32 v2, v2, v9, vcc
	v_mov_b64_e32 v[10:11], v[2:3]
.LBB6_52:                               ;   in Loop: Header=BB6_47 Depth=1
	s_or_b64 exec, exec, s[22:23]
	v_lshl_add_u64 v[102:103], v[10:11], 0, 7
	v_and_b32_e32 v102, -8, v102
.LBB6_53:                               ;   in Loop: Header=BB6_47 Depth=1
	s_or_b64 exec, exec, s[24:25]
	v_mul_lo_u32 v2, v103, s67
	v_mul_lo_u32 v8, v102, s68
	s_waitcnt lgkmcnt(0)
	v_mad_u64_u32 v[42:43], s[8:9], v102, s67, 0
	v_add3_u32 v43, v43, v8, v2
	v_sub_co_u32_e32 v8, vcc, v114, v42
	v_lshl_add_u64 v[116:117], v[100:101], 0, v[24:25]
	s_nop 0
	v_subb_co_u32_e32 v9, vcc, v115, v43, vcc
	v_cmp_lt_i64_e32 vcc, v[102:103], v[8:9]
	v_mov_b32_e32 v2, 0
	v_mov_b32_e32 v40, 0
	v_cndmask_b32_e32 v8, v8, v102, vcc
	v_max_i32_e32 v90, 0, v8
	v_add_u32_e32 v9, 31, v90
	v_ashrrev_i32_e32 v10, 31, v9
	v_lshrrev_b32_e32 v10, 27, v10
	v_add_u32_e32 v9, v9, v10
	v_ashrrev_i32_e32 v9, 5, v9
	v_lshlrev_b32_e32 v9, 4, v9
	v_cmp_lt_i32_e32 vcc, 0, v8
	v_max_i32_e32 v118, s69, v9
	s_and_b64 s[8:9], s[78:79], vcc
	s_and_saveexec_b64 s[24:25], s[8:9]
	s_cbranch_execz .LBB6_224
; %bb.54:                               ;   in Loop: Header=BB6_47 Depth=1
	s_mov_b32 s8, 1
	s_mov_b64 s[28:29], -1
	v_mov_b32_e32 v40, 0
	s_mov_b64 s[26:27], 0
	s_branch .LBB6_57
.LBB6_55:                               ;   in Loop: Header=BB6_57 Depth=2
	s_or_b64 exec, exec, s[88:89]
	v_lshl_add_u64 v[112:113], v[112:113], 0, 2
	flat_store_dwordx2 v[32:33], v[112:113] sc0 sc1
.LBB6_56:                               ;   in Loop: Header=BB6_57 Depth=2
	s_or_b64 exec, exec, s[22:23]
	v_add_u32_e32 v40, v118, v40
	v_cmp_ge_i32_e32 vcc, v40, v90
	s_xor_b64 s[22:23], s[28:29], -1
	s_or_b64 s[22:23], s[22:23], vcc
	s_and_b64 s[22:23], exec, s[22:23]
	s_or_b64 s[26:27], s[22:23], s[26:27]
	s_mov_b64 s[28:29], 0
	v_mov_b32_e32 v2, s8
	s_mov_b32 s8, 2
	s_andn2_b64 exec, exec, s[26:27]
	s_cbranch_execz .LBB6_223
.LBB6_57:                               ;   Parent Loop BB6_47 Depth=1
                                        ; =>  This Loop Header: Depth=2
                                        ;       Child Loop BB6_65 Depth 3
                                        ;       Child Loop BB6_89 Depth 3
	;; [unrolled: 1-line block ×9, first 2 shown]
	s_and_saveexec_b64 s[22:23], s[0:1]
	s_cbranch_execz .LBB6_59
; %bb.58:                               ;   in Loop: Header=BB6_57 Depth=2
	s_trap 2
	ds_read_b64 v[8:9], v0
	v_ashrrev_i32_e32 v41, 31, v40
	s_waitcnt lgkmcnt(0)
	v_lshl_add_u64 v[8:9], v[116:117], 1, v[8:9]
	v_lshl_add_u64 v[8:9], v[42:43], 1, v[8:9]
	;; [unrolled: 1-line block ×3, first 2 shown]
	ds_write_b64 v0, v[8:9]
	ds_write_b64 v0, v[108:109]
.LBB6_59:                               ;   in Loop: Header=BB6_57 Depth=2
	s_or_b64 exec, exec, s[22:23]
	v_sub_u32_e32 v2, v90, v40
	v_min_i32_e32 v118, v118, v2
	v_and_b32_e32 v2, 8, v62
	v_cmp_ne_u32_e32 vcc, 0, v2
	s_and_saveexec_b64 s[88:89], vcc
	s_cbranch_execz .LBB6_81
; %bb.60:                               ;   in Loop: Header=BB6_57 Depth=2
	s_waitcnt vmcnt(0)
	v_lshl_add_u64 v[10:11], v[48:49], 0, 8
	v_lshl_add_u64 v[8:9], v[112:113], 0, 2
	v_cmp_lt_u64_e32 vcc, v[10:11], v[8:9]
	s_and_saveexec_b64 s[90:91], vcc
	s_cbranch_execz .LBB6_72
; %bb.61:                               ;   in Loop: Header=BB6_57 Depth=2
	v_and_b32_e32 v2, 64, v62
	s_mov_b32 s9, 0
	v_cmp_eq_u32_e32 vcc, 0, v2
	s_mov_b64 s[92:93], 0
                                        ; implicit-def: $sgpr94_sgpr95
                                        ; implicit-def: $sgpr30_sgpr31
                                        ; implicit-def: $sgpr34_sgpr35
	s_branch .LBB6_65
.LBB6_62:                               ;   in Loop: Header=BB6_65 Depth=3
	s_waitcnt vmcnt(0) lgkmcnt(0)
	v_lshl_add_u64 v[10:11], v[48:49], 0, 8
	v_cmp_ge_u64_e64 s[22:23], v[10:11], v[8:9]
	s_or_b64 s[48:49], s[48:49], exec
	s_orn2_b64 s[38:39], s[22:23], exec
.LBB6_63:                               ;   in Loop: Header=BB6_65 Depth=3
	s_or_b64 exec, exec, s[52:53]
	s_andn2_b64 s[22:23], s[34:35], exec
	s_and_b64 s[34:35], s[48:49], exec
	s_or_b64 s[34:35], s[22:23], s[34:35]
	s_andn2_b64 s[22:23], s[30:31], exec
	s_and_b64 s[30:31], s[38:39], exec
	s_or_b64 s[30:31], s[22:23], s[30:31]
.LBB6_64:                               ;   in Loop: Header=BB6_65 Depth=3
	s_or_b64 exec, exec, s[36:37]
	s_and_b64 s[22:23], exec, s[30:31]
	s_or_b64 s[92:93], s[22:23], s[92:93]
	s_andn2_b64 s[22:23], s[94:95], exec
	s_and_b64 s[94:95], s[34:35], exec
	s_or_b64 s[94:95], s[22:23], s[94:95]
	s_andn2_b64 exec, exec, s[92:93]
	s_cbranch_execz .LBB6_69
.LBB6_65:                               ;   Parent Loop BB6_47 Depth=1
                                        ;     Parent Loop BB6_57 Depth=2
                                        ; =>    This Inner Loop Header: Depth=3
	s_sleep 1
	s_waitcnt vmcnt(0) lgkmcnt(0)
	flat_load_dwordx2 v[48:49], v[32:33] sc0 sc1
	s_or_b64 s[34:35], s[34:35], exec
	s_or_b64 s[30:31], s[30:31], exec
                                        ; implicit-def: $vgpr2
	s_and_saveexec_b64 s[36:37], vcc
	s_cbranch_execz .LBB6_64
; %bb.66:                               ;   in Loop: Header=BB6_65 Depth=3
	s_cmpk_lt_i32 s9, 0x270f
	s_cselect_b64 s[50:51], -1, 0
	s_cmpk_gt_i32 s9, 0x270e
	s_mov_b64 s[38:39], -1
	s_cbranch_scc0 .LBB6_68
; %bb.67:                               ;   in Loop: Header=BB6_65 Depth=3
	s_trap 2
	ds_read_b64 v[10:11], v0
	s_andn2_b64 s[50:51], s[50:51], exec
	s_mov_b32 s9, 0
	s_mov_b64 s[48:49], 0
	s_waitcnt vmcnt(0) lgkmcnt(0)
	flat_load_dword v2, v[10:11] sc0 sc1
	s_waitcnt vmcnt(0) lgkmcnt(0)
	buffer_inv sc0 sc1
	v_cmp_eq_u32_e64 s[22:23], 0, v2
	s_and_b64 s[22:23], s[22:23], exec
	s_or_b64 s[50:51], s[50:51], s[22:23]
	s_and_saveexec_b64 s[52:53], s[50:51]
	s_cbranch_execz .LBB6_63
	s_branch .LBB6_62
.LBB6_68:                               ;   in Loop: Header=BB6_65 Depth=3
	s_add_i32 s9, s9, 1
	s_mov_b64 s[48:49], -1
                                        ; implicit-def: $vgpr2
	s_and_saveexec_b64 s[52:53], s[50:51]
	s_cbranch_execz .LBB6_63
	s_branch .LBB6_62
.LBB6_69:                               ;   in Loop: Header=BB6_57 Depth=2
	s_or_b64 exec, exec, s[92:93]
	s_xor_b64 s[22:23], s[94:95], -1
	s_and_saveexec_b64 s[92:93], s[22:23]
	s_xor_b64 s[22:23], exec, s[92:93]
	s_cbranch_execz .LBB6_71
; %bb.70:                               ;   in Loop: Header=BB6_57 Depth=2
	v_or_b32_e32 v62, 64, v62
	s_waitcnt lgkmcnt(0)
	ds_write_b32 v0, v2
	s_trap 2
.LBB6_71:                               ;   in Loop: Header=BB6_57 Depth=2
	s_or_b64 exec, exec, s[22:23]
.LBB6_72:                               ;   in Loop: Header=BB6_57 Depth=2
	s_or_b64 exec, exec, s[90:91]
	v_and_b32_e32 v2, 0x100, v62
	v_cmp_ne_u32_e32 vcc, 0, v2
	v_and_b32_e32 v2, 7, v112
	s_mov_b64 s[22:23], -1
	;;#ASMSTART
	s_wakeup
	;;#ASMEND
                                        ; implicit-def: $vgpr10_vgpr11
	s_and_saveexec_b64 s[90:91], vcc
	s_cbranch_execz .LBB6_76
; %bb.73:                               ;   in Loop: Header=BB6_57 Depth=2
	v_mad_u64_u32 v[12:13], s[22:23], v2, 24, v[6:7]
	flat_load_dword v14, v[12:13]
	v_ashrrev_i32_e32 v119, 31, v118
	v_lshlrev_b64 v[10:11], 1, v[118:119]
	flat_store_dwordx2 v[12:13], v[10:11] offset:8
                                        ; implicit-def: $vgpr10_vgpr11
	s_waitcnt vmcnt(0) lgkmcnt(0)
	v_cmp_ne_u32_e32 vcc, 1, v14
	v_cmp_eq_u32_e64 s[22:23], 1, v14
	s_and_saveexec_b64 s[92:93], s[22:23]
	s_cbranch_execz .LBB6_75
; %bb.74:                               ;   in Loop: Header=BB6_57 Depth=2
	flat_load_dword v10, v[12:13] offset:4 sc0 sc1
	s_waitcnt vmcnt(0) lgkmcnt(0)
	v_ashrrev_i32_e32 v11, 31, v10
	v_lshrrev_b64 v[10:11], 1, v[10:11]
.LBB6_75:                               ;   in Loop: Header=BB6_57 Depth=2
	s_or_b64 exec, exec, s[92:93]
	s_orn2_b64 s[22:23], vcc, exec
.LBB6_76:                               ;   in Loop: Header=BB6_57 Depth=2
	s_or_b64 exec, exec, s[90:91]
	s_and_saveexec_b64 s[90:91], s[22:23]
; %bb.77:                               ;   in Loop: Header=BB6_57 Depth=2
	v_mad_i64_i32 v[10:11], s[22:23], v2, v30, 0
; %bb.78:                               ;   in Loop: Header=BB6_57 Depth=2
	s_or_b64 exec, exec, s[90:91]
	v_and_b32_e32 v2, 0x2000, v62
	v_lshl_add_u64 v[10:11], v[10:11], 1, v[34:35]
	v_cmp_ne_u32_e32 vcc, 0, v2
	ds_write_b64 v0, v[10:11] offset:784
	s_and_saveexec_b64 s[22:23], vcc
	s_cbranch_execz .LBB6_80
; %bb.79:                               ;   in Loop: Header=BB6_57 Depth=2
	ds_read_b64 v[10:11], v0 offset:872
	s_waitcnt lgkmcnt(0)
	v_lshl_add_u64 v[10:11], v[10:11], 0, 1
	ds_write_b64 v0, v[10:11] offset:872
.LBB6_80:                               ;   in Loop: Header=BB6_57 Depth=2
	s_or_b64 exec, exec, s[22:23]
	v_mov_b64_e32 v[112:113], v[8:9]
.LBB6_81:                               ;   in Loop: Header=BB6_57 Depth=2
	s_or_b64 exec, exec, s[88:89]
	s_and_saveexec_b64 s[22:23], s[4:5]
	s_cbranch_execz .LBB6_100
; %bb.82:                               ;   in Loop: Header=BB6_57 Depth=2
	s_and_saveexec_b64 s[88:89], s[44:45]
	s_xor_b64 s[88:89], exec, s[88:89]
	s_cbranch_execz .LBB6_97
; %bb.83:                               ;   in Loop: Header=BB6_57 Depth=2
	s_and_saveexec_b64 s[90:91], s[12:13]
	s_cbranch_execz .LBB6_96
; %bb.84:                               ;   in Loop: Header=BB6_57 Depth=2
	s_mov_b64 s[94:95], exec
	v_mbcnt_lo_u32_b32 v2, s94, 0
	v_mbcnt_hi_u32_b32 v2, s95, v2
	v_cmp_eq_u32_e32 vcc, 0, v2
	s_waitcnt lgkmcnt(0)
	s_and_saveexec_b64 s[92:93], vcc
	s_cbranch_execz .LBB6_86
; %bb.85:                               ;   in Loop: Header=BB6_57 Depth=2
	s_bcnt1_i32_b64 s9, s[94:95]
	v_mov_b32_e32 v2, s9
	ds_add_u64 v0, v[2:3]
	s_trap 2
.LBB6_86:                               ;   in Loop: Header=BB6_57 Depth=2
	s_or_b64 exec, exec, s[92:93]
	s_trap 2
	ds_read_b64 v[8:9], v0
	s_waitcnt lgkmcnt(0)
	v_lshl_add_u64 v[38:39], v[38:39], 0, v[52:53]
	v_cmp_lt_u64_e32 vcc, v[8:9], v[38:39]
	s_and_saveexec_b64 s[92:93], vcc
	s_cbranch_execz .LBB6_95
; %bb.87:                               ;   in Loop: Header=BB6_57 Depth=2
	s_mov_b32 s9, 0
	s_mov_b64 s[94:95], 0
                                        ; implicit-def: $sgpr30_sgpr31
                                        ; implicit-def: $sgpr34_sgpr35
	s_branch .LBB6_89
.LBB6_88:                               ;   in Loop: Header=BB6_89 Depth=3
	s_or_b64 exec, exec, s[38:39]
	s_and_b64 vcc, exec, vcc
	s_or_b64 s[94:95], vcc, s[94:95]
	s_andn2_b64 vcc, s[30:31], exec
	s_and_b64 s[30:31], s[34:35], exec
	s_or_b64 s[30:31], vcc, s[30:31]
	s_andn2_b64 exec, exec, s[94:95]
	s_cbranch_execz .LBB6_93
.LBB6_89:                               ;   Parent Loop BB6_47 Depth=1
                                        ;     Parent Loop BB6_57 Depth=2
                                        ; =>    This Inner Loop Header: Depth=3
	s_add_i32 s9, s9, 1
	s_cmpk_lg_i32 s9, 0x2710
	s_cselect_b64 s[36:37], -1, 0
	s_and_b64 vcc, exec, s[36:37]
	s_cbranch_vccz .LBB6_91
; %bb.90:                               ;   in Loop: Header=BB6_89 Depth=3
	s_mov_b64 vcc, -1
	s_or_b64 s[34:35], s[34:35], exec
	s_and_saveexec_b64 s[38:39], s[36:37]
	s_cbranch_execz .LBB6_88
	s_branch .LBB6_92
.LBB6_91:                               ;   in Loop: Header=BB6_89 Depth=3
	s_trap 2
	ds_read_b64 v[8:9], v0
	s_andn2_b64 s[36:37], s[36:37], exec
	s_mov_b32 s9, 0
	s_waitcnt vmcnt(0) lgkmcnt(0)
	flat_load_dword v2, v[8:9] sc0 sc1
	s_waitcnt vmcnt(0) lgkmcnt(0)
	buffer_inv sc0 sc1
	v_cmp_eq_u32_e32 vcc, 0, v2
	s_and_b64 vcc, vcc, exec
	s_or_b64 s[36:37], s[36:37], vcc
	s_mov_b64 vcc, -1
	s_or_b64 s[34:35], s[34:35], exec
	s_and_saveexec_b64 s[38:39], s[36:37]
	s_cbranch_execz .LBB6_88
.LBB6_92:                               ;   in Loop: Header=BB6_89 Depth=3
	s_sleep 1
	s_trap 2
	ds_read_b64 v[8:9], v0
	s_waitcnt lgkmcnt(0)
	s_andn2_b64 s[34:35], s[34:35], exec
	v_cmp_ge_u64_e32 vcc, v[8:9], v[38:39]
	s_orn2_b64 vcc, vcc, exec
	s_branch .LBB6_88
.LBB6_93:                               ;   in Loop: Header=BB6_57 Depth=2
	s_or_b64 exec, exec, s[94:95]
	s_and_saveexec_b64 s[94:95], s[30:31]
	s_xor_b64 s[94:95], exec, s[94:95]
	s_cbranch_execz .LBB6_95
; %bb.94:                               ;   in Loop: Header=BB6_57 Depth=2
	ds_write_b32 v0, v75
	s_trap 2
.LBB6_95:                               ;   in Loop: Header=BB6_57 Depth=2
	s_or_b64 exec, exec, s[92:93]
	;;#ASMSTART
	s_wakeup
	;;#ASMEND
.LBB6_96:                               ;   in Loop: Header=BB6_57 Depth=2
	s_or_b64 exec, exec, s[90:91]
.LBB6_97:                               ;   in Loop: Header=BB6_57 Depth=2
	s_andn2_saveexec_b64 s[88:89], s[88:89]
	s_cbranch_execz .LBB6_99
; %bb.98:                               ;   in Loop: Header=BB6_57 Depth=2
	s_waitcnt lgkmcnt(0)
	s_barrier
.LBB6_99:                               ;   in Loop: Header=BB6_57 Depth=2
	s_or_b64 exec, exec, s[88:89]
.LBB6_100:                              ;   in Loop: Header=BB6_57 Depth=2
	s_or_b64 exec, exec, s[22:23]
	s_trap 2
	ds_read_b32 v8, v0
	v_and_b32_e32 v2, 0x4000, v62
	v_cmp_ne_u32_e32 vcc, 0, v2
	s_xor_b64 s[22:23], s[2:3], -1
	s_and_b64 s[88:89], s[22:23], vcc
	s_and_saveexec_b64 s[22:23], s[88:89]
	s_cbranch_execz .LBB6_119
; %bb.101:                              ;   in Loop: Header=BB6_57 Depth=2
	s_and_saveexec_b64 s[88:89], s[44:45]
	s_xor_b64 s[88:89], exec, s[88:89]
	s_cbranch_execz .LBB6_116
; %bb.102:                              ;   in Loop: Header=BB6_57 Depth=2
	s_and_saveexec_b64 s[90:91], s[12:13]
	s_cbranch_execz .LBB6_115
; %bb.103:                              ;   in Loop: Header=BB6_57 Depth=2
	s_mov_b64 s[94:95], exec
	v_mbcnt_lo_u32_b32 v2, s94, 0
	v_mbcnt_hi_u32_b32 v2, s95, v2
	v_cmp_eq_u32_e32 vcc, 0, v2
	s_waitcnt lgkmcnt(0)
	s_and_saveexec_b64 s[92:93], vcc
	s_cbranch_execz .LBB6_105
; %bb.104:                              ;   in Loop: Header=BB6_57 Depth=2
	s_bcnt1_i32_b64 s9, s[94:95]
	v_mov_b32_e32 v2, s9
	ds_add_u64 v0, v[2:3]
	s_trap 2
.LBB6_105:                              ;   in Loop: Header=BB6_57 Depth=2
	s_or_b64 exec, exec, s[92:93]
	s_trap 2
	ds_read_b64 v[10:11], v0
	s_waitcnt lgkmcnt(0)
	v_lshl_add_u64 v[38:39], v[38:39], 0, v[52:53]
	v_cmp_lt_u64_e32 vcc, v[10:11], v[38:39]
	s_and_saveexec_b64 s[92:93], vcc
	s_cbranch_execz .LBB6_114
; %bb.106:                              ;   in Loop: Header=BB6_57 Depth=2
	s_mov_b32 s9, 0
	s_mov_b64 s[94:95], 0
                                        ; implicit-def: $sgpr30_sgpr31
                                        ; implicit-def: $sgpr34_sgpr35
	s_branch .LBB6_108
.LBB6_107:                              ;   in Loop: Header=BB6_108 Depth=3
	s_or_b64 exec, exec, s[38:39]
	s_and_b64 vcc, exec, vcc
	s_or_b64 s[94:95], vcc, s[94:95]
	s_andn2_b64 vcc, s[30:31], exec
	s_and_b64 s[30:31], s[34:35], exec
	s_or_b64 s[30:31], vcc, s[30:31]
	s_andn2_b64 exec, exec, s[94:95]
	s_cbranch_execz .LBB6_112
.LBB6_108:                              ;   Parent Loop BB6_47 Depth=1
                                        ;     Parent Loop BB6_57 Depth=2
                                        ; =>    This Inner Loop Header: Depth=3
	s_add_i32 s9, s9, 1
	s_cmpk_lg_i32 s9, 0x2710
	s_cselect_b64 s[36:37], -1, 0
	s_and_b64 vcc, exec, s[36:37]
	s_cbranch_vccz .LBB6_110
; %bb.109:                              ;   in Loop: Header=BB6_108 Depth=3
	s_mov_b64 vcc, -1
	s_or_b64 s[34:35], s[34:35], exec
	s_and_saveexec_b64 s[38:39], s[36:37]
	s_cbranch_execz .LBB6_107
	s_branch .LBB6_111
.LBB6_110:                              ;   in Loop: Header=BB6_108 Depth=3
	s_trap 2
	ds_read_b64 v[10:11], v0
	s_andn2_b64 s[36:37], s[36:37], exec
	s_mov_b32 s9, 0
	s_waitcnt vmcnt(0) lgkmcnt(0)
	flat_load_dword v2, v[10:11] sc0 sc1
	s_waitcnt vmcnt(0) lgkmcnt(0)
	buffer_inv sc0 sc1
	v_cmp_eq_u32_e32 vcc, 0, v2
	s_and_b64 vcc, vcc, exec
	s_or_b64 s[36:37], s[36:37], vcc
	s_mov_b64 vcc, -1
	s_or_b64 s[34:35], s[34:35], exec
	s_and_saveexec_b64 s[38:39], s[36:37]
	s_cbranch_execz .LBB6_107
.LBB6_111:                              ;   in Loop: Header=BB6_108 Depth=3
	s_sleep 1
	s_trap 2
	ds_read_b64 v[10:11], v0
	s_waitcnt lgkmcnt(0)
	s_andn2_b64 s[34:35], s[34:35], exec
	v_cmp_ge_u64_e32 vcc, v[10:11], v[38:39]
	s_orn2_b64 vcc, vcc, exec
	s_branch .LBB6_107
.LBB6_112:                              ;   in Loop: Header=BB6_57 Depth=2
	s_or_b64 exec, exec, s[94:95]
	s_and_saveexec_b64 s[94:95], s[30:31]
	s_xor_b64 s[94:95], exec, s[94:95]
	s_cbranch_execz .LBB6_114
; %bb.113:                              ;   in Loop: Header=BB6_57 Depth=2
	ds_write_b32 v0, v75
	s_trap 2
.LBB6_114:                              ;   in Loop: Header=BB6_57 Depth=2
	s_or_b64 exec, exec, s[92:93]
	;;#ASMSTART
	s_wakeup
	;;#ASMEND
.LBB6_115:                              ;   in Loop: Header=BB6_57 Depth=2
	s_or_b64 exec, exec, s[90:91]
.LBB6_116:                              ;   in Loop: Header=BB6_57 Depth=2
	s_andn2_saveexec_b64 s[88:89], s[88:89]
	s_cbranch_execz .LBB6_118
; %bb.117:                              ;   in Loop: Header=BB6_57 Depth=2
	s_waitcnt lgkmcnt(0)
	s_barrier
.LBB6_118:                              ;   in Loop: Header=BB6_57 Depth=2
	s_or_b64 exec, exec, s[88:89]
.LBB6_119:                              ;   in Loop: Header=BB6_57 Depth=2
	s_or_b64 exec, exec, s[22:23]
	s_trap 2
	ds_read_b64 v[44:45], v0
	s_waitcnt lgkmcnt(0)
	v_cmp_eq_u64_e32 vcc, 0, v[44:45]
	s_cbranch_vccnz .LBB6_127
; %bb.120:                              ;   in Loop: Header=BB6_57 Depth=2
	s_trap 2
	ds_read_b64 v[46:47], v0
	s_waitcnt lgkmcnt(0)
	v_cmp_eq_u64_e32 vcc, 0, v[46:47]
	s_cbranch_vccnz .LBB6_127
; %bb.121:                              ;   in Loop: Header=BB6_57 Depth=2
	s_mov_b64 s[88:89], -1
	s_and_saveexec_b64 s[22:23], s[14:15]
	s_cbranch_execz .LBB6_123
; %bb.122:                              ;   in Loop: Header=BB6_57 Depth=2
	ds_read_b32 v2, v0 offset:720
	s_waitcnt lgkmcnt(0)
	v_and_b32_e32 v2, 15, v2
	v_cmp_eq_u32_e32 vcc, 0, v2
	s_orn2_b64 s[88:89], vcc, exec
.LBB6_123:                              ;   in Loop: Header=BB6_57 Depth=2
	s_or_b64 exec, exec, s[22:23]
	s_and_saveexec_b64 s[22:23], s[16:17]
	s_cbranch_execz .LBB6_125
; %bb.124:                              ;   in Loop: Header=BB6_57 Depth=2
	ds_read_b32 v2, v0 offset:784
	s_waitcnt lgkmcnt(0)
	v_and_b32_e32 v2, 15, v2
	v_cmp_eq_u32_e32 vcc, 0, v2
	s_and_b64 s[90:91], s[88:89], vcc
	s_andn2_b64 s[88:89], s[88:89], exec
	s_and_b64 s[90:91], s[90:91], exec
	s_or_b64 s[88:89], s[88:89], s[90:91]
.LBB6_125:                              ;   in Loop: Header=BB6_57 Depth=2
	s_or_b64 exec, exec, s[22:23]
	s_xor_b64 s[88:89], s[88:89], -1
	v_cndmask_b32_e64 v2, 0, 1, s[88:89]
	v_cmp_eq_u32_e64 s[22:23], 0, v8
	s_mov_b64 s[90:91], -1
	v_cmp_ne_u32_e32 vcc, 0, v2
	s_cbranch_vccz .LBB6_128
; %bb.126:                              ;   in Loop: Header=BB6_57 Depth=2
	s_mov_b64 s[90:91], 0
	s_mov_b64 s[88:89], -1
	s_branch .LBB6_129
.LBB6_127:                              ;   in Loop: Header=BB6_57 Depth=2
	s_mov_b64 s[22:23], 0
	s_and_saveexec_b64 s[88:89], s[4:5]
	s_cbranch_execnz .LBB6_179
	s_branch .LBB6_197
.LBB6_128:                              ;   in Loop: Header=BB6_57 Depth=2
	s_mov_b64 s[88:89], 0
.LBB6_129:                              ;   in Loop: Header=BB6_57 Depth=2
	v_cndmask_b32_e64 v2, 0, v118, s[22:23]
	v_lshlrev_b32_e32 v119, 1, v2
	s_andn2_b64 vcc, exec, s[90:91]
	v_mov_b32_e32 v14, 0
	s_cbranch_vccnz .LBB6_137
; %bb.130:                              ;   in Loop: Header=BB6_57 Depth=2
	v_ashrrev_i32_e32 v8, 31, v119
	v_lshrrev_b32_e32 v8, 21, v8
	v_add_u32_e32 v8, v119, v8
	v_ashrrev_i32_e32 v41, 11, v8
	v_sub_u32_e32 v60, v41, v72
	v_lshl_add_u64 v[56:57], v[46:47], 0, v[66:67]
	v_cmp_lt_i32_e32 vcc, 0, v60
	s_mov_b64 s[90:91], 0
                                        ; implicit-def: $vgpr8_vgpr9
                                        ; implicit-def: $vgpr12_vgpr13
	s_and_saveexec_b64 s[22:23], vcc
	s_cbranch_execz .LBB6_139
; %bb.131:                              ;   in Loop: Header=BB6_57 Depth=2
	v_lshl_add_u64 v[58:59], v[44:45], 0, v[66:67]
	s_mov_b64 s[94:95], 0
                                        ; implicit-def: $sgpr92_sgpr93
                                        ; implicit-def: $vgpr8_vgpr9
                                        ; implicit-def: $vgpr12_vgpr13
	s_branch .LBB6_133
.LBB6_132:                              ;   in Loop: Header=BB6_133 Depth=3
	s_or_b64 exec, exec, vcc
	s_waitcnt vmcnt(0)
	global_store_dwordx4 v[56:57], v[16:19], off
	global_store_dwordx4 v[56:57], v[20:23], off offset:1024
	v_lshl_add_u64 v[58:59], v[58:59], 0, v[60:61]
	v_lshl_add_u64 v[16:17], v[56:57], 0, v[60:61]
	v_sub_u32_e32 v60, v91, v92
	v_cmp_gt_i32_e32 vcc, 1, v60
	s_or_b64 s[90:91], vcc, s[90:91]
	s_andn2_b64 s[92:93], s[92:93], exec
	s_and_b64 vcc, s[94:95], exec
	v_lshl_add_u64 v[56:57], v[16:17], 0, s[46:47]
	s_or_b64 s[92:93], s[92:93], vcc
	s_andn2_b64 exec, exec, s[90:91]
	s_cbranch_execz .LBB6_138
.LBB6_133:                              ;   Parent Loop BB6_47 Depth=1
                                        ;     Parent Loop BB6_57 Depth=2
                                        ; =>    This Inner Loop Header: Depth=3
	global_load_dwordx4 v[16:19], v[58:59], off nt
	global_load_dwordx4 v[20:23], v[58:59], off offset:1024 nt
	s_and_saveexec_b64 vcc, s[94:95]
	s_cbranch_execz .LBB6_135
; %bb.134:                              ;   in Loop: Header=BB6_133 Depth=3
	v_lshl_add_u64 v[92:93], v[56:57], 0, v[84:85]
	global_store_dwordx4 v[56:57], v[8:11], off
	global_store_dwordx4 v[56:57], v[12:15], off offset:1024
	v_mov_b64_e32 v[56:57], v[92:93]
.LBB6_135:                              ;   in Loop: Header=BB6_133 Depth=3
	s_or_b64 exec, exec, vcc
	v_sub_u32_e32 v91, v60, v52
	v_lshl_add_u64 v[58:59], v[58:59], 0, v[84:85]
	v_mov_b32_e32 v92, 0
	v_cmp_lt_i32_e64 s[94:95], 0, v91
	v_mov_b64_e32 v[60:61], 0
	s_and_saveexec_b64 vcc, s[94:95]
	s_cbranch_execz .LBB6_132
; %bb.136:                              ;   in Loop: Header=BB6_133 Depth=3
	global_load_dwordx4 v[8:11], v[58:59], off nt
	global_load_dwordx4 v[12:15], v[58:59], off offset:1024 nt
	v_lshl_add_u64 v[58:59], v[58:59], 0, s[46:47]
	v_mov_b32_e32 v92, v52
	v_mov_b64_e32 v[60:61], v[68:69]
	s_branch .LBB6_132
.LBB6_137:                              ;   in Loop: Header=BB6_57 Depth=2
	v_mov_b32_e32 v8, v0
	v_mov_b32_e32 v15, v63
	s_and_saveexec_b64 s[22:23], s[88:89]
	s_cbranch_execnz .LBB6_158
	s_branch .LBB6_178
.LBB6_138:                              ;   in Loop: Header=BB6_57 Depth=2
	s_or_b64 exec, exec, s[90:91]
	s_and_b64 s[90:91], s[92:93], exec
.LBB6_139:                              ;   in Loop: Header=BB6_57 Depth=2
	s_or_b64 exec, exec, s[22:23]
	s_and_saveexec_b64 s[22:23], s[90:91]
	s_cbranch_execz .LBB6_141
; %bb.140:                              ;   in Loop: Header=BB6_57 Depth=2
	global_store_dwordx4 v[56:57], v[8:11], off
	global_store_dwordx4 v[56:57], v[12:15], off offset:1024
.LBB6_141:                              ;   in Loop: Header=BB6_57 Depth=2
	s_or_b64 exec, exec, s[22:23]
	v_lshlrev_b32_e32 v20, 11, v41
	v_cmp_ne_u32_e32 vcc, v119, v20
                                        ; implicit-def: $vgpr14
                                        ; implicit-def: $vgpr8
                                        ; implicit-def: $vgpr15
	s_and_saveexec_b64 s[90:91], vcc
	s_cbranch_execz .LBB6_157
; %bb.142:                              ;   in Loop: Header=BB6_57 Depth=2
	v_lshlrev_b32_e32 v9, 6, v60
	v_sub_u32_e32 v9, v63, v9
	v_ashrrev_i32_e32 v10, 31, v9
	v_lshrrev_b32_e32 v10, 26, v10
	v_add_u32_e32 v10, v9, v10
	v_ashrrev_i32_e32 v11, 6, v10
	v_and_b32_e32 v10, 0xffffffc0, v10
	v_sub_u32_e32 v21, v9, v10
	v_lshlrev_b32_e32 v9, 4, v21
	v_sub_u32_e32 v8, v119, v20
	v_lshl_add_u32 v9, v11, 10, v9
	v_add_u32_e32 v10, v9, v20
	v_sub_u32_e32 v56, v8, v9
	v_ashrrev_i32_e32 v9, 31, v8
	v_lshrrev_b32_e32 v9, 22, v9
	v_add_u32_e32 v9, v8, v9
	v_and_b32_e32 v22, 0xfffffc00, v9
	v_sub_u32_e32 v41, v8, v22
	v_ashrrev_i32_e32 v12, 10, v9
	v_cmp_lt_i32_e32 vcc, 15, v41
	s_mov_b64 s[94:95], 0
	s_nop 0
	v_addc_co_u32_e64 v8, s[22:23], 0, v12, vcc
	v_sub_u32_e32 v23, v8, v11
	v_ashrrev_i32_e32 v11, 31, v10
	v_lshl_add_u64 v[16:17], v[10:11], 0, v[46:47]
	v_cmp_lt_i32_e64 s[22:23], 15, v56
                                        ; implicit-def: $vgpr8_vgpr9
	s_and_saveexec_b64 s[92:93], s[22:23]
	s_cbranch_execz .LBB6_152
; %bb.143:                              ;   in Loop: Header=BB6_57 Depth=2
	v_lshl_add_u64 v[18:19], v[10:11], 0, v[44:45]
	s_mov_b64 s[34:35], 0
                                        ; implicit-def: $sgpr30_sgpr31
                                        ; implicit-def: $vgpr8_vgpr9
	s_branch .LBB6_145
.LBB6_144:                              ;   in Loop: Header=BB6_145 Depth=3
	s_or_b64 exec, exec, s[22:23]
	v_cmp_gt_i32_e64 s[22:23], 16, v56
	s_or_b64 s[94:95], s[22:23], s[94:95]
	s_andn2_b64 s[22:23], s[30:31], exec
	s_and_b64 s[30:31], s[34:35], exec
	s_or_b64 s[30:31], s[22:23], s[30:31]
	s_andn2_b64 exec, exec, s[94:95]
	s_cbranch_execz .LBB6_151
.LBB6_145:                              ;   Parent Loop BB6_47 Depth=1
                                        ;     Parent Loop BB6_57 Depth=2
                                        ; =>    This Inner Loop Header: Depth=3
	global_load_dwordx4 v[12:15], v[18:19], off nt
	s_and_saveexec_b64 s[22:23], s[34:35]
	s_cbranch_execz .LBB6_147
; %bb.146:                              ;   in Loop: Header=BB6_145 Depth=3
	v_lshl_add_u64 v[58:59], v[16:17], 0, v[96:97]
	global_store_dwordx4 v[16:17], v[8:11], off
	v_mov_b64_e32 v[16:17], v[58:59]
.LBB6_147:                              ;   in Loop: Header=BB6_145 Depth=3
	s_or_b64 exec, exec, s[22:23]
	v_sub_u32_e32 v56, v56, v73
	v_lshl_add_u64 v[18:19], v[18:19], 0, v[96:97]
	v_cmp_lt_i32_e64 s[34:35], 15, v56
	s_and_saveexec_b64 s[22:23], s[34:35]
	s_cbranch_execz .LBB6_149
; %bb.148:                              ;   in Loop: Header=BB6_145 Depth=3
	global_load_dwordx4 v[8:11], v[18:19], off nt
	v_lshl_add_u64 v[18:19], v[18:19], 0, s[56:57]
.LBB6_149:                              ;   in Loop: Header=BB6_145 Depth=3
	s_or_b64 exec, exec, s[22:23]
	v_sub_u32_e32 v23, v23, v52
	s_waitcnt vmcnt(0)
	global_store_dwordx4 v[16:17], v[12:15], off
	v_lshl_add_u64 v[16:17], v[16:17], 0, s[56:57]
	s_and_saveexec_b64 s[22:23], s[34:35]
	s_cbranch_execz .LBB6_144
; %bb.150:                              ;   in Loop: Header=BB6_145 Depth=3
	v_sub_u32_e32 v23, v23, v52
	v_sub_u32_e32 v56, v56, v73
	v_lshl_add_u64 v[18:19], v[18:19], 0, v[80:81]
	v_lshl_add_u64 v[16:17], v[16:17], 0, v[80:81]
	s_branch .LBB6_144
.LBB6_151:                              ;   in Loop: Header=BB6_57 Depth=2
	s_or_b64 exec, exec, s[94:95]
	s_and_b64 s[94:95], s[30:31], exec
.LBB6_152:                              ;   in Loop: Header=BB6_57 Depth=2
	s_or_b64 exec, exec, s[92:93]
	s_and_saveexec_b64 s[22:23], s[94:95]
	s_cbranch_execz .LBB6_154
; %bb.153:                              ;   in Loop: Header=BB6_57 Depth=2
	global_store_dwordx4 v[16:17], v[8:11], off
.LBB6_154:                              ;   in Loop: Header=BB6_57 Depth=2
	s_or_b64 exec, exec, s[22:23]
	s_nop 0
	v_and_b32_e32 v9, 14, v119
	v_cndmask_b32_e32 v119, v41, v9, vcc
	v_cmp_ne_u32_e64 s[22:23], 0, v119
	s_mov_b64 s[94:95], s[88:89]
                                        ; implicit-def: $vgpr14
                                        ; implicit-def: $vgpr8
                                        ; implicit-def: $vgpr15
	s_and_saveexec_b64 s[92:93], s[22:23]
	s_cbranch_execz .LBB6_156
; %bb.155:                              ;   in Loop: Header=BB6_57 Depth=2
	v_sub_u32_e32 v8, v41, v9
	v_cndmask_b32_e32 v8, 0, v8, vcc
	v_cmp_lt_i32_e32 vcc, 0, v23
	v_add3_u32 v14, v22, v20, v8
	s_or_b64 s[94:95], s[88:89], exec
	v_cndmask_b32_e32 v8, 0, v52, vcc
	v_sub_u32_e32 v8, v8, v23
	v_lshl_add_u32 v8, v8, 6, v21
	v_ashrrev_i32_e32 v9, 31, v8
	v_lshrrev_b32_e32 v9, 26, v9
	v_add_u32_e32 v9, v8, v9
	v_and_b32_e32 v9, 0xffffffc0, v9
	v_sub_u32_e32 v15, v8, v9
.LBB6_156:                              ;   in Loop: Header=BB6_57 Depth=2
	s_or_b64 exec, exec, s[92:93]
	s_andn2_b64 s[22:23], s[88:89], exec
	s_and_b64 s[88:89], s[94:95], exec
	s_or_b64 s[88:89], s[22:23], s[88:89]
.LBB6_157:                              ;   in Loop: Header=BB6_57 Depth=2
	s_or_b64 exec, exec, s[90:91]
	s_and_saveexec_b64 s[22:23], s[88:89]
	s_cbranch_execz .LBB6_178
.LBB6_158:                              ;   in Loop: Header=BB6_57 Depth=2
	v_ashrrev_i32_e32 v9, 31, v8
	v_lshrrev_b32_e32 v9, 26, v9
	v_add_u32_e32 v8, v8, v9
	v_ashrrev_i32_e32 v8, 6, v8
	v_lshlrev_b32_e32 v9, 9, v8
	v_lshlrev_b32_e32 v10, 1, v15
	v_add3_u32 v10, v14, v10, v9
	v_ashrrev_i32_e32 v9, 31, v119
	v_lshrrev_b32_e32 v9, 23, v9
	v_add_u32_e32 v9, v119, v9
	v_ashrrev_i32_e32 v16, 9, v9
	v_sub_u32_e32 v12, v16, v8
	v_ashrrev_i32_e32 v11, 31, v10
	v_lshl_add_u64 v[8:9], v[46:47], 0, v[10:11]
	v_cmp_lt_i32_e32 vcc, 0, v12
	s_mov_b64 s[90:91], 0
                                        ; implicit-def: $vgpr17
                                        ; implicit-def: $vgpr18
                                        ; implicit-def: $vgpr19
                                        ; implicit-def: $vgpr20
	s_and_saveexec_b64 s[88:89], vcc
	s_cbranch_execz .LBB6_166
; %bb.159:                              ;   in Loop: Header=BB6_57 Depth=2
	v_lshl_add_u64 v[10:11], v[10:11], 0, v[44:45]
	s_mov_b64 s[94:95], 0
                                        ; implicit-def: $sgpr92_sgpr93
                                        ; implicit-def: $vgpr17
                                        ; implicit-def: $vgpr18
                                        ; implicit-def: $vgpr19
                                        ; implicit-def: $vgpr20
	s_branch .LBB6_161
.LBB6_160:                              ;   in Loop: Header=BB6_161 Depth=3
	s_or_b64 exec, exec, vcc
	s_waitcnt vmcnt(0) lgkmcnt(0)
	flat_store_short v[8:9], v21 nt
	flat_store_short v[8:9], v22 offset:128 nt
	flat_store_short v[8:9], v23 offset:256 nt
	;; [unrolled: 1-line block ×3, first 2 shown]
	v_lshl_add_u64 v[8:9], v[8:9], 0, v[12:13]
	v_lshl_add_u64 v[10:11], v[10:11], 0, v[12:13]
	v_sub_u32_e32 v12, v56, v57
	v_cmp_gt_i32_e32 vcc, 1, v12
	s_or_b64 s[90:91], vcc, s[90:91]
	s_andn2_b64 s[92:93], s[92:93], exec
	s_and_b64 vcc, s[94:95], exec
	v_lshl_add_u64 v[8:9], v[8:9], 0, s[58:59]
	s_or_b64 s[92:93], s[92:93], vcc
	s_andn2_b64 exec, exec, s[90:91]
	s_cbranch_execz .LBB6_165
.LBB6_161:                              ;   Parent Loop BB6_47 Depth=1
                                        ;     Parent Loop BB6_57 Depth=2
                                        ; =>    This Inner Loop Header: Depth=3
	flat_load_ushort v21, v[10:11] nt
	flat_load_ushort v22, v[10:11] offset:128 nt
	flat_load_ushort v23, v[10:11] offset:256 nt
	;; [unrolled: 1-line block ×3, first 2 shown]
	s_and_saveexec_b64 vcc, s[94:95]
	s_cbranch_execz .LBB6_163
; %bb.162:                              ;   in Loop: Header=BB6_161 Depth=3
	flat_store_short v[8:9], v17 nt
	flat_store_short v[8:9], v18 offset:128 nt
	flat_store_short v[8:9], v19 offset:256 nt
	;; [unrolled: 1-line block ×3, first 2 shown]
	v_lshl_add_u64 v[8:9], v[8:9], 0, v[86:87]
.LBB6_163:                              ;   in Loop: Header=BB6_161 Depth=3
	s_or_b64 exec, exec, vcc
	v_sub_u32_e32 v56, v12, v52
	v_lshl_add_u64 v[10:11], v[10:11], 0, v[86:87]
	v_mov_b32_e32 v57, 0
	v_cmp_lt_i32_e64 s[94:95], 0, v56
	v_mov_b64_e32 v[12:13], 0
	s_and_saveexec_b64 vcc, s[94:95]
	s_cbranch_execz .LBB6_160
; %bb.164:                              ;   in Loop: Header=BB6_161 Depth=3
	flat_load_ushort v17, v[10:11] nt
	flat_load_ushort v18, v[10:11] offset:128 nt
	flat_load_ushort v19, v[10:11] offset:256 nt
	;; [unrolled: 1-line block ×3, first 2 shown]
	v_lshl_add_u64 v[10:11], v[10:11], 0, s[58:59]
	v_mov_b32_e32 v57, v52
	v_mov_b64_e32 v[12:13], v[70:71]
	s_branch .LBB6_160
.LBB6_165:                              ;   in Loop: Header=BB6_57 Depth=2
	s_or_b64 exec, exec, s[90:91]
	s_and_b64 s[90:91], s[92:93], exec
.LBB6_166:                              ;   in Loop: Header=BB6_57 Depth=2
	s_or_b64 exec, exec, s[88:89]
	s_and_saveexec_b64 s[88:89], s[90:91]
	s_cbranch_execz .LBB6_168
; %bb.167:                              ;   in Loop: Header=BB6_57 Depth=2
	flat_store_short v[8:9], v17 nt
	flat_store_short v[8:9], v18 offset:128 nt
	flat_store_short v[8:9], v19 offset:256 nt
	;; [unrolled: 1-line block ×3, first 2 shown]
.LBB6_168:                              ;   in Loop: Header=BB6_57 Depth=2
	s_or_b64 exec, exec, s[88:89]
	v_lshlrev_b32_e32 v8, 9, v16
	v_cmp_ne_u32_e32 vcc, v119, v8
	s_and_b64 exec, exec, vcc
	s_cbranch_execz .LBB6_178
; %bb.169:                              ;   in Loop: Header=BB6_57 Depth=2
	v_lshlrev_b32_e32 v9, 6, v12
	v_sub_u32_e32 v9, v15, v9
	v_ashrrev_i32_e32 v10, 31, v9
	v_lshrrev_b32_e32 v10, 26, v10
	v_add_u32_e32 v10, v9, v10
	v_and_b32_e32 v11, 0x7fffffc0, v10
	v_sub_u32_e32 v9, v9, v11
	v_lshlrev_b32_e32 v10, 1, v10
	v_and_b32_e32 v10, 0xffffff80, v10
	v_lshlrev_b32_e32 v9, 1, v9
	v_add3_u32 v8, v10, v9, v8
	v_sub_u32_e32 v12, v119, v8
	v_cmp_lt_i32_e32 vcc, 1, v12
	s_and_b64 exec, exec, vcc
	s_cbranch_execz .LBB6_178
; %bb.170:                              ;   in Loop: Header=BB6_57 Depth=2
	v_add_u32_e32 v10, v8, v14
	v_ashrrev_i32_e32 v11, 31, v10
	v_lshl_add_u64 v[8:9], v[46:47], 0, v[10:11]
	v_lshl_add_u64 v[10:11], v[10:11], 0, v[44:45]
	s_mov_b64 s[92:93], 0
	s_mov_b64 s[88:89], 0
                                        ; implicit-def: $sgpr90_sgpr91
                                        ; implicit-def: $vgpr14
	s_branch .LBB6_172
.LBB6_171:                              ;   in Loop: Header=BB6_172 Depth=3
	s_or_b64 exec, exec, s[94:95]
	s_waitcnt vmcnt(0) lgkmcnt(0)
	flat_store_short v[8:9], v15 nt
	v_lshl_add_u64 v[8:9], v[8:9], 0, v[12:13]
	v_lshl_add_u64 v[10:11], v[10:11], 0, v[12:13]
	v_sub_u32_e32 v12, v16, v17
	v_cmp_gt_i32_e32 vcc, 2, v12
	s_or_b64 s[88:89], vcc, s[88:89]
	s_andn2_b64 s[90:91], s[90:91], exec
	s_and_b64 s[94:95], s[92:93], exec
	v_lshl_add_u64 v[8:9], v[8:9], 0, s[60:61]
	s_or_b64 s[90:91], s[90:91], s[94:95]
	s_andn2_b64 exec, exec, s[88:89]
	s_cbranch_execz .LBB6_176
.LBB6_172:                              ;   Parent Loop BB6_47 Depth=1
                                        ;     Parent Loop BB6_57 Depth=2
                                        ; =>    This Inner Loop Header: Depth=3
	flat_load_ushort v15, v[10:11] nt
	s_and_saveexec_b64 s[94:95], s[92:93]
	s_cbranch_execz .LBB6_174
; %bb.173:                              ;   in Loop: Header=BB6_172 Depth=3
	v_lshl_add_u64 v[16:17], v[8:9], 0, v[98:99]
	flat_store_short v[8:9], v14 nt
	v_mov_b64_e32 v[8:9], v[16:17]
.LBB6_174:                              ;   in Loop: Header=BB6_172 Depth=3
	s_or_b64 exec, exec, s[94:95]
	v_sub_u32_e32 v16, v12, v74
	v_lshl_add_u64 v[10:11], v[10:11], 0, v[98:99]
	v_cmp_lt_i32_e64 s[92:93], 1, v16
	v_mov_b64_e32 v[12:13], 0
	v_mov_b32_e32 v17, 0
	s_and_saveexec_b64 s[94:95], s[92:93]
	s_cbranch_execz .LBB6_171
; %bb.175:                              ;   in Loop: Header=BB6_172 Depth=3
	flat_load_ushort v14, v[10:11] nt
	v_lshl_add_u64 v[10:11], v[10:11], 0, s[60:61]
	v_mov_b32_e32 v17, v74
	v_mov_b64_e32 v[12:13], v[82:83]
	s_branch .LBB6_171
.LBB6_176:                              ;   in Loop: Header=BB6_57 Depth=2
	s_or_b64 exec, exec, s[88:89]
	s_and_b64 exec, exec, s[90:91]
	s_cbranch_execz .LBB6_178
; %bb.177:                              ;   in Loop: Header=BB6_57 Depth=2
	flat_store_short v[8:9], v14 nt
.LBB6_178:                              ;   in Loop: Header=BB6_57 Depth=2
	s_or_b64 exec, exec, s[22:23]
	v_cmp_lt_i32_e64 s[22:23], 0, v2
	s_and_saveexec_b64 s[88:89], s[4:5]
	s_cbranch_execz .LBB6_197
.LBB6_179:                              ;   in Loop: Header=BB6_57 Depth=2
	s_and_saveexec_b64 s[90:91], s[44:45]
	s_xor_b64 s[90:91], exec, s[90:91]
	s_cbranch_execz .LBB6_194
; %bb.180:                              ;   in Loop: Header=BB6_57 Depth=2
	s_and_saveexec_b64 s[92:93], s[12:13]
	s_cbranch_execz .LBB6_193
; %bb.181:                              ;   in Loop: Header=BB6_57 Depth=2
	s_mov_b64 s[30:31], exec
	v_mbcnt_lo_u32_b32 v2, s30, 0
	v_mbcnt_hi_u32_b32 v2, s31, v2
	v_cmp_eq_u32_e32 vcc, 0, v2
	s_waitcnt lgkmcnt(0)
	s_and_saveexec_b64 s[94:95], vcc
	s_cbranch_execz .LBB6_183
; %bb.182:                              ;   in Loop: Header=BB6_57 Depth=2
	s_bcnt1_i32_b64 s9, s[30:31]
	v_mov_b32_e32 v2, s9
	ds_add_u64 v0, v[2:3]
	s_trap 2
.LBB6_183:                              ;   in Loop: Header=BB6_57 Depth=2
	s_or_b64 exec, exec, s[94:95]
	s_trap 2
	ds_read_b64 v[8:9], v0
	s_waitcnt lgkmcnt(0)
	v_lshl_add_u64 v[38:39], v[38:39], 0, v[52:53]
	v_cmp_lt_u64_e32 vcc, v[8:9], v[38:39]
	s_and_saveexec_b64 s[94:95], vcc
	s_cbranch_execz .LBB6_192
; %bb.184:                              ;   in Loop: Header=BB6_57 Depth=2
	s_mov_b32 s9, 0
	s_mov_b64 s[30:31], 0
                                        ; implicit-def: $sgpr34_sgpr35
                                        ; implicit-def: $sgpr36_sgpr37
	s_branch .LBB6_186
.LBB6_185:                              ;   in Loop: Header=BB6_186 Depth=3
	s_or_b64 exec, exec, s[48:49]
	s_and_b64 vcc, exec, vcc
	s_or_b64 s[30:31], vcc, s[30:31]
	s_andn2_b64 vcc, s[34:35], exec
	s_and_b64 s[34:35], s[36:37], exec
	s_or_b64 s[34:35], vcc, s[34:35]
	s_andn2_b64 exec, exec, s[30:31]
	s_cbranch_execz .LBB6_190
.LBB6_186:                              ;   Parent Loop BB6_47 Depth=1
                                        ;     Parent Loop BB6_57 Depth=2
                                        ; =>    This Inner Loop Header: Depth=3
	s_add_i32 s9, s9, 1
	s_cmpk_lg_i32 s9, 0x2710
	s_cselect_b64 s[38:39], -1, 0
	s_and_b64 vcc, exec, s[38:39]
	s_cbranch_vccz .LBB6_188
; %bb.187:                              ;   in Loop: Header=BB6_186 Depth=3
	s_mov_b64 vcc, -1
	s_or_b64 s[36:37], s[36:37], exec
	s_and_saveexec_b64 s[48:49], s[38:39]
	s_cbranch_execz .LBB6_185
	s_branch .LBB6_189
.LBB6_188:                              ;   in Loop: Header=BB6_186 Depth=3
	s_trap 2
	ds_read_b64 v[8:9], v0
	s_andn2_b64 s[38:39], s[38:39], exec
	s_mov_b32 s9, 0
	s_waitcnt vmcnt(0) lgkmcnt(0)
	flat_load_dword v2, v[8:9] sc0 sc1
	s_waitcnt vmcnt(0) lgkmcnt(0)
	buffer_inv sc0 sc1
	v_cmp_eq_u32_e32 vcc, 0, v2
	s_and_b64 vcc, vcc, exec
	s_or_b64 s[38:39], s[38:39], vcc
	s_mov_b64 vcc, -1
	s_or_b64 s[36:37], s[36:37], exec
	s_and_saveexec_b64 s[48:49], s[38:39]
	s_cbranch_execz .LBB6_185
.LBB6_189:                              ;   in Loop: Header=BB6_186 Depth=3
	s_sleep 1
	s_trap 2
	ds_read_b64 v[8:9], v0
	s_waitcnt lgkmcnt(0)
	s_andn2_b64 s[36:37], s[36:37], exec
	v_cmp_ge_u64_e32 vcc, v[8:9], v[38:39]
	s_orn2_b64 vcc, vcc, exec
	s_branch .LBB6_185
.LBB6_190:                              ;   in Loop: Header=BB6_57 Depth=2
	s_or_b64 exec, exec, s[30:31]
	s_and_saveexec_b64 vcc, s[34:35]
	s_xor_b64 vcc, exec, vcc
	s_cbranch_execz .LBB6_192
; %bb.191:                              ;   in Loop: Header=BB6_57 Depth=2
	ds_write_b32 v0, v75
	s_trap 2
.LBB6_192:                              ;   in Loop: Header=BB6_57 Depth=2
	s_or_b64 exec, exec, s[94:95]
	;;#ASMSTART
	s_wakeup
	;;#ASMEND
.LBB6_193:                              ;   in Loop: Header=BB6_57 Depth=2
	s_or_b64 exec, exec, s[92:93]
.LBB6_194:                              ;   in Loop: Header=BB6_57 Depth=2
	s_andn2_saveexec_b64 s[90:91], s[90:91]
	s_cbranch_execz .LBB6_196
; %bb.195:                              ;   in Loop: Header=BB6_57 Depth=2
	s_waitcnt lgkmcnt(0)
	s_barrier
.LBB6_196:                              ;   in Loop: Header=BB6_57 Depth=2
	s_or_b64 exec, exec, s[90:91]
.LBB6_197:                              ;   in Loop: Header=BB6_57 Depth=2
	s_or_b64 exec, exec, s[88:89]
	v_and_b32_e32 v8, 16, v62
	s_and_saveexec_b64 s[88:89], s[20:21]
	s_xor_b64 s[88:89], exec, s[88:89]
	s_cbranch_execz .LBB6_202
; %bb.198:                              ;   in Loop: Header=BB6_57 Depth=2
	v_and_b32_e32 v2, 16, v62
	v_cmp_ne_u32_e32 vcc, 0, v2
	v_and_b32_e32 v8, 16, v62
	s_and_b64 s[90:91], vcc, s[22:23]
	s_and_saveexec_b64 s[22:23], s[90:91]
	s_cbranch_execz .LBB6_200
; %bb.199:                              ;   in Loop: Header=BB6_57 Depth=2
	v_mov_b32_e32 v8, 1
	buffer_wbl2 sc1
	s_waitcnt vmcnt(0) lgkmcnt(0)
	buffer_inv sc1
.LBB6_200:                              ;   in Loop: Header=BB6_57 Depth=2
	s_or_b64 exec, exec, s[22:23]
	s_andn2_saveexec_b64 s[22:23], s[88:89]
	s_cbranch_execnz .LBB6_203
.LBB6_201:                              ;   in Loop: Header=BB6_57 Depth=2
	s_or_b64 exec, exec, s[22:23]
	v_cmp_ne_u32_e32 vcc, 0, v8
	s_and_saveexec_b64 s[22:23], vcc
	s_cbranch_execz .LBB6_56
	s_branch .LBB6_221
.LBB6_202:                              ;   in Loop: Header=BB6_57 Depth=2
	s_andn2_saveexec_b64 s[22:23], s[88:89]
	s_cbranch_execz .LBB6_201
.LBB6_203:                              ;   in Loop: Header=BB6_57 Depth=2
	s_and_saveexec_b64 s[88:89], s[44:45]
	s_xor_b64 s[88:89], exec, s[88:89]
	s_cbranch_execz .LBB6_218
; %bb.204:                              ;   in Loop: Header=BB6_57 Depth=2
	s_and_saveexec_b64 s[90:91], s[12:13]
	s_cbranch_execz .LBB6_217
; %bb.205:                              ;   in Loop: Header=BB6_57 Depth=2
	s_mov_b64 s[94:95], exec
	v_mbcnt_lo_u32_b32 v2, s94, 0
	v_mbcnt_hi_u32_b32 v2, s95, v2
	v_cmp_eq_u32_e32 vcc, 0, v2
	;;#ASMSTART
	s_waitcnt lgkmcnt(0) vmcnt(0)
	;;#ASMEND
	s_and_saveexec_b64 s[92:93], vcc
	s_cbranch_execz .LBB6_207
; %bb.206:                              ;   in Loop: Header=BB6_57 Depth=2
	s_bcnt1_i32_b64 s9, s[94:95]
	v_mov_b32_e32 v2, s9
	s_waitcnt lgkmcnt(0)
	ds_add_u64 v0, v[2:3]
	s_trap 2
.LBB6_207:                              ;   in Loop: Header=BB6_57 Depth=2
	s_or_b64 exec, exec, s[92:93]
	s_trap 2
	ds_read_b64 v[10:11], v0
	s_waitcnt lgkmcnt(0)
	v_lshl_add_u64 v[38:39], v[38:39], 0, v[52:53]
	v_cmp_lt_u64_e32 vcc, v[10:11], v[38:39]
	s_and_saveexec_b64 s[92:93], vcc
	s_cbranch_execz .LBB6_216
; %bb.208:                              ;   in Loop: Header=BB6_57 Depth=2
	s_mov_b32 s9, 0
	s_mov_b64 s[94:95], 0
                                        ; implicit-def: $sgpr30_sgpr31
                                        ; implicit-def: $sgpr34_sgpr35
	s_branch .LBB6_210
.LBB6_209:                              ;   in Loop: Header=BB6_210 Depth=3
	s_or_b64 exec, exec, s[38:39]
	s_and_b64 vcc, exec, vcc
	s_or_b64 s[94:95], vcc, s[94:95]
	s_andn2_b64 vcc, s[30:31], exec
	s_and_b64 s[30:31], s[34:35], exec
	s_or_b64 s[30:31], vcc, s[30:31]
	s_andn2_b64 exec, exec, s[94:95]
	s_cbranch_execz .LBB6_214
.LBB6_210:                              ;   Parent Loop BB6_47 Depth=1
                                        ;     Parent Loop BB6_57 Depth=2
                                        ; =>    This Inner Loop Header: Depth=3
	s_add_i32 s9, s9, 1
	s_cmpk_lg_i32 s9, 0x2710
	s_cselect_b64 s[36:37], -1, 0
	s_and_b64 vcc, exec, s[36:37]
	s_cbranch_vccz .LBB6_212
; %bb.211:                              ;   in Loop: Header=BB6_210 Depth=3
	s_mov_b64 vcc, -1
	s_or_b64 s[34:35], s[34:35], exec
	s_and_saveexec_b64 s[38:39], s[36:37]
	s_cbranch_execz .LBB6_209
	s_branch .LBB6_213
.LBB6_212:                              ;   in Loop: Header=BB6_210 Depth=3
	s_trap 2
	ds_read_b64 v[10:11], v0
	s_andn2_b64 s[36:37], s[36:37], exec
	s_mov_b32 s9, 0
	s_waitcnt vmcnt(0) lgkmcnt(0)
	flat_load_dword v2, v[10:11] sc0 sc1
	s_waitcnt vmcnt(0) lgkmcnt(0)
	buffer_inv sc0 sc1
	v_cmp_eq_u32_e32 vcc, 0, v2
	s_and_b64 vcc, vcc, exec
	s_or_b64 s[36:37], s[36:37], vcc
	s_mov_b64 vcc, -1
	s_or_b64 s[34:35], s[34:35], exec
	s_and_saveexec_b64 s[38:39], s[36:37]
	s_cbranch_execz .LBB6_209
.LBB6_213:                              ;   in Loop: Header=BB6_210 Depth=3
	s_sleep 1
	s_trap 2
	ds_read_b64 v[10:11], v0
	s_waitcnt lgkmcnt(0)
	s_andn2_b64 s[34:35], s[34:35], exec
	v_cmp_ge_u64_e32 vcc, v[10:11], v[38:39]
	s_orn2_b64 vcc, vcc, exec
	s_branch .LBB6_209
.LBB6_214:                              ;   in Loop: Header=BB6_57 Depth=2
	s_or_b64 exec, exec, s[94:95]
	s_and_saveexec_b64 s[94:95], s[30:31]
	s_xor_b64 s[94:95], exec, s[94:95]
	s_cbranch_execz .LBB6_216
; %bb.215:                              ;   in Loop: Header=BB6_57 Depth=2
	ds_write_b32 v0, v75
	s_trap 2
.LBB6_216:                              ;   in Loop: Header=BB6_57 Depth=2
	s_or_b64 exec, exec, s[92:93]
	;;#ASMSTART
	s_wakeup
	;;#ASMEND
.LBB6_217:                              ;   in Loop: Header=BB6_57 Depth=2
	s_or_b64 exec, exec, s[90:91]
.LBB6_218:                              ;   in Loop: Header=BB6_57 Depth=2
	s_andn2_saveexec_b64 s[88:89], s[88:89]
	s_cbranch_execz .LBB6_220
; %bb.219:                              ;   in Loop: Header=BB6_57 Depth=2
	;;#ASMSTART
	s_waitcnt lgkmcnt(0) vmcnt(0)
	;;#ASMEND
	s_barrier
.LBB6_220:                              ;   in Loop: Header=BB6_57 Depth=2
	s_or_b64 exec, exec, s[88:89]
	s_or_b64 exec, exec, s[22:23]
	v_cmp_ne_u32_e32 vcc, 0, v8
	s_and_saveexec_b64 s[22:23], vcc
	s_cbranch_execz .LBB6_56
.LBB6_221:                              ;   in Loop: Header=BB6_57 Depth=2
	s_and_saveexec_b64 s[88:89], s[10:11]
	s_cbranch_execz .LBB6_55
; %bb.222:                              ;   in Loop: Header=BB6_57 Depth=2
	flat_store_dword v[36:37], v75 sc0 sc1
	s_branch .LBB6_55
.LBB6_223:                              ;   in Loop: Header=BB6_47 Depth=1
	s_or_b64 exec, exec, s[26:27]
.LBB6_224:                              ;   in Loop: Header=BB6_47 Depth=1
	s_or_b64 exec, exec, s[24:25]
	v_cmp_gt_i32_e32 vcc, 2, v2
	s_and_saveexec_b64 s[24:25], vcc
	s_cbranch_execz .LBB6_296
; %bb.225:                              ;   in Loop: Header=BB6_47 Depth=1
	v_cmp_eq_u32_e64 s[28:29], 0, v2
	s_mov_b64 s[26:27], 0
	s_branch .LBB6_228
.LBB6_226:                              ;   in Loop: Header=BB6_228 Depth=2
	s_or_b64 exec, exec, s[28:29]
	v_lshl_add_u64 v[112:113], v[112:113], 0, 2
	flat_store_dwordx2 v[32:33], v[112:113] sc0 sc1
.LBB6_227:                              ;   in Loop: Header=BB6_228 Depth=2
	s_or_b64 exec, exec, s[22:23]
	v_add_u32_e32 v40, v118, v40
	s_mov_b64 s[28:29], 0
	s_andn2_b64 exec, exec, s[26:27]
	s_cbranch_execz .LBB6_295
.LBB6_228:                              ;   Parent Loop BB6_47 Depth=1
                                        ; =>  This Loop Header: Depth=2
                                        ;       Child Loop BB6_234 Depth 3
                                        ;       Child Loop BB6_258 Depth 3
	;; [unrolled: 1-line block ×3, first 2 shown]
	v_sub_u32_e32 v2, v90, v40
	v_min_i32_e32 v118, v118, v2
	v_and_b32_e32 v2, 8, v62
	v_cmp_ne_u32_e32 vcc, 0, v2
	s_and_saveexec_b64 s[88:89], vcc
	s_cbranch_execz .LBB6_250
; %bb.229:                              ;   in Loop: Header=BB6_228 Depth=2
	s_waitcnt vmcnt(0) lgkmcnt(0)
	v_lshl_add_u64 v[10:11], v[48:49], 0, 8
	v_lshl_add_u64 v[8:9], v[112:113], 0, 2
	v_cmp_lt_u64_e32 vcc, v[10:11], v[8:9]
	s_and_saveexec_b64 s[90:91], vcc
	s_cbranch_execz .LBB6_241
; %bb.230:                              ;   in Loop: Header=BB6_228 Depth=2
	v_and_b32_e32 v2, 64, v62
	s_mov_b32 s8, 0
	v_cmp_eq_u32_e32 vcc, 0, v2
	s_mov_b64 s[92:93], 0
                                        ; implicit-def: $sgpr94_sgpr95
                                        ; implicit-def: $sgpr30_sgpr31
                                        ; implicit-def: $sgpr34_sgpr35
	s_branch .LBB6_234
.LBB6_231:                              ;   in Loop: Header=BB6_234 Depth=3
	s_waitcnt vmcnt(0) lgkmcnt(0)
	v_lshl_add_u64 v[10:11], v[48:49], 0, 8
	v_cmp_ge_u64_e64 s[22:23], v[10:11], v[8:9]
	s_or_b64 s[48:49], s[48:49], exec
	s_orn2_b64 s[38:39], s[22:23], exec
.LBB6_232:                              ;   in Loop: Header=BB6_234 Depth=3
	s_or_b64 exec, exec, s[52:53]
	s_andn2_b64 s[22:23], s[34:35], exec
	s_and_b64 s[34:35], s[48:49], exec
	s_or_b64 s[34:35], s[22:23], s[34:35]
	s_andn2_b64 s[22:23], s[30:31], exec
	s_and_b64 s[30:31], s[38:39], exec
	s_or_b64 s[30:31], s[22:23], s[30:31]
.LBB6_233:                              ;   in Loop: Header=BB6_234 Depth=3
	s_or_b64 exec, exec, s[36:37]
	s_and_b64 s[22:23], exec, s[30:31]
	s_or_b64 s[92:93], s[22:23], s[92:93]
	s_andn2_b64 s[22:23], s[94:95], exec
	s_and_b64 s[94:95], s[34:35], exec
	s_or_b64 s[94:95], s[22:23], s[94:95]
	s_andn2_b64 exec, exec, s[92:93]
	s_cbranch_execz .LBB6_238
.LBB6_234:                              ;   Parent Loop BB6_47 Depth=1
                                        ;     Parent Loop BB6_228 Depth=2
                                        ; =>    This Inner Loop Header: Depth=3
	s_sleep 1
	s_waitcnt vmcnt(0) lgkmcnt(0)
	flat_load_dwordx2 v[48:49], v[32:33] sc0 sc1
	s_or_b64 s[34:35], s[34:35], exec
	s_or_b64 s[30:31], s[30:31], exec
                                        ; implicit-def: $vgpr2
	s_and_saveexec_b64 s[36:37], vcc
	s_cbranch_execz .LBB6_233
; %bb.235:                              ;   in Loop: Header=BB6_234 Depth=3
	s_cmpk_lt_i32 s8, 0x270f
	s_cselect_b64 s[50:51], -1, 0
	s_cmpk_gt_i32 s8, 0x270e
	s_mov_b64 s[38:39], -1
	s_cbranch_scc0 .LBB6_237
; %bb.236:                              ;   in Loop: Header=BB6_234 Depth=3
	s_trap 2
	ds_read_b64 v[10:11], v0
	s_andn2_b64 s[50:51], s[50:51], exec
	s_mov_b32 s8, 0
	s_mov_b64 s[48:49], 0
	s_waitcnt vmcnt(0) lgkmcnt(0)
	flat_load_dword v2, v[10:11] sc0 sc1
	s_waitcnt vmcnt(0) lgkmcnt(0)
	buffer_inv sc0 sc1
	v_cmp_eq_u32_e64 s[22:23], 0, v2
	s_and_b64 s[22:23], s[22:23], exec
	s_or_b64 s[50:51], s[50:51], s[22:23]
	s_and_saveexec_b64 s[52:53], s[50:51]
	s_cbranch_execz .LBB6_232
	s_branch .LBB6_231
.LBB6_237:                              ;   in Loop: Header=BB6_234 Depth=3
	s_add_i32 s8, s8, 1
	s_mov_b64 s[48:49], -1
                                        ; implicit-def: $vgpr2
	s_and_saveexec_b64 s[52:53], s[50:51]
	s_cbranch_execz .LBB6_232
	s_branch .LBB6_231
.LBB6_238:                              ;   in Loop: Header=BB6_228 Depth=2
	s_or_b64 exec, exec, s[92:93]
	s_xor_b64 s[8:9], s[94:95], -1
	s_and_saveexec_b64 s[22:23], s[8:9]
	s_xor_b64 s[22:23], exec, s[22:23]
	s_cbranch_execz .LBB6_240
; %bb.239:                              ;   in Loop: Header=BB6_228 Depth=2
	v_or_b32_e32 v62, 64, v62
	s_waitcnt lgkmcnt(0)
	ds_write_b32 v0, v2
	s_trap 2
.LBB6_240:                              ;   in Loop: Header=BB6_228 Depth=2
	s_or_b64 exec, exec, s[22:23]
.LBB6_241:                              ;   in Loop: Header=BB6_228 Depth=2
	s_or_b64 exec, exec, s[90:91]
	v_and_b32_e32 v2, 0x100, v62
	v_cmp_ne_u32_e32 vcc, 0, v2
	v_and_b32_e32 v2, 7, v112
	s_mov_b64 s[22:23], -1
	;;#ASMSTART
	s_wakeup
	;;#ASMEND
                                        ; implicit-def: $vgpr10_vgpr11
	s_and_saveexec_b64 s[90:91], vcc
	s_cbranch_execz .LBB6_245
; %bb.242:                              ;   in Loop: Header=BB6_228 Depth=2
	v_mad_u64_u32 v[12:13], s[8:9], v2, 24, v[6:7]
	flat_load_dword v14, v[12:13]
	v_ashrrev_i32_e32 v119, 31, v118
	v_lshlrev_b64 v[10:11], 1, v[118:119]
	flat_store_dwordx2 v[12:13], v[10:11] offset:8
                                        ; implicit-def: $vgpr10_vgpr11
	s_waitcnt vmcnt(0) lgkmcnt(0)
	v_cmp_ne_u32_e32 vcc, 1, v14
	v_cmp_eq_u32_e64 s[22:23], 1, v14
	s_and_saveexec_b64 s[92:93], s[22:23]
	s_cbranch_execz .LBB6_244
; %bb.243:                              ;   in Loop: Header=BB6_228 Depth=2
	flat_load_dword v10, v[12:13] offset:4 sc0 sc1
	s_waitcnt vmcnt(0) lgkmcnt(0)
	v_ashrrev_i32_e32 v11, 31, v10
	v_lshrrev_b64 v[10:11], 1, v[10:11]
.LBB6_244:                              ;   in Loop: Header=BB6_228 Depth=2
	s_or_b64 exec, exec, s[92:93]
	s_orn2_b64 s[22:23], vcc, exec
.LBB6_245:                              ;   in Loop: Header=BB6_228 Depth=2
	s_or_b64 exec, exec, s[90:91]
	s_and_saveexec_b64 s[90:91], s[22:23]
; %bb.246:                              ;   in Loop: Header=BB6_228 Depth=2
	v_mad_i64_i32 v[10:11], s[8:9], v2, v30, 0
; %bb.247:                              ;   in Loop: Header=BB6_228 Depth=2
	s_or_b64 exec, exec, s[90:91]
	v_and_b32_e32 v2, 0x2000, v62
	v_lshl_add_u64 v[10:11], v[10:11], 1, v[34:35]
	v_cmp_ne_u32_e32 vcc, 0, v2
	ds_write_b64 v0, v[10:11] offset:784
	s_and_saveexec_b64 s[22:23], vcc
	s_cbranch_execz .LBB6_249
; %bb.248:                              ;   in Loop: Header=BB6_228 Depth=2
	ds_read_b64 v[10:11], v0 offset:872
	s_waitcnt lgkmcnt(0)
	v_lshl_add_u64 v[10:11], v[10:11], 0, 1
	ds_write_b64 v0, v[10:11] offset:872
.LBB6_249:                              ;   in Loop: Header=BB6_228 Depth=2
	s_or_b64 exec, exec, s[22:23]
	v_mov_b64_e32 v[112:113], v[8:9]
.LBB6_250:                              ;   in Loop: Header=BB6_228 Depth=2
	s_or_b64 exec, exec, s[88:89]
	s_xor_b64 s[8:9], s[28:29], -1
	s_and_b64 s[8:9], exec, s[8:9]
	s_or_b64 s[26:27], s[8:9], s[26:27]
	s_and_saveexec_b64 s[22:23], s[4:5]
	s_cbranch_execz .LBB6_269
; %bb.251:                              ;   in Loop: Header=BB6_228 Depth=2
	s_and_saveexec_b64 s[8:9], s[44:45]
	s_xor_b64 s[28:29], exec, s[8:9]
	s_cbranch_execz .LBB6_266
; %bb.252:                              ;   in Loop: Header=BB6_228 Depth=2
	s_and_saveexec_b64 s[88:89], s[12:13]
	s_cbranch_execz .LBB6_265
; %bb.253:                              ;   in Loop: Header=BB6_228 Depth=2
	s_mov_b64 s[92:93], exec
	v_mbcnt_lo_u32_b32 v2, s92, 0
	v_mbcnt_hi_u32_b32 v2, s93, v2
	v_cmp_eq_u32_e32 vcc, 0, v2
	s_waitcnt lgkmcnt(0)
	s_and_saveexec_b64 s[90:91], vcc
	s_cbranch_execz .LBB6_255
; %bb.254:                              ;   in Loop: Header=BB6_228 Depth=2
	s_bcnt1_i32_b64 s8, s[92:93]
	v_mov_b32_e32 v2, s8
	ds_add_u64 v0, v[2:3]
	s_trap 2
.LBB6_255:                              ;   in Loop: Header=BB6_228 Depth=2
	s_or_b64 exec, exec, s[90:91]
	s_trap 2
	ds_read_b64 v[8:9], v0
	s_waitcnt lgkmcnt(0)
	v_lshl_add_u64 v[38:39], v[38:39], 0, v[52:53]
	v_cmp_lt_u64_e32 vcc, v[8:9], v[38:39]
	s_and_saveexec_b64 s[90:91], vcc
	s_cbranch_execz .LBB6_264
; %bb.256:                              ;   in Loop: Header=BB6_228 Depth=2
	s_mov_b32 s8, 0
	s_mov_b64 s[92:93], 0
                                        ; implicit-def: $sgpr94_sgpr95
                                        ; implicit-def: $sgpr30_sgpr31
	s_branch .LBB6_258
.LBB6_257:                              ;   in Loop: Header=BB6_258 Depth=3
	s_or_b64 exec, exec, s[36:37]
	s_and_b64 vcc, exec, vcc
	s_or_b64 s[92:93], vcc, s[92:93]
	s_andn2_b64 s[94:95], s[94:95], exec
	s_and_b64 vcc, s[30:31], exec
	s_or_b64 s[94:95], s[94:95], vcc
	s_andn2_b64 exec, exec, s[92:93]
	s_cbranch_execz .LBB6_262
.LBB6_258:                              ;   Parent Loop BB6_47 Depth=1
                                        ;     Parent Loop BB6_228 Depth=2
                                        ; =>    This Inner Loop Header: Depth=3
	s_add_i32 s8, s8, 1
	s_cmpk_lg_i32 s8, 0x2710
	s_cselect_b64 s[34:35], -1, 0
	s_and_b64 vcc, exec, s[34:35]
	s_cbranch_vccz .LBB6_260
; %bb.259:                              ;   in Loop: Header=BB6_258 Depth=3
	s_mov_b64 vcc, -1
	s_or_b64 s[30:31], s[30:31], exec
	s_and_saveexec_b64 s[36:37], s[34:35]
	s_cbranch_execz .LBB6_257
	s_branch .LBB6_261
.LBB6_260:                              ;   in Loop: Header=BB6_258 Depth=3
	s_trap 2
	ds_read_b64 v[8:9], v0
	s_andn2_b64 s[34:35], s[34:35], exec
	s_mov_b32 s8, 0
	s_waitcnt vmcnt(0) lgkmcnt(0)
	flat_load_dword v2, v[8:9] sc0 sc1
	s_waitcnt vmcnt(0) lgkmcnt(0)
	buffer_inv sc0 sc1
	v_cmp_eq_u32_e32 vcc, 0, v2
	s_and_b64 vcc, vcc, exec
	s_or_b64 s[34:35], s[34:35], vcc
	s_mov_b64 vcc, -1
	s_or_b64 s[30:31], s[30:31], exec
	s_and_saveexec_b64 s[36:37], s[34:35]
	s_cbranch_execz .LBB6_257
.LBB6_261:                              ;   in Loop: Header=BB6_258 Depth=3
	s_sleep 1
	s_trap 2
	ds_read_b64 v[8:9], v0
	s_waitcnt lgkmcnt(0)
	s_andn2_b64 s[30:31], s[30:31], exec
	v_cmp_ge_u64_e32 vcc, v[8:9], v[38:39]
	s_orn2_b64 vcc, vcc, exec
	s_branch .LBB6_257
.LBB6_262:                              ;   in Loop: Header=BB6_228 Depth=2
	s_or_b64 exec, exec, s[92:93]
	s_and_saveexec_b64 s[8:9], s[94:95]
	s_xor_b64 s[8:9], exec, s[8:9]
	s_cbranch_execz .LBB6_264
; %bb.263:                              ;   in Loop: Header=BB6_228 Depth=2
	ds_write_b32 v0, v75
	s_trap 2
.LBB6_264:                              ;   in Loop: Header=BB6_228 Depth=2
	s_or_b64 exec, exec, s[90:91]
	;;#ASMSTART
	s_wakeup
	;;#ASMEND
.LBB6_265:                              ;   in Loop: Header=BB6_228 Depth=2
	s_or_b64 exec, exec, s[88:89]
.LBB6_266:                              ;   in Loop: Header=BB6_228 Depth=2
	s_andn2_saveexec_b64 s[28:29], s[28:29]
	s_cbranch_execz .LBB6_268
; %bb.267:                              ;   in Loop: Header=BB6_228 Depth=2
	s_waitcnt lgkmcnt(0)
	s_barrier
.LBB6_268:                              ;   in Loop: Header=BB6_228 Depth=2
	s_or_b64 exec, exec, s[28:29]
.LBB6_269:                              ;   in Loop: Header=BB6_228 Depth=2
	s_or_b64 exec, exec, s[22:23]
	v_and_b32_e32 v8, 16, v62
	s_and_saveexec_b64 s[8:9], s[20:21]
	s_xor_b64 s[22:23], exec, s[8:9]
	s_cbranch_execz .LBB6_274
; %bb.270:                              ;   in Loop: Header=BB6_228 Depth=2
	s_trap 2
	ds_read_b32 v2, v0
	v_cmp_lt_i32_e32 vcc, 0, v118
	v_and_b32_e32 v9, 16, v62
	v_and_b32_e32 v8, 16, v62
	s_waitcnt lgkmcnt(0)
	v_readfirstlane_b32 s8, v2
	s_cmp_eq_u32 s8, 0
	s_cselect_b64 s[8:9], -1, 0
	s_and_b64 s[8:9], vcc, s[8:9]
	v_cmp_ne_u32_e32 vcc, 0, v9
	s_and_b64 s[8:9], vcc, s[8:9]
	s_and_saveexec_b64 s[28:29], s[8:9]
	s_cbranch_execz .LBB6_272
; %bb.271:                              ;   in Loop: Header=BB6_228 Depth=2
	v_mov_b32_e32 v8, 1
	buffer_wbl2 sc1
	s_waitcnt vmcnt(0)
	buffer_inv sc1
.LBB6_272:                              ;   in Loop: Header=BB6_228 Depth=2
	s_or_b64 exec, exec, s[28:29]
	s_andn2_saveexec_b64 s[22:23], s[22:23]
	s_cbranch_execnz .LBB6_275
.LBB6_273:                              ;   in Loop: Header=BB6_228 Depth=2
	s_or_b64 exec, exec, s[22:23]
	v_cmp_ne_u32_e32 vcc, 0, v8
	s_and_saveexec_b64 s[22:23], vcc
	s_cbranch_execz .LBB6_227
	s_branch .LBB6_293
.LBB6_274:                              ;   in Loop: Header=BB6_228 Depth=2
	s_andn2_saveexec_b64 s[22:23], s[22:23]
	s_cbranch_execz .LBB6_273
.LBB6_275:                              ;   in Loop: Header=BB6_228 Depth=2
	s_and_saveexec_b64 s[8:9], s[44:45]
	s_xor_b64 s[28:29], exec, s[8:9]
	s_cbranch_execz .LBB6_290
; %bb.276:                              ;   in Loop: Header=BB6_228 Depth=2
	s_and_saveexec_b64 s[88:89], s[12:13]
	s_cbranch_execz .LBB6_289
; %bb.277:                              ;   in Loop: Header=BB6_228 Depth=2
	s_mov_b64 s[92:93], exec
	v_mbcnt_lo_u32_b32 v2, s92, 0
	v_mbcnt_hi_u32_b32 v2, s93, v2
	v_cmp_eq_u32_e32 vcc, 0, v2
	;;#ASMSTART
	s_waitcnt lgkmcnt(0) vmcnt(0)
	;;#ASMEND
	s_and_saveexec_b64 s[90:91], vcc
	s_cbranch_execz .LBB6_279
; %bb.278:                              ;   in Loop: Header=BB6_228 Depth=2
	s_bcnt1_i32_b64 s8, s[92:93]
	v_mov_b32_e32 v2, s8
	s_waitcnt lgkmcnt(0)
	ds_add_u64 v0, v[2:3]
	s_trap 2
.LBB6_279:                              ;   in Loop: Header=BB6_228 Depth=2
	s_or_b64 exec, exec, s[90:91]
	s_trap 2
	ds_read_b64 v[10:11], v0
	s_waitcnt lgkmcnt(0)
	v_lshl_add_u64 v[38:39], v[38:39], 0, v[52:53]
	v_cmp_lt_u64_e32 vcc, v[10:11], v[38:39]
	s_and_saveexec_b64 s[90:91], vcc
	s_cbranch_execz .LBB6_288
; %bb.280:                              ;   in Loop: Header=BB6_228 Depth=2
	s_mov_b32 s8, 0
	s_mov_b64 s[92:93], 0
                                        ; implicit-def: $sgpr94_sgpr95
                                        ; implicit-def: $sgpr30_sgpr31
	s_branch .LBB6_282
.LBB6_281:                              ;   in Loop: Header=BB6_282 Depth=3
	s_or_b64 exec, exec, s[36:37]
	s_and_b64 vcc, exec, vcc
	s_or_b64 s[92:93], vcc, s[92:93]
	s_andn2_b64 s[94:95], s[94:95], exec
	s_and_b64 vcc, s[30:31], exec
	s_or_b64 s[94:95], s[94:95], vcc
	s_andn2_b64 exec, exec, s[92:93]
	s_cbranch_execz .LBB6_286
.LBB6_282:                              ;   Parent Loop BB6_47 Depth=1
                                        ;     Parent Loop BB6_228 Depth=2
                                        ; =>    This Inner Loop Header: Depth=3
	s_add_i32 s8, s8, 1
	s_cmpk_lg_i32 s8, 0x2710
	s_cselect_b64 s[34:35], -1, 0
	s_and_b64 vcc, exec, s[34:35]
	s_cbranch_vccz .LBB6_284
; %bb.283:                              ;   in Loop: Header=BB6_282 Depth=3
	s_mov_b64 vcc, -1
	s_or_b64 s[30:31], s[30:31], exec
	s_and_saveexec_b64 s[36:37], s[34:35]
	s_cbranch_execz .LBB6_281
	s_branch .LBB6_285
.LBB6_284:                              ;   in Loop: Header=BB6_282 Depth=3
	s_trap 2
	ds_read_b64 v[10:11], v0
	s_andn2_b64 s[34:35], s[34:35], exec
	s_mov_b32 s8, 0
	s_waitcnt vmcnt(0) lgkmcnt(0)
	flat_load_dword v2, v[10:11] sc0 sc1
	s_waitcnt vmcnt(0) lgkmcnt(0)
	buffer_inv sc0 sc1
	v_cmp_eq_u32_e32 vcc, 0, v2
	s_and_b64 vcc, vcc, exec
	s_or_b64 s[34:35], s[34:35], vcc
	s_mov_b64 vcc, -1
	s_or_b64 s[30:31], s[30:31], exec
	s_and_saveexec_b64 s[36:37], s[34:35]
	s_cbranch_execz .LBB6_281
.LBB6_285:                              ;   in Loop: Header=BB6_282 Depth=3
	s_sleep 1
	s_trap 2
	ds_read_b64 v[10:11], v0
	s_waitcnt lgkmcnt(0)
	s_andn2_b64 s[30:31], s[30:31], exec
	v_cmp_ge_u64_e32 vcc, v[10:11], v[38:39]
	s_orn2_b64 vcc, vcc, exec
	s_branch .LBB6_281
.LBB6_286:                              ;   in Loop: Header=BB6_228 Depth=2
	s_or_b64 exec, exec, s[92:93]
	s_and_saveexec_b64 s[8:9], s[94:95]
	s_xor_b64 s[8:9], exec, s[8:9]
	s_cbranch_execz .LBB6_288
; %bb.287:                              ;   in Loop: Header=BB6_228 Depth=2
	ds_write_b32 v0, v75
	s_trap 2
.LBB6_288:                              ;   in Loop: Header=BB6_228 Depth=2
	s_or_b64 exec, exec, s[90:91]
	;;#ASMSTART
	s_wakeup
	;;#ASMEND
.LBB6_289:                              ;   in Loop: Header=BB6_228 Depth=2
	s_or_b64 exec, exec, s[88:89]
.LBB6_290:                              ;   in Loop: Header=BB6_228 Depth=2
	s_andn2_saveexec_b64 s[28:29], s[28:29]
	s_cbranch_execz .LBB6_292
; %bb.291:                              ;   in Loop: Header=BB6_228 Depth=2
	;;#ASMSTART
	s_waitcnt lgkmcnt(0) vmcnt(0)
	;;#ASMEND
	s_barrier
.LBB6_292:                              ;   in Loop: Header=BB6_228 Depth=2
	s_or_b64 exec, exec, s[28:29]
	s_or_b64 exec, exec, s[22:23]
	v_cmp_ne_u32_e32 vcc, 0, v8
	s_and_saveexec_b64 s[22:23], vcc
	s_cbranch_execz .LBB6_227
.LBB6_293:                              ;   in Loop: Header=BB6_228 Depth=2
	s_and_saveexec_b64 s[28:29], s[10:11]
	s_cbranch_execz .LBB6_226
; %bb.294:                              ;   in Loop: Header=BB6_228 Depth=2
	flat_store_dword v[36:37], v75 sc0 sc1
	s_branch .LBB6_226
.LBB6_295:                              ;   in Loop: Header=BB6_47 Depth=1
	s_or_b64 exec, exec, s[26:27]
.LBB6_296:                              ;   in Loop: Header=BB6_47 Depth=1
	s_or_b64 exec, exec, s[24:25]
	v_cndmask_b32_e64 v2, 0, 1, s[74:75]
	v_cmp_ne_u32_e64 s[22:23], 1, v2
	s_andn2_b64 vcc, exec, s[74:75]
	s_cbranch_vccnz .LBB6_813
; %bb.297:                              ;   in Loop: Header=BB6_47 Depth=1
	s_mov_b32 s73, 2
	s_branch .LBB6_300
.LBB6_298:                              ;   in Loop: Header=BB6_300 Depth=2
	s_or_b64 exec, exec, s[28:29]
.LBB6_299:                              ;   in Loop: Header=BB6_300 Depth=2
	s_or_b64 exec, exec, s[26:27]
	s_add_i32 s73, s73, 1
	s_cmp_eq_u32 s73, s64
	s_cbranch_scc1 .LBB6_813
.LBB6_300:                              ;   Parent Loop BB6_47 Depth=1
                                        ; =>  This Loop Header: Depth=2
                                        ;       Child Loop BB6_303 Depth 3
                                        ;         Child Loop BB6_311 Depth 4
                                        ;         Child Loop BB6_339 Depth 4
	;; [unrolled: 1-line block ×4, first 2 shown]
                                        ;           Child Loop BB6_388 Depth 5
                                        ;           Child Loop BB6_425 Depth 5
                                        ;         Child Loop BB6_500 Depth 4
                                        ;           Child Loop BB6_501 Depth 5
                                        ;           Child Loop BB6_538 Depth 5
                                        ;         Child Loop BB6_615 Depth 4
                                        ;         Child Loop BB6_674 Depth 4
                                        ;           Child Loop BB6_675 Depth 5
                                        ;           Child Loop BB6_684 Depth 5
                                        ;         Child Loop BB6_703 Depth 4
                                        ;         Child Loop BB6_722 Depth 4
                                        ;       Child Loop BB6_741 Depth 3
                                        ;         Child Loop BB6_747 Depth 4
                                        ;         Child Loop BB6_775 Depth 4
	;; [unrolled: 1-line block ×3, first 2 shown]
	s_sub_i32 s8, s66, s73
	s_cmp_ge_i32 s8, s64
	s_cselect_b32 s9, s64, 0
	s_sub_i32 s8, s8, s9
	s_ashr_i32 s9, s8, 31
	v_mul_lo_u32 v2, v102, s9
	v_mul_lo_u32 v8, v103, s8
	v_mad_u64_u32 v[20:21], s[8:9], v102, s8, 0
	v_add3_u32 v21, v21, v2, v8
	v_sub_co_u32_e32 v8, vcc, v114, v20
	v_mov_b32_e32 v18, 0
	s_nop 0
	v_subb_co_u32_e32 v9, vcc, v115, v21, vcc
	v_cmp_lt_i64_e32 vcc, v[102:103], v[8:9]
	s_nop 1
	v_cndmask_b32_e32 v2, v8, v102, vcc
	v_max_i32_e32 v56, 0, v2
	v_add_u32_e32 v8, 31, v56
	v_ashrrev_i32_e32 v9, 31, v8
	v_lshrrev_b32_e32 v9, 27, v9
	v_add_u32_e32 v8, v8, v9
	v_ashrrev_i32_e32 v8, 5, v8
	v_lshlrev_b32_e32 v8, 4, v8
	v_cmp_lt_i32_e32 vcc, 0, v2
	v_max_i32_e32 v16, s69, v8
	s_and_b64 s[8:9], s[78:79], vcc
	v_mov_b32_e32 v2, 0
	s_and_saveexec_b64 s[88:89], s[8:9]
	s_cbranch_execz .LBB6_738
; %bb.301:                              ;   in Loop: Header=BB6_300 Depth=2
	s_mov_b32 s8, 1
	s_mov_b64 s[92:93], -1
	v_mov_b32_e32 v18, 0
	s_mov_b64 s[90:91], 0
	s_branch .LBB6_303
.LBB6_302:                              ;   in Loop: Header=BB6_303 Depth=3
	s_or_b64 exec, exec, s[24:25]
	v_add_u32_e32 v18, v16, v18
	v_cmp_ge_i32_e32 vcc, v18, v56
	s_xor_b64 s[24:25], s[92:93], -1
	s_or_b64 s[24:25], s[24:25], vcc
	s_and_b64 s[24:25], exec, s[24:25]
	s_or_b64 s[90:91], s[24:25], s[90:91]
	s_mov_b64 s[92:93], 0
	v_mov_b32_e32 v2, s8
	s_mov_b32 s8, 2
	s_andn2_b64 exec, exec, s[90:91]
	s_cbranch_execz .LBB6_737
.LBB6_303:                              ;   Parent Loop BB6_47 Depth=1
                                        ;     Parent Loop BB6_300 Depth=2
                                        ; =>    This Loop Header: Depth=3
                                        ;         Child Loop BB6_311 Depth 4
                                        ;         Child Loop BB6_339 Depth 4
	;; [unrolled: 1-line block ×4, first 2 shown]
                                        ;           Child Loop BB6_388 Depth 5
                                        ;           Child Loop BB6_425 Depth 5
                                        ;         Child Loop BB6_500 Depth 4
                                        ;           Child Loop BB6_501 Depth 5
                                        ;           Child Loop BB6_538 Depth 5
                                        ;         Child Loop BB6_615 Depth 4
                                        ;         Child Loop BB6_674 Depth 4
                                        ;           Child Loop BB6_675 Depth 5
                                        ;           Child Loop BB6_684 Depth 5
                                        ;         Child Loop BB6_703 Depth 4
                                        ;         Child Loop BB6_722 Depth 4
	s_and_saveexec_b64 s[24:25], s[0:1]
	s_cbranch_execz .LBB6_305
; %bb.304:                              ;   in Loop: Header=BB6_303 Depth=3
	s_trap 2
	ds_read_b64 v[8:9], v0
	v_ashrrev_i32_e32 v19, 31, v18
	s_waitcnt lgkmcnt(0)
	v_lshl_add_u64 v[8:9], v[116:117], 1, v[8:9]
	v_lshl_add_u64 v[8:9], v[20:21], 1, v[8:9]
	;; [unrolled: 1-line block ×3, first 2 shown]
	ds_write_b64 v0, v[8:9]
	ds_write_b64 v0, v[108:109]
.LBB6_305:                              ;   in Loop: Header=BB6_303 Depth=3
	s_or_b64 exec, exec, s[24:25]
	v_sub_u32_e32 v2, v56, v18
	v_min_i32_e32 v16, v16, v2
	v_and_b32_e32 v2, 12, v62
	v_cmp_ne_u32_e32 vcc, 0, v2
	s_and_saveexec_b64 s[26:27], vcc
	s_cbranch_execz .LBB6_331
; %bb.306:                              ;   in Loop: Header=BB6_303 Depth=3
	v_and_b32_e32 v2, 8, v62
	s_waitcnt vmcnt(0) lgkmcnt(0)
	v_lshl_add_u64 v[10:11], v[48:49], 0, v[2:3]
	v_lshl_add_u64 v[8:9], v[112:113], 0, 2
	v_cmp_lt_u64_e32 vcc, v[10:11], v[8:9]
	s_and_saveexec_b64 s[28:29], vcc
	s_cbranch_execz .LBB6_318
; %bb.307:                              ;   in Loop: Header=BB6_303 Depth=3
	v_and_b32_e32 v10, 64, v62
	s_mov_b32 s9, 0
	v_cmp_eq_u32_e32 vcc, 0, v10
	s_mov_b64 s[94:95], 0
                                        ; implicit-def: $sgpr30_sgpr31
                                        ; implicit-def: $sgpr34_sgpr35
                                        ; implicit-def: $sgpr36_sgpr37
	s_branch .LBB6_311
.LBB6_308:                              ;   in Loop: Header=BB6_311 Depth=4
	s_waitcnt vmcnt(0) lgkmcnt(0)
	v_lshl_add_u64 v[12:13], v[48:49], 0, v[2:3]
	v_cmp_ge_u64_e64 s[24:25], v[12:13], v[8:9]
	s_or_b64 s[50:51], s[50:51], exec
	s_orn2_b64 s[48:49], s[24:25], exec
.LBB6_309:                              ;   in Loop: Header=BB6_311 Depth=4
	s_or_b64 exec, exec, s[54:55]
	s_andn2_b64 s[24:25], s[36:37], exec
	s_and_b64 s[36:37], s[50:51], exec
	s_or_b64 s[36:37], s[24:25], s[36:37]
	s_andn2_b64 s[24:25], s[34:35], exec
	s_and_b64 s[34:35], s[48:49], exec
	s_or_b64 s[34:35], s[24:25], s[34:35]
.LBB6_310:                              ;   in Loop: Header=BB6_311 Depth=4
	s_or_b64 exec, exec, s[38:39]
	s_and_b64 s[24:25], exec, s[34:35]
	s_or_b64 s[94:95], s[24:25], s[94:95]
	s_andn2_b64 s[24:25], s[30:31], exec
	s_and_b64 s[30:31], s[36:37], exec
	s_or_b64 s[30:31], s[24:25], s[30:31]
	s_andn2_b64 exec, exec, s[94:95]
	s_cbranch_execz .LBB6_315
.LBB6_311:                              ;   Parent Loop BB6_47 Depth=1
                                        ;     Parent Loop BB6_300 Depth=2
                                        ;       Parent Loop BB6_303 Depth=3
                                        ; =>      This Inner Loop Header: Depth=4
	s_sleep 1
	s_waitcnt vmcnt(0) lgkmcnt(0)
	flat_load_dwordx2 v[48:49], v[32:33] sc0 sc1
	s_or_b64 s[36:37], s[36:37], exec
	s_or_b64 s[34:35], s[34:35], exec
                                        ; implicit-def: $vgpr10
	s_and_saveexec_b64 s[38:39], vcc
	s_cbranch_execz .LBB6_310
; %bb.312:                              ;   in Loop: Header=BB6_311 Depth=4
	s_cmpk_lt_i32 s9, 0x270f
	s_cselect_b64 s[52:53], -1, 0
	s_cmpk_gt_i32 s9, 0x270e
	s_mov_b64 s[48:49], -1
	s_cbranch_scc0 .LBB6_314
; %bb.313:                              ;   in Loop: Header=BB6_311 Depth=4
	s_trap 2
	ds_read_b64 v[10:11], v0
	s_andn2_b64 s[52:53], s[52:53], exec
	s_mov_b32 s9, 0
	s_mov_b64 s[50:51], 0
	s_waitcnt vmcnt(0) lgkmcnt(0)
	flat_load_dword v10, v[10:11] sc0 sc1
	s_waitcnt vmcnt(0) lgkmcnt(0)
	buffer_inv sc0 sc1
	v_cmp_eq_u32_e64 s[24:25], 0, v10
	s_and_b64 s[24:25], s[24:25], exec
	s_or_b64 s[52:53], s[52:53], s[24:25]
	s_and_saveexec_b64 s[54:55], s[52:53]
	s_cbranch_execz .LBB6_309
	s_branch .LBB6_308
.LBB6_314:                              ;   in Loop: Header=BB6_311 Depth=4
	s_add_i32 s9, s9, 1
	s_mov_b64 s[50:51], -1
                                        ; implicit-def: $vgpr10
	s_and_saveexec_b64 s[54:55], s[52:53]
	s_cbranch_execz .LBB6_309
	s_branch .LBB6_308
.LBB6_315:                              ;   in Loop: Header=BB6_303 Depth=3
	s_or_b64 exec, exec, s[94:95]
	s_xor_b64 s[24:25], s[30:31], -1
	s_and_saveexec_b64 s[94:95], s[24:25]
	s_xor_b64 s[24:25], exec, s[94:95]
	s_cbranch_execz .LBB6_317
; %bb.316:                              ;   in Loop: Header=BB6_303 Depth=3
	v_or_b32_e32 v62, 64, v62
	s_waitcnt lgkmcnt(0)
	ds_write_b32 v0, v10
	s_trap 2
.LBB6_317:                              ;   in Loop: Header=BB6_303 Depth=3
	s_or_b64 exec, exec, s[24:25]
.LBB6_318:                              ;   in Loop: Header=BB6_303 Depth=3
	s_or_b64 exec, exec, s[28:29]
	v_and_b32_e32 v10, 0x108, v62
	v_cmp_ne_u32_e32 vcc, s43, v10
	;;#ASMSTART
	s_wakeup
	;;#ASMEND
                                        ; implicit-def: $vgpr10_vgpr11
	s_and_saveexec_b64 s[24:25], vcc
	s_xor_b64 s[24:25], exec, s[24:25]
; %bb.319:                              ;   in Loop: Header=BB6_303 Depth=3
	v_and_b32_e32 v10, 7, v112
	v_mov_b32_e32 v11, v3
                                        ; implicit-def: $vgpr112_vgpr113
; %bb.320:                              ;   in Loop: Header=BB6_303 Depth=3
	s_andn2_saveexec_b64 s[24:25], s[24:25]
	s_cbranch_execz .LBB6_322
; %bb.321:                              ;   in Loop: Header=BB6_303 Depth=3
	v_and_b32_e32 v10, 7, v112
	v_ashrrev_i32_e32 v17, 31, v16
	v_mov_b32_e32 v11, v3
	v_mad_u64_u32 v[12:13], s[28:29], v10, 24, v[6:7]
	v_lshlrev_b64 v[14:15], 1, v[16:17]
	flat_store_dwordx2 v[12:13], v[14:15] offset:8
.LBB6_322:                              ;   in Loop: Header=BB6_303 Depth=3
	s_or_b64 exec, exec, s[24:25]
	v_and_b32_e32 v12, 0x100, v62
	v_cmp_ne_u32_e32 vcc, 0, v12
	s_mov_b64 s[24:25], -1
                                        ; implicit-def: $vgpr12_vgpr13
	s_and_saveexec_b64 s[28:29], vcc
	s_cbranch_execz .LBB6_326
; %bb.323:                              ;   in Loop: Header=BB6_303 Depth=3
	v_mad_u64_u32 v[14:15], s[24:25], v10, 24, v[6:7]
	v_mov_b32_e32 v12, v15
	v_mad_u64_u32 v[12:13], s[24:25], v11, 24, v[12:13]
	v_mov_b32_e32 v15, v12
	flat_load_dword v12, v[14:15]
	s_waitcnt vmcnt(0) lgkmcnt(0)
	v_cmp_ne_u32_e32 vcc, 1, v12
	v_cmp_eq_u32_e64 s[24:25], 1, v12
                                        ; implicit-def: $vgpr12_vgpr13
	s_and_saveexec_b64 s[94:95], s[24:25]
	s_cbranch_execz .LBB6_325
; %bb.324:                              ;   in Loop: Header=BB6_303 Depth=3
	flat_load_dword v12, v[14:15] offset:4 sc0 sc1
	s_waitcnt vmcnt(0) lgkmcnt(0)
	v_ashrrev_i32_e32 v13, 31, v12
	v_lshrrev_b64 v[12:13], 1, v[12:13]
.LBB6_325:                              ;   in Loop: Header=BB6_303 Depth=3
	s_or_b64 exec, exec, s[94:95]
	s_orn2_b64 s[24:25], vcc, exec
.LBB6_326:                              ;   in Loop: Header=BB6_303 Depth=3
	s_or_b64 exec, exec, s[28:29]
	s_and_saveexec_b64 s[28:29], s[24:25]
; %bb.327:                              ;   in Loop: Header=BB6_303 Depth=3
	v_mul_lo_u32 v11, v11, v30
	v_mul_lo_u32 v14, v10, v51
	v_mad_u64_u32 v[12:13], s[24:25], v10, v30, 0
	v_add3_u32 v13, v13, v14, v11
; %bb.328:                              ;   in Loop: Header=BB6_303 Depth=3
	s_or_b64 exec, exec, s[28:29]
	v_cmp_eq_u32_e32 vcc, 0, v2
	v_lshl_add_u64 v[10:11], v[12:13], 1, v[34:35]
	s_nop 0
	v_cndmask_b32_e32 v2, v76, v77, vcc
	v_add_u32_e32 v2, v0, v2
	ds_write_b64 v2, v[10:11] offset:584
	v_and_b32_e32 v2, 0x2000, v62
	v_cmp_ne_u32_e32 vcc, 0, v2
	s_and_saveexec_b64 s[24:25], vcc
	s_cbranch_execz .LBB6_330
; %bb.329:                              ;   in Loop: Header=BB6_303 Depth=3
	ds_read_b64 v[10:11], v0 offset:872
	s_waitcnt lgkmcnt(0)
	v_lshl_add_u64 v[10:11], v[10:11], 0, 1
	ds_write_b64 v0, v[10:11] offset:872
.LBB6_330:                              ;   in Loop: Header=BB6_303 Depth=3
	s_or_b64 exec, exec, s[24:25]
	v_mov_b64_e32 v[112:113], v[8:9]
.LBB6_331:                              ;   in Loop: Header=BB6_303 Depth=3
	s_or_b64 exec, exec, s[26:27]
	s_and_saveexec_b64 s[24:25], s[4:5]
	s_cbranch_execz .LBB6_350
; %bb.332:                              ;   in Loop: Header=BB6_303 Depth=3
	s_and_saveexec_b64 s[26:27], s[44:45]
	s_xor_b64 s[26:27], exec, s[26:27]
	s_cbranch_execz .LBB6_347
; %bb.333:                              ;   in Loop: Header=BB6_303 Depth=3
	s_and_saveexec_b64 s[28:29], s[12:13]
	s_cbranch_execz .LBB6_346
; %bb.334:                              ;   in Loop: Header=BB6_303 Depth=3
	s_mov_b64 s[30:31], exec
	v_mbcnt_lo_u32_b32 v2, s30, 0
	v_mbcnt_hi_u32_b32 v2, s31, v2
	v_cmp_eq_u32_e32 vcc, 0, v2
	s_waitcnt lgkmcnt(0)
	s_and_saveexec_b64 s[94:95], vcc
	s_cbranch_execz .LBB6_336
; %bb.335:                              ;   in Loop: Header=BB6_303 Depth=3
	s_bcnt1_i32_b64 s9, s[30:31]
	v_mov_b32_e32 v2, s9
	ds_add_u64 v0, v[2:3]
	s_trap 2
.LBB6_336:                              ;   in Loop: Header=BB6_303 Depth=3
	s_or_b64 exec, exec, s[94:95]
	s_trap 2
	ds_read_b64 v[8:9], v0
	s_waitcnt lgkmcnt(0)
	v_lshl_add_u64 v[38:39], v[38:39], 0, v[52:53]
	v_cmp_lt_u64_e32 vcc, v[8:9], v[38:39]
	s_and_saveexec_b64 s[94:95], vcc
	s_cbranch_execz .LBB6_345
; %bb.337:                              ;   in Loop: Header=BB6_303 Depth=3
	s_mov_b32 s9, 0
	s_mov_b64 s[30:31], 0
                                        ; implicit-def: $sgpr34_sgpr35
                                        ; implicit-def: $sgpr36_sgpr37
	s_branch .LBB6_339
.LBB6_338:                              ;   in Loop: Header=BB6_339 Depth=4
	s_or_b64 exec, exec, s[48:49]
	s_and_b64 vcc, exec, vcc
	s_or_b64 s[30:31], vcc, s[30:31]
	s_andn2_b64 vcc, s[34:35], exec
	s_and_b64 s[34:35], s[36:37], exec
	s_or_b64 s[34:35], vcc, s[34:35]
	s_andn2_b64 exec, exec, s[30:31]
	s_cbranch_execz .LBB6_343
.LBB6_339:                              ;   Parent Loop BB6_47 Depth=1
                                        ;     Parent Loop BB6_300 Depth=2
                                        ;       Parent Loop BB6_303 Depth=3
                                        ; =>      This Inner Loop Header: Depth=4
	s_add_i32 s9, s9, 1
	s_cmpk_lg_i32 s9, 0x2710
	s_cselect_b64 s[38:39], -1, 0
	s_and_b64 vcc, exec, s[38:39]
	s_cbranch_vccz .LBB6_341
; %bb.340:                              ;   in Loop: Header=BB6_339 Depth=4
	s_mov_b64 vcc, -1
	s_or_b64 s[36:37], s[36:37], exec
	s_and_saveexec_b64 s[48:49], s[38:39]
	s_cbranch_execz .LBB6_338
	s_branch .LBB6_342
.LBB6_341:                              ;   in Loop: Header=BB6_339 Depth=4
	s_trap 2
	ds_read_b64 v[8:9], v0
	s_andn2_b64 s[38:39], s[38:39], exec
	s_mov_b32 s9, 0
	s_waitcnt vmcnt(0) lgkmcnt(0)
	flat_load_dword v2, v[8:9] sc0 sc1
	s_waitcnt vmcnt(0) lgkmcnt(0)
	buffer_inv sc0 sc1
	v_cmp_eq_u32_e32 vcc, 0, v2
	s_and_b64 vcc, vcc, exec
	s_or_b64 s[38:39], s[38:39], vcc
	s_mov_b64 vcc, -1
	s_or_b64 s[36:37], s[36:37], exec
	s_and_saveexec_b64 s[48:49], s[38:39]
	s_cbranch_execz .LBB6_338
.LBB6_342:                              ;   in Loop: Header=BB6_339 Depth=4
	s_sleep 1
	s_trap 2
	ds_read_b64 v[8:9], v0
	s_waitcnt lgkmcnt(0)
	s_andn2_b64 s[36:37], s[36:37], exec
	v_cmp_ge_u64_e32 vcc, v[8:9], v[38:39]
	s_orn2_b64 vcc, vcc, exec
	s_branch .LBB6_338
.LBB6_343:                              ;   in Loop: Header=BB6_303 Depth=3
	s_or_b64 exec, exec, s[30:31]
	s_and_saveexec_b64 vcc, s[34:35]
	s_xor_b64 vcc, exec, vcc
	s_cbranch_execz .LBB6_345
; %bb.344:                              ;   in Loop: Header=BB6_303 Depth=3
	ds_write_b32 v0, v75
	s_trap 2
.LBB6_345:                              ;   in Loop: Header=BB6_303 Depth=3
	s_or_b64 exec, exec, s[94:95]
	;;#ASMSTART
	s_wakeup
	;;#ASMEND
.LBB6_346:                              ;   in Loop: Header=BB6_303 Depth=3
	s_or_b64 exec, exec, s[28:29]
.LBB6_347:                              ;   in Loop: Header=BB6_303 Depth=3
	s_andn2_saveexec_b64 s[26:27], s[26:27]
	s_cbranch_execz .LBB6_349
; %bb.348:                              ;   in Loop: Header=BB6_303 Depth=3
	s_waitcnt lgkmcnt(0)
	s_barrier
.LBB6_349:                              ;   in Loop: Header=BB6_303 Depth=3
	s_or_b64 exec, exec, s[26:27]
.LBB6_350:                              ;   in Loop: Header=BB6_303 Depth=3
	s_or_b64 exec, exec, s[24:25]
	s_trap 2
	ds_read_b32 v8, v0
	v_and_b32_e32 v2, 0x4000, v62
	v_cmp_ne_u32_e32 vcc, 0, v2
	s_xor_b64 s[24:25], s[2:3], -1
	s_and_b64 s[26:27], s[24:25], vcc
	s_and_saveexec_b64 s[24:25], s[26:27]
	s_cbranch_execz .LBB6_369
; %bb.351:                              ;   in Loop: Header=BB6_303 Depth=3
	s_and_saveexec_b64 s[26:27], s[44:45]
	s_xor_b64 s[26:27], exec, s[26:27]
	s_cbranch_execz .LBB6_366
; %bb.352:                              ;   in Loop: Header=BB6_303 Depth=3
	s_and_saveexec_b64 s[28:29], s[12:13]
	s_cbranch_execz .LBB6_365
; %bb.353:                              ;   in Loop: Header=BB6_303 Depth=3
	s_mov_b64 s[30:31], exec
	v_mbcnt_lo_u32_b32 v2, s30, 0
	v_mbcnt_hi_u32_b32 v2, s31, v2
	v_cmp_eq_u32_e32 vcc, 0, v2
	s_waitcnt lgkmcnt(0)
	s_and_saveexec_b64 s[94:95], vcc
	s_cbranch_execz .LBB6_355
; %bb.354:                              ;   in Loop: Header=BB6_303 Depth=3
	s_bcnt1_i32_b64 s9, s[30:31]
	v_mov_b32_e32 v2, s9
	ds_add_u64 v0, v[2:3]
	s_trap 2
.LBB6_355:                              ;   in Loop: Header=BB6_303 Depth=3
	s_or_b64 exec, exec, s[94:95]
	s_trap 2
	ds_read_b64 v[10:11], v0
	s_waitcnt lgkmcnt(0)
	v_lshl_add_u64 v[38:39], v[38:39], 0, v[52:53]
	v_cmp_lt_u64_e32 vcc, v[10:11], v[38:39]
	s_and_saveexec_b64 s[94:95], vcc
	s_cbranch_execz .LBB6_364
; %bb.356:                              ;   in Loop: Header=BB6_303 Depth=3
	s_mov_b32 s9, 0
	s_mov_b64 s[30:31], 0
                                        ; implicit-def: $sgpr34_sgpr35
                                        ; implicit-def: $sgpr36_sgpr37
	s_branch .LBB6_358
.LBB6_357:                              ;   in Loop: Header=BB6_358 Depth=4
	s_or_b64 exec, exec, s[48:49]
	s_and_b64 vcc, exec, vcc
	s_or_b64 s[30:31], vcc, s[30:31]
	s_andn2_b64 vcc, s[34:35], exec
	s_and_b64 s[34:35], s[36:37], exec
	s_or_b64 s[34:35], vcc, s[34:35]
	s_andn2_b64 exec, exec, s[30:31]
	s_cbranch_execz .LBB6_362
.LBB6_358:                              ;   Parent Loop BB6_47 Depth=1
                                        ;     Parent Loop BB6_300 Depth=2
                                        ;       Parent Loop BB6_303 Depth=3
                                        ; =>      This Inner Loop Header: Depth=4
	s_add_i32 s9, s9, 1
	s_cmpk_lg_i32 s9, 0x2710
	s_cselect_b64 s[38:39], -1, 0
	s_and_b64 vcc, exec, s[38:39]
	s_cbranch_vccz .LBB6_360
; %bb.359:                              ;   in Loop: Header=BB6_358 Depth=4
	s_mov_b64 vcc, -1
	s_or_b64 s[36:37], s[36:37], exec
	s_and_saveexec_b64 s[48:49], s[38:39]
	s_cbranch_execz .LBB6_357
	s_branch .LBB6_361
.LBB6_360:                              ;   in Loop: Header=BB6_358 Depth=4
	s_trap 2
	ds_read_b64 v[10:11], v0
	s_andn2_b64 s[38:39], s[38:39], exec
	s_mov_b32 s9, 0
	s_waitcnt vmcnt(0) lgkmcnt(0)
	flat_load_dword v2, v[10:11] sc0 sc1
	s_waitcnt vmcnt(0) lgkmcnt(0)
	buffer_inv sc0 sc1
	v_cmp_eq_u32_e32 vcc, 0, v2
	s_and_b64 vcc, vcc, exec
	s_or_b64 s[38:39], s[38:39], vcc
	s_mov_b64 vcc, -1
	s_or_b64 s[36:37], s[36:37], exec
	s_and_saveexec_b64 s[48:49], s[38:39]
	s_cbranch_execz .LBB6_357
.LBB6_361:                              ;   in Loop: Header=BB6_358 Depth=4
	s_sleep 1
	s_trap 2
	ds_read_b64 v[10:11], v0
	s_waitcnt lgkmcnt(0)
	s_andn2_b64 s[36:37], s[36:37], exec
	v_cmp_ge_u64_e32 vcc, v[10:11], v[38:39]
	s_orn2_b64 vcc, vcc, exec
	s_branch .LBB6_357
.LBB6_362:                              ;   in Loop: Header=BB6_303 Depth=3
	s_or_b64 exec, exec, s[30:31]
	s_and_saveexec_b64 vcc, s[34:35]
	s_xor_b64 vcc, exec, vcc
	s_cbranch_execz .LBB6_364
; %bb.363:                              ;   in Loop: Header=BB6_303 Depth=3
	ds_write_b32 v0, v75
	s_trap 2
.LBB6_364:                              ;   in Loop: Header=BB6_303 Depth=3
	s_or_b64 exec, exec, s[94:95]
	;;#ASMSTART
	s_wakeup
	;;#ASMEND
.LBB6_365:                              ;   in Loop: Header=BB6_303 Depth=3
	s_or_b64 exec, exec, s[28:29]
.LBB6_366:                              ;   in Loop: Header=BB6_303 Depth=3
	s_andn2_saveexec_b64 s[26:27], s[26:27]
	s_cbranch_execz .LBB6_368
; %bb.367:                              ;   in Loop: Header=BB6_303 Depth=3
	s_waitcnt lgkmcnt(0)
	s_barrier
.LBB6_368:                              ;   in Loop: Header=BB6_303 Depth=3
	s_or_b64 exec, exec, s[26:27]
.LBB6_369:                              ;   in Loop: Header=BB6_303 Depth=3
	s_or_b64 exec, exec, s[24:25]
	s_trap 2
	ds_read_b64 v[22:23], v0
	s_waitcnt lgkmcnt(0)
	v_cmp_eq_u64_e32 vcc, 0, v[22:23]
	s_cbranch_vccnz .LBB6_377
; %bb.370:                              ;   in Loop: Header=BB6_303 Depth=3
	s_trap 2
	ds_read_b64 v[118:119], v0
	s_waitcnt lgkmcnt(0)
	v_cmp_eq_u64_e32 vcc, 0, v[118:119]
	s_cbranch_vccnz .LBB6_377
; %bb.371:                              ;   in Loop: Header=BB6_303 Depth=3
	s_trap 2
	ds_read_b64 v[10:11], v0
	s_mov_b64 s[26:27], -1
	s_waitcnt lgkmcnt(0)
	v_readfirstlane_b32 s30, v10
	s_and_saveexec_b64 s[24:25], s[18:19]
	s_cbranch_execz .LBB6_373
; %bb.372:                              ;   in Loop: Header=BB6_303 Depth=3
	ds_read_b32 v2, v0 offset:720
	s_waitcnt lgkmcnt(0)
	v_and_b32_e32 v2, 15, v2
	v_cmp_eq_u32_e32 vcc, 0, v2
	s_orn2_b64 s[26:27], vcc, exec
.LBB6_373:                              ;   in Loop: Header=BB6_303 Depth=3
	s_or_b64 exec, exec, s[24:25]
	s_and_saveexec_b64 s[24:25], s[16:17]
	s_cbranch_execz .LBB6_375
; %bb.374:                              ;   in Loop: Header=BB6_303 Depth=3
	ds_read_b32 v2, v0 offset:784
	s_waitcnt lgkmcnt(0)
	v_and_b32_e32 v2, 15, v2
	v_cmp_eq_u32_e32 vcc, 0, v2
	s_and_b64 s[28:29], s[26:27], vcc
	s_andn2_b64 s[26:27], s[26:27], exec
	s_and_b64 s[28:29], s[28:29], exec
	s_or_b64 s[26:27], s[26:27], s[28:29]
.LBB6_375:                              ;   in Loop: Header=BB6_303 Depth=3
	s_or_b64 exec, exec, s[24:25]
	s_xor_b64 s[26:27], s[26:27], -1
	v_cndmask_b32_e64 v2, 0, 1, s[26:27]
	v_cmp_eq_u32_e64 s[24:25], 0, v8
	s_mov_b64 s[28:29], -1
	v_cmp_ne_u32_e32 vcc, 0, v2
	s_cbranch_vccz .LBB6_382
; %bb.376:                              ;   in Loop: Header=BB6_303 Depth=3
	s_and_b32 s9, s30, 1
	s_mov_b64 s[28:29], 0
	s_mov_b64 s[94:95], -1
	s_branch .LBB6_383
.LBB6_377:                              ;   in Loop: Header=BB6_303 Depth=3
	s_mov_b64 s[24:25], 0
	s_and_saveexec_b64 s[26:27], s[4:5]
	s_cbranch_execnz .LBB6_696
.LBB6_378:                              ;   in Loop: Header=BB6_303 Depth=3
	s_or_b64 exec, exec, s[26:27]
                                        ; implicit-def: $vgpr2
	s_and_saveexec_b64 s[26:27], s[20:21]
	s_xor_b64 s[26:27], exec, s[26:27]
	s_cbranch_execz .LBB6_714
.LBB6_379:                              ;   in Loop: Header=BB6_303 Depth=3
	v_and_b32_e32 v8, 16, v62
	v_cmp_ne_u32_e32 vcc, 0, v8
	v_and_b32_e32 v2, 16, v62
	s_and_b64 s[28:29], vcc, s[24:25]
	s_and_saveexec_b64 s[24:25], s[28:29]
	s_cbranch_execz .LBB6_381
; %bb.380:                              ;   in Loop: Header=BB6_303 Depth=3
	v_mov_b32_e32 v2, 1
	buffer_wbl2 sc1
	s_waitcnt vmcnt(0) lgkmcnt(0)
	buffer_inv sc1
.LBB6_381:                              ;   in Loop: Header=BB6_303 Depth=3
	s_or_b64 exec, exec, s[24:25]
	s_andn2_saveexec_b64 s[24:25], s[26:27]
	s_cbranch_execz .LBB6_733
	s_branch .LBB6_715
.LBB6_382:                              ;   in Loop: Header=BB6_303 Depth=3
	s_mov_b64 s[94:95], 0
                                        ; implicit-def: $sgpr9
.LBB6_383:                              ;   in Loop: Header=BB6_303 Depth=3
	v_cndmask_b32_e64 v2, 0, v16, s[24:25]
	v_lshlrev_b32_e32 v17, 1, v2
	s_andn2_b64 vcc, exec, s[28:29]
	v_mov_b32_e32 v14, 0
	s_cbranch_vccnz .LBB6_460
; %bb.384:                              ;   in Loop: Header=BB6_303 Depth=3
	v_ashrrev_i32_e32 v8, 31, v17
	v_lshrrev_b32_e32 v8, 22, v8
	v_add_u32_e32 v8, v17, v8
	v_and_b32_e32 v57, 0xfffffc00, v8
	s_trap 2
	ds_read_b64 v[40:41], v0
	v_ashrrev_i32_e32 v9, 10, v8
	v_sub_u32_e32 v58, v17, v57
	v_sub_u32_e32 v8, v9, v72
	v_cmp_lt_i32_e64 s[24:25], 15, v58
	v_sub_u32_e32 v19, v17, v54
	s_and_b32 s9, s30, 1
	v_addc_co_u32_e64 v59, vcc, 0, v8, s[24:25]
	v_lshl_add_u64 v[42:43], v[118:119], 0, v[54:55]
	v_cmp_lt_i32_e32 vcc, 15, v19
	s_mov_b64 s[26:27], 0
	s_and_saveexec_b64 s[30:31], vcc
	s_cbranch_execz .LBB6_462
; %bb.385:                              ;   in Loop: Header=BB6_303 Depth=3
	s_and_b32 s26, 0xffff, s9
	s_cmp_eq_u32 s26, 0
	v_lshl_add_u64 v[44:45], v[22:23], 0, v[54:55]
	s_waitcnt lgkmcnt(0)
	v_lshl_add_u64 v[46:47], v[40:41], 0, v[54:55]
	s_mov_b64 s[38:39], 0
	s_mov_b64 s[34:35], 0
	s_cselect_b64 s[26:27], -1, 0
                                        ; implicit-def: $sgpr36_sgpr37
	s_branch .LBB6_387
.LBB6_386:                              ;   in Loop: Header=BB6_387 Depth=4
	s_or_b64 exec, exec, s[28:29]
	v_cmp_gt_i32_e32 vcc, 16, v19
	s_or_b64 s[34:35], vcc, s[34:35]
	s_andn2_b64 s[28:29], s[36:37], exec
	s_and_b64 vcc, s[38:39], exec
	s_or_b64 s[36:37], s[28:29], vcc
	s_andn2_b64 exec, exec, s[34:35]
	s_cbranch_execz .LBB6_461
.LBB6_387:                              ;   Parent Loop BB6_47 Depth=1
                                        ;     Parent Loop BB6_300 Depth=2
                                        ;       Parent Loop BB6_303 Depth=3
                                        ; =>      This Loop Header: Depth=4
                                        ;           Child Loop BB6_388 Depth 5
                                        ;           Child Loop BB6_425 Depth 5
	s_add_i32 s28, s33, 0xa0
	s_mov_b32 s50, s28
	s_mov_b64 s[48:49], -1
	s_mov_b64 s[28:29], 0
.LBB6_388:                              ;   Parent Loop BB6_47 Depth=1
                                        ;     Parent Loop BB6_300 Depth=2
                                        ;       Parent Loop BB6_303 Depth=3
                                        ;         Parent Loop BB6_387 Depth=4
                                        ; =>        This Inner Loop Header: Depth=5
	s_cmp_eq_u32 s28, 1
	s_cselect_b64 vcc, -1, 0
	v_cndmask_b32_e32 v13, v45, v47, vcc
	v_cndmask_b32_e32 v12, v44, v46, vcc
	global_load_dwordx4 v[8:11], v[12:13], off nt
	s_cmp_eq_u32 s28, 0
	s_cselect_b64 s[28:29], -1, 0
	s_waitcnt vmcnt(0)
	scratch_store_dwordx4 off, v[8:11], s50
	s_nop 1
	v_lshl_add_u64 v[8:9], v[12:13], 0, s[56:57]
	v_cndmask_b32_e64 v45, v45, v9, s[28:29]
	v_cndmask_b32_e64 v44, v44, v8, s[28:29]
	v_cndmask_b32_e32 v47, v47, v9, vcc
	v_cndmask_b32_e32 v46, v46, v8, vcc
	s_mov_b64 s[28:29], 1
	s_and_b64 vcc, exec, s[48:49]
	s_mov_b64 s[48:49], 0
	s_mov_b32 s50, s71
	s_cbranch_vccnz .LBB6_388
; %bb.389:                              ;   in Loop: Header=BB6_387 Depth=4
	s_and_saveexec_b64 s[28:29], s[38:39]
	s_cbranch_execz .LBB6_423
; %bb.390:                              ;   in Loop: Header=BB6_387 Depth=4
	scratch_load_dwordx4 v[8:11], off, s33 offset:192
	scratch_load_dwordx4 v[12:15], off, s33 offset:208
	s_waitcnt vmcnt(1)
	v_lshlrev_b32_e32 v60, 16, v8
	s_waitcnt vmcnt(0)
	v_lshlrev_b32_e32 v61, 16, v12
	v_max_f32_e32 v61, v61, v61
	v_max_f32_e32 v60, v60, v60
	v_min_f32_e32 v90, v60, v61
	v_max_f32_e32 v60, v60, v61
	v_cndmask_b32_e64 v61, v60, v90, s[26:27]
	v_and_b32_e32 v60, 0x7f800000, v61
	v_cmp_ne_u32_e32 vcc, s40, v60
                                        ; implicit-def: $vgpr60
	s_and_saveexec_b64 s[38:39], vcc
	s_xor_b64 vcc, exec, s[38:39]
; %bb.391:                              ;   in Loop: Header=BB6_387 Depth=4
	v_bfe_u32 v60, v61, 16, 1
	v_add3_u32 v60, v61, v60, s41
                                        ; implicit-def: $vgpr61
; %bb.392:                              ;   in Loop: Header=BB6_387 Depth=4
	s_andn2_saveexec_b64 s[38:39], vcc
; %bb.393:                              ;   in Loop: Header=BB6_387 Depth=4
	v_or_b32_e32 v60, 0x10000, v61
	v_cmp_eq_u32_sdwa vcc, v61, v3 src0_sel:WORD_0 src1_sel:DWORD
	s_nop 1
	v_cndmask_b32_e32 v60, v60, v61, vcc
; %bb.394:                              ;   in Loop: Header=BB6_387 Depth=4
	s_or_b64 exec, exec, s[38:39]
	v_and_b32_e32 v8, 0xffff0000, v8
	v_and_b32_e32 v12, 0xffff0000, v12
	v_max_f32_e32 v12, v12, v12
	v_max_f32_e32 v8, v8, v8
	v_min_f32_e32 v61, v8, v12
	v_max_f32_e32 v8, v8, v12
	v_cndmask_b32_e64 v12, v8, v61, s[26:27]
	v_and_b32_e32 v8, 0x7f800000, v12
	v_cmp_ne_u32_e32 vcc, s40, v8
                                        ; implicit-def: $vgpr8
	s_and_saveexec_b64 s[38:39], vcc
	s_xor_b64 vcc, exec, s[38:39]
; %bb.395:                              ;   in Loop: Header=BB6_387 Depth=4
	v_bfe_u32 v8, v12, 16, 1
	v_add3_u32 v8, v12, v8, s41
                                        ; implicit-def: $vgpr12
; %bb.396:                              ;   in Loop: Header=BB6_387 Depth=4
	s_andn2_saveexec_b64 s[38:39], vcc
; %bb.397:                              ;   in Loop: Header=BB6_387 Depth=4
	v_or_b32_e32 v8, 0x10000, v12
	v_cmp_eq_u32_sdwa vcc, v12, v3 src0_sel:WORD_0 src1_sel:DWORD
	s_nop 1
	v_cndmask_b32_e32 v8, v8, v12, vcc
; %bb.398:                              ;   in Loop: Header=BB6_387 Depth=4
	s_or_b64 exec, exec, s[38:39]
	v_lshlrev_b32_e32 v12, 16, v9
	v_lshlrev_b32_e32 v61, 16, v13
	v_max_f32_e32 v61, v61, v61
	v_max_f32_e32 v12, v12, v12
	v_min_f32_e32 v90, v12, v61
	v_max_f32_e32 v12, v12, v61
	v_cndmask_b32_e64 v61, v12, v90, s[26:27]
	v_and_b32_e32 v12, 0x7f800000, v61
	v_cmp_ne_u32_e32 vcc, s40, v12
                                        ; implicit-def: $vgpr12
	s_and_saveexec_b64 s[38:39], vcc
	s_xor_b64 vcc, exec, s[38:39]
; %bb.399:                              ;   in Loop: Header=BB6_387 Depth=4
	v_bfe_u32 v12, v61, 16, 1
	v_add3_u32 v12, v61, v12, s41
                                        ; implicit-def: $vgpr61
; %bb.400:                              ;   in Loop: Header=BB6_387 Depth=4
	s_andn2_saveexec_b64 s[38:39], vcc
; %bb.401:                              ;   in Loop: Header=BB6_387 Depth=4
	v_or_b32_e32 v12, 0x10000, v61
	v_cmp_eq_u32_sdwa vcc, v61, v3 src0_sel:WORD_0 src1_sel:DWORD
	s_nop 1
	v_cndmask_b32_e32 v12, v12, v61, vcc
; %bb.402:                              ;   in Loop: Header=BB6_387 Depth=4
	s_or_b64 exec, exec, s[38:39]
	v_and_b32_e32 v9, 0xffff0000, v9
	v_and_b32_e32 v13, 0xffff0000, v13
	v_max_f32_e32 v13, v13, v13
	v_max_f32_e32 v9, v9, v9
	v_min_f32_e32 v61, v9, v13
	v_max_f32_e32 v9, v9, v13
	v_cndmask_b32_e64 v13, v9, v61, s[26:27]
	v_and_b32_e32 v9, 0x7f800000, v13
	v_cmp_ne_u32_e32 vcc, s40, v9
                                        ; implicit-def: $vgpr9
	s_and_saveexec_b64 s[38:39], vcc
	s_xor_b64 vcc, exec, s[38:39]
; %bb.403:                              ;   in Loop: Header=BB6_387 Depth=4
	v_bfe_u32 v9, v13, 16, 1
	v_add3_u32 v9, v13, v9, s41
                                        ; implicit-def: $vgpr13
; %bb.404:                              ;   in Loop: Header=BB6_387 Depth=4
	s_andn2_saveexec_b64 s[38:39], vcc
; %bb.405:                              ;   in Loop: Header=BB6_387 Depth=4
	v_or_b32_e32 v9, 0x10000, v13
	v_cmp_eq_u32_sdwa vcc, v13, v3 src0_sel:WORD_0 src1_sel:DWORD
	s_nop 1
	v_cndmask_b32_e32 v9, v9, v13, vcc
; %bb.406:                              ;   in Loop: Header=BB6_387 Depth=4
	s_or_b64 exec, exec, s[38:39]
	v_lshlrev_b32_e32 v13, 16, v10
	v_lshlrev_b32_e32 v61, 16, v14
	v_max_f32_e32 v61, v61, v61
	v_max_f32_e32 v13, v13, v13
	v_min_f32_e32 v90, v13, v61
	v_max_f32_e32 v13, v13, v61
	v_cndmask_b32_e64 v61, v13, v90, s[26:27]
	v_and_b32_e32 v13, 0x7f800000, v61
	v_cmp_ne_u32_e32 vcc, s40, v13
                                        ; implicit-def: $vgpr13
	s_and_saveexec_b64 s[38:39], vcc
	s_xor_b64 vcc, exec, s[38:39]
; %bb.407:                              ;   in Loop: Header=BB6_387 Depth=4
	v_bfe_u32 v13, v61, 16, 1
	v_add3_u32 v13, v61, v13, s41
                                        ; implicit-def: $vgpr61
; %bb.408:                              ;   in Loop: Header=BB6_387 Depth=4
	s_andn2_saveexec_b64 s[38:39], vcc
; %bb.409:                              ;   in Loop: Header=BB6_387 Depth=4
	v_or_b32_e32 v13, 0x10000, v61
	v_cmp_eq_u32_sdwa vcc, v61, v3 src0_sel:WORD_0 src1_sel:DWORD
	s_nop 1
	v_cndmask_b32_e32 v13, v13, v61, vcc
; %bb.410:                              ;   in Loop: Header=BB6_387 Depth=4
	s_or_b64 exec, exec, s[38:39]
	v_and_b32_e32 v10, 0xffff0000, v10
	v_and_b32_e32 v14, 0xffff0000, v14
	v_max_f32_e32 v14, v14, v14
	v_max_f32_e32 v10, v10, v10
	v_min_f32_e32 v61, v10, v14
	v_max_f32_e32 v10, v10, v14
	v_cndmask_b32_e64 v14, v10, v61, s[26:27]
	v_and_b32_e32 v10, 0x7f800000, v14
	v_cmp_ne_u32_e32 vcc, s40, v10
                                        ; implicit-def: $vgpr10
	s_and_saveexec_b64 s[38:39], vcc
	s_xor_b64 vcc, exec, s[38:39]
; %bb.411:                              ;   in Loop: Header=BB6_387 Depth=4
	v_bfe_u32 v10, v14, 16, 1
	v_add3_u32 v10, v14, v10, s41
                                        ; implicit-def: $vgpr14
; %bb.412:                              ;   in Loop: Header=BB6_387 Depth=4
	s_andn2_saveexec_b64 s[38:39], vcc
; %bb.413:                              ;   in Loop: Header=BB6_387 Depth=4
	v_or_b32_e32 v10, 0x10000, v14
	v_cmp_eq_u32_sdwa vcc, v14, v3 src0_sel:WORD_0 src1_sel:DWORD
	s_nop 1
	v_cndmask_b32_e32 v10, v10, v14, vcc
; %bb.414:                              ;   in Loop: Header=BB6_387 Depth=4
	s_or_b64 exec, exec, s[38:39]
	v_lshlrev_b32_e32 v14, 16, v11
	v_lshlrev_b32_e32 v61, 16, v15
	v_max_f32_e32 v61, v61, v61
	v_max_f32_e32 v14, v14, v14
	v_min_f32_e32 v90, v14, v61
	v_max_f32_e32 v14, v14, v61
	v_cndmask_b32_e64 v61, v14, v90, s[26:27]
	v_and_b32_e32 v14, 0x7f800000, v61
	v_cmp_ne_u32_e32 vcc, s40, v14
                                        ; implicit-def: $vgpr14
	s_and_saveexec_b64 s[38:39], vcc
	s_xor_b64 vcc, exec, s[38:39]
; %bb.415:                              ;   in Loop: Header=BB6_387 Depth=4
	v_bfe_u32 v14, v61, 16, 1
	v_add3_u32 v14, v61, v14, s41
                                        ; implicit-def: $vgpr61
; %bb.416:                              ;   in Loop: Header=BB6_387 Depth=4
	s_andn2_saveexec_b64 s[38:39], vcc
; %bb.417:                              ;   in Loop: Header=BB6_387 Depth=4
	v_or_b32_e32 v14, 0x10000, v61
	v_cmp_eq_u32_sdwa vcc, v61, v3 src0_sel:WORD_0 src1_sel:DWORD
	s_nop 1
	v_cndmask_b32_e32 v14, v14, v61, vcc
; %bb.418:                              ;   in Loop: Header=BB6_387 Depth=4
	s_or_b64 exec, exec, s[38:39]
	v_and_b32_e32 v11, 0xffff0000, v11
	v_and_b32_e32 v15, 0xffff0000, v15
	v_max_f32_e32 v15, v15, v15
	v_max_f32_e32 v11, v11, v11
	v_min_f32_e32 v61, v11, v15
	v_max_f32_e32 v11, v11, v15
	v_cndmask_b32_e64 v15, v11, v61, s[26:27]
	v_and_b32_e32 v11, 0x7f800000, v15
	v_cmp_ne_u32_e32 vcc, s40, v11
                                        ; implicit-def: $vgpr11
	s_and_saveexec_b64 s[38:39], vcc
	s_xor_b64 vcc, exec, s[38:39]
; %bb.419:                              ;   in Loop: Header=BB6_387 Depth=4
	v_bfe_u32 v11, v15, 16, 1
	v_add3_u32 v11, v15, v11, s41
                                        ; implicit-def: $vgpr15
; %bb.420:                              ;   in Loop: Header=BB6_387 Depth=4
	s_andn2_saveexec_b64 s[38:39], vcc
; %bb.421:                              ;   in Loop: Header=BB6_387 Depth=4
	v_or_b32_e32 v11, 0x10000, v15
	v_cmp_eq_u32_sdwa vcc, v15, v3 src0_sel:WORD_0 src1_sel:DWORD
	s_nop 1
	v_cndmask_b32_e32 v11, v11, v15, vcc
; %bb.422:                              ;   in Loop: Header=BB6_387 Depth=4
	s_or_b64 exec, exec, s[38:39]
	v_lshrrev_b32_e32 v12, 16, v12
	v_and_or_b32 v9, v9, s72, v12
	v_lshrrev_b32_e32 v12, 16, v60
	v_and_or_b32 v8, v8, s72, v12
	;; [unrolled: 2-line block ×4, first 2 shown]
	scratch_store_dwordx4 off, v[8:11], s33 offset:192
	global_store_dwordx4 v[42:43], v[8:11], off
	v_lshl_add_u64 v[42:43], v[96:97], 0, v[42:43]
.LBB6_423:                              ;   in Loop: Header=BB6_387 Depth=4
	s_or_b64 exec, exec, s[28:29]
	v_sub_u32_e32 v19, v19, v73
	v_lshl_add_u64 v[44:45], v[44:45], 0, v[80:81]
	v_lshl_add_u64 v[46:47], v[46:47], 0, v[80:81]
	v_cmp_lt_i32_e64 s[38:39], 15, v19
	s_and_saveexec_b64 s[48:49], s[38:39]
	s_cbranch_execz .LBB6_426
; %bb.424:                              ;   in Loop: Header=BB6_387 Depth=4
	s_add_i32 s28, s33, 0xc0
	s_mov_b32 s52, s28
	s_mov_b64 s[28:29], 0
	s_mov_b64 s[50:51], -1
.LBB6_425:                              ;   Parent Loop BB6_47 Depth=1
                                        ;     Parent Loop BB6_300 Depth=2
                                        ;       Parent Loop BB6_303 Depth=3
                                        ;         Parent Loop BB6_387 Depth=4
                                        ; =>        This Inner Loop Header: Depth=5
	s_cmp_eq_u32 s28, 1
	s_cselect_b64 vcc, -1, 0
	v_cndmask_b32_e32 v13, v45, v47, vcc
	v_cndmask_b32_e32 v12, v44, v46, vcc
	global_load_dwordx4 v[8:11], v[12:13], off nt
	s_cmp_eq_u32 s28, 0
	s_cselect_b64 s[28:29], -1, 0
	s_waitcnt vmcnt(0)
	scratch_store_dwordx4 off, v[8:11], s52
	s_nop 1
	v_lshl_add_u64 v[8:9], v[12:13], 0, s[56:57]
	v_cndmask_b32_e64 v45, v45, v9, s[28:29]
	v_cndmask_b32_e64 v44, v44, v8, s[28:29]
	v_cndmask_b32_e32 v47, v47, v9, vcc
	v_cndmask_b32_e32 v46, v46, v8, vcc
	s_mov_b64 s[28:29], 1
	s_and_b64 vcc, exec, s[50:51]
	s_mov_b64 s[50:51], 0
	s_mov_b32 s52, s70
	s_cbranch_vccnz .LBB6_425
.LBB6_426:                              ;   in Loop: Header=BB6_387 Depth=4
	s_or_b64 exec, exec, s[48:49]
	scratch_load_dwordx4 v[8:11], off, s33 offset:160
	scratch_load_dwordx4 v[12:15], off, s33 offset:176
	s_waitcnt vmcnt(1)
	v_lshlrev_b32_e32 v60, 16, v8
	s_waitcnt vmcnt(0)
	v_lshlrev_b32_e32 v61, 16, v12
	v_max_f32_e32 v61, v61, v61
	v_max_f32_e32 v60, v60, v60
	v_min_f32_e32 v90, v60, v61
	v_max_f32_e32 v60, v60, v61
	v_cndmask_b32_e64 v61, v60, v90, s[26:27]
	v_and_b32_e32 v60, 0x7f800000, v61
	v_cmp_ne_u32_e32 vcc, s40, v60
                                        ; implicit-def: $vgpr60
	s_and_saveexec_b64 s[28:29], vcc
	s_xor_b64 s[28:29], exec, s[28:29]
; %bb.427:                              ;   in Loop: Header=BB6_387 Depth=4
	v_bfe_u32 v60, v61, 16, 1
	v_add3_u32 v60, v61, v60, s41
                                        ; implicit-def: $vgpr61
; %bb.428:                              ;   in Loop: Header=BB6_387 Depth=4
	s_andn2_saveexec_b64 s[28:29], s[28:29]
; %bb.429:                              ;   in Loop: Header=BB6_387 Depth=4
	v_or_b32_e32 v60, 0x10000, v61
	v_cmp_eq_u32_sdwa vcc, v61, v3 src0_sel:WORD_0 src1_sel:DWORD
	s_nop 1
	v_cndmask_b32_e32 v60, v60, v61, vcc
; %bb.430:                              ;   in Loop: Header=BB6_387 Depth=4
	s_or_b64 exec, exec, s[28:29]
	v_and_b32_e32 v8, 0xffff0000, v8
	v_and_b32_e32 v12, 0xffff0000, v12
	v_max_f32_e32 v12, v12, v12
	v_max_f32_e32 v8, v8, v8
	v_min_f32_e32 v61, v8, v12
	v_max_f32_e32 v8, v8, v12
	v_cndmask_b32_e64 v12, v8, v61, s[26:27]
	v_and_b32_e32 v8, 0x7f800000, v12
	v_cmp_ne_u32_e32 vcc, s40, v8
                                        ; implicit-def: $vgpr8
	s_and_saveexec_b64 s[28:29], vcc
	s_xor_b64 s[28:29], exec, s[28:29]
; %bb.431:                              ;   in Loop: Header=BB6_387 Depth=4
	v_bfe_u32 v8, v12, 16, 1
	v_add3_u32 v8, v12, v8, s41
                                        ; implicit-def: $vgpr12
; %bb.432:                              ;   in Loop: Header=BB6_387 Depth=4
	s_andn2_saveexec_b64 s[28:29], s[28:29]
; %bb.433:                              ;   in Loop: Header=BB6_387 Depth=4
	v_or_b32_e32 v8, 0x10000, v12
	v_cmp_eq_u32_sdwa vcc, v12, v3 src0_sel:WORD_0 src1_sel:DWORD
	s_nop 1
	v_cndmask_b32_e32 v8, v8, v12, vcc
; %bb.434:                              ;   in Loop: Header=BB6_387 Depth=4
	s_or_b64 exec, exec, s[28:29]
	v_lshlrev_b32_e32 v12, 16, v9
	v_lshlrev_b32_e32 v61, 16, v13
	v_max_f32_e32 v61, v61, v61
	v_max_f32_e32 v12, v12, v12
	v_min_f32_e32 v90, v12, v61
	v_max_f32_e32 v12, v12, v61
	v_cndmask_b32_e64 v61, v12, v90, s[26:27]
	v_and_b32_e32 v12, 0x7f800000, v61
	v_cmp_ne_u32_e32 vcc, s40, v12
                                        ; implicit-def: $vgpr12
	s_and_saveexec_b64 s[28:29], vcc
	s_xor_b64 s[28:29], exec, s[28:29]
; %bb.435:                              ;   in Loop: Header=BB6_387 Depth=4
	v_bfe_u32 v12, v61, 16, 1
	v_add3_u32 v12, v61, v12, s41
                                        ; implicit-def: $vgpr61
; %bb.436:                              ;   in Loop: Header=BB6_387 Depth=4
	s_andn2_saveexec_b64 s[28:29], s[28:29]
; %bb.437:                              ;   in Loop: Header=BB6_387 Depth=4
	v_or_b32_e32 v12, 0x10000, v61
	v_cmp_eq_u32_sdwa vcc, v61, v3 src0_sel:WORD_0 src1_sel:DWORD
	s_nop 1
	v_cndmask_b32_e32 v12, v12, v61, vcc
; %bb.438:                              ;   in Loop: Header=BB6_387 Depth=4
	s_or_b64 exec, exec, s[28:29]
	v_and_b32_e32 v9, 0xffff0000, v9
	v_and_b32_e32 v13, 0xffff0000, v13
	v_max_f32_e32 v13, v13, v13
	v_max_f32_e32 v9, v9, v9
	v_min_f32_e32 v61, v9, v13
	v_max_f32_e32 v9, v9, v13
	v_cndmask_b32_e64 v13, v9, v61, s[26:27]
	v_and_b32_e32 v9, 0x7f800000, v13
	v_cmp_ne_u32_e32 vcc, s40, v9
                                        ; implicit-def: $vgpr9
	s_and_saveexec_b64 s[28:29], vcc
	s_xor_b64 s[28:29], exec, s[28:29]
; %bb.439:                              ;   in Loop: Header=BB6_387 Depth=4
	v_bfe_u32 v9, v13, 16, 1
	v_add3_u32 v9, v13, v9, s41
                                        ; implicit-def: $vgpr13
; %bb.440:                              ;   in Loop: Header=BB6_387 Depth=4
	s_andn2_saveexec_b64 s[28:29], s[28:29]
; %bb.441:                              ;   in Loop: Header=BB6_387 Depth=4
	v_or_b32_e32 v9, 0x10000, v13
	v_cmp_eq_u32_sdwa vcc, v13, v3 src0_sel:WORD_0 src1_sel:DWORD
	s_nop 1
	v_cndmask_b32_e32 v9, v9, v13, vcc
; %bb.442:                              ;   in Loop: Header=BB6_387 Depth=4
	s_or_b64 exec, exec, s[28:29]
	v_lshlrev_b32_e32 v13, 16, v10
	v_lshlrev_b32_e32 v61, 16, v14
	v_max_f32_e32 v61, v61, v61
	v_max_f32_e32 v13, v13, v13
	v_min_f32_e32 v90, v13, v61
	v_max_f32_e32 v13, v13, v61
	v_cndmask_b32_e64 v61, v13, v90, s[26:27]
	v_and_b32_e32 v13, 0x7f800000, v61
	v_cmp_ne_u32_e32 vcc, s40, v13
                                        ; implicit-def: $vgpr13
	s_and_saveexec_b64 s[28:29], vcc
	s_xor_b64 s[28:29], exec, s[28:29]
; %bb.443:                              ;   in Loop: Header=BB6_387 Depth=4
	v_bfe_u32 v13, v61, 16, 1
	v_add3_u32 v13, v61, v13, s41
                                        ; implicit-def: $vgpr61
; %bb.444:                              ;   in Loop: Header=BB6_387 Depth=4
	s_andn2_saveexec_b64 s[28:29], s[28:29]
; %bb.445:                              ;   in Loop: Header=BB6_387 Depth=4
	v_or_b32_e32 v13, 0x10000, v61
	v_cmp_eq_u32_sdwa vcc, v61, v3 src0_sel:WORD_0 src1_sel:DWORD
	s_nop 1
	v_cndmask_b32_e32 v13, v13, v61, vcc
; %bb.446:                              ;   in Loop: Header=BB6_387 Depth=4
	s_or_b64 exec, exec, s[28:29]
	v_and_b32_e32 v10, 0xffff0000, v10
	v_and_b32_e32 v14, 0xffff0000, v14
	v_max_f32_e32 v14, v14, v14
	v_max_f32_e32 v10, v10, v10
	v_min_f32_e32 v61, v10, v14
	v_max_f32_e32 v10, v10, v14
	v_cndmask_b32_e64 v14, v10, v61, s[26:27]
	v_and_b32_e32 v10, 0x7f800000, v14
	v_cmp_ne_u32_e32 vcc, s40, v10
                                        ; implicit-def: $vgpr10
	s_and_saveexec_b64 s[28:29], vcc
	s_xor_b64 s[28:29], exec, s[28:29]
; %bb.447:                              ;   in Loop: Header=BB6_387 Depth=4
	v_bfe_u32 v10, v14, 16, 1
	v_add3_u32 v10, v14, v10, s41
                                        ; implicit-def: $vgpr14
; %bb.448:                              ;   in Loop: Header=BB6_387 Depth=4
	s_andn2_saveexec_b64 s[28:29], s[28:29]
; %bb.449:                              ;   in Loop: Header=BB6_387 Depth=4
	v_or_b32_e32 v10, 0x10000, v14
	v_cmp_eq_u32_sdwa vcc, v14, v3 src0_sel:WORD_0 src1_sel:DWORD
	s_nop 1
	v_cndmask_b32_e32 v10, v10, v14, vcc
; %bb.450:                              ;   in Loop: Header=BB6_387 Depth=4
	s_or_b64 exec, exec, s[28:29]
	v_lshlrev_b32_e32 v14, 16, v11
	v_lshlrev_b32_e32 v61, 16, v15
	v_max_f32_e32 v61, v61, v61
	v_max_f32_e32 v14, v14, v14
	v_min_f32_e32 v90, v14, v61
	v_max_f32_e32 v14, v14, v61
	v_cndmask_b32_e64 v61, v14, v90, s[26:27]
	v_and_b32_e32 v14, 0x7f800000, v61
	v_cmp_ne_u32_e32 vcc, s40, v14
                                        ; implicit-def: $vgpr14
	s_and_saveexec_b64 s[28:29], vcc
	s_xor_b64 s[28:29], exec, s[28:29]
; %bb.451:                              ;   in Loop: Header=BB6_387 Depth=4
	v_bfe_u32 v14, v61, 16, 1
	v_add3_u32 v14, v61, v14, s41
                                        ; implicit-def: $vgpr61
; %bb.452:                              ;   in Loop: Header=BB6_387 Depth=4
	s_andn2_saveexec_b64 s[28:29], s[28:29]
; %bb.453:                              ;   in Loop: Header=BB6_387 Depth=4
	v_or_b32_e32 v14, 0x10000, v61
	v_cmp_eq_u32_sdwa vcc, v61, v3 src0_sel:WORD_0 src1_sel:DWORD
	s_nop 1
	v_cndmask_b32_e32 v14, v14, v61, vcc
; %bb.454:                              ;   in Loop: Header=BB6_387 Depth=4
	s_or_b64 exec, exec, s[28:29]
	v_and_b32_e32 v11, 0xffff0000, v11
	v_and_b32_e32 v15, 0xffff0000, v15
	v_max_f32_e32 v15, v15, v15
	v_max_f32_e32 v11, v11, v11
	v_min_f32_e32 v61, v11, v15
	v_max_f32_e32 v11, v11, v15
	v_cndmask_b32_e64 v15, v11, v61, s[26:27]
	v_and_b32_e32 v11, 0x7f800000, v15
	v_cmp_ne_u32_e32 vcc, s40, v11
                                        ; implicit-def: $vgpr11
	s_and_saveexec_b64 s[28:29], vcc
	s_xor_b64 s[28:29], exec, s[28:29]
; %bb.455:                              ;   in Loop: Header=BB6_387 Depth=4
	v_bfe_u32 v11, v15, 16, 1
	v_add3_u32 v11, v15, v11, s41
                                        ; implicit-def: $vgpr15
; %bb.456:                              ;   in Loop: Header=BB6_387 Depth=4
	s_andn2_saveexec_b64 s[28:29], s[28:29]
; %bb.457:                              ;   in Loop: Header=BB6_387 Depth=4
	v_or_b32_e32 v11, 0x10000, v15
	v_cmp_eq_u32_sdwa vcc, v15, v3 src0_sel:WORD_0 src1_sel:DWORD
	s_nop 1
	v_cndmask_b32_e32 v11, v11, v15, vcc
; %bb.458:                              ;   in Loop: Header=BB6_387 Depth=4
	s_or_b64 exec, exec, s[28:29]
	v_lshrrev_b32_e32 v12, 16, v12
	v_and_or_b32 v9, v9, s72, v12
	v_lshrrev_b32_e32 v12, 16, v60
	v_and_or_b32 v8, v8, s72, v12
	v_lshrrev_b32_e32 v12, 16, v13
	v_and_or_b32 v10, v10, s72, v12
	v_lshrrev_b32_e32 v12, 16, v14
	v_and_or_b32 v11, v11, s72, v12
	v_sub_u32_e32 v59, v59, v52
	scratch_store_dwordx4 off, v[8:11], s33 offset:160
	global_store_dwordx4 v[42:43], v[8:11], off
	v_lshl_add_u64 v[42:43], v[42:43], 0, s[56:57]
	s_and_saveexec_b64 s[28:29], s[38:39]
	s_cbranch_execz .LBB6_386
; %bb.459:                              ;   in Loop: Header=BB6_387 Depth=4
	v_lshl_add_u64 v[44:45], v[44:45], 0, v[80:81]
	v_lshl_add_u64 v[46:47], v[46:47], 0, v[80:81]
	;; [unrolled: 1-line block ×3, first 2 shown]
	v_sub_u32_e32 v19, v19, v73
	v_sub_u32_e32 v59, v59, v52
	s_branch .LBB6_386
.LBB6_460:                              ;   in Loop: Header=BB6_303 Depth=3
	v_mov_b32_e32 v8, v0
	v_mov_b32_e32 v15, v63
	s_and_saveexec_b64 s[30:31], s[94:95]
	s_cbranch_execnz .LBB6_612
	s_branch .LBB6_695
.LBB6_461:                              ;   in Loop: Header=BB6_303 Depth=3
	s_or_b64 exec, exec, s[34:35]
	s_and_b64 s[26:27], s[36:37], exec
.LBB6_462:                              ;   in Loop: Header=BB6_303 Depth=3
	s_or_b64 exec, exec, s[30:31]
	s_and_saveexec_b64 s[28:29], s[26:27]
	s_cbranch_execz .LBB6_496
; %bb.463:                              ;   in Loop: Header=BB6_303 Depth=3
	scratch_load_dwordx4 v[8:11], off, s33 offset:192
	scratch_load_dwordx4 v[12:15], off, s33 offset:208
	s_and_b32 s26, 0xffff, s9
	s_cmp_eq_u32 s26, 0
	s_cselect_b64 vcc, -1, 0
	s_waitcnt vmcnt(0)
	v_lshlrev_b32_e32 v19, 16, v8
	v_lshlrev_b32_e32 v44, 16, v12
	v_max_f32_e32 v44, v44, v44
	v_max_f32_e32 v19, v19, v19
	v_min_f32_e32 v45, v19, v44
	v_max_f32_e32 v19, v19, v44
	v_cndmask_b32_e32 v44, v19, v45, vcc
	v_and_b32_e32 v19, 0x7f800000, v44
	v_cmp_ne_u32_e64 s[26:27], s40, v19
                                        ; implicit-def: $vgpr19
	s_and_saveexec_b64 s[30:31], s[26:27]
	s_xor_b64 s[26:27], exec, s[30:31]
; %bb.464:                              ;   in Loop: Header=BB6_303 Depth=3
	v_bfe_u32 v19, v44, 16, 1
	v_add3_u32 v19, v44, v19, s41
                                        ; implicit-def: $vgpr44
; %bb.465:                              ;   in Loop: Header=BB6_303 Depth=3
	s_andn2_saveexec_b64 s[30:31], s[26:27]
; %bb.466:                              ;   in Loop: Header=BB6_303 Depth=3
	v_or_b32_e32 v19, 0x10000, v44
	v_cmp_eq_u32_sdwa s[26:27], v44, v3 src0_sel:WORD_0 src1_sel:DWORD
	s_nop 1
	v_cndmask_b32_e64 v19, v19, v44, s[26:27]
; %bb.467:                              ;   in Loop: Header=BB6_303 Depth=3
	s_or_b64 exec, exec, s[30:31]
	v_and_b32_e32 v8, 0xffff0000, v8
	v_and_b32_e32 v12, 0xffff0000, v12
	v_max_f32_e32 v12, v12, v12
	v_max_f32_e32 v8, v8, v8
	v_min_f32_e32 v44, v8, v12
	v_max_f32_e32 v8, v8, v12
	v_cndmask_b32_e32 v12, v8, v44, vcc
	v_and_b32_e32 v8, 0x7f800000, v12
	v_cmp_ne_u32_e64 s[26:27], s40, v8
                                        ; implicit-def: $vgpr8
	s_and_saveexec_b64 s[30:31], s[26:27]
	s_xor_b64 s[26:27], exec, s[30:31]
; %bb.468:                              ;   in Loop: Header=BB6_303 Depth=3
	v_bfe_u32 v8, v12, 16, 1
	v_add3_u32 v8, v12, v8, s41
                                        ; implicit-def: $vgpr12
; %bb.469:                              ;   in Loop: Header=BB6_303 Depth=3
	s_andn2_saveexec_b64 s[30:31], s[26:27]
; %bb.470:                              ;   in Loop: Header=BB6_303 Depth=3
	v_or_b32_e32 v8, 0x10000, v12
	v_cmp_eq_u32_sdwa s[26:27], v12, v3 src0_sel:WORD_0 src1_sel:DWORD
	s_nop 1
	v_cndmask_b32_e64 v8, v8, v12, s[26:27]
; %bb.471:                              ;   in Loop: Header=BB6_303 Depth=3
	s_or_b64 exec, exec, s[30:31]
	v_lshlrev_b32_e32 v12, 16, v9
	v_lshlrev_b32_e32 v44, 16, v13
	v_max_f32_e32 v44, v44, v44
	v_max_f32_e32 v12, v12, v12
	v_min_f32_e32 v45, v12, v44
	v_max_f32_e32 v12, v12, v44
	v_cndmask_b32_e32 v44, v12, v45, vcc
	v_and_b32_e32 v12, 0x7f800000, v44
	v_cmp_ne_u32_e64 s[26:27], s40, v12
                                        ; implicit-def: $vgpr12
	s_and_saveexec_b64 s[30:31], s[26:27]
	s_xor_b64 s[26:27], exec, s[30:31]
; %bb.472:                              ;   in Loop: Header=BB6_303 Depth=3
	v_bfe_u32 v12, v44, 16, 1
	v_add3_u32 v12, v44, v12, s41
                                        ; implicit-def: $vgpr44
; %bb.473:                              ;   in Loop: Header=BB6_303 Depth=3
	s_andn2_saveexec_b64 s[30:31], s[26:27]
; %bb.474:                              ;   in Loop: Header=BB6_303 Depth=3
	v_or_b32_e32 v12, 0x10000, v44
	v_cmp_eq_u32_sdwa s[26:27], v44, v3 src0_sel:WORD_0 src1_sel:DWORD
	s_nop 1
	v_cndmask_b32_e64 v12, v12, v44, s[26:27]
; %bb.475:                              ;   in Loop: Header=BB6_303 Depth=3
	s_or_b64 exec, exec, s[30:31]
	v_and_b32_e32 v9, 0xffff0000, v9
	v_and_b32_e32 v13, 0xffff0000, v13
	v_max_f32_e32 v13, v13, v13
	v_max_f32_e32 v9, v9, v9
	v_min_f32_e32 v44, v9, v13
	v_max_f32_e32 v9, v9, v13
	v_cndmask_b32_e32 v13, v9, v44, vcc
	v_and_b32_e32 v9, 0x7f800000, v13
	v_cmp_ne_u32_e64 s[26:27], s40, v9
                                        ; implicit-def: $vgpr9
	s_and_saveexec_b64 s[30:31], s[26:27]
	s_xor_b64 s[26:27], exec, s[30:31]
; %bb.476:                              ;   in Loop: Header=BB6_303 Depth=3
	v_bfe_u32 v9, v13, 16, 1
	v_add3_u32 v9, v13, v9, s41
                                        ; implicit-def: $vgpr13
; %bb.477:                              ;   in Loop: Header=BB6_303 Depth=3
	s_andn2_saveexec_b64 s[30:31], s[26:27]
; %bb.478:                              ;   in Loop: Header=BB6_303 Depth=3
	v_or_b32_e32 v9, 0x10000, v13
	v_cmp_eq_u32_sdwa s[26:27], v13, v3 src0_sel:WORD_0 src1_sel:DWORD
	s_nop 1
	v_cndmask_b32_e64 v9, v9, v13, s[26:27]
; %bb.479:                              ;   in Loop: Header=BB6_303 Depth=3
	s_or_b64 exec, exec, s[30:31]
	v_lshlrev_b32_e32 v13, 16, v10
	v_lshlrev_b32_e32 v44, 16, v14
	v_max_f32_e32 v44, v44, v44
	v_max_f32_e32 v13, v13, v13
	v_min_f32_e32 v45, v13, v44
	v_max_f32_e32 v13, v13, v44
	v_cndmask_b32_e32 v44, v13, v45, vcc
	v_and_b32_e32 v13, 0x7f800000, v44
	v_cmp_ne_u32_e64 s[26:27], s40, v13
                                        ; implicit-def: $vgpr13
	s_and_saveexec_b64 s[30:31], s[26:27]
	s_xor_b64 s[26:27], exec, s[30:31]
; %bb.480:                              ;   in Loop: Header=BB6_303 Depth=3
	v_bfe_u32 v13, v44, 16, 1
	v_add3_u32 v13, v44, v13, s41
                                        ; implicit-def: $vgpr44
; %bb.481:                              ;   in Loop: Header=BB6_303 Depth=3
	s_andn2_saveexec_b64 s[30:31], s[26:27]
; %bb.482:                              ;   in Loop: Header=BB6_303 Depth=3
	v_or_b32_e32 v13, 0x10000, v44
	v_cmp_eq_u32_sdwa s[26:27], v44, v3 src0_sel:WORD_0 src1_sel:DWORD
	s_nop 1
	v_cndmask_b32_e64 v13, v13, v44, s[26:27]
; %bb.483:                              ;   in Loop: Header=BB6_303 Depth=3
	s_or_b64 exec, exec, s[30:31]
	v_and_b32_e32 v10, 0xffff0000, v10
	v_and_b32_e32 v14, 0xffff0000, v14
	v_max_f32_e32 v14, v14, v14
	v_max_f32_e32 v10, v10, v10
	v_min_f32_e32 v44, v10, v14
	v_max_f32_e32 v10, v10, v14
	v_cndmask_b32_e32 v14, v10, v44, vcc
	v_and_b32_e32 v10, 0x7f800000, v14
	v_cmp_ne_u32_e64 s[26:27], s40, v10
                                        ; implicit-def: $vgpr10
	s_and_saveexec_b64 s[30:31], s[26:27]
	s_xor_b64 s[26:27], exec, s[30:31]
; %bb.484:                              ;   in Loop: Header=BB6_303 Depth=3
	v_bfe_u32 v10, v14, 16, 1
	v_add3_u32 v10, v14, v10, s41
                                        ; implicit-def: $vgpr14
; %bb.485:                              ;   in Loop: Header=BB6_303 Depth=3
	s_andn2_saveexec_b64 s[30:31], s[26:27]
; %bb.486:                              ;   in Loop: Header=BB6_303 Depth=3
	v_or_b32_e32 v10, 0x10000, v14
	v_cmp_eq_u32_sdwa s[26:27], v14, v3 src0_sel:WORD_0 src1_sel:DWORD
	s_nop 1
	v_cndmask_b32_e64 v10, v10, v14, s[26:27]
; %bb.487:                              ;   in Loop: Header=BB6_303 Depth=3
	s_or_b64 exec, exec, s[30:31]
	v_lshlrev_b32_e32 v14, 16, v11
	v_lshlrev_b32_e32 v44, 16, v15
	v_max_f32_e32 v44, v44, v44
	v_max_f32_e32 v14, v14, v14
	v_min_f32_e32 v45, v14, v44
	v_max_f32_e32 v14, v14, v44
	v_cndmask_b32_e32 v44, v14, v45, vcc
	v_and_b32_e32 v14, 0x7f800000, v44
	v_cmp_ne_u32_e64 s[26:27], s40, v14
                                        ; implicit-def: $vgpr14
	s_and_saveexec_b64 s[30:31], s[26:27]
	s_xor_b64 s[26:27], exec, s[30:31]
; %bb.488:                              ;   in Loop: Header=BB6_303 Depth=3
	v_bfe_u32 v14, v44, 16, 1
	v_add3_u32 v14, v44, v14, s41
                                        ; implicit-def: $vgpr44
; %bb.489:                              ;   in Loop: Header=BB6_303 Depth=3
	s_andn2_saveexec_b64 s[30:31], s[26:27]
; %bb.490:                              ;   in Loop: Header=BB6_303 Depth=3
	v_or_b32_e32 v14, 0x10000, v44
	v_cmp_eq_u32_sdwa s[26:27], v44, v3 src0_sel:WORD_0 src1_sel:DWORD
	s_nop 1
	v_cndmask_b32_e64 v14, v14, v44, s[26:27]
; %bb.491:                              ;   in Loop: Header=BB6_303 Depth=3
	s_or_b64 exec, exec, s[30:31]
	v_and_b32_e32 v11, 0xffff0000, v11
	v_and_b32_e32 v15, 0xffff0000, v15
	v_max_f32_e32 v15, v15, v15
	v_max_f32_e32 v11, v11, v11
	v_min_f32_e32 v44, v11, v15
	v_max_f32_e32 v11, v11, v15
	v_cndmask_b32_e32 v15, v11, v44, vcc
	v_and_b32_e32 v11, 0x7f800000, v15
	v_cmp_ne_u32_e32 vcc, s40, v11
                                        ; implicit-def: $vgpr11
	s_and_saveexec_b64 s[26:27], vcc
	s_xor_b64 s[26:27], exec, s[26:27]
; %bb.492:                              ;   in Loop: Header=BB6_303 Depth=3
	v_bfe_u32 v11, v15, 16, 1
	v_add3_u32 v11, v15, v11, s41
                                        ; implicit-def: $vgpr15
; %bb.493:                              ;   in Loop: Header=BB6_303 Depth=3
	s_andn2_saveexec_b64 s[26:27], s[26:27]
; %bb.494:                              ;   in Loop: Header=BB6_303 Depth=3
	v_or_b32_e32 v11, 0x10000, v15
	v_cmp_eq_u32_sdwa vcc, v15, v3 src0_sel:WORD_0 src1_sel:DWORD
	s_nop 1
	v_cndmask_b32_e32 v11, v11, v15, vcc
; %bb.495:                              ;   in Loop: Header=BB6_303 Depth=3
	s_or_b64 exec, exec, s[26:27]
	v_lshrrev_b32_e32 v12, 16, v12
	v_and_or_b32 v9, v9, s72, v12
	v_lshrrev_b32_e32 v12, 16, v19
	v_and_or_b32 v8, v8, s72, v12
	;; [unrolled: 2-line block ×4, first 2 shown]
	global_store_dwordx4 v[42:43], v[8:11], off
.LBB6_496:                              ;   in Loop: Header=BB6_303 Depth=3
	s_or_b64 exec, exec, s[28:29]
	s_nop 0
	v_and_b32_e32 v9, 14, v17
	v_cndmask_b32_e64 v19, v58, v9, s[24:25]
	v_cmp_ne_u32_e32 vcc, 0, v19
                                        ; implicit-def: $vgpr17
                                        ; implicit-def: $vgpr14
                                        ; implicit-def: $vgpr8
                                        ; implicit-def: $vgpr15
	s_and_saveexec_b64 s[30:31], vcc
	s_cbranch_execz .LBB6_611
; %bb.497:                              ;   in Loop: Header=BB6_303 Depth=3
	v_sub_u32_e32 v8, v58, v9
	v_cndmask_b32_e64 v8, 0, v8, s[24:25]
	v_cmp_lt_i32_e32 vcc, 0, v59
	v_add_u32_e32 v46, v8, v57
	s_mov_b64 s[26:27], 0
	v_cndmask_b32_e32 v8, 0, v52, vcc
	v_sub_u32_e32 v8, v8, v59
	v_lshl_or_b32 v8, v8, 6, v63
	v_ashrrev_i32_e32 v9, 31, v8
	v_lshrrev_b32_e32 v9, 26, v9
	v_add_u32_e32 v9, v8, v9
	v_ashrrev_i32_e32 v10, 6, v9
	v_and_b32_e32 v9, 0xffffffc0, v9
	v_sub_u32_e32 v47, v8, v9
	v_lshlrev_b32_e32 v8, 4, v47
	v_lshl_add_u32 v9, v10, 10, v8
	v_add_u32_e32 v8, v9, v46
	v_sub_u32_e32 v17, v19, v9
	v_ashrrev_i32_e32 v9, 31, v19
	v_lshrrev_b32_e32 v9, 22, v9
	v_add_u32_e32 v9, v19, v9
	v_and_b32_e32 v57, 0xfffffc00, v9
	v_sub_u32_e32 v58, v19, v57
	v_ashrrev_i32_e32 v11, 10, v9
	v_cmp_lt_i32_e64 s[24:25], 15, v58
	v_ashrrev_i32_e32 v9, 31, v8
	v_lshl_add_u64 v[42:43], v[8:9], 0, v[118:119]
	v_addc_co_u32_e64 v11, vcc, 0, v11, s[24:25]
	v_sub_u32_e32 v59, v11, v10
	v_cmp_lt_i32_e32 vcc, 15, v17
	s_and_saveexec_b64 s[34:35], vcc
	s_cbranch_execz .LBB6_574
; %bb.498:                              ;   in Loop: Header=BB6_303 Depth=3
	s_and_b32 s26, 0xffff, s9
	s_cmp_eq_u32 s26, 0
	v_lshl_add_u64 v[44:45], v[8:9], 0, v[22:23]
	s_waitcnt lgkmcnt(0)
	v_lshl_add_u64 v[40:41], v[8:9], 0, v[40:41]
	s_mov_b64 s[48:49], 0
	s_mov_b64 s[36:37], 0
	s_cselect_b64 s[26:27], -1, 0
                                        ; implicit-def: $sgpr38_sgpr39
	s_branch .LBB6_500
.LBB6_499:                              ;   in Loop: Header=BB6_500 Depth=4
	s_or_b64 exec, exec, s[28:29]
	v_cmp_gt_i32_e32 vcc, 16, v17
	s_or_b64 s[36:37], vcc, s[36:37]
	s_andn2_b64 s[28:29], s[38:39], exec
	s_and_b64 vcc, s[48:49], exec
	s_or_b64 s[38:39], s[28:29], vcc
	s_andn2_b64 exec, exec, s[36:37]
	s_cbranch_execz .LBB6_573
.LBB6_500:                              ;   Parent Loop BB6_47 Depth=1
                                        ;     Parent Loop BB6_300 Depth=2
                                        ;       Parent Loop BB6_303 Depth=3
                                        ; =>      This Loop Header: Depth=4
                                        ;           Child Loop BB6_501 Depth 5
                                        ;           Child Loop BB6_538 Depth 5
	s_add_i32 s28, s33, 0xa0
	s_mov_b32 s52, s28
	s_mov_b64 s[50:51], -1
	s_mov_b64 s[28:29], 0
.LBB6_501:                              ;   Parent Loop BB6_47 Depth=1
                                        ;     Parent Loop BB6_300 Depth=2
                                        ;       Parent Loop BB6_303 Depth=3
                                        ;         Parent Loop BB6_500 Depth=4
                                        ; =>        This Inner Loop Header: Depth=5
	s_cmp_eq_u32 s28, 1
	s_cselect_b64 vcc, -1, 0
	v_cndmask_b32_e32 v13, v45, v41, vcc
	v_cndmask_b32_e32 v12, v44, v40, vcc
	global_load_dwordx4 v[8:11], v[12:13], off nt
	s_cmp_eq_u32 s28, 0
	s_cselect_b64 s[28:29], -1, 0
	s_waitcnt vmcnt(0)
	scratch_store_dwordx4 off, v[8:11], s52
	s_nop 1
	v_lshl_add_u64 v[8:9], v[12:13], 0, s[56:57]
	v_cndmask_b32_e64 v45, v45, v9, s[28:29]
	v_cndmask_b32_e64 v44, v44, v8, s[28:29]
	v_cndmask_b32_e32 v41, v41, v9, vcc
	v_cndmask_b32_e32 v40, v40, v8, vcc
	s_mov_b64 s[28:29], 1
	s_and_b64 vcc, exec, s[50:51]
	s_mov_b64 s[50:51], 0
	s_mov_b32 s52, s81
	s_cbranch_vccnz .LBB6_501
; %bb.502:                              ;   in Loop: Header=BB6_500 Depth=4
	s_and_saveexec_b64 s[28:29], s[48:49]
	s_cbranch_execz .LBB6_536
; %bb.503:                              ;   in Loop: Header=BB6_500 Depth=4
	scratch_load_dwordx4 v[8:11], off, s33 offset:192
	scratch_load_dwordx4 v[12:15], off, s33 offset:208
	s_waitcnt vmcnt(1)
	v_lshlrev_b32_e32 v60, 16, v8
	s_waitcnt vmcnt(0)
	v_lshlrev_b32_e32 v61, 16, v12
	v_max_f32_e32 v61, v61, v61
	v_max_f32_e32 v60, v60, v60
	v_min_f32_e32 v90, v60, v61
	v_max_f32_e32 v60, v60, v61
	v_cndmask_b32_e64 v61, v60, v90, s[26:27]
	v_and_b32_e32 v60, 0x7f800000, v61
	v_cmp_ne_u32_e32 vcc, s40, v60
                                        ; implicit-def: $vgpr60
	s_and_saveexec_b64 s[48:49], vcc
	s_xor_b64 vcc, exec, s[48:49]
; %bb.504:                              ;   in Loop: Header=BB6_500 Depth=4
	v_bfe_u32 v60, v61, 16, 1
	v_add3_u32 v60, v61, v60, s41
                                        ; implicit-def: $vgpr61
; %bb.505:                              ;   in Loop: Header=BB6_500 Depth=4
	s_andn2_saveexec_b64 s[48:49], vcc
; %bb.506:                              ;   in Loop: Header=BB6_500 Depth=4
	v_or_b32_e32 v60, 0x10000, v61
	v_cmp_eq_u32_sdwa vcc, v61, v3 src0_sel:WORD_0 src1_sel:DWORD
	s_nop 1
	v_cndmask_b32_e32 v60, v60, v61, vcc
; %bb.507:                              ;   in Loop: Header=BB6_500 Depth=4
	s_or_b64 exec, exec, s[48:49]
	v_and_b32_e32 v8, 0xffff0000, v8
	v_and_b32_e32 v12, 0xffff0000, v12
	v_max_f32_e32 v12, v12, v12
	v_max_f32_e32 v8, v8, v8
	v_min_f32_e32 v61, v8, v12
	v_max_f32_e32 v8, v8, v12
	v_cndmask_b32_e64 v12, v8, v61, s[26:27]
	v_and_b32_e32 v8, 0x7f800000, v12
	v_cmp_ne_u32_e32 vcc, s40, v8
                                        ; implicit-def: $vgpr8
	s_and_saveexec_b64 s[48:49], vcc
	s_xor_b64 vcc, exec, s[48:49]
; %bb.508:                              ;   in Loop: Header=BB6_500 Depth=4
	v_bfe_u32 v8, v12, 16, 1
	v_add3_u32 v8, v12, v8, s41
                                        ; implicit-def: $vgpr12
; %bb.509:                              ;   in Loop: Header=BB6_500 Depth=4
	s_andn2_saveexec_b64 s[48:49], vcc
; %bb.510:                              ;   in Loop: Header=BB6_500 Depth=4
	v_or_b32_e32 v8, 0x10000, v12
	v_cmp_eq_u32_sdwa vcc, v12, v3 src0_sel:WORD_0 src1_sel:DWORD
	s_nop 1
	v_cndmask_b32_e32 v8, v8, v12, vcc
; %bb.511:                              ;   in Loop: Header=BB6_500 Depth=4
	s_or_b64 exec, exec, s[48:49]
	v_lshlrev_b32_e32 v12, 16, v9
	v_lshlrev_b32_e32 v61, 16, v13
	v_max_f32_e32 v61, v61, v61
	v_max_f32_e32 v12, v12, v12
	v_min_f32_e32 v90, v12, v61
	v_max_f32_e32 v12, v12, v61
	v_cndmask_b32_e64 v61, v12, v90, s[26:27]
	v_and_b32_e32 v12, 0x7f800000, v61
	v_cmp_ne_u32_e32 vcc, s40, v12
                                        ; implicit-def: $vgpr12
	s_and_saveexec_b64 s[48:49], vcc
	s_xor_b64 vcc, exec, s[48:49]
; %bb.512:                              ;   in Loop: Header=BB6_500 Depth=4
	v_bfe_u32 v12, v61, 16, 1
	v_add3_u32 v12, v61, v12, s41
                                        ; implicit-def: $vgpr61
; %bb.513:                              ;   in Loop: Header=BB6_500 Depth=4
	s_andn2_saveexec_b64 s[48:49], vcc
; %bb.514:                              ;   in Loop: Header=BB6_500 Depth=4
	v_or_b32_e32 v12, 0x10000, v61
	v_cmp_eq_u32_sdwa vcc, v61, v3 src0_sel:WORD_0 src1_sel:DWORD
	s_nop 1
	v_cndmask_b32_e32 v12, v12, v61, vcc
; %bb.515:                              ;   in Loop: Header=BB6_500 Depth=4
	s_or_b64 exec, exec, s[48:49]
	v_and_b32_e32 v9, 0xffff0000, v9
	v_and_b32_e32 v13, 0xffff0000, v13
	v_max_f32_e32 v13, v13, v13
	v_max_f32_e32 v9, v9, v9
	v_min_f32_e32 v61, v9, v13
	v_max_f32_e32 v9, v9, v13
	v_cndmask_b32_e64 v13, v9, v61, s[26:27]
	v_and_b32_e32 v9, 0x7f800000, v13
	v_cmp_ne_u32_e32 vcc, s40, v9
                                        ; implicit-def: $vgpr9
	s_and_saveexec_b64 s[48:49], vcc
	s_xor_b64 vcc, exec, s[48:49]
; %bb.516:                              ;   in Loop: Header=BB6_500 Depth=4
	v_bfe_u32 v9, v13, 16, 1
	v_add3_u32 v9, v13, v9, s41
                                        ; implicit-def: $vgpr13
; %bb.517:                              ;   in Loop: Header=BB6_500 Depth=4
	s_andn2_saveexec_b64 s[48:49], vcc
; %bb.518:                              ;   in Loop: Header=BB6_500 Depth=4
	v_or_b32_e32 v9, 0x10000, v13
	v_cmp_eq_u32_sdwa vcc, v13, v3 src0_sel:WORD_0 src1_sel:DWORD
	s_nop 1
	v_cndmask_b32_e32 v9, v9, v13, vcc
; %bb.519:                              ;   in Loop: Header=BB6_500 Depth=4
	s_or_b64 exec, exec, s[48:49]
	v_lshlrev_b32_e32 v13, 16, v10
	v_lshlrev_b32_e32 v61, 16, v14
	v_max_f32_e32 v61, v61, v61
	v_max_f32_e32 v13, v13, v13
	v_min_f32_e32 v90, v13, v61
	v_max_f32_e32 v13, v13, v61
	v_cndmask_b32_e64 v61, v13, v90, s[26:27]
	v_and_b32_e32 v13, 0x7f800000, v61
	v_cmp_ne_u32_e32 vcc, s40, v13
                                        ; implicit-def: $vgpr13
	s_and_saveexec_b64 s[48:49], vcc
	s_xor_b64 vcc, exec, s[48:49]
; %bb.520:                              ;   in Loop: Header=BB6_500 Depth=4
	v_bfe_u32 v13, v61, 16, 1
	v_add3_u32 v13, v61, v13, s41
                                        ; implicit-def: $vgpr61
; %bb.521:                              ;   in Loop: Header=BB6_500 Depth=4
	s_andn2_saveexec_b64 s[48:49], vcc
; %bb.522:                              ;   in Loop: Header=BB6_500 Depth=4
	v_or_b32_e32 v13, 0x10000, v61
	v_cmp_eq_u32_sdwa vcc, v61, v3 src0_sel:WORD_0 src1_sel:DWORD
	s_nop 1
	v_cndmask_b32_e32 v13, v13, v61, vcc
; %bb.523:                              ;   in Loop: Header=BB6_500 Depth=4
	s_or_b64 exec, exec, s[48:49]
	v_and_b32_e32 v10, 0xffff0000, v10
	v_and_b32_e32 v14, 0xffff0000, v14
	v_max_f32_e32 v14, v14, v14
	v_max_f32_e32 v10, v10, v10
	v_min_f32_e32 v61, v10, v14
	v_max_f32_e32 v10, v10, v14
	v_cndmask_b32_e64 v14, v10, v61, s[26:27]
	v_and_b32_e32 v10, 0x7f800000, v14
	v_cmp_ne_u32_e32 vcc, s40, v10
                                        ; implicit-def: $vgpr10
	s_and_saveexec_b64 s[48:49], vcc
	s_xor_b64 vcc, exec, s[48:49]
; %bb.524:                              ;   in Loop: Header=BB6_500 Depth=4
	v_bfe_u32 v10, v14, 16, 1
	v_add3_u32 v10, v14, v10, s41
                                        ; implicit-def: $vgpr14
; %bb.525:                              ;   in Loop: Header=BB6_500 Depth=4
	s_andn2_saveexec_b64 s[48:49], vcc
; %bb.526:                              ;   in Loop: Header=BB6_500 Depth=4
	v_or_b32_e32 v10, 0x10000, v14
	v_cmp_eq_u32_sdwa vcc, v14, v3 src0_sel:WORD_0 src1_sel:DWORD
	s_nop 1
	v_cndmask_b32_e32 v10, v10, v14, vcc
; %bb.527:                              ;   in Loop: Header=BB6_500 Depth=4
	s_or_b64 exec, exec, s[48:49]
	v_lshlrev_b32_e32 v14, 16, v11
	v_lshlrev_b32_e32 v61, 16, v15
	v_max_f32_e32 v61, v61, v61
	v_max_f32_e32 v14, v14, v14
	v_min_f32_e32 v90, v14, v61
	v_max_f32_e32 v14, v14, v61
	v_cndmask_b32_e64 v61, v14, v90, s[26:27]
	v_and_b32_e32 v14, 0x7f800000, v61
	v_cmp_ne_u32_e32 vcc, s40, v14
                                        ; implicit-def: $vgpr14
	s_and_saveexec_b64 s[48:49], vcc
	s_xor_b64 vcc, exec, s[48:49]
; %bb.528:                              ;   in Loop: Header=BB6_500 Depth=4
	v_bfe_u32 v14, v61, 16, 1
	v_add3_u32 v14, v61, v14, s41
                                        ; implicit-def: $vgpr61
; %bb.529:                              ;   in Loop: Header=BB6_500 Depth=4
	s_andn2_saveexec_b64 s[48:49], vcc
; %bb.530:                              ;   in Loop: Header=BB6_500 Depth=4
	v_or_b32_e32 v14, 0x10000, v61
	v_cmp_eq_u32_sdwa vcc, v61, v3 src0_sel:WORD_0 src1_sel:DWORD
	s_nop 1
	v_cndmask_b32_e32 v14, v14, v61, vcc
; %bb.531:                              ;   in Loop: Header=BB6_500 Depth=4
	s_or_b64 exec, exec, s[48:49]
	v_and_b32_e32 v11, 0xffff0000, v11
	v_and_b32_e32 v15, 0xffff0000, v15
	v_max_f32_e32 v15, v15, v15
	v_max_f32_e32 v11, v11, v11
	v_min_f32_e32 v61, v11, v15
	v_max_f32_e32 v11, v11, v15
	v_cndmask_b32_e64 v15, v11, v61, s[26:27]
	v_and_b32_e32 v11, 0x7f800000, v15
	v_cmp_ne_u32_e32 vcc, s40, v11
                                        ; implicit-def: $vgpr11
	s_and_saveexec_b64 s[48:49], vcc
	s_xor_b64 vcc, exec, s[48:49]
; %bb.532:                              ;   in Loop: Header=BB6_500 Depth=4
	v_bfe_u32 v11, v15, 16, 1
	v_add3_u32 v11, v15, v11, s41
                                        ; implicit-def: $vgpr15
; %bb.533:                              ;   in Loop: Header=BB6_500 Depth=4
	s_andn2_saveexec_b64 s[48:49], vcc
; %bb.534:                              ;   in Loop: Header=BB6_500 Depth=4
	v_or_b32_e32 v11, 0x10000, v15
	v_cmp_eq_u32_sdwa vcc, v15, v3 src0_sel:WORD_0 src1_sel:DWORD
	s_nop 1
	v_cndmask_b32_e32 v11, v11, v15, vcc
; %bb.535:                              ;   in Loop: Header=BB6_500 Depth=4
	s_or_b64 exec, exec, s[48:49]
	v_lshrrev_b32_e32 v12, 16, v12
	v_and_or_b32 v9, v9, s72, v12
	v_lshrrev_b32_e32 v12, 16, v60
	v_and_or_b32 v8, v8, s72, v12
	;; [unrolled: 2-line block ×4, first 2 shown]
	scratch_store_dwordx4 off, v[8:11], s33 offset:192
	global_store_dwordx4 v[42:43], v[8:11], off
	v_lshl_add_u64 v[42:43], v[96:97], 0, v[42:43]
.LBB6_536:                              ;   in Loop: Header=BB6_500 Depth=4
	s_or_b64 exec, exec, s[28:29]
	v_sub_u32_e32 v17, v17, v73
	v_lshl_add_u64 v[44:45], v[44:45], 0, v[80:81]
	v_lshl_add_u64 v[40:41], v[40:41], 0, v[80:81]
	v_cmp_lt_i32_e64 s[48:49], 15, v17
	s_and_saveexec_b64 s[50:51], s[48:49]
	s_cbranch_execz .LBB6_539
; %bb.537:                              ;   in Loop: Header=BB6_500 Depth=4
	s_add_i32 s28, s33, 0xc0
	s_mov_b32 s54, s28
	s_mov_b64 s[28:29], 0
	s_mov_b64 s[52:53], -1
.LBB6_538:                              ;   Parent Loop BB6_47 Depth=1
                                        ;     Parent Loop BB6_300 Depth=2
                                        ;       Parent Loop BB6_303 Depth=3
                                        ;         Parent Loop BB6_500 Depth=4
                                        ; =>        This Inner Loop Header: Depth=5
	s_cmp_eq_u32 s28, 1
	s_cselect_b64 vcc, -1, 0
	v_cndmask_b32_e32 v13, v45, v41, vcc
	v_cndmask_b32_e32 v12, v44, v40, vcc
	global_load_dwordx4 v[8:11], v[12:13], off nt
	s_cmp_eq_u32 s28, 0
	s_cselect_b64 s[28:29], -1, 0
	s_waitcnt vmcnt(0)
	scratch_store_dwordx4 off, v[8:11], s54
	s_nop 1
	v_lshl_add_u64 v[8:9], v[12:13], 0, s[56:57]
	v_cndmask_b32_e64 v45, v45, v9, s[28:29]
	v_cndmask_b32_e64 v44, v44, v8, s[28:29]
	v_cndmask_b32_e32 v41, v41, v9, vcc
	v_cndmask_b32_e32 v40, v40, v8, vcc
	s_mov_b64 s[28:29], 1
	s_and_b64 vcc, exec, s[52:53]
	s_mov_b64 s[52:53], 0
	s_mov_b32 s54, s80
	s_cbranch_vccnz .LBB6_538
.LBB6_539:                              ;   in Loop: Header=BB6_500 Depth=4
	s_or_b64 exec, exec, s[50:51]
	scratch_load_dwordx4 v[8:11], off, s33 offset:160
	scratch_load_dwordx4 v[12:15], off, s33 offset:176
	s_waitcnt vmcnt(1)
	v_lshlrev_b32_e32 v60, 16, v8
	s_waitcnt vmcnt(0)
	v_lshlrev_b32_e32 v61, 16, v12
	v_max_f32_e32 v61, v61, v61
	v_max_f32_e32 v60, v60, v60
	v_min_f32_e32 v90, v60, v61
	v_max_f32_e32 v60, v60, v61
	v_cndmask_b32_e64 v61, v60, v90, s[26:27]
	v_and_b32_e32 v60, 0x7f800000, v61
	v_cmp_ne_u32_e32 vcc, s40, v60
                                        ; implicit-def: $vgpr60
	s_and_saveexec_b64 s[28:29], vcc
	s_xor_b64 s[28:29], exec, s[28:29]
; %bb.540:                              ;   in Loop: Header=BB6_500 Depth=4
	v_bfe_u32 v60, v61, 16, 1
	v_add3_u32 v60, v61, v60, s41
                                        ; implicit-def: $vgpr61
; %bb.541:                              ;   in Loop: Header=BB6_500 Depth=4
	s_andn2_saveexec_b64 s[28:29], s[28:29]
; %bb.542:                              ;   in Loop: Header=BB6_500 Depth=4
	v_or_b32_e32 v60, 0x10000, v61
	v_cmp_eq_u32_sdwa vcc, v61, v3 src0_sel:WORD_0 src1_sel:DWORD
	s_nop 1
	v_cndmask_b32_e32 v60, v60, v61, vcc
; %bb.543:                              ;   in Loop: Header=BB6_500 Depth=4
	s_or_b64 exec, exec, s[28:29]
	v_and_b32_e32 v8, 0xffff0000, v8
	v_and_b32_e32 v12, 0xffff0000, v12
	v_max_f32_e32 v12, v12, v12
	v_max_f32_e32 v8, v8, v8
	v_min_f32_e32 v61, v8, v12
	v_max_f32_e32 v8, v8, v12
	v_cndmask_b32_e64 v12, v8, v61, s[26:27]
	v_and_b32_e32 v8, 0x7f800000, v12
	v_cmp_ne_u32_e32 vcc, s40, v8
                                        ; implicit-def: $vgpr8
	s_and_saveexec_b64 s[28:29], vcc
	s_xor_b64 s[28:29], exec, s[28:29]
; %bb.544:                              ;   in Loop: Header=BB6_500 Depth=4
	v_bfe_u32 v8, v12, 16, 1
	v_add3_u32 v8, v12, v8, s41
                                        ; implicit-def: $vgpr12
; %bb.545:                              ;   in Loop: Header=BB6_500 Depth=4
	s_andn2_saveexec_b64 s[28:29], s[28:29]
; %bb.546:                              ;   in Loop: Header=BB6_500 Depth=4
	v_or_b32_e32 v8, 0x10000, v12
	v_cmp_eq_u32_sdwa vcc, v12, v3 src0_sel:WORD_0 src1_sel:DWORD
	s_nop 1
	v_cndmask_b32_e32 v8, v8, v12, vcc
; %bb.547:                              ;   in Loop: Header=BB6_500 Depth=4
	s_or_b64 exec, exec, s[28:29]
	v_lshlrev_b32_e32 v12, 16, v9
	v_lshlrev_b32_e32 v61, 16, v13
	v_max_f32_e32 v61, v61, v61
	v_max_f32_e32 v12, v12, v12
	v_min_f32_e32 v90, v12, v61
	v_max_f32_e32 v12, v12, v61
	v_cndmask_b32_e64 v61, v12, v90, s[26:27]
	v_and_b32_e32 v12, 0x7f800000, v61
	v_cmp_ne_u32_e32 vcc, s40, v12
                                        ; implicit-def: $vgpr12
	s_and_saveexec_b64 s[28:29], vcc
	s_xor_b64 s[28:29], exec, s[28:29]
; %bb.548:                              ;   in Loop: Header=BB6_500 Depth=4
	v_bfe_u32 v12, v61, 16, 1
	v_add3_u32 v12, v61, v12, s41
                                        ; implicit-def: $vgpr61
; %bb.549:                              ;   in Loop: Header=BB6_500 Depth=4
	s_andn2_saveexec_b64 s[28:29], s[28:29]
; %bb.550:                              ;   in Loop: Header=BB6_500 Depth=4
	v_or_b32_e32 v12, 0x10000, v61
	v_cmp_eq_u32_sdwa vcc, v61, v3 src0_sel:WORD_0 src1_sel:DWORD
	s_nop 1
	v_cndmask_b32_e32 v12, v12, v61, vcc
; %bb.551:                              ;   in Loop: Header=BB6_500 Depth=4
	s_or_b64 exec, exec, s[28:29]
	v_and_b32_e32 v9, 0xffff0000, v9
	v_and_b32_e32 v13, 0xffff0000, v13
	v_max_f32_e32 v13, v13, v13
	v_max_f32_e32 v9, v9, v9
	v_min_f32_e32 v61, v9, v13
	v_max_f32_e32 v9, v9, v13
	v_cndmask_b32_e64 v13, v9, v61, s[26:27]
	v_and_b32_e32 v9, 0x7f800000, v13
	v_cmp_ne_u32_e32 vcc, s40, v9
                                        ; implicit-def: $vgpr9
	s_and_saveexec_b64 s[28:29], vcc
	s_xor_b64 s[28:29], exec, s[28:29]
; %bb.552:                              ;   in Loop: Header=BB6_500 Depth=4
	v_bfe_u32 v9, v13, 16, 1
	v_add3_u32 v9, v13, v9, s41
                                        ; implicit-def: $vgpr13
; %bb.553:                              ;   in Loop: Header=BB6_500 Depth=4
	s_andn2_saveexec_b64 s[28:29], s[28:29]
; %bb.554:                              ;   in Loop: Header=BB6_500 Depth=4
	v_or_b32_e32 v9, 0x10000, v13
	v_cmp_eq_u32_sdwa vcc, v13, v3 src0_sel:WORD_0 src1_sel:DWORD
	s_nop 1
	v_cndmask_b32_e32 v9, v9, v13, vcc
; %bb.555:                              ;   in Loop: Header=BB6_500 Depth=4
	s_or_b64 exec, exec, s[28:29]
	v_lshlrev_b32_e32 v13, 16, v10
	v_lshlrev_b32_e32 v61, 16, v14
	v_max_f32_e32 v61, v61, v61
	v_max_f32_e32 v13, v13, v13
	v_min_f32_e32 v90, v13, v61
	v_max_f32_e32 v13, v13, v61
	v_cndmask_b32_e64 v61, v13, v90, s[26:27]
	v_and_b32_e32 v13, 0x7f800000, v61
	v_cmp_ne_u32_e32 vcc, s40, v13
                                        ; implicit-def: $vgpr13
	s_and_saveexec_b64 s[28:29], vcc
	s_xor_b64 s[28:29], exec, s[28:29]
; %bb.556:                              ;   in Loop: Header=BB6_500 Depth=4
	v_bfe_u32 v13, v61, 16, 1
	v_add3_u32 v13, v61, v13, s41
                                        ; implicit-def: $vgpr61
; %bb.557:                              ;   in Loop: Header=BB6_500 Depth=4
	s_andn2_saveexec_b64 s[28:29], s[28:29]
; %bb.558:                              ;   in Loop: Header=BB6_500 Depth=4
	v_or_b32_e32 v13, 0x10000, v61
	v_cmp_eq_u32_sdwa vcc, v61, v3 src0_sel:WORD_0 src1_sel:DWORD
	s_nop 1
	v_cndmask_b32_e32 v13, v13, v61, vcc
; %bb.559:                              ;   in Loop: Header=BB6_500 Depth=4
	s_or_b64 exec, exec, s[28:29]
	v_and_b32_e32 v10, 0xffff0000, v10
	v_and_b32_e32 v14, 0xffff0000, v14
	v_max_f32_e32 v14, v14, v14
	v_max_f32_e32 v10, v10, v10
	v_min_f32_e32 v61, v10, v14
	v_max_f32_e32 v10, v10, v14
	v_cndmask_b32_e64 v14, v10, v61, s[26:27]
	v_and_b32_e32 v10, 0x7f800000, v14
	v_cmp_ne_u32_e32 vcc, s40, v10
                                        ; implicit-def: $vgpr10
	s_and_saveexec_b64 s[28:29], vcc
	s_xor_b64 s[28:29], exec, s[28:29]
; %bb.560:                              ;   in Loop: Header=BB6_500 Depth=4
	v_bfe_u32 v10, v14, 16, 1
	v_add3_u32 v10, v14, v10, s41
                                        ; implicit-def: $vgpr14
; %bb.561:                              ;   in Loop: Header=BB6_500 Depth=4
	s_andn2_saveexec_b64 s[28:29], s[28:29]
; %bb.562:                              ;   in Loop: Header=BB6_500 Depth=4
	v_or_b32_e32 v10, 0x10000, v14
	v_cmp_eq_u32_sdwa vcc, v14, v3 src0_sel:WORD_0 src1_sel:DWORD
	s_nop 1
	v_cndmask_b32_e32 v10, v10, v14, vcc
; %bb.563:                              ;   in Loop: Header=BB6_500 Depth=4
	s_or_b64 exec, exec, s[28:29]
	v_lshlrev_b32_e32 v14, 16, v11
	v_lshlrev_b32_e32 v61, 16, v15
	v_max_f32_e32 v61, v61, v61
	v_max_f32_e32 v14, v14, v14
	v_min_f32_e32 v90, v14, v61
	v_max_f32_e32 v14, v14, v61
	v_cndmask_b32_e64 v61, v14, v90, s[26:27]
	v_and_b32_e32 v14, 0x7f800000, v61
	v_cmp_ne_u32_e32 vcc, s40, v14
                                        ; implicit-def: $vgpr14
	s_and_saveexec_b64 s[28:29], vcc
	s_xor_b64 s[28:29], exec, s[28:29]
; %bb.564:                              ;   in Loop: Header=BB6_500 Depth=4
	v_bfe_u32 v14, v61, 16, 1
	v_add3_u32 v14, v61, v14, s41
                                        ; implicit-def: $vgpr61
; %bb.565:                              ;   in Loop: Header=BB6_500 Depth=4
	s_andn2_saveexec_b64 s[28:29], s[28:29]
; %bb.566:                              ;   in Loop: Header=BB6_500 Depth=4
	v_or_b32_e32 v14, 0x10000, v61
	v_cmp_eq_u32_sdwa vcc, v61, v3 src0_sel:WORD_0 src1_sel:DWORD
	s_nop 1
	v_cndmask_b32_e32 v14, v14, v61, vcc
; %bb.567:                              ;   in Loop: Header=BB6_500 Depth=4
	s_or_b64 exec, exec, s[28:29]
	v_and_b32_e32 v11, 0xffff0000, v11
	v_and_b32_e32 v15, 0xffff0000, v15
	v_max_f32_e32 v15, v15, v15
	v_max_f32_e32 v11, v11, v11
	v_min_f32_e32 v61, v11, v15
	v_max_f32_e32 v11, v11, v15
	v_cndmask_b32_e64 v15, v11, v61, s[26:27]
	v_and_b32_e32 v11, 0x7f800000, v15
	v_cmp_ne_u32_e32 vcc, s40, v11
                                        ; implicit-def: $vgpr11
	s_and_saveexec_b64 s[28:29], vcc
	s_xor_b64 s[28:29], exec, s[28:29]
; %bb.568:                              ;   in Loop: Header=BB6_500 Depth=4
	v_bfe_u32 v11, v15, 16, 1
	v_add3_u32 v11, v15, v11, s41
                                        ; implicit-def: $vgpr15
; %bb.569:                              ;   in Loop: Header=BB6_500 Depth=4
	s_andn2_saveexec_b64 s[28:29], s[28:29]
; %bb.570:                              ;   in Loop: Header=BB6_500 Depth=4
	v_or_b32_e32 v11, 0x10000, v15
	v_cmp_eq_u32_sdwa vcc, v15, v3 src0_sel:WORD_0 src1_sel:DWORD
	s_nop 1
	v_cndmask_b32_e32 v11, v11, v15, vcc
; %bb.571:                              ;   in Loop: Header=BB6_500 Depth=4
	s_or_b64 exec, exec, s[28:29]
	v_lshrrev_b32_e32 v12, 16, v12
	v_and_or_b32 v9, v9, s72, v12
	v_lshrrev_b32_e32 v12, 16, v60
	v_and_or_b32 v8, v8, s72, v12
	;; [unrolled: 2-line block ×4, first 2 shown]
	v_sub_u32_e32 v59, v59, v52
	scratch_store_dwordx4 off, v[8:11], s33 offset:160
	global_store_dwordx4 v[42:43], v[8:11], off
	v_lshl_add_u64 v[42:43], v[42:43], 0, s[56:57]
	s_and_saveexec_b64 s[28:29], s[48:49]
	s_cbranch_execz .LBB6_499
; %bb.572:                              ;   in Loop: Header=BB6_500 Depth=4
	v_lshl_add_u64 v[44:45], v[44:45], 0, v[80:81]
	v_lshl_add_u64 v[40:41], v[40:41], 0, v[80:81]
	;; [unrolled: 1-line block ×3, first 2 shown]
	v_sub_u32_e32 v17, v17, v73
	v_sub_u32_e32 v59, v59, v52
	s_branch .LBB6_499
.LBB6_573:                              ;   in Loop: Header=BB6_303 Depth=3
	s_or_b64 exec, exec, s[36:37]
	s_and_b64 s[26:27], s[38:39], exec
.LBB6_574:                              ;   in Loop: Header=BB6_303 Depth=3
	s_or_b64 exec, exec, s[34:35]
	s_and_saveexec_b64 s[28:29], s[26:27]
	s_cbranch_execz .LBB6_608
; %bb.575:                              ;   in Loop: Header=BB6_303 Depth=3
	scratch_load_dwordx4 v[8:11], off, s33 offset:192
	scratch_load_dwordx4 v[12:15], off, s33 offset:208
	s_and_b32 s26, 0xffff, s9
	s_cmp_eq_u32 s26, 0
	s_cselect_b64 vcc, -1, 0
	s_waitcnt vmcnt(0)
	v_lshlrev_b32_e32 v17, 16, v8
	s_waitcnt lgkmcnt(0)
	v_lshlrev_b32_e32 v40, 16, v12
	v_max_f32_e32 v40, v40, v40
	v_max_f32_e32 v17, v17, v17
	v_min_f32_e32 v41, v17, v40
	v_max_f32_e32 v17, v17, v40
	v_cndmask_b32_e32 v40, v17, v41, vcc
	v_and_b32_e32 v17, 0x7f800000, v40
	v_cmp_ne_u32_e64 s[26:27], s40, v17
                                        ; implicit-def: $vgpr17
	s_and_saveexec_b64 s[34:35], s[26:27]
	s_xor_b64 s[26:27], exec, s[34:35]
; %bb.576:                              ;   in Loop: Header=BB6_303 Depth=3
	v_bfe_u32 v17, v40, 16, 1
	v_add3_u32 v17, v40, v17, s41
                                        ; implicit-def: $vgpr40
; %bb.577:                              ;   in Loop: Header=BB6_303 Depth=3
	s_andn2_saveexec_b64 s[34:35], s[26:27]
; %bb.578:                              ;   in Loop: Header=BB6_303 Depth=3
	v_or_b32_e32 v17, 0x10000, v40
	v_cmp_eq_u32_sdwa s[26:27], v40, v3 src0_sel:WORD_0 src1_sel:DWORD
	s_nop 1
	v_cndmask_b32_e64 v17, v17, v40, s[26:27]
; %bb.579:                              ;   in Loop: Header=BB6_303 Depth=3
	s_or_b64 exec, exec, s[34:35]
	v_and_b32_e32 v8, 0xffff0000, v8
	v_and_b32_e32 v12, 0xffff0000, v12
	v_max_f32_e32 v12, v12, v12
	v_max_f32_e32 v8, v8, v8
	v_min_f32_e32 v40, v8, v12
	v_max_f32_e32 v8, v8, v12
	v_cndmask_b32_e32 v12, v8, v40, vcc
	v_and_b32_e32 v8, 0x7f800000, v12
	v_cmp_ne_u32_e64 s[26:27], s40, v8
                                        ; implicit-def: $vgpr8
	s_and_saveexec_b64 s[34:35], s[26:27]
	s_xor_b64 s[26:27], exec, s[34:35]
; %bb.580:                              ;   in Loop: Header=BB6_303 Depth=3
	v_bfe_u32 v8, v12, 16, 1
	v_add3_u32 v8, v12, v8, s41
                                        ; implicit-def: $vgpr12
; %bb.581:                              ;   in Loop: Header=BB6_303 Depth=3
	s_andn2_saveexec_b64 s[34:35], s[26:27]
; %bb.582:                              ;   in Loop: Header=BB6_303 Depth=3
	v_or_b32_e32 v8, 0x10000, v12
	v_cmp_eq_u32_sdwa s[26:27], v12, v3 src0_sel:WORD_0 src1_sel:DWORD
	s_nop 1
	v_cndmask_b32_e64 v8, v8, v12, s[26:27]
; %bb.583:                              ;   in Loop: Header=BB6_303 Depth=3
	s_or_b64 exec, exec, s[34:35]
	v_lshlrev_b32_e32 v12, 16, v9
	v_lshlrev_b32_e32 v40, 16, v13
	v_max_f32_e32 v40, v40, v40
	v_max_f32_e32 v12, v12, v12
	v_min_f32_e32 v41, v12, v40
	v_max_f32_e32 v12, v12, v40
	v_cndmask_b32_e32 v40, v12, v41, vcc
	v_and_b32_e32 v12, 0x7f800000, v40
	v_cmp_ne_u32_e64 s[26:27], s40, v12
                                        ; implicit-def: $vgpr12
	s_and_saveexec_b64 s[34:35], s[26:27]
	s_xor_b64 s[26:27], exec, s[34:35]
; %bb.584:                              ;   in Loop: Header=BB6_303 Depth=3
	v_bfe_u32 v12, v40, 16, 1
	v_add3_u32 v12, v40, v12, s41
                                        ; implicit-def: $vgpr40
; %bb.585:                              ;   in Loop: Header=BB6_303 Depth=3
	s_andn2_saveexec_b64 s[34:35], s[26:27]
; %bb.586:                              ;   in Loop: Header=BB6_303 Depth=3
	v_or_b32_e32 v12, 0x10000, v40
	v_cmp_eq_u32_sdwa s[26:27], v40, v3 src0_sel:WORD_0 src1_sel:DWORD
	s_nop 1
	v_cndmask_b32_e64 v12, v12, v40, s[26:27]
; %bb.587:                              ;   in Loop: Header=BB6_303 Depth=3
	s_or_b64 exec, exec, s[34:35]
	v_and_b32_e32 v9, 0xffff0000, v9
	v_and_b32_e32 v13, 0xffff0000, v13
	v_max_f32_e32 v13, v13, v13
	v_max_f32_e32 v9, v9, v9
	v_min_f32_e32 v40, v9, v13
	v_max_f32_e32 v9, v9, v13
	v_cndmask_b32_e32 v13, v9, v40, vcc
	v_and_b32_e32 v9, 0x7f800000, v13
	v_cmp_ne_u32_e64 s[26:27], s40, v9
                                        ; implicit-def: $vgpr9
	s_and_saveexec_b64 s[34:35], s[26:27]
	s_xor_b64 s[26:27], exec, s[34:35]
; %bb.588:                              ;   in Loop: Header=BB6_303 Depth=3
	v_bfe_u32 v9, v13, 16, 1
	v_add3_u32 v9, v13, v9, s41
                                        ; implicit-def: $vgpr13
; %bb.589:                              ;   in Loop: Header=BB6_303 Depth=3
	s_andn2_saveexec_b64 s[34:35], s[26:27]
; %bb.590:                              ;   in Loop: Header=BB6_303 Depth=3
	v_or_b32_e32 v9, 0x10000, v13
	v_cmp_eq_u32_sdwa s[26:27], v13, v3 src0_sel:WORD_0 src1_sel:DWORD
	s_nop 1
	v_cndmask_b32_e64 v9, v9, v13, s[26:27]
; %bb.591:                              ;   in Loop: Header=BB6_303 Depth=3
	s_or_b64 exec, exec, s[34:35]
	v_lshlrev_b32_e32 v13, 16, v10
	v_lshlrev_b32_e32 v40, 16, v14
	v_max_f32_e32 v40, v40, v40
	v_max_f32_e32 v13, v13, v13
	v_min_f32_e32 v41, v13, v40
	v_max_f32_e32 v13, v13, v40
	v_cndmask_b32_e32 v40, v13, v41, vcc
	v_and_b32_e32 v13, 0x7f800000, v40
	v_cmp_ne_u32_e64 s[26:27], s40, v13
                                        ; implicit-def: $vgpr13
	s_and_saveexec_b64 s[34:35], s[26:27]
	s_xor_b64 s[26:27], exec, s[34:35]
; %bb.592:                              ;   in Loop: Header=BB6_303 Depth=3
	v_bfe_u32 v13, v40, 16, 1
	v_add3_u32 v13, v40, v13, s41
                                        ; implicit-def: $vgpr40
; %bb.593:                              ;   in Loop: Header=BB6_303 Depth=3
	s_andn2_saveexec_b64 s[34:35], s[26:27]
; %bb.594:                              ;   in Loop: Header=BB6_303 Depth=3
	v_or_b32_e32 v13, 0x10000, v40
	v_cmp_eq_u32_sdwa s[26:27], v40, v3 src0_sel:WORD_0 src1_sel:DWORD
	s_nop 1
	v_cndmask_b32_e64 v13, v13, v40, s[26:27]
; %bb.595:                              ;   in Loop: Header=BB6_303 Depth=3
	s_or_b64 exec, exec, s[34:35]
	v_and_b32_e32 v10, 0xffff0000, v10
	v_and_b32_e32 v14, 0xffff0000, v14
	v_max_f32_e32 v14, v14, v14
	v_max_f32_e32 v10, v10, v10
	v_min_f32_e32 v40, v10, v14
	v_max_f32_e32 v10, v10, v14
	v_cndmask_b32_e32 v14, v10, v40, vcc
	v_and_b32_e32 v10, 0x7f800000, v14
	v_cmp_ne_u32_e64 s[26:27], s40, v10
                                        ; implicit-def: $vgpr10
	s_and_saveexec_b64 s[34:35], s[26:27]
	s_xor_b64 s[26:27], exec, s[34:35]
; %bb.596:                              ;   in Loop: Header=BB6_303 Depth=3
	v_bfe_u32 v10, v14, 16, 1
	v_add3_u32 v10, v14, v10, s41
                                        ; implicit-def: $vgpr14
; %bb.597:                              ;   in Loop: Header=BB6_303 Depth=3
	s_andn2_saveexec_b64 s[34:35], s[26:27]
; %bb.598:                              ;   in Loop: Header=BB6_303 Depth=3
	v_or_b32_e32 v10, 0x10000, v14
	v_cmp_eq_u32_sdwa s[26:27], v14, v3 src0_sel:WORD_0 src1_sel:DWORD
	s_nop 1
	v_cndmask_b32_e64 v10, v10, v14, s[26:27]
; %bb.599:                              ;   in Loop: Header=BB6_303 Depth=3
	s_or_b64 exec, exec, s[34:35]
	v_lshlrev_b32_e32 v14, 16, v11
	v_lshlrev_b32_e32 v40, 16, v15
	v_max_f32_e32 v40, v40, v40
	v_max_f32_e32 v14, v14, v14
	v_min_f32_e32 v41, v14, v40
	v_max_f32_e32 v14, v14, v40
	v_cndmask_b32_e32 v40, v14, v41, vcc
	v_and_b32_e32 v14, 0x7f800000, v40
	v_cmp_ne_u32_e64 s[26:27], s40, v14
                                        ; implicit-def: $vgpr14
	s_and_saveexec_b64 s[34:35], s[26:27]
	s_xor_b64 s[26:27], exec, s[34:35]
; %bb.600:                              ;   in Loop: Header=BB6_303 Depth=3
	v_bfe_u32 v14, v40, 16, 1
	v_add3_u32 v14, v40, v14, s41
                                        ; implicit-def: $vgpr40
; %bb.601:                              ;   in Loop: Header=BB6_303 Depth=3
	s_andn2_saveexec_b64 s[34:35], s[26:27]
; %bb.602:                              ;   in Loop: Header=BB6_303 Depth=3
	v_or_b32_e32 v14, 0x10000, v40
	v_cmp_eq_u32_sdwa s[26:27], v40, v3 src0_sel:WORD_0 src1_sel:DWORD
	s_nop 1
	v_cndmask_b32_e64 v14, v14, v40, s[26:27]
; %bb.603:                              ;   in Loop: Header=BB6_303 Depth=3
	s_or_b64 exec, exec, s[34:35]
	v_and_b32_e32 v11, 0xffff0000, v11
	v_and_b32_e32 v15, 0xffff0000, v15
	v_max_f32_e32 v15, v15, v15
	v_max_f32_e32 v11, v11, v11
	v_min_f32_e32 v40, v11, v15
	v_max_f32_e32 v11, v11, v15
	v_cndmask_b32_e32 v15, v11, v40, vcc
	v_and_b32_e32 v11, 0x7f800000, v15
	v_cmp_ne_u32_e32 vcc, s40, v11
                                        ; implicit-def: $vgpr11
	s_and_saveexec_b64 s[26:27], vcc
	s_xor_b64 s[26:27], exec, s[26:27]
; %bb.604:                              ;   in Loop: Header=BB6_303 Depth=3
	v_bfe_u32 v11, v15, 16, 1
	v_add3_u32 v11, v15, v11, s41
                                        ; implicit-def: $vgpr15
; %bb.605:                              ;   in Loop: Header=BB6_303 Depth=3
	s_andn2_saveexec_b64 s[26:27], s[26:27]
; %bb.606:                              ;   in Loop: Header=BB6_303 Depth=3
	v_or_b32_e32 v11, 0x10000, v15
	v_cmp_eq_u32_sdwa vcc, v15, v3 src0_sel:WORD_0 src1_sel:DWORD
	s_nop 1
	v_cndmask_b32_e32 v11, v11, v15, vcc
; %bb.607:                              ;   in Loop: Header=BB6_303 Depth=3
	s_or_b64 exec, exec, s[26:27]
	v_lshrrev_b32_e32 v12, 16, v12
	v_and_or_b32 v9, v9, s72, v12
	v_lshrrev_b32_e32 v12, 16, v17
	v_and_or_b32 v8, v8, s72, v12
	;; [unrolled: 2-line block ×4, first 2 shown]
	global_store_dwordx4 v[42:43], v[8:11], off
.LBB6_608:                              ;   in Loop: Header=BB6_303 Depth=3
	s_or_b64 exec, exec, s[28:29]
	s_nop 0
	v_and_b32_e32 v9, 14, v19
	v_cndmask_b32_e64 v17, v58, v9, s[24:25]
	v_cmp_ne_u32_e32 vcc, 0, v17
	s_mov_b64 s[28:29], s[94:95]
                                        ; implicit-def: $vgpr14
                                        ; implicit-def: $vgpr8
                                        ; implicit-def: $vgpr15
	s_and_saveexec_b64 s[26:27], vcc
	s_cbranch_execz .LBB6_610
; %bb.609:                              ;   in Loop: Header=BB6_303 Depth=3
	v_sub_u32_e32 v8, v58, v9
	v_cndmask_b32_e64 v8, 0, v8, s[24:25]
	v_cmp_lt_i32_e32 vcc, 0, v59
	v_add3_u32 v14, v57, v46, v8
	s_or_b64 s[28:29], s[94:95], exec
	v_cndmask_b32_e32 v8, 0, v52, vcc
	v_sub_u32_e32 v8, v8, v59
	v_lshl_add_u32 v8, v8, 6, v47
	v_ashrrev_i32_e32 v9, 31, v8
	v_lshrrev_b32_e32 v9, 26, v9
	v_add_u32_e32 v9, v8, v9
	v_and_b32_e32 v9, 0xffffffc0, v9
	v_sub_u32_e32 v15, v8, v9
.LBB6_610:                              ;   in Loop: Header=BB6_303 Depth=3
	s_or_b64 exec, exec, s[26:27]
	s_andn2_b64 s[24:25], s[94:95], exec
	s_and_b64 s[26:27], s[28:29], exec
	s_or_b64 s[94:95], s[24:25], s[26:27]
.LBB6_611:                              ;   in Loop: Header=BB6_303 Depth=3
	s_or_b64 exec, exec, s[30:31]
	s_and_saveexec_b64 s[30:31], s[94:95]
	s_cbranch_execz .LBB6_695
.LBB6_612:                              ;   in Loop: Header=BB6_303 Depth=3
	v_ashrrev_i32_e32 v9, 31, v8
	v_lshrrev_b32_e32 v9, 26, v9
	v_add_u32_e32 v8, v8, v9
	v_ashrrev_i32_e32 v8, 6, v8
	v_lshlrev_b32_e32 v9, 9, v8
	v_lshlrev_b32_e32 v10, 1, v15
	v_add3_u32 v12, v14, v10, v9
	v_ashrrev_i32_e32 v9, 31, v17
	v_lshrrev_b32_e32 v9, 23, v9
	v_add_u32_e32 v9, v17, v9
	v_ashrrev_i32_e32 v19, 9, v9
	v_ashrrev_i32_e32 v13, 31, v12
	s_waitcnt lgkmcnt(0)
	v_sub_u32_e32 v40, v19, v8
	v_lshl_add_u64 v[8:9], v[118:119], 0, v[12:13]
	v_cmp_lt_i32_e32 vcc, 0, v40
	v_mov_b32_e32 v59, 0
	s_mov_b64 s[24:25], 0
	v_mov_b32_e32 v47, 0
	v_mov_b32_e32 v41, 0
	;; [unrolled: 1-line block ×7, first 2 shown]
	s_and_saveexec_b64 s[26:27], vcc
	s_cbranch_execz .LBB6_652
; %bb.613:                              ;   in Loop: Header=BB6_303 Depth=3
	s_trap 2
	ds_read_b64 v[42:43], v0
	s_and_b32 s24, s9, 0xff
	s_cmp_eq_u32 s24, 0
	v_lshl_add_u64 v[10:11], v[12:13], 0, v[22:23]
	s_mov_b64 s[34:35], 0
	s_waitcnt lgkmcnt(0)
	v_lshl_add_u64 v[12:13], v[42:43], 0, v[12:13]
	s_mov_b64 s[94:95], 0
	s_cselect_b64 vcc, -1, 0
                                        ; implicit-def: $sgpr28_sgpr29
                                        ; implicit-def: $vgpr61
                                        ; implicit-def: $vgpr58
                                        ; implicit-def: $vgpr46
                                        ; implicit-def: $vgpr45
                                        ; implicit-def: $vgpr41
                                        ; implicit-def: $vgpr42
                                        ; implicit-def: $vgpr43
                                        ; implicit-def: $vgpr44
	s_branch .LBB6_615
.LBB6_614:                              ;   in Loop: Header=BB6_615 Depth=4
	s_or_b64 exec, exec, s[36:37]
	flat_store_short_d16_hi v[8:9], v92 nt
	flat_store_short_d16_hi v[8:9], v90 offset:128 nt
	flat_store_short_d16_hi v[8:9], v59 offset:256 nt
	;; [unrolled: 1-line block ×3, first 2 shown]
	v_cndmask_b32_e64 v47, 0, v52, s[34:35]
	v_sub_u32_e32 v40, v40, v47
	v_cmp_gt_i32_e64 s[24:25], 1, v40
	s_or_b64 s[94:95], s[24:25], s[94:95]
	v_lshl_add_u64 v[90:91], v[10:11], 0, v[70:71]
	v_lshl_add_u64 v[92:93], v[12:13], 0, v[70:71]
	v_cndmask_b32_e64 v95, 0, v87, s[34:35]
	v_cndmask_b32_e64 v94, v78, v86, s[34:35]
	s_andn2_b64 s[24:25], s[28:29], exec
	s_and_b64 s[28:29], s[34:35], exec
	v_lshl_add_u64 v[8:9], v[8:9], 0, v[94:95]
	v_cndmask_b32_e64 v11, v11, v91, s[34:35]
	v_cndmask_b32_e64 v10, v10, v90, s[34:35]
	v_cndmask_b32_e64 v13, v13, v93, s[34:35]
	v_cndmask_b32_e64 v12, v12, v92, s[34:35]
	s_or_b64 s[28:29], s[24:25], s[28:29]
	s_andn2_b64 exec, exec, s[94:95]
	s_cbranch_execz .LBB6_651
.LBB6_615:                              ;   Parent Loop BB6_47 Depth=1
                                        ;     Parent Loop BB6_300 Depth=2
                                        ;       Parent Loop BB6_303 Depth=3
                                        ; =>      This Inner Loop Header: Depth=4
	flat_load_ushort v92, v[10:11] nt
	flat_load_ushort v90, v[10:11] offset:128 nt
	flat_load_ushort v59, v[10:11] offset:256 nt
	flat_load_ushort v47, v[10:11] offset:384 nt
	flat_load_ushort v93, v[12:13] nt
	flat_load_ushort v91, v[12:13] offset:128 nt
	flat_load_ushort v60, v[12:13] offset:256 nt
	;; [unrolled: 1-line block ×3, first 2 shown]
	s_and_saveexec_b64 s[36:37], s[34:35]
	s_cbranch_execz .LBB6_633
; %bb.616:                              ;   in Loop: Header=BB6_615 Depth=4
	v_lshlrev_b32_e32 v61, 16, v61
	v_lshlrev_b32_e32 v94, 16, v41
	v_max_f32_e32 v94, v94, v94
	v_max_f32_e32 v61, v61, v61
	v_min_f32_e32 v95, v61, v94
	v_max_f32_e32 v61, v61, v94
	v_cndmask_b32_e32 v94, v61, v95, vcc
	v_and_b32_e32 v61, 0x7f800000, v94
	v_cmp_ne_u32_e64 s[24:25], s40, v61
                                        ; implicit-def: $vgpr61
	s_and_saveexec_b64 s[34:35], s[24:25]
	s_xor_b64 s[24:25], exec, s[34:35]
; %bb.617:                              ;   in Loop: Header=BB6_615 Depth=4
	v_bfe_u32 v61, v94, 16, 1
	v_add3_u32 v61, v94, v61, s41
                                        ; implicit-def: $vgpr94
; %bb.618:                              ;   in Loop: Header=BB6_615 Depth=4
	s_andn2_saveexec_b64 s[34:35], s[24:25]
; %bb.619:                              ;   in Loop: Header=BB6_615 Depth=4
	v_or_b32_e32 v61, 0x10000, v94
	v_cmp_eq_u32_sdwa s[24:25], v94, v3 src0_sel:WORD_0 src1_sel:DWORD
	s_nop 1
	v_cndmask_b32_e64 v61, v61, v94, s[24:25]
; %bb.620:                              ;   in Loop: Header=BB6_615 Depth=4
	s_or_b64 exec, exec, s[34:35]
	v_lshlrev_b32_e32 v58, 16, v58
	v_lshlrev_b32_e32 v94, 16, v42
	v_max_f32_e32 v94, v94, v94
	v_max_f32_e32 v58, v58, v58
	v_min_f32_e32 v95, v58, v94
	v_max_f32_e32 v58, v58, v94
	v_cndmask_b32_e32 v94, v58, v95, vcc
	v_and_b32_e32 v58, 0x7f800000, v94
	v_cmp_ne_u32_e64 s[24:25], s40, v58
                                        ; implicit-def: $vgpr58
	s_and_saveexec_b64 s[34:35], s[24:25]
	s_xor_b64 s[24:25], exec, s[34:35]
; %bb.621:                              ;   in Loop: Header=BB6_615 Depth=4
	v_bfe_u32 v58, v94, 16, 1
	v_add3_u32 v58, v94, v58, s41
                                        ; implicit-def: $vgpr94
; %bb.622:                              ;   in Loop: Header=BB6_615 Depth=4
	s_andn2_saveexec_b64 s[34:35], s[24:25]
; %bb.623:                              ;   in Loop: Header=BB6_615 Depth=4
	v_or_b32_e32 v58, 0x10000, v94
	v_cmp_eq_u32_sdwa s[24:25], v94, v3 src0_sel:WORD_0 src1_sel:DWORD
	s_nop 1
	v_cndmask_b32_e64 v58, v58, v94, s[24:25]
; %bb.624:                              ;   in Loop: Header=BB6_615 Depth=4
	s_or_b64 exec, exec, s[34:35]
	v_lshlrev_b32_e32 v46, 16, v46
	v_lshlrev_b32_e32 v94, 16, v43
	v_max_f32_e32 v94, v94, v94
	v_max_f32_e32 v46, v46, v46
	v_min_f32_e32 v95, v46, v94
	v_max_f32_e32 v46, v46, v94
	v_cndmask_b32_e32 v94, v46, v95, vcc
	v_and_b32_e32 v46, 0x7f800000, v94
	v_cmp_ne_u32_e64 s[24:25], s40, v46
                                        ; implicit-def: $vgpr46
	s_and_saveexec_b64 s[34:35], s[24:25]
	s_xor_b64 s[24:25], exec, s[34:35]
; %bb.625:                              ;   in Loop: Header=BB6_615 Depth=4
	v_bfe_u32 v46, v94, 16, 1
	v_add3_u32 v46, v94, v46, s41
                                        ; implicit-def: $vgpr94
; %bb.626:                              ;   in Loop: Header=BB6_615 Depth=4
	s_andn2_saveexec_b64 s[34:35], s[24:25]
; %bb.627:                              ;   in Loop: Header=BB6_615 Depth=4
	v_or_b32_e32 v46, 0x10000, v94
	v_cmp_eq_u32_sdwa s[24:25], v94, v3 src0_sel:WORD_0 src1_sel:DWORD
	s_nop 1
	v_cndmask_b32_e64 v46, v46, v94, s[24:25]
; %bb.628:                              ;   in Loop: Header=BB6_615 Depth=4
	s_or_b64 exec, exec, s[34:35]
	v_lshlrev_b32_e32 v45, 16, v45
	v_lshlrev_b32_e32 v94, 16, v44
	v_max_f32_e32 v94, v94, v94
	v_max_f32_e32 v45, v45, v45
	v_min_f32_e32 v95, v45, v94
	v_max_f32_e32 v45, v45, v94
	v_cndmask_b32_e32 v94, v45, v95, vcc
	v_and_b32_e32 v45, 0x7f800000, v94
	v_cmp_ne_u32_e64 s[24:25], s40, v45
                                        ; implicit-def: $vgpr45
	s_and_saveexec_b64 s[34:35], s[24:25]
	s_xor_b64 s[24:25], exec, s[34:35]
; %bb.629:                              ;   in Loop: Header=BB6_615 Depth=4
	v_bfe_u32 v45, v94, 16, 1
	v_add3_u32 v45, v94, v45, s41
                                        ; implicit-def: $vgpr94
; %bb.630:                              ;   in Loop: Header=BB6_615 Depth=4
	s_andn2_saveexec_b64 s[34:35], s[24:25]
; %bb.631:                              ;   in Loop: Header=BB6_615 Depth=4
	v_or_b32_e32 v45, 0x10000, v94
	v_cmp_eq_u32_sdwa s[24:25], v94, v3 src0_sel:WORD_0 src1_sel:DWORD
	s_nop 1
	v_cndmask_b32_e64 v45, v45, v94, s[24:25]
; %bb.632:                              ;   in Loop: Header=BB6_615 Depth=4
	s_or_b64 exec, exec, s[34:35]
	v_lshrrev_b32_e32 v61, 16, v61
	v_lshrrev_b32_e32 v46, 16, v46
	;; [unrolled: 1-line block ×4, first 2 shown]
	flat_store_short v[8:9], v61 nt
	flat_store_short v[8:9], v58 offset:128 nt
	flat_store_short v[8:9], v46 offset:256 nt
	;; [unrolled: 1-line block ×3, first 2 shown]
	v_lshl_add_u64 v[8:9], v[8:9], 0, v[86:87]
.LBB6_633:                              ;   in Loop: Header=BB6_615 Depth=4
	s_or_b64 exec, exec, s[36:37]
	v_sub_u32_e32 v40, v40, v52
	v_lshl_add_u64 v[10:11], v[10:11], 0, v[86:87]
	v_lshl_add_u64 v[12:13], v[12:13], 0, v[86:87]
	v_cmp_lt_i32_e64 s[34:35], 0, v40
	s_and_saveexec_b64 s[24:25], s[34:35]
	s_cbranch_execz .LBB6_635
; %bb.634:                              ;   in Loop: Header=BB6_615 Depth=4
	flat_load_ushort v61, v[10:11] nt
	flat_load_ushort v58, v[10:11] offset:128 nt
	flat_load_ushort v46, v[10:11] offset:256 nt
	;; [unrolled: 1-line block ×3, first 2 shown]
	flat_load_ushort v41, v[12:13] nt
	flat_load_ushort v42, v[12:13] offset:128 nt
	flat_load_ushort v43, v[12:13] offset:256 nt
	;; [unrolled: 1-line block ×3, first 2 shown]
	v_lshl_add_u64 v[10:11], v[10:11], 0, s[58:59]
	v_lshl_add_u64 v[12:13], v[12:13], 0, s[58:59]
.LBB6_635:                              ;   in Loop: Header=BB6_615 Depth=4
	s_or_b64 exec, exec, s[24:25]
	s_waitcnt vmcnt(0) lgkmcnt(0)
	v_lshlrev_b32_e32 v92, 16, v92
	v_lshlrev_b32_e32 v93, 16, v93
	v_max_f32_e32 v93, v93, v93
	v_max_f32_e32 v92, v92, v92
	v_min_f32_e32 v94, v92, v93
	v_max_f32_e32 v92, v92, v93
	v_cndmask_b32_e32 v93, v92, v94, vcc
	v_and_b32_e32 v92, 0x7f800000, v93
	v_cmp_ne_u32_e64 s[24:25], s40, v92
                                        ; implicit-def: $vgpr92
	s_and_saveexec_b64 s[36:37], s[24:25]
	s_xor_b64 s[24:25], exec, s[36:37]
; %bb.636:                              ;   in Loop: Header=BB6_615 Depth=4
	v_bfe_u32 v92, v93, 16, 1
	v_add3_u32 v92, v93, v92, s41
                                        ; implicit-def: $vgpr93
; %bb.637:                              ;   in Loop: Header=BB6_615 Depth=4
	s_andn2_saveexec_b64 s[36:37], s[24:25]
; %bb.638:                              ;   in Loop: Header=BB6_615 Depth=4
	v_or_b32_e32 v92, 0x10000, v93
	v_cmp_eq_u32_sdwa s[24:25], v93, v3 src0_sel:WORD_0 src1_sel:DWORD
	s_nop 1
	v_cndmask_b32_e64 v92, v92, v93, s[24:25]
; %bb.639:                              ;   in Loop: Header=BB6_615 Depth=4
	s_or_b64 exec, exec, s[36:37]
	v_lshlrev_b32_e32 v90, 16, v90
	v_lshlrev_b32_e32 v91, 16, v91
	v_max_f32_e32 v91, v91, v91
	v_max_f32_e32 v90, v90, v90
	v_min_f32_e32 v93, v90, v91
	v_max_f32_e32 v90, v90, v91
	v_cndmask_b32_e32 v91, v90, v93, vcc
	v_and_b32_e32 v90, 0x7f800000, v91
	v_cmp_ne_u32_e64 s[24:25], s40, v90
                                        ; implicit-def: $vgpr90
	s_and_saveexec_b64 s[36:37], s[24:25]
	s_xor_b64 s[24:25], exec, s[36:37]
; %bb.640:                              ;   in Loop: Header=BB6_615 Depth=4
	v_bfe_u32 v90, v91, 16, 1
	v_add3_u32 v90, v91, v90, s41
                                        ; implicit-def: $vgpr91
; %bb.641:                              ;   in Loop: Header=BB6_615 Depth=4
	s_andn2_saveexec_b64 s[36:37], s[24:25]
; %bb.642:                              ;   in Loop: Header=BB6_615 Depth=4
	v_or_b32_e32 v90, 0x10000, v91
	v_cmp_eq_u32_sdwa s[24:25], v91, v3 src0_sel:WORD_0 src1_sel:DWORD
	s_nop 1
	v_cndmask_b32_e64 v90, v90, v91, s[24:25]
; %bb.643:                              ;   in Loop: Header=BB6_615 Depth=4
	s_or_b64 exec, exec, s[36:37]
	v_lshlrev_b32_e32 v59, 16, v59
	v_lshlrev_b32_e32 v60, 16, v60
	v_max_f32_e32 v60, v60, v60
	v_max_f32_e32 v59, v59, v59
	v_min_f32_e32 v91, v59, v60
	v_max_f32_e32 v59, v59, v60
	v_cndmask_b32_e32 v60, v59, v91, vcc
	v_and_b32_e32 v59, 0x7f800000, v60
	v_cmp_ne_u32_e64 s[24:25], s40, v59
                                        ; implicit-def: $vgpr59
	s_and_saveexec_b64 s[36:37], s[24:25]
	s_xor_b64 s[24:25], exec, s[36:37]
; %bb.644:                              ;   in Loop: Header=BB6_615 Depth=4
	v_bfe_u32 v59, v60, 16, 1
	v_add3_u32 v59, v60, v59, s41
                                        ; implicit-def: $vgpr60
; %bb.645:                              ;   in Loop: Header=BB6_615 Depth=4
	s_andn2_saveexec_b64 s[36:37], s[24:25]
; %bb.646:                              ;   in Loop: Header=BB6_615 Depth=4
	v_or_b32_e32 v59, 0x10000, v60
	v_cmp_eq_u32_sdwa s[24:25], v60, v3 src0_sel:WORD_0 src1_sel:DWORD
	s_nop 1
	v_cndmask_b32_e64 v59, v59, v60, s[24:25]
; %bb.647:                              ;   in Loop: Header=BB6_615 Depth=4
	s_or_b64 exec, exec, s[36:37]
	v_lshlrev_b32_e32 v47, 16, v47
	v_lshlrev_b32_e32 v57, 16, v57
	v_max_f32_e32 v57, v57, v57
	v_max_f32_e32 v47, v47, v47
	v_min_f32_e32 v60, v47, v57
	v_max_f32_e32 v47, v47, v57
	v_cndmask_b32_e32 v57, v47, v60, vcc
	v_and_b32_e32 v47, 0x7f800000, v57
	v_cmp_ne_u32_e64 s[24:25], s40, v47
                                        ; implicit-def: $vgpr47
	s_and_saveexec_b64 s[36:37], s[24:25]
	s_xor_b64 s[24:25], exec, s[36:37]
; %bb.648:                              ;   in Loop: Header=BB6_615 Depth=4
	v_bfe_u32 v47, v57, 16, 1
	v_add3_u32 v47, v57, v47, s41
                                        ; implicit-def: $vgpr57
; %bb.649:                              ;   in Loop: Header=BB6_615 Depth=4
	s_andn2_saveexec_b64 s[36:37], s[24:25]
	s_cbranch_execz .LBB6_614
; %bb.650:                              ;   in Loop: Header=BB6_615 Depth=4
	v_or_b32_e32 v47, 0x10000, v57
	v_cmp_eq_u32_sdwa s[24:25], v57, v3 src0_sel:WORD_0 src1_sel:DWORD
	s_nop 1
	v_cndmask_b32_e64 v47, v47, v57, s[24:25]
	s_branch .LBB6_614
.LBB6_651:                              ;   in Loop: Header=BB6_303 Depth=3
	s_or_b64 exec, exec, s[94:95]
	v_lshlrev_b32_e32 v59, 16, v61
	v_lshlrev_b32_e32 v60, 16, v41
	;; [unrolled: 1-line block ×8, first 2 shown]
	s_and_b64 s[24:25], s[28:29], exec
.LBB6_652:                              ;   in Loop: Header=BB6_303 Depth=3
	s_or_b64 exec, exec, s[26:27]
	s_and_saveexec_b64 s[26:27], s[24:25]
	s_cbranch_execz .LBB6_670
; %bb.653:                              ;   in Loop: Header=BB6_303 Depth=3
	s_and_b32 s24, s9, 0xff
	s_cmp_eq_u32 s24, 0
	v_max_f32_e32 v12, v60, v60
	v_max_f32_e32 v13, v59, v59
	v_min_f32_e32 v43, v13, v12
	v_max_f32_e32 v12, v13, v12
	s_cselect_b64 vcc, -1, 0
	v_cndmask_b32_e32 v13, v12, v43, vcc
	v_and_b32_e32 v12, 0x7f800000, v13
	v_cmp_ne_u32_e64 s[24:25], s40, v12
                                        ; implicit-def: $vgpr12
	s_and_saveexec_b64 s[28:29], s[24:25]
	s_xor_b64 s[24:25], exec, s[28:29]
; %bb.654:                              ;   in Loop: Header=BB6_303 Depth=3
	v_bfe_u32 v12, v13, 16, 1
	v_add3_u32 v12, v13, v12, s41
                                        ; implicit-def: $vgpr13
; %bb.655:                              ;   in Loop: Header=BB6_303 Depth=3
	s_andn2_saveexec_b64 s[28:29], s[24:25]
; %bb.656:                              ;   in Loop: Header=BB6_303 Depth=3
	v_or_b32_e32 v12, 0x10000, v13
	v_cmp_eq_u32_sdwa s[24:25], v13, v3 src0_sel:WORD_0 src1_sel:DWORD
	s_nop 1
	v_cndmask_b32_e64 v12, v12, v13, s[24:25]
; %bb.657:                              ;   in Loop: Header=BB6_303 Depth=3
	s_or_b64 exec, exec, s[28:29]
	v_max_f32_e32 v13, v57, v57
	v_max_f32_e32 v43, v47, v47
	v_min_f32_e32 v44, v43, v13
	v_max_f32_e32 v13, v43, v13
	v_cndmask_b32_e32 v43, v13, v44, vcc
	v_and_b32_e32 v13, 0x7f800000, v43
	v_cmp_ne_u32_e64 s[24:25], s40, v13
                                        ; implicit-def: $vgpr13
	s_and_saveexec_b64 s[28:29], s[24:25]
	s_xor_b64 s[24:25], exec, s[28:29]
; %bb.658:                              ;   in Loop: Header=BB6_303 Depth=3
	v_bfe_u32 v13, v43, 16, 1
	v_add3_u32 v13, v43, v13, s41
                                        ; implicit-def: $vgpr43
; %bb.659:                              ;   in Loop: Header=BB6_303 Depth=3
	s_andn2_saveexec_b64 s[28:29], s[24:25]
; %bb.660:                              ;   in Loop: Header=BB6_303 Depth=3
	v_or_b32_e32 v13, 0x10000, v43
	v_cmp_eq_u32_sdwa s[24:25], v43, v3 src0_sel:WORD_0 src1_sel:DWORD
	s_nop 1
	v_cndmask_b32_e64 v13, v13, v43, s[24:25]
; %bb.661:                              ;   in Loop: Header=BB6_303 Depth=3
	s_or_b64 exec, exec, s[28:29]
	v_max_f32_e32 v42, v42, v42
	v_max_f32_e32 v41, v41, v41
	v_min_f32_e32 v43, v41, v42
	v_max_f32_e32 v41, v41, v42
	v_cndmask_b32_e32 v42, v41, v43, vcc
	v_and_b32_e32 v41, 0x7f800000, v42
	v_cmp_ne_u32_e64 s[24:25], s40, v41
                                        ; implicit-def: $vgpr41
	s_and_saveexec_b64 s[28:29], s[24:25]
	s_xor_b64 s[24:25], exec, s[28:29]
; %bb.662:                              ;   in Loop: Header=BB6_303 Depth=3
	v_bfe_u32 v41, v42, 16, 1
	v_add3_u32 v41, v42, v41, s41
                                        ; implicit-def: $vgpr42
; %bb.663:                              ;   in Loop: Header=BB6_303 Depth=3
	s_andn2_saveexec_b64 s[28:29], s[24:25]
; %bb.664:                              ;   in Loop: Header=BB6_303 Depth=3
	v_or_b32_e32 v41, 0x10000, v42
	v_cmp_eq_u32_sdwa s[24:25], v42, v3 src0_sel:WORD_0 src1_sel:DWORD
	s_nop 1
	v_cndmask_b32_e64 v41, v41, v42, s[24:25]
; %bb.665:                              ;   in Loop: Header=BB6_303 Depth=3
	s_or_b64 exec, exec, s[28:29]
	v_max_f32_e32 v11, v11, v11
	v_max_f32_e32 v10, v10, v10
	v_min_f32_e32 v42, v10, v11
	v_max_f32_e32 v10, v10, v11
	v_cndmask_b32_e32 v11, v10, v42, vcc
	v_and_b32_e32 v10, 0x7f800000, v11
	v_cmp_ne_u32_e32 vcc, s40, v10
                                        ; implicit-def: $vgpr10
	s_and_saveexec_b64 s[24:25], vcc
	s_xor_b64 s[24:25], exec, s[24:25]
; %bb.666:                              ;   in Loop: Header=BB6_303 Depth=3
	v_bfe_u32 v10, v11, 16, 1
	v_add3_u32 v10, v11, v10, s41
                                        ; implicit-def: $vgpr11
; %bb.667:                              ;   in Loop: Header=BB6_303 Depth=3
	s_andn2_saveexec_b64 s[24:25], s[24:25]
; %bb.668:                              ;   in Loop: Header=BB6_303 Depth=3
	v_or_b32_e32 v10, 0x10000, v11
	v_cmp_eq_u32_sdwa vcc, v11, v3 src0_sel:WORD_0 src1_sel:DWORD
	s_nop 1
	v_cndmask_b32_e32 v10, v10, v11, vcc
; %bb.669:                              ;   in Loop: Header=BB6_303 Depth=3
	s_or_b64 exec, exec, s[24:25]
	flat_store_short_d16_hi v[8:9], v12 nt
	flat_store_short_d16_hi v[8:9], v13 offset:128 nt
	flat_store_short_d16_hi v[8:9], v41 offset:256 nt
	;; [unrolled: 1-line block ×3, first 2 shown]
.LBB6_670:                              ;   in Loop: Header=BB6_303 Depth=3
	s_or_b64 exec, exec, s[26:27]
	v_lshlrev_b32_e32 v8, 9, v19
	v_cmp_ne_u32_e32 vcc, v17, v8
	s_and_b64 exec, exec, vcc
	s_cbranch_execz .LBB6_695
; %bb.671:                              ;   in Loop: Header=BB6_303 Depth=3
	v_lshlrev_b32_e32 v9, 6, v40
	v_sub_u32_e32 v9, v15, v9
	v_ashrrev_i32_e32 v10, 31, v9
	v_lshrrev_b32_e32 v10, 26, v10
	v_add_u32_e32 v10, v9, v10
	v_and_b32_e32 v11, 0x7fffffc0, v10
	v_sub_u32_e32 v9, v9, v11
	v_lshlrev_b32_e32 v10, 1, v10
	v_and_b32_e32 v10, 0xffffff80, v10
	v_lshlrev_b32_e32 v9, 1, v9
	v_add3_u32 v8, v10, v9, v8
	v_sub_u32_e32 v15, v17, v8
	v_cmp_lt_i32_e32 vcc, 1, v15
	s_and_b64 exec, exec, vcc
	s_cbranch_execz .LBB6_695
; %bb.672:                              ;   in Loop: Header=BB6_303 Depth=3
	s_trap 2
	ds_read_b64 v[12:13], v0
	v_add_u32_e32 v40, v8, v14
	s_and_b32 s9, s9, 0xff
	v_ashrrev_i32_e32 v41, 31, v40
	s_cmp_eq_u32 s9, 0
	v_lshl_add_u64 v[8:9], v[118:119], 0, v[40:41]
	v_lshl_add_u64 v[10:11], v[40:41], 0, v[22:23]
	s_waitcnt lgkmcnt(0)
	v_lshl_add_u64 v[12:13], v[12:13], 0, v[40:41]
	s_mov_b64 s[36:37], 0
	s_mov_b64 s[94:95], 0
	s_cselect_b64 s[24:25], -1, 0
                                        ; implicit-def: $sgpr34_sgpr35
	s_branch .LBB6_674
.LBB6_673:                              ;   in Loop: Header=BB6_674 Depth=4
	s_or_b64 exec, exec, s[26:27]
	v_lshrrev_b32_e32 v15, 16, v17
	scratch_store_short off, v15, s33 offset:160
	flat_store_short v[8:9], v15 nt
	v_cndmask_b32_e64 v15, 0, v74, s[36:37]
	v_sub_u32_e32 v15, v14, v15
	v_cmp_gt_i32_e32 vcc, 2, v15
	s_or_b64 s[94:95], vcc, s[94:95]
	v_lshl_add_u64 v[22:23], v[10:11], 0, v[82:83]
	v_lshl_add_u64 v[118:119], v[12:13], 0, v[82:83]
	v_cndmask_b32_e64 v41, 0, v99, s[36:37]
	v_cndmask_b32_e64 v40, v79, v98, s[36:37]
	s_andn2_b64 s[26:27], s[34:35], exec
	s_and_b64 s[28:29], s[36:37], exec
	v_lshl_add_u64 v[8:9], v[8:9], 0, v[40:41]
	v_cndmask_b32_e64 v13, v13, v119, s[36:37]
	v_cndmask_b32_e64 v12, v12, v118, s[36:37]
	;; [unrolled: 1-line block ×4, first 2 shown]
	s_or_b64 s[34:35], s[26:27], s[28:29]
	s_andn2_b64 exec, exec, s[94:95]
	s_cbranch_execz .LBB6_689
.LBB6_674:                              ;   Parent Loop BB6_47 Depth=1
                                        ;     Parent Loop BB6_300 Depth=2
                                        ;       Parent Loop BB6_303 Depth=3
                                        ; =>      This Loop Header: Depth=4
                                        ;           Child Loop BB6_675 Depth 5
                                        ;           Child Loop BB6_684 Depth 5
	s_add_i32 s26, s33, 0xa0
	s_mov_b32 s9, s26
	s_mov_b64 s[38:39], -1
	s_mov_b64 s[48:49], 0
.LBB6_675:                              ;   Parent Loop BB6_47 Depth=1
                                        ;     Parent Loop BB6_300 Depth=2
                                        ;       Parent Loop BB6_303 Depth=3
                                        ;         Parent Loop BB6_674 Depth=4
                                        ; =>        This Inner Loop Header: Depth=5
	s_cmp_eq_u32 s48, 1
	s_cselect_b64 vcc, -1, 0
	v_cndmask_b32_e32 v23, v11, v13, vcc
	v_cndmask_b32_e32 v22, v10, v12, vcc
	flat_load_ushort v14, v[22:23] nt
	s_cmp_eq_u32 s48, 0
	v_lshl_add_u64 v[22:23], v[22:23], 0, s[60:61]
	s_cselect_b64 s[26:27], -1, 0
	s_and_b64 s[28:29], exec, s[38:39]
	v_cndmask_b32_e64 v11, v11, v23, s[26:27]
	v_cndmask_b32_e64 v10, v10, v22, s[26:27]
	s_add_i32 s26, s33, 0xc0
	s_mov_b64 s[48:49], 1
	s_mov_b64 s[38:39], 0
	v_cndmask_b32_e32 v13, v13, v23, vcc
	v_cndmask_b32_e32 v12, v12, v22, vcc
	s_mov_b64 vcc, s[28:29]
	s_waitcnt vmcnt(0) lgkmcnt(0)
	scratch_store_short off, v14, s9
	s_mov_b32 s9, s26
	s_cbranch_vccnz .LBB6_675
; %bb.676:                              ;   in Loop: Header=BB6_674 Depth=4
	s_and_saveexec_b64 s[26:27], s[36:37]
	s_cbranch_execz .LBB6_682
; %bb.677:                              ;   in Loop: Header=BB6_674 Depth=4
	scratch_load_ushort v14, off, s33 offset:156
	scratch_load_ushort v17, off, s33 offset:158
	s_waitcnt vmcnt(1)
	v_lshlrev_b32_e32 v14, 16, v14
	s_waitcnt vmcnt(0)
	v_lshlrev_b32_e32 v17, 16, v17
	v_max_f32_e32 v17, v17, v17
	v_max_f32_e32 v14, v14, v14
	v_min_f32_e32 v19, v14, v17
	v_max_f32_e32 v14, v14, v17
	v_cndmask_b32_e64 v14, v14, v19, s[24:25]
	v_and_b32_e32 v17, 0x7f800000, v14
	v_cmp_ne_u32_e32 vcc, s40, v17
                                        ; implicit-def: $vgpr17
	s_and_saveexec_b64 s[28:29], vcc
	s_xor_b64 s[28:29], exec, s[28:29]
; %bb.678:                              ;   in Loop: Header=BB6_674 Depth=4
	v_bfe_u32 v17, v14, 16, 1
	v_add3_u32 v17, v14, v17, s41
                                        ; implicit-def: $vgpr14
; %bb.679:                              ;   in Loop: Header=BB6_674 Depth=4
	s_andn2_saveexec_b64 s[28:29], s[28:29]
; %bb.680:                              ;   in Loop: Header=BB6_674 Depth=4
	v_or_b32_e32 v17, 0x10000, v14
	v_cmp_eq_u32_sdwa vcc, v14, v3 src0_sel:WORD_0 src1_sel:DWORD
	s_nop 1
	v_cndmask_b32_e32 v17, v17, v14, vcc
; %bb.681:                              ;   in Loop: Header=BB6_674 Depth=4
	s_or_b64 exec, exec, s[28:29]
	v_lshrrev_b32_e32 v14, 16, v17
	scratch_store_short off, v14, s33 offset:156
	flat_store_short v[8:9], v14 nt
	v_lshl_add_u64 v[8:9], v[8:9], 0, v[98:99]
.LBB6_682:                              ;   in Loop: Header=BB6_674 Depth=4
	s_or_b64 exec, exec, s[26:27]
	v_sub_u32_e32 v14, v15, v74
	v_lshl_add_u64 v[10:11], v[10:11], 0, v[82:83]
	v_lshl_add_u64 v[12:13], v[12:13], 0, v[82:83]
	v_cmp_lt_i32_e64 s[36:37], 1, v14
	s_and_saveexec_b64 s[28:29], s[36:37]
	s_cbranch_execz .LBB6_685
; %bb.683:                              ;   in Loop: Header=BB6_674 Depth=4
	s_add_i32 s26, s33, 0x9c
	s_mov_b32 s9, s26
	s_mov_b64 s[26:27], 0
	s_mov_b64 s[38:39], -1
.LBB6_684:                              ;   Parent Loop BB6_47 Depth=1
                                        ;     Parent Loop BB6_300 Depth=2
                                        ;       Parent Loop BB6_303 Depth=3
                                        ;         Parent Loop BB6_674 Depth=4
                                        ; =>        This Inner Loop Header: Depth=5
	s_cmp_eq_u32 s26, 1
	s_cselect_b64 vcc, -1, 0
	v_cndmask_b32_e32 v23, v11, v13, vcc
	v_cndmask_b32_e32 v22, v10, v12, vcc
	flat_load_ushort v15, v[22:23] nt
	s_cmp_eq_u32 s26, 0
	v_lshl_add_u64 v[22:23], v[22:23], 0, s[60:61]
	s_cselect_b64 s[26:27], -1, 0
	v_cndmask_b32_e64 v11, v11, v23, s[26:27]
	v_cndmask_b32_e64 v10, v10, v22, s[26:27]
	s_add_i32 s26, s33, 0x9e
	v_cndmask_b32_e32 v13, v13, v23, vcc
	v_cndmask_b32_e32 v12, v12, v22, vcc
	s_and_b64 vcc, exec, s[38:39]
	s_mov_b64 s[38:39], 0
	s_waitcnt vmcnt(0) lgkmcnt(0)
	scratch_store_short off, v15, s9
	s_mov_b32 s9, s26
	s_mov_b64 s[26:27], 1
	s_cbranch_vccnz .LBB6_684
.LBB6_685:                              ;   in Loop: Header=BB6_674 Depth=4
	s_or_b64 exec, exec, s[28:29]
	scratch_load_ushort v15, off, s33 offset:160
	scratch_load_ushort v17, off, s33 offset:192
	s_waitcnt vmcnt(0)
	v_lshlrev_b32_e32 v15, 16, v15
	v_lshlrev_b32_e32 v17, 16, v17
	v_max_f32_e32 v17, v17, v17
	v_max_f32_e32 v15, v15, v15
	v_min_f32_e32 v19, v15, v17
	v_max_f32_e32 v15, v15, v17
	v_cndmask_b32_e64 v15, v15, v19, s[24:25]
	v_and_b32_e32 v17, 0x7f800000, v15
	v_cmp_ne_u32_e32 vcc, s40, v17
                                        ; implicit-def: $vgpr17
	s_and_saveexec_b64 s[26:27], vcc
	s_xor_b64 s[26:27], exec, s[26:27]
; %bb.686:                              ;   in Loop: Header=BB6_674 Depth=4
	v_bfe_u32 v17, v15, 16, 1
	v_add3_u32 v17, v15, v17, s41
                                        ; implicit-def: $vgpr15
; %bb.687:                              ;   in Loop: Header=BB6_674 Depth=4
	s_andn2_saveexec_b64 s[26:27], s[26:27]
	s_cbranch_execz .LBB6_673
; %bb.688:                              ;   in Loop: Header=BB6_674 Depth=4
	v_or_b32_e32 v17, 0x10000, v15
	v_cmp_eq_u32_sdwa vcc, v15, v3 src0_sel:WORD_0 src1_sel:DWORD
	s_nop 1
	v_cndmask_b32_e32 v17, v17, v15, vcc
	s_branch .LBB6_673
.LBB6_689:                              ;   in Loop: Header=BB6_303 Depth=3
	s_or_b64 exec, exec, s[94:95]
	s_and_b64 exec, exec, s[34:35]
	s_cbranch_execz .LBB6_695
; %bb.690:                              ;   in Loop: Header=BB6_303 Depth=3
	scratch_load_ushort v10, off, s33 offset:156
	scratch_load_ushort v11, off, s33 offset:158
	s_waitcnt vmcnt(0)
	v_lshlrev_b32_e32 v10, 16, v10
	v_lshlrev_b32_e32 v11, 16, v11
	v_max_f32_e32 v11, v11, v11
	v_max_f32_e32 v10, v10, v10
	v_min_f32_e32 v12, v10, v11
	v_max_f32_e32 v10, v10, v11
	v_cndmask_b32_e64 v10, v10, v12, s[24:25]
	v_and_b32_e32 v11, 0x7f800000, v10
	v_cmp_ne_u32_e32 vcc, s40, v11
                                        ; implicit-def: $vgpr11
	s_and_saveexec_b64 s[24:25], vcc
	s_xor_b64 s[24:25], exec, s[24:25]
; %bb.691:                              ;   in Loop: Header=BB6_303 Depth=3
	v_bfe_u32 v11, v10, 16, 1
	v_add3_u32 v11, v10, v11, s41
                                        ; implicit-def: $vgpr10
; %bb.692:                              ;   in Loop: Header=BB6_303 Depth=3
	s_andn2_saveexec_b64 s[24:25], s[24:25]
; %bb.693:                              ;   in Loop: Header=BB6_303 Depth=3
	v_or_b32_e32 v11, 0x10000, v10
	v_cmp_eq_u32_sdwa vcc, v10, v3 src0_sel:WORD_0 src1_sel:DWORD
	s_nop 1
	v_cndmask_b32_e32 v11, v11, v10, vcc
; %bb.694:                              ;   in Loop: Header=BB6_303 Depth=3
	s_or_b64 exec, exec, s[24:25]
	flat_store_short_d16_hi v[8:9], v11 nt
.LBB6_695:                              ;   in Loop: Header=BB6_303 Depth=3
	s_or_b64 exec, exec, s[30:31]
	v_cmp_lt_i32_e64 s[24:25], 0, v2
	s_and_saveexec_b64 s[26:27], s[4:5]
	s_cbranch_execz .LBB6_378
.LBB6_696:                              ;   in Loop: Header=BB6_303 Depth=3
	s_and_saveexec_b64 s[28:29], s[44:45]
	s_xor_b64 s[28:29], exec, s[28:29]
	s_cbranch_execz .LBB6_711
; %bb.697:                              ;   in Loop: Header=BB6_303 Depth=3
	s_and_saveexec_b64 s[94:95], s[12:13]
	s_cbranch_execz .LBB6_710
; %bb.698:                              ;   in Loop: Header=BB6_303 Depth=3
	s_mov_b64 s[34:35], exec
	v_mbcnt_lo_u32_b32 v2, s34, 0
	v_mbcnt_hi_u32_b32 v2, s35, v2
	v_cmp_eq_u32_e32 vcc, 0, v2
	s_waitcnt lgkmcnt(0)
	s_and_saveexec_b64 s[30:31], vcc
	s_cbranch_execz .LBB6_700
; %bb.699:                              ;   in Loop: Header=BB6_303 Depth=3
	s_bcnt1_i32_b64 s9, s[34:35]
	v_mov_b32_e32 v2, s9
	ds_add_u64 v0, v[2:3]
	s_trap 2
.LBB6_700:                              ;   in Loop: Header=BB6_303 Depth=3
	s_or_b64 exec, exec, s[30:31]
	s_trap 2
	ds_read_b64 v[8:9], v0
	s_waitcnt lgkmcnt(0)
	v_lshl_add_u64 v[38:39], v[38:39], 0, v[52:53]
	v_cmp_lt_u64_e32 vcc, v[8:9], v[38:39]
	s_and_saveexec_b64 s[30:31], vcc
	s_cbranch_execz .LBB6_709
; %bb.701:                              ;   in Loop: Header=BB6_303 Depth=3
	s_mov_b32 s9, 0
	s_mov_b64 s[34:35], 0
                                        ; implicit-def: $sgpr36_sgpr37
                                        ; implicit-def: $sgpr38_sgpr39
	s_branch .LBB6_703
.LBB6_702:                              ;   in Loop: Header=BB6_703 Depth=4
	s_or_b64 exec, exec, s[50:51]
	s_and_b64 vcc, exec, vcc
	s_or_b64 s[34:35], vcc, s[34:35]
	s_andn2_b64 vcc, s[36:37], exec
	s_and_b64 s[36:37], s[38:39], exec
	s_or_b64 s[36:37], vcc, s[36:37]
	s_andn2_b64 exec, exec, s[34:35]
	s_cbranch_execz .LBB6_707
.LBB6_703:                              ;   Parent Loop BB6_47 Depth=1
                                        ;     Parent Loop BB6_300 Depth=2
                                        ;       Parent Loop BB6_303 Depth=3
                                        ; =>      This Inner Loop Header: Depth=4
	s_add_i32 s9, s9, 1
	s_cmpk_lg_i32 s9, 0x2710
	s_cselect_b64 s[48:49], -1, 0
	s_and_b64 vcc, exec, s[48:49]
	s_cbranch_vccz .LBB6_705
; %bb.704:                              ;   in Loop: Header=BB6_703 Depth=4
	s_mov_b64 vcc, -1
	s_or_b64 s[38:39], s[38:39], exec
	s_and_saveexec_b64 s[50:51], s[48:49]
	s_cbranch_execz .LBB6_702
	s_branch .LBB6_706
.LBB6_705:                              ;   in Loop: Header=BB6_703 Depth=4
	s_trap 2
	ds_read_b64 v[8:9], v0
	s_andn2_b64 s[48:49], s[48:49], exec
	s_mov_b32 s9, 0
	s_waitcnt vmcnt(0) lgkmcnt(0)
	flat_load_dword v2, v[8:9] sc0 sc1
	s_waitcnt vmcnt(0) lgkmcnt(0)
	buffer_inv sc0 sc1
	v_cmp_eq_u32_e32 vcc, 0, v2
	s_and_b64 vcc, vcc, exec
	s_or_b64 s[48:49], s[48:49], vcc
	s_mov_b64 vcc, -1
	s_or_b64 s[38:39], s[38:39], exec
	s_and_saveexec_b64 s[50:51], s[48:49]
	s_cbranch_execz .LBB6_702
.LBB6_706:                              ;   in Loop: Header=BB6_703 Depth=4
	s_sleep 1
	s_trap 2
	ds_read_b64 v[8:9], v0
	s_waitcnt lgkmcnt(0)
	s_andn2_b64 s[38:39], s[38:39], exec
	v_cmp_ge_u64_e32 vcc, v[8:9], v[38:39]
	s_orn2_b64 vcc, vcc, exec
	s_branch .LBB6_702
.LBB6_707:                              ;   in Loop: Header=BB6_303 Depth=3
	s_or_b64 exec, exec, s[34:35]
	s_and_saveexec_b64 vcc, s[36:37]
	s_xor_b64 vcc, exec, vcc
	s_cbranch_execz .LBB6_709
; %bb.708:                              ;   in Loop: Header=BB6_303 Depth=3
	ds_write_b32 v0, v75
	s_trap 2
.LBB6_709:                              ;   in Loop: Header=BB6_303 Depth=3
	s_or_b64 exec, exec, s[30:31]
	;;#ASMSTART
	s_wakeup
	;;#ASMEND
.LBB6_710:                              ;   in Loop: Header=BB6_303 Depth=3
	s_or_b64 exec, exec, s[94:95]
.LBB6_711:                              ;   in Loop: Header=BB6_303 Depth=3
	s_andn2_saveexec_b64 s[28:29], s[28:29]
	s_cbranch_execz .LBB6_713
; %bb.712:                              ;   in Loop: Header=BB6_303 Depth=3
	s_waitcnt lgkmcnt(0)
	s_barrier
.LBB6_713:                              ;   in Loop: Header=BB6_303 Depth=3
	s_or_b64 exec, exec, s[28:29]
	s_or_b64 exec, exec, s[26:27]
                                        ; implicit-def: $vgpr2
	s_and_saveexec_b64 s[26:27], s[20:21]
	s_xor_b64 s[26:27], exec, s[26:27]
	s_cbranch_execnz .LBB6_379
.LBB6_714:                              ;   in Loop: Header=BB6_303 Depth=3
	s_andn2_saveexec_b64 s[24:25], s[26:27]
	s_cbranch_execz .LBB6_733
.LBB6_715:                              ;   in Loop: Header=BB6_303 Depth=3
	s_and_saveexec_b64 s[26:27], s[44:45]
	s_xor_b64 s[26:27], exec, s[26:27]
	s_cbranch_execz .LBB6_730
; %bb.716:                              ;   in Loop: Header=BB6_303 Depth=3
	s_and_saveexec_b64 s[28:29], s[12:13]
	s_cbranch_execz .LBB6_729
; %bb.717:                              ;   in Loop: Header=BB6_303 Depth=3
	s_mov_b64 s[30:31], exec
	v_mbcnt_lo_u32_b32 v2, s30, 0
	v_mbcnt_hi_u32_b32 v2, s31, v2
	v_cmp_eq_u32_e32 vcc, 0, v2
	;;#ASMSTART
	s_waitcnt lgkmcnt(0) vmcnt(0)
	;;#ASMEND
	s_and_saveexec_b64 s[94:95], vcc
	s_cbranch_execz .LBB6_719
; %bb.718:                              ;   in Loop: Header=BB6_303 Depth=3
	s_bcnt1_i32_b64 s9, s[30:31]
	v_mov_b32_e32 v2, s9
	s_waitcnt lgkmcnt(0)
	ds_add_u64 v0, v[2:3]
	s_trap 2
.LBB6_719:                              ;   in Loop: Header=BB6_303 Depth=3
	s_or_b64 exec, exec, s[94:95]
	s_trap 2
	ds_read_b64 v[8:9], v0
	s_waitcnt lgkmcnt(0)
	v_lshl_add_u64 v[38:39], v[38:39], 0, v[52:53]
	v_cmp_lt_u64_e32 vcc, v[8:9], v[38:39]
	s_and_saveexec_b64 s[94:95], vcc
	s_cbranch_execz .LBB6_728
; %bb.720:                              ;   in Loop: Header=BB6_303 Depth=3
	s_mov_b32 s9, 0
	s_mov_b64 s[30:31], 0
                                        ; implicit-def: $sgpr34_sgpr35
                                        ; implicit-def: $sgpr36_sgpr37
	s_branch .LBB6_722
.LBB6_721:                              ;   in Loop: Header=BB6_722 Depth=4
	s_or_b64 exec, exec, s[48:49]
	s_and_b64 vcc, exec, vcc
	s_or_b64 s[30:31], vcc, s[30:31]
	s_andn2_b64 vcc, s[34:35], exec
	s_and_b64 s[34:35], s[36:37], exec
	s_or_b64 s[34:35], vcc, s[34:35]
	s_andn2_b64 exec, exec, s[30:31]
	s_cbranch_execz .LBB6_726
.LBB6_722:                              ;   Parent Loop BB6_47 Depth=1
                                        ;     Parent Loop BB6_300 Depth=2
                                        ;       Parent Loop BB6_303 Depth=3
                                        ; =>      This Inner Loop Header: Depth=4
	s_add_i32 s9, s9, 1
	s_cmpk_lg_i32 s9, 0x2710
	s_cselect_b64 s[38:39], -1, 0
	s_and_b64 vcc, exec, s[38:39]
	s_cbranch_vccz .LBB6_724
; %bb.723:                              ;   in Loop: Header=BB6_722 Depth=4
	s_mov_b64 vcc, -1
	s_or_b64 s[36:37], s[36:37], exec
	s_and_saveexec_b64 s[48:49], s[38:39]
	s_cbranch_execz .LBB6_721
	s_branch .LBB6_725
.LBB6_724:                              ;   in Loop: Header=BB6_722 Depth=4
	s_trap 2
	ds_read_b64 v[8:9], v0
	s_andn2_b64 s[38:39], s[38:39], exec
	s_mov_b32 s9, 0
	s_waitcnt vmcnt(0) lgkmcnt(0)
	flat_load_dword v2, v[8:9] sc0 sc1
	s_waitcnt vmcnt(0) lgkmcnt(0)
	buffer_inv sc0 sc1
	v_cmp_eq_u32_e32 vcc, 0, v2
	s_and_b64 vcc, vcc, exec
	s_or_b64 s[38:39], s[38:39], vcc
	s_mov_b64 vcc, -1
	s_or_b64 s[36:37], s[36:37], exec
	s_and_saveexec_b64 s[48:49], s[38:39]
	s_cbranch_execz .LBB6_721
.LBB6_725:                              ;   in Loop: Header=BB6_722 Depth=4
	s_sleep 1
	s_trap 2
	ds_read_b64 v[8:9], v0
	s_waitcnt lgkmcnt(0)
	s_andn2_b64 s[36:37], s[36:37], exec
	v_cmp_ge_u64_e32 vcc, v[8:9], v[38:39]
	s_orn2_b64 vcc, vcc, exec
	s_branch .LBB6_721
.LBB6_726:                              ;   in Loop: Header=BB6_303 Depth=3
	s_or_b64 exec, exec, s[30:31]
	s_and_saveexec_b64 vcc, s[34:35]
	s_xor_b64 vcc, exec, vcc
	s_cbranch_execz .LBB6_728
; %bb.727:                              ;   in Loop: Header=BB6_303 Depth=3
	ds_write_b32 v0, v75
	s_trap 2
.LBB6_728:                              ;   in Loop: Header=BB6_303 Depth=3
	s_or_b64 exec, exec, s[94:95]
	;;#ASMSTART
	s_wakeup
	;;#ASMEND
.LBB6_729:                              ;   in Loop: Header=BB6_303 Depth=3
	s_or_b64 exec, exec, s[28:29]
.LBB6_730:                              ;   in Loop: Header=BB6_303 Depth=3
	s_andn2_saveexec_b64 s[26:27], s[26:27]
	s_cbranch_execz .LBB6_732
; %bb.731:                              ;   in Loop: Header=BB6_303 Depth=3
	;;#ASMSTART
	s_waitcnt lgkmcnt(0) vmcnt(0)
	;;#ASMEND
	s_barrier
.LBB6_732:                              ;   in Loop: Header=BB6_303 Depth=3
	s_or_b64 exec, exec, s[26:27]
	v_and_b32_e32 v2, 16, v62
.LBB6_733:                              ;   in Loop: Header=BB6_303 Depth=3
	s_or_b64 exec, exec, s[24:25]
	v_cmp_ne_u32_e32 vcc, 0, v2
	s_xor_b64 s[24:25], s[6:7], -1
	s_and_b64 s[26:27], vcc, s[24:25]
	s_and_saveexec_b64 s[24:25], s[26:27]
	s_cbranch_execz .LBB6_735
; %bb.734:                              ;   in Loop: Header=BB6_303 Depth=3
	flat_store_dword v[36:37], v75 sc0 sc1
.LBB6_735:                              ;   in Loop: Header=BB6_303 Depth=3
	s_or_b64 exec, exec, s[24:25]
	v_and_b32_e32 v2, 48, v62
	v_cmp_ne_u32_e32 vcc, 0, v2
	s_and_saveexec_b64 s[24:25], vcc
	s_cbranch_execz .LBB6_302
; %bb.736:                              ;   in Loop: Header=BB6_303 Depth=3
	v_lshl_add_u64 v[112:113], v[112:113], 0, 2
	flat_store_dwordx2 v[32:33], v[112:113] sc0 sc1
	s_branch .LBB6_302
.LBB6_737:                              ;   in Loop: Header=BB6_300 Depth=2
	s_or_b64 exec, exec, s[90:91]
.LBB6_738:                              ;   in Loop: Header=BB6_300 Depth=2
	s_or_b64 exec, exec, s[88:89]
	v_cmp_gt_i32_e32 vcc, 2, v2
	s_and_saveexec_b64 s[26:27], vcc
	s_cbranch_execz .LBB6_299
; %bb.739:                              ;   in Loop: Header=BB6_300 Depth=2
	v_cmp_eq_u32_e64 s[88:89], 0, v2
	s_mov_b64 s[28:29], 0
	s_branch .LBB6_741
.LBB6_740:                              ;   in Loop: Header=BB6_741 Depth=3
	s_or_b64 exec, exec, s[24:25]
	v_add_u32_e32 v18, v16, v18
	s_mov_b64 s[88:89], 0
	s_andn2_b64 exec, exec, s[28:29]
	s_cbranch_execz .LBB6_298
.LBB6_741:                              ;   Parent Loop BB6_47 Depth=1
                                        ;     Parent Loop BB6_300 Depth=2
                                        ; =>    This Loop Header: Depth=3
                                        ;         Child Loop BB6_747 Depth 4
                                        ;         Child Loop BB6_775 Depth 4
	;; [unrolled: 1-line block ×3, first 2 shown]
	v_sub_u32_e32 v2, v56, v18
	v_min_i32_e32 v16, v16, v2
	v_and_b32_e32 v2, 12, v62
	v_cmp_ne_u32_e32 vcc, 0, v2
	s_and_saveexec_b64 s[90:91], vcc
	s_cbranch_execz .LBB6_767
; %bb.742:                              ;   in Loop: Header=BB6_741 Depth=3
	v_and_b32_e32 v2, 8, v62
	s_waitcnt vmcnt(0) lgkmcnt(0)
	v_lshl_add_u64 v[10:11], v[48:49], 0, v[2:3]
	v_lshl_add_u64 v[8:9], v[112:113], 0, 2
	v_cmp_lt_u64_e32 vcc, v[10:11], v[8:9]
	s_and_saveexec_b64 s[92:93], vcc
	s_cbranch_execz .LBB6_754
; %bb.743:                              ;   in Loop: Header=BB6_741 Depth=3
	v_and_b32_e32 v10, 64, v62
	s_mov_b32 s8, 0
	v_cmp_eq_u32_e32 vcc, 0, v10
	s_mov_b64 s[94:95], 0
                                        ; implicit-def: $sgpr30_sgpr31
                                        ; implicit-def: $sgpr34_sgpr35
                                        ; implicit-def: $sgpr36_sgpr37
	s_branch .LBB6_747
.LBB6_744:                              ;   in Loop: Header=BB6_747 Depth=4
	s_waitcnt vmcnt(0) lgkmcnt(0)
	v_lshl_add_u64 v[12:13], v[48:49], 0, v[2:3]
	v_cmp_ge_u64_e64 s[24:25], v[12:13], v[8:9]
	s_or_b64 s[50:51], s[50:51], exec
	s_orn2_b64 s[48:49], s[24:25], exec
.LBB6_745:                              ;   in Loop: Header=BB6_747 Depth=4
	s_or_b64 exec, exec, s[54:55]
	s_andn2_b64 s[24:25], s[36:37], exec
	s_and_b64 s[36:37], s[50:51], exec
	s_or_b64 s[36:37], s[24:25], s[36:37]
	s_andn2_b64 s[24:25], s[34:35], exec
	s_and_b64 s[34:35], s[48:49], exec
	s_or_b64 s[34:35], s[24:25], s[34:35]
.LBB6_746:                              ;   in Loop: Header=BB6_747 Depth=4
	s_or_b64 exec, exec, s[38:39]
	s_and_b64 s[24:25], exec, s[34:35]
	s_or_b64 s[94:95], s[24:25], s[94:95]
	s_andn2_b64 s[24:25], s[30:31], exec
	s_and_b64 s[30:31], s[36:37], exec
	s_or_b64 s[30:31], s[24:25], s[30:31]
	s_andn2_b64 exec, exec, s[94:95]
	s_cbranch_execz .LBB6_751
.LBB6_747:                              ;   Parent Loop BB6_47 Depth=1
                                        ;     Parent Loop BB6_300 Depth=2
                                        ;       Parent Loop BB6_741 Depth=3
                                        ; =>      This Inner Loop Header: Depth=4
	s_sleep 1
	s_waitcnt vmcnt(0) lgkmcnt(0)
	flat_load_dwordx2 v[48:49], v[32:33] sc0 sc1
	s_or_b64 s[36:37], s[36:37], exec
	s_or_b64 s[34:35], s[34:35], exec
                                        ; implicit-def: $vgpr10
	s_and_saveexec_b64 s[38:39], vcc
	s_cbranch_execz .LBB6_746
; %bb.748:                              ;   in Loop: Header=BB6_747 Depth=4
	s_cmpk_lt_i32 s8, 0x270f
	s_cselect_b64 s[52:53], -1, 0
	s_cmpk_gt_i32 s8, 0x270e
	s_mov_b64 s[48:49], -1
	s_cbranch_scc0 .LBB6_750
; %bb.749:                              ;   in Loop: Header=BB6_747 Depth=4
	s_trap 2
	ds_read_b64 v[10:11], v0
	s_andn2_b64 s[52:53], s[52:53], exec
	s_mov_b32 s8, 0
	s_mov_b64 s[50:51], 0
	s_waitcnt vmcnt(0) lgkmcnt(0)
	flat_load_dword v10, v[10:11] sc0 sc1
	s_waitcnt vmcnt(0) lgkmcnt(0)
	buffer_inv sc0 sc1
	v_cmp_eq_u32_e64 s[24:25], 0, v10
	s_and_b64 s[24:25], s[24:25], exec
	s_or_b64 s[52:53], s[52:53], s[24:25]
	s_and_saveexec_b64 s[54:55], s[52:53]
	s_cbranch_execz .LBB6_745
	s_branch .LBB6_744
.LBB6_750:                              ;   in Loop: Header=BB6_747 Depth=4
	s_add_i32 s8, s8, 1
	s_mov_b64 s[50:51], -1
                                        ; implicit-def: $vgpr10
	s_and_saveexec_b64 s[54:55], s[52:53]
	s_cbranch_execz .LBB6_745
	s_branch .LBB6_744
.LBB6_751:                              ;   in Loop: Header=BB6_741 Depth=3
	s_or_b64 exec, exec, s[94:95]
	s_xor_b64 s[8:9], s[30:31], -1
	s_and_saveexec_b64 s[24:25], s[8:9]
	s_xor_b64 s[24:25], exec, s[24:25]
	s_cbranch_execz .LBB6_753
; %bb.752:                              ;   in Loop: Header=BB6_741 Depth=3
	v_or_b32_e32 v62, 64, v62
	s_waitcnt lgkmcnt(0)
	ds_write_b32 v0, v10
	s_trap 2
.LBB6_753:                              ;   in Loop: Header=BB6_741 Depth=3
	s_or_b64 exec, exec, s[24:25]
.LBB6_754:                              ;   in Loop: Header=BB6_741 Depth=3
	s_or_b64 exec, exec, s[92:93]
	v_and_b32_e32 v10, 0x108, v62
	v_cmp_ne_u32_e32 vcc, s43, v10
	;;#ASMSTART
	s_wakeup
	;;#ASMEND
                                        ; implicit-def: $vgpr10_vgpr11
	s_and_saveexec_b64 s[8:9], vcc
	s_xor_b64 s[24:25], exec, s[8:9]
; %bb.755:                              ;   in Loop: Header=BB6_741 Depth=3
	v_and_b32_e32 v10, 7, v112
	v_mov_b32_e32 v11, v3
                                        ; implicit-def: $vgpr112_vgpr113
; %bb.756:                              ;   in Loop: Header=BB6_741 Depth=3
	s_andn2_saveexec_b64 s[24:25], s[24:25]
	s_cbranch_execz .LBB6_758
; %bb.757:                              ;   in Loop: Header=BB6_741 Depth=3
	v_and_b32_e32 v10, 7, v112
	v_ashrrev_i32_e32 v17, 31, v16
	v_mov_b32_e32 v11, v3
	v_mad_u64_u32 v[12:13], s[8:9], v10, 24, v[6:7]
	v_lshlrev_b64 v[14:15], 1, v[16:17]
	flat_store_dwordx2 v[12:13], v[14:15] offset:8
.LBB6_758:                              ;   in Loop: Header=BB6_741 Depth=3
	s_or_b64 exec, exec, s[24:25]
	v_and_b32_e32 v12, 0x100, v62
	v_cmp_ne_u32_e32 vcc, 0, v12
	s_mov_b64 s[24:25], -1
                                        ; implicit-def: $vgpr12_vgpr13
	s_and_saveexec_b64 s[92:93], vcc
	s_cbranch_execz .LBB6_762
; %bb.759:                              ;   in Loop: Header=BB6_741 Depth=3
	v_mad_u64_u32 v[14:15], s[8:9], v10, 24, v[6:7]
	v_mov_b32_e32 v12, v15
	v_mad_u64_u32 v[12:13], s[8:9], v11, 24, v[12:13]
	v_mov_b32_e32 v15, v12
	flat_load_dword v12, v[14:15]
	s_waitcnt vmcnt(0) lgkmcnt(0)
	v_cmp_ne_u32_e32 vcc, 1, v12
	v_cmp_eq_u32_e64 s[24:25], 1, v12
                                        ; implicit-def: $vgpr12_vgpr13
	s_and_saveexec_b64 s[94:95], s[24:25]
	s_cbranch_execz .LBB6_761
; %bb.760:                              ;   in Loop: Header=BB6_741 Depth=3
	flat_load_dword v12, v[14:15] offset:4 sc0 sc1
	s_waitcnt vmcnt(0) lgkmcnt(0)
	v_ashrrev_i32_e32 v13, 31, v12
	v_lshrrev_b64 v[12:13], 1, v[12:13]
.LBB6_761:                              ;   in Loop: Header=BB6_741 Depth=3
	s_or_b64 exec, exec, s[94:95]
	s_orn2_b64 s[24:25], vcc, exec
.LBB6_762:                              ;   in Loop: Header=BB6_741 Depth=3
	s_or_b64 exec, exec, s[92:93]
	s_and_saveexec_b64 s[92:93], s[24:25]
; %bb.763:                              ;   in Loop: Header=BB6_741 Depth=3
	v_mul_lo_u32 v11, v11, v30
	v_mul_lo_u32 v14, v10, v51
	v_mad_u64_u32 v[12:13], s[8:9], v10, v30, 0
	v_add3_u32 v13, v13, v14, v11
; %bb.764:                              ;   in Loop: Header=BB6_741 Depth=3
	s_or_b64 exec, exec, s[92:93]
	v_cmp_eq_u32_e32 vcc, 0, v2
	v_lshl_add_u64 v[10:11], v[12:13], 1, v[34:35]
	s_nop 0
	v_cndmask_b32_e32 v2, v76, v77, vcc
	v_add_u32_e32 v2, v0, v2
	ds_write_b64 v2, v[10:11] offset:584
	v_and_b32_e32 v2, 0x2000, v62
	v_cmp_ne_u32_e32 vcc, 0, v2
	s_and_saveexec_b64 s[24:25], vcc
	s_cbranch_execz .LBB6_766
; %bb.765:                              ;   in Loop: Header=BB6_741 Depth=3
	ds_read_b64 v[10:11], v0 offset:872
	s_waitcnt lgkmcnt(0)
	v_lshl_add_u64 v[10:11], v[10:11], 0, 1
	ds_write_b64 v0, v[10:11] offset:872
.LBB6_766:                              ;   in Loop: Header=BB6_741 Depth=3
	s_or_b64 exec, exec, s[24:25]
	v_mov_b64_e32 v[112:113], v[8:9]
.LBB6_767:                              ;   in Loop: Header=BB6_741 Depth=3
	s_or_b64 exec, exec, s[90:91]
	s_xor_b64 s[8:9], s[88:89], -1
	s_and_b64 s[8:9], exec, s[8:9]
	s_or_b64 s[28:29], s[8:9], s[28:29]
	s_and_saveexec_b64 s[24:25], s[4:5]
	s_cbranch_execz .LBB6_786
; %bb.768:                              ;   in Loop: Header=BB6_741 Depth=3
	s_and_saveexec_b64 s[8:9], s[44:45]
	s_xor_b64 s[88:89], exec, s[8:9]
	s_cbranch_execz .LBB6_783
; %bb.769:                              ;   in Loop: Header=BB6_741 Depth=3
	s_and_saveexec_b64 s[90:91], s[12:13]
	s_cbranch_execz .LBB6_782
; %bb.770:                              ;   in Loop: Header=BB6_741 Depth=3
	s_mov_b64 s[94:95], exec
	v_mbcnt_lo_u32_b32 v2, s94, 0
	v_mbcnt_hi_u32_b32 v2, s95, v2
	v_cmp_eq_u32_e32 vcc, 0, v2
	s_waitcnt lgkmcnt(0)
	s_and_saveexec_b64 s[92:93], vcc
	s_cbranch_execz .LBB6_772
; %bb.771:                              ;   in Loop: Header=BB6_741 Depth=3
	s_bcnt1_i32_b64 s8, s[94:95]
	v_mov_b32_e32 v2, s8
	ds_add_u64 v0, v[2:3]
	s_trap 2
.LBB6_772:                              ;   in Loop: Header=BB6_741 Depth=3
	s_or_b64 exec, exec, s[92:93]
	s_trap 2
	ds_read_b64 v[8:9], v0
	s_waitcnt lgkmcnt(0)
	v_lshl_add_u64 v[38:39], v[38:39], 0, v[52:53]
	v_cmp_lt_u64_e32 vcc, v[8:9], v[38:39]
	s_and_saveexec_b64 s[92:93], vcc
	s_cbranch_execz .LBB6_781
; %bb.773:                              ;   in Loop: Header=BB6_741 Depth=3
	s_mov_b32 s8, 0
	s_mov_b64 s[94:95], 0
                                        ; implicit-def: $sgpr30_sgpr31
                                        ; implicit-def: $sgpr34_sgpr35
	s_branch .LBB6_775
.LBB6_774:                              ;   in Loop: Header=BB6_775 Depth=4
	s_or_b64 exec, exec, s[38:39]
	s_and_b64 vcc, exec, vcc
	s_or_b64 s[94:95], vcc, s[94:95]
	s_andn2_b64 vcc, s[30:31], exec
	s_and_b64 s[30:31], s[34:35], exec
	s_or_b64 s[30:31], vcc, s[30:31]
	s_andn2_b64 exec, exec, s[94:95]
	s_cbranch_execz .LBB6_779
.LBB6_775:                              ;   Parent Loop BB6_47 Depth=1
                                        ;     Parent Loop BB6_300 Depth=2
                                        ;       Parent Loop BB6_741 Depth=3
                                        ; =>      This Inner Loop Header: Depth=4
	s_add_i32 s8, s8, 1
	s_cmpk_lg_i32 s8, 0x2710
	s_cselect_b64 s[36:37], -1, 0
	s_and_b64 vcc, exec, s[36:37]
	s_cbranch_vccz .LBB6_777
; %bb.776:                              ;   in Loop: Header=BB6_775 Depth=4
	s_mov_b64 vcc, -1
	s_or_b64 s[34:35], s[34:35], exec
	s_and_saveexec_b64 s[38:39], s[36:37]
	s_cbranch_execz .LBB6_774
	s_branch .LBB6_778
.LBB6_777:                              ;   in Loop: Header=BB6_775 Depth=4
	s_trap 2
	ds_read_b64 v[8:9], v0
	s_andn2_b64 s[36:37], s[36:37], exec
	s_mov_b32 s8, 0
	s_waitcnt vmcnt(0) lgkmcnt(0)
	flat_load_dword v2, v[8:9] sc0 sc1
	s_waitcnt vmcnt(0) lgkmcnt(0)
	buffer_inv sc0 sc1
	v_cmp_eq_u32_e32 vcc, 0, v2
	s_and_b64 vcc, vcc, exec
	s_or_b64 s[36:37], s[36:37], vcc
	s_mov_b64 vcc, -1
	s_or_b64 s[34:35], s[34:35], exec
	s_and_saveexec_b64 s[38:39], s[36:37]
	s_cbranch_execz .LBB6_774
.LBB6_778:                              ;   in Loop: Header=BB6_775 Depth=4
	s_sleep 1
	s_trap 2
	ds_read_b64 v[8:9], v0
	s_waitcnt lgkmcnt(0)
	s_andn2_b64 s[34:35], s[34:35], exec
	v_cmp_ge_u64_e32 vcc, v[8:9], v[38:39]
	s_orn2_b64 vcc, vcc, exec
	s_branch .LBB6_774
.LBB6_779:                              ;   in Loop: Header=BB6_741 Depth=3
	s_or_b64 exec, exec, s[94:95]
	s_and_saveexec_b64 s[8:9], s[30:31]
	s_xor_b64 s[8:9], exec, s[8:9]
	s_cbranch_execz .LBB6_781
; %bb.780:                              ;   in Loop: Header=BB6_741 Depth=3
	ds_write_b32 v0, v75
	s_trap 2
.LBB6_781:                              ;   in Loop: Header=BB6_741 Depth=3
	s_or_b64 exec, exec, s[92:93]
	;;#ASMSTART
	s_wakeup
	;;#ASMEND
.LBB6_782:                              ;   in Loop: Header=BB6_741 Depth=3
	s_or_b64 exec, exec, s[90:91]
.LBB6_783:                              ;   in Loop: Header=BB6_741 Depth=3
	s_andn2_saveexec_b64 s[88:89], s[88:89]
	s_cbranch_execz .LBB6_785
; %bb.784:                              ;   in Loop: Header=BB6_741 Depth=3
	s_waitcnt lgkmcnt(0)
	s_barrier
.LBB6_785:                              ;   in Loop: Header=BB6_741 Depth=3
	s_or_b64 exec, exec, s[88:89]
.LBB6_786:                              ;   in Loop: Header=BB6_741 Depth=3
	s_or_b64 exec, exec, s[24:25]
                                        ; implicit-def: $vgpr2
	s_and_saveexec_b64 s[8:9], s[76:77]
	s_xor_b64 s[24:25], exec, s[8:9]
	s_cbranch_execz .LBB6_798
; %bb.787:                              ;   in Loop: Header=BB6_741 Depth=3
	s_and_saveexec_b64 s[8:9], s[44:45]
	s_xor_b64 s[88:89], exec, s[8:9]
	s_cbranch_execz .LBB6_803
; %bb.788:                              ;   in Loop: Header=BB6_741 Depth=3
	s_and_saveexec_b64 s[90:91], s[12:13]
	s_cbranch_execz .LBB6_802
; %bb.789:                              ;   in Loop: Header=BB6_741 Depth=3
	s_mov_b64 s[94:95], exec
	v_mbcnt_lo_u32_b32 v2, s94, 0
	v_mbcnt_hi_u32_b32 v2, s95, v2
	v_cmp_eq_u32_e32 vcc, 0, v2
	;;#ASMSTART
	s_waitcnt lgkmcnt(0) vmcnt(0)
	;;#ASMEND
	s_and_saveexec_b64 s[92:93], vcc
	s_cbranch_execz .LBB6_791
; %bb.790:                              ;   in Loop: Header=BB6_741 Depth=3
	s_bcnt1_i32_b64 s8, s[94:95]
	v_mov_b32_e32 v2, s8
	s_waitcnt lgkmcnt(0)
	ds_add_u64 v0, v[2:3]
	s_trap 2
.LBB6_791:                              ;   in Loop: Header=BB6_741 Depth=3
	s_or_b64 exec, exec, s[92:93]
	s_trap 2
	ds_read_b64 v[8:9], v0
	s_waitcnt lgkmcnt(0)
	v_lshl_add_u64 v[38:39], v[38:39], 0, v[52:53]
	v_cmp_lt_u64_e32 vcc, v[8:9], v[38:39]
	s_and_saveexec_b64 s[92:93], vcc
	s_cbranch_execz .LBB6_801
; %bb.792:                              ;   in Loop: Header=BB6_741 Depth=3
	s_mov_b32 s8, 0
	s_mov_b64 s[94:95], 0
                                        ; implicit-def: $sgpr30_sgpr31
                                        ; implicit-def: $sgpr34_sgpr35
	s_branch .LBB6_794
.LBB6_793:                              ;   in Loop: Header=BB6_794 Depth=4
	s_or_b64 exec, exec, s[38:39]
	s_and_b64 vcc, exec, vcc
	s_or_b64 s[94:95], vcc, s[94:95]
	s_andn2_b64 vcc, s[30:31], exec
	s_and_b64 s[30:31], s[34:35], exec
	s_or_b64 s[30:31], vcc, s[30:31]
	s_andn2_b64 exec, exec, s[94:95]
	s_cbranch_execz .LBB6_799
.LBB6_794:                              ;   Parent Loop BB6_47 Depth=1
                                        ;     Parent Loop BB6_300 Depth=2
                                        ;       Parent Loop BB6_741 Depth=3
                                        ; =>      This Inner Loop Header: Depth=4
	s_add_i32 s8, s8, 1
	s_cmpk_lg_i32 s8, 0x2710
	s_cselect_b64 s[36:37], -1, 0
	s_and_b64 vcc, exec, s[36:37]
	s_cbranch_vccz .LBB6_796
; %bb.795:                              ;   in Loop: Header=BB6_794 Depth=4
	s_mov_b64 vcc, -1
	s_or_b64 s[34:35], s[34:35], exec
	s_and_saveexec_b64 s[38:39], s[36:37]
	s_cbranch_execz .LBB6_793
	s_branch .LBB6_797
.LBB6_796:                              ;   in Loop: Header=BB6_794 Depth=4
	s_trap 2
	ds_read_b64 v[8:9], v0
	s_andn2_b64 s[36:37], s[36:37], exec
	s_mov_b32 s8, 0
	s_waitcnt vmcnt(0) lgkmcnt(0)
	flat_load_dword v2, v[8:9] sc0 sc1
	s_waitcnt vmcnt(0) lgkmcnt(0)
	buffer_inv sc0 sc1
	v_cmp_eq_u32_e32 vcc, 0, v2
	s_and_b64 vcc, vcc, exec
	s_or_b64 s[36:37], s[36:37], vcc
	s_mov_b64 vcc, -1
	s_or_b64 s[34:35], s[34:35], exec
	s_and_saveexec_b64 s[38:39], s[36:37]
	s_cbranch_execz .LBB6_793
.LBB6_797:                              ;   in Loop: Header=BB6_794 Depth=4
	s_sleep 1
	s_trap 2
	ds_read_b64 v[8:9], v0
	s_waitcnt lgkmcnt(0)
	s_andn2_b64 s[34:35], s[34:35], exec
	v_cmp_ge_u64_e32 vcc, v[8:9], v[38:39]
	s_orn2_b64 vcc, vcc, exec
	s_branch .LBB6_793
.LBB6_798:                              ;   in Loop: Header=BB6_741 Depth=3
	s_andn2_saveexec_b64 s[24:25], s[24:25]
	s_cbranch_execnz .LBB6_806
	s_branch .LBB6_809
.LBB6_799:                              ;   in Loop: Header=BB6_741 Depth=3
	s_or_b64 exec, exec, s[94:95]
	s_and_saveexec_b64 s[8:9], s[30:31]
	s_xor_b64 s[8:9], exec, s[8:9]
	s_cbranch_execz .LBB6_801
; %bb.800:                              ;   in Loop: Header=BB6_741 Depth=3
	ds_write_b32 v0, v75
	s_trap 2
.LBB6_801:                              ;   in Loop: Header=BB6_741 Depth=3
	s_or_b64 exec, exec, s[92:93]
	;;#ASMSTART
	s_wakeup
	;;#ASMEND
.LBB6_802:                              ;   in Loop: Header=BB6_741 Depth=3
	s_or_b64 exec, exec, s[90:91]
.LBB6_803:                              ;   in Loop: Header=BB6_741 Depth=3
	s_andn2_saveexec_b64 s[88:89], s[88:89]
	s_cbranch_execz .LBB6_805
; %bb.804:                              ;   in Loop: Header=BB6_741 Depth=3
	;;#ASMSTART
	s_waitcnt lgkmcnt(0) vmcnt(0)
	;;#ASMEND
	s_barrier
.LBB6_805:                              ;   in Loop: Header=BB6_741 Depth=3
	s_or_b64 exec, exec, s[88:89]
	v_and_b32_e32 v2, 16, v62
	s_andn2_saveexec_b64 s[24:25], s[24:25]
	s_cbranch_execz .LBB6_809
.LBB6_806:                              ;   in Loop: Header=BB6_741 Depth=3
	s_trap 2
	ds_read_b32 v8, v0
	v_cmp_lt_i32_e32 vcc, 0, v16
	v_and_b32_e32 v9, 16, v62
	v_and_b32_e32 v2, 16, v62
	s_waitcnt lgkmcnt(0)
	v_readfirstlane_b32 s8, v8
	s_cmp_eq_u32 s8, 0
	s_cselect_b64 s[8:9], -1, 0
	s_and_b64 s[8:9], vcc, s[8:9]
	v_cmp_ne_u32_e32 vcc, 0, v9
	s_and_b64 s[8:9], vcc, s[8:9]
	s_and_saveexec_b64 s[88:89], s[8:9]
	s_cbranch_execz .LBB6_808
; %bb.807:                              ;   in Loop: Header=BB6_741 Depth=3
	v_mov_b32_e32 v2, 1
	buffer_wbl2 sc1
	s_waitcnt vmcnt(0)
	buffer_inv sc1
.LBB6_808:                              ;   in Loop: Header=BB6_741 Depth=3
	s_or_b64 exec, exec, s[88:89]
.LBB6_809:                              ;   in Loop: Header=BB6_741 Depth=3
	s_or_b64 exec, exec, s[24:25]
	v_cmp_ne_u32_e32 vcc, 0, v2
	s_xor_b64 s[8:9], s[6:7], -1
	s_and_b64 s[8:9], vcc, s[8:9]
	s_and_saveexec_b64 s[24:25], s[8:9]
	s_cbranch_execz .LBB6_811
; %bb.810:                              ;   in Loop: Header=BB6_741 Depth=3
	flat_store_dword v[36:37], v75 sc0 sc1
.LBB6_811:                              ;   in Loop: Header=BB6_741 Depth=3
	s_or_b64 exec, exec, s[24:25]
	v_and_b32_e32 v2, 48, v62
	v_cmp_ne_u32_e32 vcc, 0, v2
	s_and_saveexec_b64 s[24:25], vcc
	s_cbranch_execz .LBB6_740
; %bb.812:                              ;   in Loop: Header=BB6_741 Depth=3
	v_lshl_add_u64 v[112:113], v[112:113], 0, 2
	flat_store_dwordx2 v[32:33], v[112:113] sc0 sc1
	s_branch .LBB6_740
.LBB6_813:                              ;   in Loop: Header=BB6_47 Depth=1
	v_mul_lo_u32 v2, v103, s64
	v_mul_lo_u32 v10, v102, s65
	v_mad_u64_u32 v[8:9], s[8:9], v102, s64, 0
	v_add3_u32 v9, v9, v10, v2
	v_sub_co_u32_e32 v10, vcc, v114, v8
	v_mov_b32_e32 v2, 0
	s_nop 0
	v_subb_co_u32_e32 v11, vcc, v115, v9, vcc
	v_cmp_lt_i64_e32 vcc, v[102:103], v[10:11]
	v_mov_b32_e32 v18, 0
	s_nop 0
	v_cndmask_b32_e32 v10, v10, v102, vcc
	v_max_i32_e32 v60, 0, v10
	v_add_u32_e32 v11, 31, v60
	v_ashrrev_i32_e32 v12, 31, v11
	v_lshrrev_b32_e32 v12, 27, v12
	v_add_u32_e32 v11, v11, v12
	v_ashrrev_i32_e32 v11, 5, v11
	v_lshlrev_b32_e32 v11, 4, v11
	v_cmp_lt_i32_e32 vcc, 0, v10
	v_max_i32_e32 v16, s69, v11
	s_and_b64 s[8:9], s[78:79], vcc
	s_and_saveexec_b64 s[88:89], s[8:9]
	s_cbranch_execz .LBB6_1590
; %bb.814:                              ;   in Loop: Header=BB6_47 Depth=1
	v_lshl_add_u64 v[8:9], v[8:9], 0, v[116:117]
	s_mov_b32 s73, 1
	s_mov_b64 s[92:93], -1
	v_mov_b32_e32 v18, 0
	s_mov_b64 s[90:91], 0
	v_lshlrev_b64 v[20:21], 1, v[8:9]
	s_branch .LBB6_816
.LBB6_815:                              ;   in Loop: Header=BB6_816 Depth=2
	s_or_b64 exec, exec, s[24:25]
	v_add_u32_e32 v18, v16, v18
	v_cmp_ge_i32_e32 vcc, v18, v60
	s_xor_b64 s[8:9], s[92:93], -1
	s_or_b64 s[8:9], s[8:9], vcc
	s_and_b64 s[8:9], exec, s[8:9]
	s_or_b64 s[90:91], s[8:9], s[90:91]
	s_mov_b64 s[92:93], 0
	v_mov_b32_e32 v2, s73
	s_mov_b32 s73, 2
	s_andn2_b64 exec, exec, s[90:91]
	s_cbranch_execz .LBB6_1665
.LBB6_816:                              ;   Parent Loop BB6_47 Depth=1
                                        ; =>  This Loop Header: Depth=2
                                        ;       Child Loop BB6_824 Depth 3
                                        ;       Child Loop BB6_852 Depth 3
	;; [unrolled: 1-line block ×4, first 2 shown]
                                        ;         Child Loop BB6_895 Depth 4
                                        ;         Child Loop BB6_930 Depth 4
	;; [unrolled: 1-line block ×4, first 2 shown]
                                        ;       Child Loop BB6_1009 Depth 3
                                        ;       Child Loop BB6_1014 Depth 3
                                        ;         Child Loop BB6_1015 Depth 4
                                        ;         Child Loop BB6_1050 Depth 4
	;; [unrolled: 1-line block ×4, first 2 shown]
                                        ;       Child Loop BB6_1126 Depth 3
                                        ;       Child Loop BB6_1134 Depth 3
	;; [unrolled: 1-line block ×3, first 2 shown]
                                        ;         Child Loop BB6_1196 Depth 4
                                        ;         Child Loop BB6_1203 Depth 4
	;; [unrolled: 1-line block ×4, first 2 shown]
                                        ;       Child Loop BB6_1222 Depth 3
                                        ;       Child Loop BB6_1234 Depth 3
                                        ;         Child Loop BB6_1235 Depth 4
                                        ;         Child Loop BB6_1272 Depth 4
                                        ;       Child Loop BB6_1349 Depth 3
                                        ;         Child Loop BB6_1350 Depth 4
                                        ;         Child Loop BB6_1387 Depth 4
                                        ;       Child Loop BB6_1464 Depth 3
                                        ;       Child Loop BB6_1523 Depth 3
                                        ;         Child Loop BB6_1524 Depth 4
                                        ;         Child Loop BB6_1533 Depth 4
                                        ;       Child Loop BB6_1552 Depth 3
                                        ;       Child Loop BB6_1575 Depth 3
	s_and_saveexec_b64 s[24:25], s[0:1]
	s_cbranch_execz .LBB6_818
; %bb.817:                              ;   in Loop: Header=BB6_816 Depth=2
	s_trap 2
	ds_read2_b64 v[8:11], v0 offset1:1
	ds_read_b64 v[12:13], v0
	v_ashrrev_i32_e32 v19, 31, v18
	v_lshlrev_b64 v[14:15], 1, v[18:19]
	s_waitcnt lgkmcnt(0)
	v_lshl_add_u64 v[8:9], v[8:9], 0, v[20:21]
	v_lshl_add_u64 v[8:9], v[8:9], 0, v[14:15]
	ds_write_b64 v0, v[8:9]
	v_lshl_add_u64 v[8:9], v[10:11], 0, v[20:21]
	v_lshl_add_u64 v[8:9], v[8:9], 0, v[14:15]
	ds_write_b64 v0, v[8:9]
	v_lshl_add_u64 v[8:9], v[12:13], 0, v[20:21]
	v_lshl_add_u64 v[8:9], v[8:9], 0, v[14:15]
	v_cmp_ne_u64_e32 vcc, 0, v[12:13]
	s_nop 1
	v_cndmask_b32_e32 v9, 0, v9, vcc
	v_cndmask_b32_e32 v8, 0, v8, vcc
	ds_write_b64 v0, v[8:9]
.LBB6_818:                              ;   in Loop: Header=BB6_816 Depth=2
	s_or_b64 exec, exec, s[24:25]
	v_sub_u32_e32 v2, v60, v18
	v_min_i32_e32 v16, v16, v2
	v_and_b32_e32 v2, 12, v62
	v_cmp_ne_u32_e32 vcc, 0, v2
	s_and_saveexec_b64 s[26:27], vcc
	s_cbranch_execz .LBB6_844
; %bb.819:                              ;   in Loop: Header=BB6_816 Depth=2
	v_and_b32_e32 v2, 8, v62
	s_waitcnt vmcnt(0) lgkmcnt(0)
	v_lshl_add_u64 v[10:11], v[48:49], 0, v[2:3]
	v_lshl_add_u64 v[8:9], v[112:113], 0, 2
	v_cmp_lt_u64_e32 vcc, v[10:11], v[8:9]
	s_and_saveexec_b64 s[28:29], vcc
	s_cbranch_execz .LBB6_831
; %bb.820:                              ;   in Loop: Header=BB6_816 Depth=2
	v_and_b32_e32 v10, 64, v62
	s_mov_b32 s8, 0
	v_cmp_eq_u32_e32 vcc, 0, v10
	s_mov_b64 s[94:95], 0
                                        ; implicit-def: $sgpr30_sgpr31
                                        ; implicit-def: $sgpr34_sgpr35
                                        ; implicit-def: $sgpr36_sgpr37
	s_branch .LBB6_824
.LBB6_821:                              ;   in Loop: Header=BB6_824 Depth=3
	s_waitcnt vmcnt(0) lgkmcnt(0)
	v_lshl_add_u64 v[12:13], v[48:49], 0, v[2:3]
	v_cmp_ge_u64_e64 s[24:25], v[12:13], v[8:9]
	s_or_b64 s[50:51], s[50:51], exec
	s_orn2_b64 s[48:49], s[24:25], exec
.LBB6_822:                              ;   in Loop: Header=BB6_824 Depth=3
	s_or_b64 exec, exec, s[54:55]
	s_andn2_b64 s[24:25], s[36:37], exec
	s_and_b64 s[36:37], s[50:51], exec
	s_or_b64 s[36:37], s[24:25], s[36:37]
	s_andn2_b64 s[24:25], s[34:35], exec
	s_and_b64 s[34:35], s[48:49], exec
	s_or_b64 s[34:35], s[24:25], s[34:35]
.LBB6_823:                              ;   in Loop: Header=BB6_824 Depth=3
	s_or_b64 exec, exec, s[38:39]
	s_and_b64 s[24:25], exec, s[34:35]
	s_or_b64 s[94:95], s[24:25], s[94:95]
	s_andn2_b64 s[24:25], s[30:31], exec
	s_and_b64 s[30:31], s[36:37], exec
	s_or_b64 s[30:31], s[24:25], s[30:31]
	s_andn2_b64 exec, exec, s[94:95]
	s_cbranch_execz .LBB6_828
.LBB6_824:                              ;   Parent Loop BB6_47 Depth=1
                                        ;     Parent Loop BB6_816 Depth=2
                                        ; =>    This Inner Loop Header: Depth=3
	s_sleep 1
	s_waitcnt vmcnt(0) lgkmcnt(0)
	flat_load_dwordx2 v[48:49], v[32:33] sc0 sc1
	s_or_b64 s[36:37], s[36:37], exec
	s_or_b64 s[34:35], s[34:35], exec
                                        ; implicit-def: $vgpr10
	s_and_saveexec_b64 s[38:39], vcc
	s_cbranch_execz .LBB6_823
; %bb.825:                              ;   in Loop: Header=BB6_824 Depth=3
	s_cmpk_lt_i32 s8, 0x270f
	s_cselect_b64 s[52:53], -1, 0
	s_cmpk_gt_i32 s8, 0x270e
	s_mov_b64 s[48:49], -1
	s_cbranch_scc0 .LBB6_827
; %bb.826:                              ;   in Loop: Header=BB6_824 Depth=3
	s_trap 2
	ds_read_b64 v[10:11], v0
	s_andn2_b64 s[52:53], s[52:53], exec
	s_mov_b32 s8, 0
	s_mov_b64 s[50:51], 0
	s_waitcnt vmcnt(0) lgkmcnt(0)
	flat_load_dword v10, v[10:11] sc0 sc1
	s_waitcnt vmcnt(0) lgkmcnt(0)
	buffer_inv sc0 sc1
	v_cmp_eq_u32_e64 s[24:25], 0, v10
	s_and_b64 s[24:25], s[24:25], exec
	s_or_b64 s[52:53], s[52:53], s[24:25]
	s_and_saveexec_b64 s[54:55], s[52:53]
	s_cbranch_execz .LBB6_822
	s_branch .LBB6_821
.LBB6_827:                              ;   in Loop: Header=BB6_824 Depth=3
	s_add_i32 s8, s8, 1
	s_mov_b64 s[50:51], -1
                                        ; implicit-def: $vgpr10
	s_and_saveexec_b64 s[54:55], s[52:53]
	s_cbranch_execz .LBB6_822
	s_branch .LBB6_821
.LBB6_828:                              ;   in Loop: Header=BB6_816 Depth=2
	s_or_b64 exec, exec, s[94:95]
	s_xor_b64 s[8:9], s[30:31], -1
	s_and_saveexec_b64 s[24:25], s[8:9]
	s_xor_b64 s[24:25], exec, s[24:25]
	s_cbranch_execz .LBB6_830
; %bb.829:                              ;   in Loop: Header=BB6_816 Depth=2
	v_or_b32_e32 v62, 64, v62
	s_waitcnt lgkmcnt(0)
	ds_write_b32 v0, v10
	s_trap 2
.LBB6_830:                              ;   in Loop: Header=BB6_816 Depth=2
	s_or_b64 exec, exec, s[24:25]
.LBB6_831:                              ;   in Loop: Header=BB6_816 Depth=2
	s_or_b64 exec, exec, s[28:29]
	v_and_b32_e32 v10, 0x108, v62
	v_cmp_ne_u32_e32 vcc, s43, v10
	;;#ASMSTART
	s_wakeup
	;;#ASMEND
                                        ; implicit-def: $vgpr10_vgpr11
	s_and_saveexec_b64 s[8:9], vcc
	s_xor_b64 s[24:25], exec, s[8:9]
; %bb.832:                              ;   in Loop: Header=BB6_816 Depth=2
	v_and_b32_e32 v10, 7, v112
	v_mov_b32_e32 v11, v3
                                        ; implicit-def: $vgpr112_vgpr113
; %bb.833:                              ;   in Loop: Header=BB6_816 Depth=2
	s_andn2_saveexec_b64 s[24:25], s[24:25]
	s_cbranch_execz .LBB6_835
; %bb.834:                              ;   in Loop: Header=BB6_816 Depth=2
	v_and_b32_e32 v10, 7, v112
	v_ashrrev_i32_e32 v17, 31, v16
	v_mov_b32_e32 v11, v3
	v_mad_u64_u32 v[12:13], s[8:9], v10, 24, v[6:7]
	v_lshlrev_b64 v[14:15], 1, v[16:17]
	flat_store_dwordx2 v[12:13], v[14:15] offset:8
.LBB6_835:                              ;   in Loop: Header=BB6_816 Depth=2
	s_or_b64 exec, exec, s[24:25]
	v_and_b32_e32 v12, 0x100, v62
	v_cmp_ne_u32_e32 vcc, 0, v12
	s_mov_b64 s[24:25], -1
                                        ; implicit-def: $vgpr12_vgpr13
	s_and_saveexec_b64 s[28:29], vcc
	s_cbranch_execz .LBB6_839
; %bb.836:                              ;   in Loop: Header=BB6_816 Depth=2
	v_mad_u64_u32 v[14:15], s[8:9], v10, 24, v[6:7]
	v_mov_b32_e32 v12, v15
	v_mad_u64_u32 v[12:13], s[8:9], v11, 24, v[12:13]
	v_mov_b32_e32 v15, v12
	flat_load_dword v12, v[14:15]
	s_waitcnt vmcnt(0) lgkmcnt(0)
	v_cmp_ne_u32_e32 vcc, 1, v12
	v_cmp_eq_u32_e64 s[24:25], 1, v12
                                        ; implicit-def: $vgpr12_vgpr13
	s_and_saveexec_b64 s[94:95], s[24:25]
	s_cbranch_execz .LBB6_838
; %bb.837:                              ;   in Loop: Header=BB6_816 Depth=2
	flat_load_dword v12, v[14:15] offset:4 sc0 sc1
	s_waitcnt vmcnt(0) lgkmcnt(0)
	v_ashrrev_i32_e32 v13, 31, v12
	v_lshrrev_b64 v[12:13], 1, v[12:13]
.LBB6_838:                              ;   in Loop: Header=BB6_816 Depth=2
	s_or_b64 exec, exec, s[94:95]
	s_orn2_b64 s[24:25], vcc, exec
.LBB6_839:                              ;   in Loop: Header=BB6_816 Depth=2
	s_or_b64 exec, exec, s[28:29]
	s_and_saveexec_b64 s[28:29], s[24:25]
; %bb.840:                              ;   in Loop: Header=BB6_816 Depth=2
	v_mul_lo_u32 v11, v11, v30
	v_mul_lo_u32 v14, v10, v51
	v_mad_u64_u32 v[12:13], s[8:9], v10, v30, 0
	v_add3_u32 v13, v13, v14, v11
; %bb.841:                              ;   in Loop: Header=BB6_816 Depth=2
	s_or_b64 exec, exec, s[28:29]
	v_cmp_eq_u32_e32 vcc, 0, v2
	v_lshl_add_u64 v[10:11], v[12:13], 1, v[34:35]
	s_nop 0
	v_cndmask_b32_e32 v2, v88, v77, vcc
	v_add_u32_e32 v2, v0, v2
	ds_write_b64 v2, v[10:11] offset:584
	v_and_b32_e32 v2, 0x2000, v62
	v_cmp_ne_u32_e32 vcc, 0, v2
	s_and_saveexec_b64 s[24:25], vcc
	s_cbranch_execz .LBB6_843
; %bb.842:                              ;   in Loop: Header=BB6_816 Depth=2
	ds_read_b64 v[10:11], v0 offset:872
	s_waitcnt lgkmcnt(0)
	v_lshl_add_u64 v[10:11], v[10:11], 0, 1
	ds_write_b64 v0, v[10:11] offset:872
.LBB6_843:                              ;   in Loop: Header=BB6_816 Depth=2
	s_or_b64 exec, exec, s[24:25]
	v_mov_b64_e32 v[112:113], v[8:9]
.LBB6_844:                              ;   in Loop: Header=BB6_816 Depth=2
	s_or_b64 exec, exec, s[26:27]
	s_and_saveexec_b64 s[24:25], s[4:5]
	s_cbranch_execz .LBB6_863
; %bb.845:                              ;   in Loop: Header=BB6_816 Depth=2
	s_and_saveexec_b64 s[8:9], s[44:45]
	s_xor_b64 s[26:27], exec, s[8:9]
	s_cbranch_execz .LBB6_860
; %bb.846:                              ;   in Loop: Header=BB6_816 Depth=2
	s_and_saveexec_b64 s[28:29], s[12:13]
	s_cbranch_execz .LBB6_859
; %bb.847:                              ;   in Loop: Header=BB6_816 Depth=2
	s_mov_b64 s[30:31], exec
	v_mbcnt_lo_u32_b32 v2, s30, 0
	v_mbcnt_hi_u32_b32 v2, s31, v2
	v_cmp_eq_u32_e32 vcc, 0, v2
	s_waitcnt lgkmcnt(0)
	s_and_saveexec_b64 s[94:95], vcc
	s_cbranch_execz .LBB6_849
; %bb.848:                              ;   in Loop: Header=BB6_816 Depth=2
	s_bcnt1_i32_b64 s8, s[30:31]
	v_mov_b32_e32 v2, s8
	ds_add_u64 v0, v[2:3]
	s_trap 2
.LBB6_849:                              ;   in Loop: Header=BB6_816 Depth=2
	s_or_b64 exec, exec, s[94:95]
	s_trap 2
	ds_read_b64 v[8:9], v0
	s_waitcnt lgkmcnt(0)
	v_lshl_add_u64 v[38:39], v[38:39], 0, v[52:53]
	v_cmp_lt_u64_e32 vcc, v[8:9], v[38:39]
	s_and_saveexec_b64 s[94:95], vcc
	s_cbranch_execz .LBB6_858
; %bb.850:                              ;   in Loop: Header=BB6_816 Depth=2
	s_mov_b32 s8, 0
	s_mov_b64 s[30:31], 0
                                        ; implicit-def: $sgpr34_sgpr35
                                        ; implicit-def: $sgpr36_sgpr37
	s_branch .LBB6_852
.LBB6_851:                              ;   in Loop: Header=BB6_852 Depth=3
	s_or_b64 exec, exec, s[48:49]
	s_and_b64 vcc, exec, vcc
	s_or_b64 s[30:31], vcc, s[30:31]
	s_andn2_b64 vcc, s[34:35], exec
	s_and_b64 s[34:35], s[36:37], exec
	s_or_b64 s[34:35], vcc, s[34:35]
	s_andn2_b64 exec, exec, s[30:31]
	s_cbranch_execz .LBB6_856
.LBB6_852:                              ;   Parent Loop BB6_47 Depth=1
                                        ;     Parent Loop BB6_816 Depth=2
                                        ; =>    This Inner Loop Header: Depth=3
	s_add_i32 s8, s8, 1
	s_cmpk_lg_i32 s8, 0x2710
	s_cselect_b64 s[38:39], -1, 0
	s_and_b64 vcc, exec, s[38:39]
	s_cbranch_vccz .LBB6_854
; %bb.853:                              ;   in Loop: Header=BB6_852 Depth=3
	s_mov_b64 vcc, -1
	s_or_b64 s[36:37], s[36:37], exec
	s_and_saveexec_b64 s[48:49], s[38:39]
	s_cbranch_execz .LBB6_851
	s_branch .LBB6_855
.LBB6_854:                              ;   in Loop: Header=BB6_852 Depth=3
	s_trap 2
	ds_read_b64 v[8:9], v0
	s_andn2_b64 s[38:39], s[38:39], exec
	s_mov_b32 s8, 0
	s_waitcnt vmcnt(0) lgkmcnt(0)
	flat_load_dword v2, v[8:9] sc0 sc1
	s_waitcnt vmcnt(0) lgkmcnt(0)
	buffer_inv sc0 sc1
	v_cmp_eq_u32_e32 vcc, 0, v2
	s_and_b64 vcc, vcc, exec
	s_or_b64 s[38:39], s[38:39], vcc
	s_mov_b64 vcc, -1
	s_or_b64 s[36:37], s[36:37], exec
	s_and_saveexec_b64 s[48:49], s[38:39]
	s_cbranch_execz .LBB6_851
.LBB6_855:                              ;   in Loop: Header=BB6_852 Depth=3
	s_sleep 1
	s_trap 2
	ds_read_b64 v[8:9], v0
	s_waitcnt lgkmcnt(0)
	s_andn2_b64 s[36:37], s[36:37], exec
	v_cmp_ge_u64_e32 vcc, v[8:9], v[38:39]
	s_orn2_b64 vcc, vcc, exec
	s_branch .LBB6_851
.LBB6_856:                              ;   in Loop: Header=BB6_816 Depth=2
	s_or_b64 exec, exec, s[30:31]
	s_and_saveexec_b64 s[8:9], s[34:35]
	s_xor_b64 s[8:9], exec, s[8:9]
	s_cbranch_execz .LBB6_858
; %bb.857:                              ;   in Loop: Header=BB6_816 Depth=2
	ds_write_b32 v0, v75
	s_trap 2
.LBB6_858:                              ;   in Loop: Header=BB6_816 Depth=2
	s_or_b64 exec, exec, s[94:95]
	;;#ASMSTART
	s_wakeup
	;;#ASMEND
.LBB6_859:                              ;   in Loop: Header=BB6_816 Depth=2
	s_or_b64 exec, exec, s[28:29]
.LBB6_860:                              ;   in Loop: Header=BB6_816 Depth=2
	s_andn2_saveexec_b64 s[26:27], s[26:27]
	s_cbranch_execz .LBB6_862
; %bb.861:                              ;   in Loop: Header=BB6_816 Depth=2
	s_waitcnt lgkmcnt(0)
	s_barrier
.LBB6_862:                              ;   in Loop: Header=BB6_816 Depth=2
	s_or_b64 exec, exec, s[26:27]
.LBB6_863:                              ;   in Loop: Header=BB6_816 Depth=2
	s_or_b64 exec, exec, s[24:25]
	s_trap 2
	ds_read_b32 v8, v0
	v_and_b32_e32 v2, 0x4000, v62
	v_cmp_ne_u32_e32 vcc, 0, v2
	s_xor_b64 s[8:9], s[2:3], -1
	s_and_b64 s[8:9], s[8:9], vcc
	s_and_saveexec_b64 s[24:25], s[8:9]
	s_cbranch_execz .LBB6_882
; %bb.864:                              ;   in Loop: Header=BB6_816 Depth=2
	s_and_saveexec_b64 s[8:9], s[44:45]
	s_xor_b64 s[26:27], exec, s[8:9]
	s_cbranch_execz .LBB6_879
; %bb.865:                              ;   in Loop: Header=BB6_816 Depth=2
	s_and_saveexec_b64 s[28:29], s[12:13]
	s_cbranch_execz .LBB6_878
; %bb.866:                              ;   in Loop: Header=BB6_816 Depth=2
	s_mov_b64 s[30:31], exec
	v_mbcnt_lo_u32_b32 v2, s30, 0
	v_mbcnt_hi_u32_b32 v2, s31, v2
	v_cmp_eq_u32_e32 vcc, 0, v2
	s_waitcnt lgkmcnt(0)
	s_and_saveexec_b64 s[94:95], vcc
	s_cbranch_execz .LBB6_868
; %bb.867:                              ;   in Loop: Header=BB6_816 Depth=2
	s_bcnt1_i32_b64 s8, s[30:31]
	v_mov_b32_e32 v2, s8
	ds_add_u64 v0, v[2:3]
	s_trap 2
.LBB6_868:                              ;   in Loop: Header=BB6_816 Depth=2
	s_or_b64 exec, exec, s[94:95]
	s_trap 2
	ds_read_b64 v[10:11], v0
	s_waitcnt lgkmcnt(0)
	v_lshl_add_u64 v[38:39], v[38:39], 0, v[52:53]
	v_cmp_lt_u64_e32 vcc, v[10:11], v[38:39]
	s_and_saveexec_b64 s[94:95], vcc
	s_cbranch_execz .LBB6_877
; %bb.869:                              ;   in Loop: Header=BB6_816 Depth=2
	s_mov_b32 s8, 0
	s_mov_b64 s[30:31], 0
                                        ; implicit-def: $sgpr34_sgpr35
                                        ; implicit-def: $sgpr36_sgpr37
	s_branch .LBB6_871
.LBB6_870:                              ;   in Loop: Header=BB6_871 Depth=3
	s_or_b64 exec, exec, s[48:49]
	s_and_b64 vcc, exec, vcc
	s_or_b64 s[30:31], vcc, s[30:31]
	s_andn2_b64 vcc, s[34:35], exec
	s_and_b64 s[34:35], s[36:37], exec
	s_or_b64 s[34:35], vcc, s[34:35]
	s_andn2_b64 exec, exec, s[30:31]
	s_cbranch_execz .LBB6_875
.LBB6_871:                              ;   Parent Loop BB6_47 Depth=1
                                        ;     Parent Loop BB6_816 Depth=2
                                        ; =>    This Inner Loop Header: Depth=3
	s_add_i32 s8, s8, 1
	s_cmpk_lg_i32 s8, 0x2710
	s_cselect_b64 s[38:39], -1, 0
	s_and_b64 vcc, exec, s[38:39]
	s_cbranch_vccz .LBB6_873
; %bb.872:                              ;   in Loop: Header=BB6_871 Depth=3
	s_mov_b64 vcc, -1
	s_or_b64 s[36:37], s[36:37], exec
	s_and_saveexec_b64 s[48:49], s[38:39]
	s_cbranch_execz .LBB6_870
	s_branch .LBB6_874
.LBB6_873:                              ;   in Loop: Header=BB6_871 Depth=3
	s_trap 2
	ds_read_b64 v[10:11], v0
	s_andn2_b64 s[38:39], s[38:39], exec
	s_mov_b32 s8, 0
	s_waitcnt vmcnt(0) lgkmcnt(0)
	flat_load_dword v2, v[10:11] sc0 sc1
	s_waitcnt vmcnt(0) lgkmcnt(0)
	buffer_inv sc0 sc1
	v_cmp_eq_u32_e32 vcc, 0, v2
	s_and_b64 vcc, vcc, exec
	s_or_b64 s[38:39], s[38:39], vcc
	s_mov_b64 vcc, -1
	s_or_b64 s[36:37], s[36:37], exec
	s_and_saveexec_b64 s[48:49], s[38:39]
	s_cbranch_execz .LBB6_870
.LBB6_874:                              ;   in Loop: Header=BB6_871 Depth=3
	s_sleep 1
	s_trap 2
	ds_read_b64 v[10:11], v0
	s_waitcnt lgkmcnt(0)
	s_andn2_b64 s[36:37], s[36:37], exec
	v_cmp_ge_u64_e32 vcc, v[10:11], v[38:39]
	s_orn2_b64 vcc, vcc, exec
	s_branch .LBB6_870
.LBB6_875:                              ;   in Loop: Header=BB6_816 Depth=2
	s_or_b64 exec, exec, s[30:31]
	s_and_saveexec_b64 s[8:9], s[34:35]
	s_xor_b64 s[8:9], exec, s[8:9]
	s_cbranch_execz .LBB6_877
; %bb.876:                              ;   in Loop: Header=BB6_816 Depth=2
	ds_write_b32 v0, v75
	s_trap 2
.LBB6_877:                              ;   in Loop: Header=BB6_816 Depth=2
	s_or_b64 exec, exec, s[94:95]
	;;#ASMSTART
	s_wakeup
	;;#ASMEND
.LBB6_878:                              ;   in Loop: Header=BB6_816 Depth=2
	s_or_b64 exec, exec, s[28:29]
.LBB6_879:                              ;   in Loop: Header=BB6_816 Depth=2
	s_andn2_saveexec_b64 s[26:27], s[26:27]
	s_cbranch_execz .LBB6_881
; %bb.880:                              ;   in Loop: Header=BB6_816 Depth=2
	s_waitcnt lgkmcnt(0)
	s_barrier
.LBB6_881:                              ;   in Loop: Header=BB6_816 Depth=2
	s_or_b64 exec, exec, s[26:27]
.LBB6_882:                              ;   in Loop: Header=BB6_816 Depth=2
	s_or_b64 exec, exec, s[24:25]
	s_trap 2
	ds_read_b64 v[22:23], v0
	s_waitcnt lgkmcnt(0)
	v_cmp_eq_u64_e32 vcc, 0, v[22:23]
	s_cbranch_vccnz .LBB6_971
; %bb.883:                              ;   in Loop: Header=BB6_816 Depth=2
	s_trap 2
	ds_read_b64 v[118:119], v0
	s_waitcnt lgkmcnt(0)
	v_cmp_eq_u64_e32 vcc, 0, v[118:119]
	s_cbranch_vccnz .LBB6_971
; %bb.884:                              ;   in Loop: Header=BB6_816 Depth=2
	s_trap 2
	ds_read_b64 v[40:41], v0
	v_cmp_eq_u32_e32 vcc, 0, v8
	s_mov_b64 s[24:25], -1
	s_waitcnt lgkmcnt(0)
	v_readfirstlane_b32 s8, v40
	v_cndmask_b32_e32 v2, 0, v16, vcc
	v_cmp_ne_u64_e32 vcc, 0, v[40:41]
	v_lshlrev_b32_e32 v17, 1, v2
	s_cbranch_vccz .LBB6_1224
; %bb.885:                              ;   in Loop: Header=BB6_816 Depth=2
	s_and_saveexec_b64 s[26:27], s[18:19]
	s_cbranch_execz .LBB6_887
; %bb.886:                              ;   in Loop: Header=BB6_816 Depth=2
	ds_read_b32 v8, v0 offset:720
	s_waitcnt lgkmcnt(0)
	v_and_b32_e32 v8, 15, v8
	v_cmp_eq_u32_e32 vcc, 0, v8
	s_orn2_b64 s[24:25], vcc, exec
.LBB6_887:                              ;   in Loop: Header=BB6_816 Depth=2
	s_or_b64 exec, exec, s[26:27]
	s_and_saveexec_b64 s[26:27], s[18:19]
	s_cbranch_execz .LBB6_889
; %bb.888:                              ;   in Loop: Header=BB6_816 Depth=2
	ds_read_b32 v8, v0 offset:784
	s_waitcnt lgkmcnt(0)
	v_and_b32_e32 v8, 15, v8
	v_cmp_eq_u32_e32 vcc, 0, v8
	s_and_b64 s[28:29], s[24:25], vcc
	s_andn2_b64 s[24:25], s[24:25], exec
	s_and_b64 s[28:29], s[28:29], exec
	s_or_b64 s[24:25], s[24:25], s[28:29]
.LBB6_889:                              ;   in Loop: Header=BB6_816 Depth=2
	s_or_b64 exec, exec, s[26:27]
	s_xor_b64 s[24:25], s[24:25], -1
	v_cndmask_b32_e64 v8, 0, 1, s[24:25]
	s_mov_b64 s[26:27], -1
	v_cmp_ne_u32_e32 vcc, 0, v8
	s_cbranch_vccz .LBB6_972
; %bb.890:                              ;   in Loop: Header=BB6_816 Depth=2
	s_and_b32 s9, s8, 1
	s_mov_b64 s[94:95], -1
	v_mov_b32_e32 v44, 0
	s_cbranch_execnz .LBB6_973
.LBB6_891:                              ;   in Loop: Header=BB6_816 Depth=2
	v_ashrrev_i32_e32 v8, 31, v17
	v_lshrrev_b32_e32 v8, 22, v8
	v_add_u32_e32 v8, v17, v8
	v_and_b32_e32 v61, 0xfffffc00, v8
	s_trap 2
	ds_read_b64 v[42:43], v0
	v_ashrrev_i32_e32 v9, 10, v8
	v_sub_u32_e32 v90, v17, v61
	v_sub_u32_e32 v8, v9, v72
	v_cmp_lt_i32_e64 s[24:25], 15, v90
	v_sub_u32_e32 v19, v17, v54
	v_lshl_add_u64 v[44:45], v[118:119], 0, v[54:55]
	v_addc_co_u32_e64 v91, vcc, 0, v8, s[24:25]
	v_lshl_add_u64 v[46:47], v[40:41], 0, v[54:55]
	s_and_b32 s9, s8, 1
	v_cmp_lt_i32_e32 vcc, 15, v19
	s_mov_b64 s[26:27], 0
	s_and_saveexec_b64 s[30:31], vcc
	s_cbranch_execz .LBB6_975
; %bb.892:                              ;   in Loop: Header=BB6_816 Depth=2
	s_and_b32 s26, 0xffff, s9
	s_cmp_eq_u32 s26, 0
	v_lshl_add_u64 v[56:57], v[22:23], 0, v[54:55]
	s_waitcnt lgkmcnt(0)
	v_lshl_add_u64 v[58:59], v[42:43], 0, v[54:55]
	s_mov_b64 s[38:39], 0
	s_mov_b64 s[34:35], 0
	s_cselect_b64 s[26:27], -1, 0
                                        ; implicit-def: $sgpr36_sgpr37
	s_branch .LBB6_894
.LBB6_893:                              ;   in Loop: Header=BB6_894 Depth=3
	s_or_b64 exec, exec, s[28:29]
	v_cmp_gt_i32_e32 vcc, 16, v19
	s_or_b64 s[34:35], vcc, s[34:35]
	s_andn2_b64 s[28:29], s[36:37], exec
	s_and_b64 vcc, s[38:39], exec
	s_or_b64 s[36:37], s[28:29], vcc
	s_andn2_b64 exec, exec, s[34:35]
	s_cbranch_execz .LBB6_974
.LBB6_894:                              ;   Parent Loop BB6_47 Depth=1
                                        ;     Parent Loop BB6_816 Depth=2
                                        ; =>    This Loop Header: Depth=3
                                        ;         Child Loop BB6_895 Depth 4
                                        ;         Child Loop BB6_930 Depth 4
	;; [unrolled: 1-line block ×4, first 2 shown]
	s_add_i32 s28, s33, 0xa0
	s_mov_b32 s50, s28
	s_mov_b64 s[48:49], -1
	s_mov_b64 s[28:29], 0
.LBB6_895:                              ;   Parent Loop BB6_47 Depth=1
                                        ;     Parent Loop BB6_816 Depth=2
                                        ;       Parent Loop BB6_894 Depth=3
                                        ; =>      This Inner Loop Header: Depth=4
	s_cmp_eq_u32 s28, 1
	s_cselect_b64 vcc, -1, 0
	v_cndmask_b32_e32 v13, v57, v59, vcc
	v_cndmask_b32_e32 v12, v56, v58, vcc
	global_load_dwordx4 v[8:11], v[12:13], off nt
	s_cmp_eq_u32 s28, 0
	s_cselect_b64 s[28:29], -1, 0
	s_waitcnt vmcnt(0)
	scratch_store_dwordx4 off, v[8:11], s50
	s_nop 1
	v_lshl_add_u64 v[8:9], v[12:13], 0, s[56:57]
	v_cndmask_b32_e64 v57, v57, v9, s[28:29]
	v_cndmask_b32_e64 v56, v56, v8, s[28:29]
	v_cndmask_b32_e32 v59, v59, v9, vcc
	v_cndmask_b32_e32 v58, v58, v8, vcc
	s_mov_b64 s[28:29], 1
	s_and_b64 vcc, exec, s[48:49]
	s_mov_b64 s[48:49], 0
	s_mov_b32 s50, s83
	s_cbranch_vccnz .LBB6_895
; %bb.896:                              ;   in Loop: Header=BB6_894 Depth=3
	s_and_saveexec_b64 s[28:29], s[38:39]
	s_cbranch_execz .LBB6_932
; %bb.897:                              ;   in Loop: Header=BB6_894 Depth=3
	scratch_load_dwordx4 v[8:11], off, s33 offset:192
	scratch_load_dwordx4 v[12:15], off, s33 offset:208
	s_waitcnt vmcnt(1)
	v_lshlrev_b32_e32 v92, 16, v8
	s_waitcnt vmcnt(0)
	v_lshlrev_b32_e32 v93, 16, v12
	v_max_f32_e32 v93, v93, v93
	v_max_f32_e32 v92, v92, v92
	v_min_f32_e32 v94, v92, v93
	v_max_f32_e32 v92, v92, v93
	v_cndmask_b32_e64 v93, v92, v94, s[26:27]
	v_and_b32_e32 v92, 0x7f800000, v93
	v_cmp_ne_u32_e32 vcc, s40, v92
                                        ; implicit-def: $vgpr92
	s_and_saveexec_b64 s[38:39], vcc
	s_xor_b64 vcc, exec, s[38:39]
; %bb.898:                              ;   in Loop: Header=BB6_894 Depth=3
	v_bfe_u32 v92, v93, 16, 1
	v_add3_u32 v92, v93, v92, s41
                                        ; implicit-def: $vgpr93
; %bb.899:                              ;   in Loop: Header=BB6_894 Depth=3
	s_andn2_saveexec_b64 s[38:39], vcc
; %bb.900:                              ;   in Loop: Header=BB6_894 Depth=3
	v_or_b32_e32 v92, 0x10000, v93
	v_cmp_eq_u32_sdwa vcc, v93, v3 src0_sel:WORD_0 src1_sel:DWORD
	s_nop 1
	v_cndmask_b32_e32 v92, v92, v93, vcc
; %bb.901:                              ;   in Loop: Header=BB6_894 Depth=3
	s_or_b64 exec, exec, s[38:39]
	v_and_b32_e32 v8, 0xffff0000, v8
	v_and_b32_e32 v12, 0xffff0000, v12
	v_max_f32_e32 v12, v12, v12
	v_max_f32_e32 v8, v8, v8
	v_min_f32_e32 v93, v8, v12
	v_max_f32_e32 v8, v8, v12
	v_cndmask_b32_e64 v12, v8, v93, s[26:27]
	v_and_b32_e32 v8, 0x7f800000, v12
	v_cmp_ne_u32_e32 vcc, s40, v8
                                        ; implicit-def: $vgpr8
	s_and_saveexec_b64 s[38:39], vcc
	s_xor_b64 vcc, exec, s[38:39]
; %bb.902:                              ;   in Loop: Header=BB6_894 Depth=3
	v_bfe_u32 v8, v12, 16, 1
	v_add3_u32 v8, v12, v8, s41
                                        ; implicit-def: $vgpr12
; %bb.903:                              ;   in Loop: Header=BB6_894 Depth=3
	s_andn2_saveexec_b64 s[38:39], vcc
; %bb.904:                              ;   in Loop: Header=BB6_894 Depth=3
	v_or_b32_e32 v8, 0x10000, v12
	v_cmp_eq_u32_sdwa vcc, v12, v3 src0_sel:WORD_0 src1_sel:DWORD
	s_nop 1
	v_cndmask_b32_e32 v8, v8, v12, vcc
; %bb.905:                              ;   in Loop: Header=BB6_894 Depth=3
	s_or_b64 exec, exec, s[38:39]
	v_lshlrev_b32_e32 v12, 16, v9
	v_lshlrev_b32_e32 v93, 16, v13
	v_max_f32_e32 v93, v93, v93
	v_max_f32_e32 v12, v12, v12
	v_min_f32_e32 v94, v12, v93
	v_max_f32_e32 v12, v12, v93
	v_cndmask_b32_e64 v93, v12, v94, s[26:27]
	v_and_b32_e32 v12, 0x7f800000, v93
	v_cmp_ne_u32_e32 vcc, s40, v12
                                        ; implicit-def: $vgpr12
	s_and_saveexec_b64 s[38:39], vcc
	s_xor_b64 vcc, exec, s[38:39]
; %bb.906:                              ;   in Loop: Header=BB6_894 Depth=3
	v_bfe_u32 v12, v93, 16, 1
	v_add3_u32 v12, v93, v12, s41
                                        ; implicit-def: $vgpr93
; %bb.907:                              ;   in Loop: Header=BB6_894 Depth=3
	s_andn2_saveexec_b64 s[38:39], vcc
; %bb.908:                              ;   in Loop: Header=BB6_894 Depth=3
	v_or_b32_e32 v12, 0x10000, v93
	v_cmp_eq_u32_sdwa vcc, v93, v3 src0_sel:WORD_0 src1_sel:DWORD
	s_nop 1
	v_cndmask_b32_e32 v12, v12, v93, vcc
; %bb.909:                              ;   in Loop: Header=BB6_894 Depth=3
	s_or_b64 exec, exec, s[38:39]
	v_and_b32_e32 v9, 0xffff0000, v9
	v_and_b32_e32 v13, 0xffff0000, v13
	v_max_f32_e32 v13, v13, v13
	v_max_f32_e32 v9, v9, v9
	v_min_f32_e32 v93, v9, v13
	v_max_f32_e32 v9, v9, v13
	v_cndmask_b32_e64 v13, v9, v93, s[26:27]
	v_and_b32_e32 v9, 0x7f800000, v13
	v_cmp_ne_u32_e32 vcc, s40, v9
                                        ; implicit-def: $vgpr9
	s_and_saveexec_b64 s[38:39], vcc
	s_xor_b64 vcc, exec, s[38:39]
; %bb.910:                              ;   in Loop: Header=BB6_894 Depth=3
	v_bfe_u32 v9, v13, 16, 1
	v_add3_u32 v9, v13, v9, s41
                                        ; implicit-def: $vgpr13
; %bb.911:                              ;   in Loop: Header=BB6_894 Depth=3
	s_andn2_saveexec_b64 s[38:39], vcc
; %bb.912:                              ;   in Loop: Header=BB6_894 Depth=3
	v_or_b32_e32 v9, 0x10000, v13
	v_cmp_eq_u32_sdwa vcc, v13, v3 src0_sel:WORD_0 src1_sel:DWORD
	s_nop 1
	v_cndmask_b32_e32 v9, v9, v13, vcc
; %bb.913:                              ;   in Loop: Header=BB6_894 Depth=3
	s_or_b64 exec, exec, s[38:39]
	v_lshlrev_b32_e32 v13, 16, v10
	v_lshlrev_b32_e32 v93, 16, v14
	v_max_f32_e32 v93, v93, v93
	v_max_f32_e32 v13, v13, v13
	v_min_f32_e32 v94, v13, v93
	v_max_f32_e32 v13, v13, v93
	v_cndmask_b32_e64 v93, v13, v94, s[26:27]
	v_and_b32_e32 v13, 0x7f800000, v93
	v_cmp_ne_u32_e32 vcc, s40, v13
                                        ; implicit-def: $vgpr13
	s_and_saveexec_b64 s[38:39], vcc
	s_xor_b64 vcc, exec, s[38:39]
; %bb.914:                              ;   in Loop: Header=BB6_894 Depth=3
	v_bfe_u32 v13, v93, 16, 1
	v_add3_u32 v13, v93, v13, s41
                                        ; implicit-def: $vgpr93
; %bb.915:                              ;   in Loop: Header=BB6_894 Depth=3
	s_andn2_saveexec_b64 s[38:39], vcc
; %bb.916:                              ;   in Loop: Header=BB6_894 Depth=3
	v_or_b32_e32 v13, 0x10000, v93
	v_cmp_eq_u32_sdwa vcc, v93, v3 src0_sel:WORD_0 src1_sel:DWORD
	s_nop 1
	v_cndmask_b32_e32 v13, v13, v93, vcc
; %bb.917:                              ;   in Loop: Header=BB6_894 Depth=3
	s_or_b64 exec, exec, s[38:39]
	v_and_b32_e32 v10, 0xffff0000, v10
	v_and_b32_e32 v14, 0xffff0000, v14
	v_max_f32_e32 v14, v14, v14
	v_max_f32_e32 v10, v10, v10
	v_min_f32_e32 v93, v10, v14
	v_max_f32_e32 v10, v10, v14
	v_cndmask_b32_e64 v14, v10, v93, s[26:27]
	v_and_b32_e32 v10, 0x7f800000, v14
	v_cmp_ne_u32_e32 vcc, s40, v10
                                        ; implicit-def: $vgpr10
	s_and_saveexec_b64 s[38:39], vcc
	s_xor_b64 vcc, exec, s[38:39]
; %bb.918:                              ;   in Loop: Header=BB6_894 Depth=3
	v_bfe_u32 v10, v14, 16, 1
	v_add3_u32 v10, v14, v10, s41
                                        ; implicit-def: $vgpr14
; %bb.919:                              ;   in Loop: Header=BB6_894 Depth=3
	s_andn2_saveexec_b64 s[38:39], vcc
; %bb.920:                              ;   in Loop: Header=BB6_894 Depth=3
	v_or_b32_e32 v10, 0x10000, v14
	v_cmp_eq_u32_sdwa vcc, v14, v3 src0_sel:WORD_0 src1_sel:DWORD
	s_nop 1
	v_cndmask_b32_e32 v10, v10, v14, vcc
; %bb.921:                              ;   in Loop: Header=BB6_894 Depth=3
	s_or_b64 exec, exec, s[38:39]
	v_lshlrev_b32_e32 v14, 16, v11
	v_lshlrev_b32_e32 v93, 16, v15
	v_max_f32_e32 v93, v93, v93
	v_max_f32_e32 v14, v14, v14
	v_min_f32_e32 v94, v14, v93
	v_max_f32_e32 v14, v14, v93
	v_cndmask_b32_e64 v93, v14, v94, s[26:27]
	v_and_b32_e32 v14, 0x7f800000, v93
	v_cmp_ne_u32_e32 vcc, s40, v14
                                        ; implicit-def: $vgpr14
	s_and_saveexec_b64 s[38:39], vcc
	s_xor_b64 vcc, exec, s[38:39]
; %bb.922:                              ;   in Loop: Header=BB6_894 Depth=3
	v_bfe_u32 v14, v93, 16, 1
	v_add3_u32 v14, v93, v14, s41
                                        ; implicit-def: $vgpr93
; %bb.923:                              ;   in Loop: Header=BB6_894 Depth=3
	s_andn2_saveexec_b64 s[38:39], vcc
; %bb.924:                              ;   in Loop: Header=BB6_894 Depth=3
	v_or_b32_e32 v14, 0x10000, v93
	v_cmp_eq_u32_sdwa vcc, v93, v3 src0_sel:WORD_0 src1_sel:DWORD
	s_nop 1
	v_cndmask_b32_e32 v14, v14, v93, vcc
; %bb.925:                              ;   in Loop: Header=BB6_894 Depth=3
	s_or_b64 exec, exec, s[38:39]
	v_and_b32_e32 v11, 0xffff0000, v11
	v_and_b32_e32 v15, 0xffff0000, v15
	v_max_f32_e32 v15, v15, v15
	v_max_f32_e32 v11, v11, v11
	v_min_f32_e32 v93, v11, v15
	v_max_f32_e32 v11, v11, v15
	v_cndmask_b32_e64 v15, v11, v93, s[26:27]
	v_and_b32_e32 v11, 0x7f800000, v15
	v_cmp_ne_u32_e32 vcc, s40, v11
                                        ; implicit-def: $vgpr11
	s_and_saveexec_b64 s[38:39], vcc
	s_xor_b64 vcc, exec, s[38:39]
; %bb.926:                              ;   in Loop: Header=BB6_894 Depth=3
	v_bfe_u32 v11, v15, 16, 1
	v_add3_u32 v11, v15, v11, s41
                                        ; implicit-def: $vgpr15
; %bb.927:                              ;   in Loop: Header=BB6_894 Depth=3
	s_andn2_saveexec_b64 s[38:39], vcc
; %bb.928:                              ;   in Loop: Header=BB6_894 Depth=3
	v_or_b32_e32 v11, 0x10000, v15
	v_cmp_eq_u32_sdwa vcc, v15, v3 src0_sel:WORD_0 src1_sel:DWORD
	s_nop 1
	v_cndmask_b32_e32 v11, v11, v15, vcc
; %bb.929:                              ;   in Loop: Header=BB6_894 Depth=3
	s_or_b64 exec, exec, s[38:39]
	v_lshrrev_b32_e32 v12, 16, v12
	v_and_or_b32 v9, v9, s72, v12
	v_lshrrev_b32_e32 v12, 16, v92
	v_and_or_b32 v8, v8, s72, v12
	;; [unrolled: 2-line block ×4, first 2 shown]
	s_mov_b64 s[38:39], -1
	scratch_store_dwordx4 off, v[8:11], s33 offset:192
.LBB6_930:                              ;   Parent Loop BB6_47 Depth=1
                                        ;     Parent Loop BB6_816 Depth=2
                                        ;       Parent Loop BB6_894 Depth=3
                                        ; =>      This Inner Loop Header: Depth=4
	s_cmp_eq_u32 s48, 1
	s_cselect_b64 vcc, -1, 0
	v_cndmask_b32_e32 v13, v45, v47, vcc
	v_cndmask_b32_e32 v12, v44, v46, vcc
	global_store_dwordx4 v[12:13], v[8:11], off
	v_lshl_add_u64 v[12:13], v[12:13], 0, s[56:57]
	s_cmp_eq_u32 s48, 0
	v_cndmask_b32_e32 v47, v47, v13, vcc
	v_cndmask_b32_e32 v46, v46, v12, vcc
	s_cselect_b64 vcc, -1, 0
	v_cndmask_b32_e32 v45, v45, v13, vcc
	v_cndmask_b32_e32 v44, v44, v12, vcc
	s_mov_b64 s[48:49], 1
	s_and_b64 vcc, exec, s[38:39]
	s_mov_b64 s[38:39], 0
	s_cbranch_vccnz .LBB6_930
; %bb.931:                              ;   in Loop: Header=BB6_894 Depth=3
	v_lshl_add_u64 v[44:45], v[44:45], 0, v[80:81]
	v_lshl_add_u64 v[46:47], v[46:47], 0, v[80:81]
.LBB6_932:                              ;   in Loop: Header=BB6_894 Depth=3
	s_or_b64 exec, exec, s[28:29]
	v_sub_u32_e32 v19, v19, v73
	v_lshl_add_u64 v[56:57], v[56:57], 0, v[80:81]
	v_lshl_add_u64 v[58:59], v[58:59], 0, v[80:81]
	v_cmp_lt_i32_e64 s[38:39], 15, v19
	s_and_saveexec_b64 s[48:49], s[38:39]
	s_cbranch_execz .LBB6_935
; %bb.933:                              ;   in Loop: Header=BB6_894 Depth=3
	s_add_i32 s28, s33, 0xc0
	s_mov_b32 s52, s28
	s_mov_b64 s[28:29], 0
	s_mov_b64 s[50:51], -1
.LBB6_934:                              ;   Parent Loop BB6_47 Depth=1
                                        ;     Parent Loop BB6_816 Depth=2
                                        ;       Parent Loop BB6_894 Depth=3
                                        ; =>      This Inner Loop Header: Depth=4
	s_cmp_eq_u32 s28, 1
	s_cselect_b64 vcc, -1, 0
	v_cndmask_b32_e32 v13, v57, v59, vcc
	v_cndmask_b32_e32 v12, v56, v58, vcc
	global_load_dwordx4 v[8:11], v[12:13], off nt
	s_cmp_eq_u32 s28, 0
	s_cselect_b64 s[28:29], -1, 0
	s_waitcnt vmcnt(0)
	scratch_store_dwordx4 off, v[8:11], s52
	s_nop 1
	v_lshl_add_u64 v[8:9], v[12:13], 0, s[56:57]
	v_cndmask_b32_e64 v57, v57, v9, s[28:29]
	v_cndmask_b32_e64 v56, v56, v8, s[28:29]
	v_cndmask_b32_e32 v59, v59, v9, vcc
	v_cndmask_b32_e32 v58, v58, v8, vcc
	s_mov_b64 s[28:29], 1
	s_and_b64 vcc, exec, s[50:51]
	s_mov_b64 s[50:51], 0
	s_mov_b32 s52, s82
	s_cbranch_vccnz .LBB6_934
.LBB6_935:                              ;   in Loop: Header=BB6_894 Depth=3
	s_or_b64 exec, exec, s[48:49]
	scratch_load_dwordx4 v[8:11], off, s33 offset:160
	scratch_load_dwordx4 v[12:15], off, s33 offset:176
	s_waitcnt vmcnt(1)
	v_lshlrev_b32_e32 v92, 16, v8
	s_waitcnt vmcnt(0)
	v_lshlrev_b32_e32 v93, 16, v12
	v_max_f32_e32 v93, v93, v93
	v_max_f32_e32 v92, v92, v92
	v_min_f32_e32 v94, v92, v93
	v_max_f32_e32 v92, v92, v93
	v_cndmask_b32_e64 v93, v92, v94, s[26:27]
	v_and_b32_e32 v92, 0x7f800000, v93
	v_cmp_ne_u32_e32 vcc, s40, v92
                                        ; implicit-def: $vgpr92
	s_and_saveexec_b64 s[28:29], vcc
	s_xor_b64 s[28:29], exec, s[28:29]
; %bb.936:                              ;   in Loop: Header=BB6_894 Depth=3
	v_bfe_u32 v92, v93, 16, 1
	v_add3_u32 v92, v93, v92, s41
                                        ; implicit-def: $vgpr93
; %bb.937:                              ;   in Loop: Header=BB6_894 Depth=3
	s_andn2_saveexec_b64 s[28:29], s[28:29]
; %bb.938:                              ;   in Loop: Header=BB6_894 Depth=3
	v_or_b32_e32 v92, 0x10000, v93
	v_cmp_eq_u32_sdwa vcc, v93, v3 src0_sel:WORD_0 src1_sel:DWORD
	s_nop 1
	v_cndmask_b32_e32 v92, v92, v93, vcc
; %bb.939:                              ;   in Loop: Header=BB6_894 Depth=3
	s_or_b64 exec, exec, s[28:29]
	v_and_b32_e32 v8, 0xffff0000, v8
	v_and_b32_e32 v12, 0xffff0000, v12
	v_max_f32_e32 v12, v12, v12
	v_max_f32_e32 v8, v8, v8
	v_min_f32_e32 v93, v8, v12
	v_max_f32_e32 v8, v8, v12
	v_cndmask_b32_e64 v12, v8, v93, s[26:27]
	v_and_b32_e32 v8, 0x7f800000, v12
	v_cmp_ne_u32_e32 vcc, s40, v8
                                        ; implicit-def: $vgpr8
	s_and_saveexec_b64 s[28:29], vcc
	s_xor_b64 s[28:29], exec, s[28:29]
; %bb.940:                              ;   in Loop: Header=BB6_894 Depth=3
	v_bfe_u32 v8, v12, 16, 1
	v_add3_u32 v8, v12, v8, s41
                                        ; implicit-def: $vgpr12
; %bb.941:                              ;   in Loop: Header=BB6_894 Depth=3
	s_andn2_saveexec_b64 s[28:29], s[28:29]
; %bb.942:                              ;   in Loop: Header=BB6_894 Depth=3
	v_or_b32_e32 v8, 0x10000, v12
	v_cmp_eq_u32_sdwa vcc, v12, v3 src0_sel:WORD_0 src1_sel:DWORD
	s_nop 1
	v_cndmask_b32_e32 v8, v8, v12, vcc
; %bb.943:                              ;   in Loop: Header=BB6_894 Depth=3
	s_or_b64 exec, exec, s[28:29]
	v_lshlrev_b32_e32 v12, 16, v9
	v_lshlrev_b32_e32 v93, 16, v13
	v_max_f32_e32 v93, v93, v93
	v_max_f32_e32 v12, v12, v12
	v_min_f32_e32 v94, v12, v93
	v_max_f32_e32 v12, v12, v93
	v_cndmask_b32_e64 v93, v12, v94, s[26:27]
	v_and_b32_e32 v12, 0x7f800000, v93
	v_cmp_ne_u32_e32 vcc, s40, v12
                                        ; implicit-def: $vgpr12
	s_and_saveexec_b64 s[28:29], vcc
	s_xor_b64 s[28:29], exec, s[28:29]
; %bb.944:                              ;   in Loop: Header=BB6_894 Depth=3
	v_bfe_u32 v12, v93, 16, 1
	v_add3_u32 v12, v93, v12, s41
                                        ; implicit-def: $vgpr93
; %bb.945:                              ;   in Loop: Header=BB6_894 Depth=3
	s_andn2_saveexec_b64 s[28:29], s[28:29]
; %bb.946:                              ;   in Loop: Header=BB6_894 Depth=3
	v_or_b32_e32 v12, 0x10000, v93
	v_cmp_eq_u32_sdwa vcc, v93, v3 src0_sel:WORD_0 src1_sel:DWORD
	s_nop 1
	v_cndmask_b32_e32 v12, v12, v93, vcc
; %bb.947:                              ;   in Loop: Header=BB6_894 Depth=3
	s_or_b64 exec, exec, s[28:29]
	v_and_b32_e32 v9, 0xffff0000, v9
	v_and_b32_e32 v13, 0xffff0000, v13
	v_max_f32_e32 v13, v13, v13
	v_max_f32_e32 v9, v9, v9
	v_min_f32_e32 v93, v9, v13
	v_max_f32_e32 v9, v9, v13
	v_cndmask_b32_e64 v13, v9, v93, s[26:27]
	v_and_b32_e32 v9, 0x7f800000, v13
	v_cmp_ne_u32_e32 vcc, s40, v9
                                        ; implicit-def: $vgpr9
	s_and_saveexec_b64 s[28:29], vcc
	s_xor_b64 s[28:29], exec, s[28:29]
; %bb.948:                              ;   in Loop: Header=BB6_894 Depth=3
	v_bfe_u32 v9, v13, 16, 1
	v_add3_u32 v9, v13, v9, s41
                                        ; implicit-def: $vgpr13
; %bb.949:                              ;   in Loop: Header=BB6_894 Depth=3
	s_andn2_saveexec_b64 s[28:29], s[28:29]
; %bb.950:                              ;   in Loop: Header=BB6_894 Depth=3
	v_or_b32_e32 v9, 0x10000, v13
	v_cmp_eq_u32_sdwa vcc, v13, v3 src0_sel:WORD_0 src1_sel:DWORD
	s_nop 1
	v_cndmask_b32_e32 v9, v9, v13, vcc
; %bb.951:                              ;   in Loop: Header=BB6_894 Depth=3
	s_or_b64 exec, exec, s[28:29]
	v_lshlrev_b32_e32 v13, 16, v10
	v_lshlrev_b32_e32 v93, 16, v14
	v_max_f32_e32 v93, v93, v93
	v_max_f32_e32 v13, v13, v13
	v_min_f32_e32 v94, v13, v93
	v_max_f32_e32 v13, v13, v93
	v_cndmask_b32_e64 v93, v13, v94, s[26:27]
	v_and_b32_e32 v13, 0x7f800000, v93
	v_cmp_ne_u32_e32 vcc, s40, v13
                                        ; implicit-def: $vgpr13
	s_and_saveexec_b64 s[28:29], vcc
	s_xor_b64 s[28:29], exec, s[28:29]
; %bb.952:                              ;   in Loop: Header=BB6_894 Depth=3
	v_bfe_u32 v13, v93, 16, 1
	v_add3_u32 v13, v93, v13, s41
                                        ; implicit-def: $vgpr93
; %bb.953:                              ;   in Loop: Header=BB6_894 Depth=3
	s_andn2_saveexec_b64 s[28:29], s[28:29]
; %bb.954:                              ;   in Loop: Header=BB6_894 Depth=3
	v_or_b32_e32 v13, 0x10000, v93
	v_cmp_eq_u32_sdwa vcc, v93, v3 src0_sel:WORD_0 src1_sel:DWORD
	s_nop 1
	v_cndmask_b32_e32 v13, v13, v93, vcc
; %bb.955:                              ;   in Loop: Header=BB6_894 Depth=3
	s_or_b64 exec, exec, s[28:29]
	v_and_b32_e32 v10, 0xffff0000, v10
	v_and_b32_e32 v14, 0xffff0000, v14
	v_max_f32_e32 v14, v14, v14
	v_max_f32_e32 v10, v10, v10
	v_min_f32_e32 v93, v10, v14
	v_max_f32_e32 v10, v10, v14
	v_cndmask_b32_e64 v14, v10, v93, s[26:27]
	v_and_b32_e32 v10, 0x7f800000, v14
	v_cmp_ne_u32_e32 vcc, s40, v10
                                        ; implicit-def: $vgpr10
	s_and_saveexec_b64 s[28:29], vcc
	s_xor_b64 s[28:29], exec, s[28:29]
; %bb.956:                              ;   in Loop: Header=BB6_894 Depth=3
	v_bfe_u32 v10, v14, 16, 1
	v_add3_u32 v10, v14, v10, s41
                                        ; implicit-def: $vgpr14
; %bb.957:                              ;   in Loop: Header=BB6_894 Depth=3
	s_andn2_saveexec_b64 s[28:29], s[28:29]
; %bb.958:                              ;   in Loop: Header=BB6_894 Depth=3
	v_or_b32_e32 v10, 0x10000, v14
	v_cmp_eq_u32_sdwa vcc, v14, v3 src0_sel:WORD_0 src1_sel:DWORD
	s_nop 1
	v_cndmask_b32_e32 v10, v10, v14, vcc
; %bb.959:                              ;   in Loop: Header=BB6_894 Depth=3
	s_or_b64 exec, exec, s[28:29]
	v_lshlrev_b32_e32 v14, 16, v11
	v_lshlrev_b32_e32 v93, 16, v15
	v_max_f32_e32 v93, v93, v93
	v_max_f32_e32 v14, v14, v14
	v_min_f32_e32 v94, v14, v93
	v_max_f32_e32 v14, v14, v93
	v_cndmask_b32_e64 v93, v14, v94, s[26:27]
	v_and_b32_e32 v14, 0x7f800000, v93
	v_cmp_ne_u32_e32 vcc, s40, v14
                                        ; implicit-def: $vgpr14
	s_and_saveexec_b64 s[28:29], vcc
	s_xor_b64 s[28:29], exec, s[28:29]
; %bb.960:                              ;   in Loop: Header=BB6_894 Depth=3
	v_bfe_u32 v14, v93, 16, 1
	v_add3_u32 v14, v93, v14, s41
                                        ; implicit-def: $vgpr93
; %bb.961:                              ;   in Loop: Header=BB6_894 Depth=3
	s_andn2_saveexec_b64 s[28:29], s[28:29]
; %bb.962:                              ;   in Loop: Header=BB6_894 Depth=3
	v_or_b32_e32 v14, 0x10000, v93
	v_cmp_eq_u32_sdwa vcc, v93, v3 src0_sel:WORD_0 src1_sel:DWORD
	s_nop 1
	v_cndmask_b32_e32 v14, v14, v93, vcc
; %bb.963:                              ;   in Loop: Header=BB6_894 Depth=3
	s_or_b64 exec, exec, s[28:29]
	v_and_b32_e32 v11, 0xffff0000, v11
	v_and_b32_e32 v15, 0xffff0000, v15
	v_max_f32_e32 v15, v15, v15
	v_max_f32_e32 v11, v11, v11
	v_min_f32_e32 v93, v11, v15
	v_max_f32_e32 v11, v11, v15
	v_cndmask_b32_e64 v15, v11, v93, s[26:27]
	v_and_b32_e32 v11, 0x7f800000, v15
	v_cmp_ne_u32_e32 vcc, s40, v11
                                        ; implicit-def: $vgpr11
	s_and_saveexec_b64 s[28:29], vcc
	s_xor_b64 s[28:29], exec, s[28:29]
; %bb.964:                              ;   in Loop: Header=BB6_894 Depth=3
	v_bfe_u32 v11, v15, 16, 1
	v_add3_u32 v11, v15, v11, s41
                                        ; implicit-def: $vgpr15
; %bb.965:                              ;   in Loop: Header=BB6_894 Depth=3
	s_andn2_saveexec_b64 s[28:29], s[28:29]
; %bb.966:                              ;   in Loop: Header=BB6_894 Depth=3
	v_or_b32_e32 v11, 0x10000, v15
	v_cmp_eq_u32_sdwa vcc, v15, v3 src0_sel:WORD_0 src1_sel:DWORD
	s_nop 1
	v_cndmask_b32_e32 v11, v11, v15, vcc
; %bb.967:                              ;   in Loop: Header=BB6_894 Depth=3
	s_or_b64 exec, exec, s[28:29]
	v_lshrrev_b32_e32 v12, 16, v12
	v_and_or_b32 v9, v9, s72, v12
	v_lshrrev_b32_e32 v12, 16, v92
	v_and_or_b32 v8, v8, s72, v12
	;; [unrolled: 2-line block ×4, first 2 shown]
	s_mov_b64 s[48:49], 0
	s_mov_b64 s[28:29], -1
	scratch_store_dwordx4 off, v[8:11], s33 offset:160
.LBB6_968:                              ;   Parent Loop BB6_47 Depth=1
                                        ;     Parent Loop BB6_816 Depth=2
                                        ;       Parent Loop BB6_894 Depth=3
                                        ; =>      This Inner Loop Header: Depth=4
	s_cmp_eq_u32 s48, 1
	s_cselect_b64 vcc, -1, 0
	v_cndmask_b32_e32 v13, v45, v47, vcc
	v_cndmask_b32_e32 v12, v44, v46, vcc
	global_store_dwordx4 v[12:13], v[8:11], off
	v_lshl_add_u64 v[12:13], v[12:13], 0, s[56:57]
	s_cmp_eq_u32 s48, 0
	v_cndmask_b32_e32 v47, v47, v13, vcc
	v_cndmask_b32_e32 v46, v46, v12, vcc
	s_cselect_b64 vcc, -1, 0
	v_cndmask_b32_e32 v45, v45, v13, vcc
	v_cndmask_b32_e32 v44, v44, v12, vcc
	s_mov_b64 s[48:49], 1
	s_and_b64 vcc, exec, s[28:29]
	s_mov_b64 s[28:29], 0
	s_cbranch_vccnz .LBB6_968
; %bb.969:                              ;   in Loop: Header=BB6_894 Depth=3
	v_sub_u32_e32 v91, v91, v52
	s_and_saveexec_b64 s[28:29], s[38:39]
	s_cbranch_execz .LBB6_893
; %bb.970:                              ;   in Loop: Header=BB6_894 Depth=3
	v_lshl_add_u64 v[44:45], v[44:45], 0, v[80:81]
	v_lshl_add_u64 v[46:47], v[46:47], 0, v[80:81]
	;; [unrolled: 1-line block ×4, first 2 shown]
	v_sub_u32_e32 v19, v19, v73
	v_sub_u32_e32 v91, v91, v52
	s_branch .LBB6_893
.LBB6_971:                              ;   in Loop: Header=BB6_816 Depth=2
	s_mov_b64 s[24:25], 0
	s_and_saveexec_b64 s[26:27], s[4:5]
	s_cbranch_execnz .LBB6_1545
	s_branch .LBB6_1563
.LBB6_972:                              ;   in Loop: Header=BB6_816 Depth=2
	s_mov_b64 s[94:95], 0
                                        ; implicit-def: $sgpr9
	s_andn2_b64 vcc, exec, s[26:27]
	v_mov_b32_e32 v44, 0
	s_cbranch_vccz .LBB6_891
.LBB6_973:                              ;   in Loop: Header=BB6_816 Depth=2
	v_mov_b32_e32 v45, v17
	v_mov_b32_e32 v8, v0
	;; [unrolled: 1-line block ×3, first 2 shown]
	s_and_saveexec_b64 s[30:31], s[94:95]
	s_cbranch_execnz .LBB6_1131
	s_branch .LBB6_1223
.LBB6_974:                              ;   in Loop: Header=BB6_816 Depth=2
	s_or_b64 exec, exec, s[34:35]
	s_and_b64 s[26:27], s[36:37], exec
.LBB6_975:                              ;   in Loop: Header=BB6_816 Depth=2
	s_or_b64 exec, exec, s[30:31]
	s_and_saveexec_b64 s[30:31], s[26:27]
	s_cbranch_execz .LBB6_1010
; %bb.976:                              ;   in Loop: Header=BB6_816 Depth=2
	scratch_load_dwordx4 v[8:11], off, s33 offset:192
	scratch_load_dwordx4 v[12:15], off, s33 offset:208
	s_and_b32 s26, 0xffff, s9
	s_cmp_eq_u32 s26, 0
	s_cselect_b64 vcc, -1, 0
	s_waitcnt vmcnt(0)
	v_lshlrev_b32_e32 v19, 16, v8
	v_lshlrev_b32_e32 v56, 16, v12
	v_max_f32_e32 v56, v56, v56
	v_max_f32_e32 v19, v19, v19
	v_min_f32_e32 v57, v19, v56
	v_max_f32_e32 v19, v19, v56
	v_cndmask_b32_e32 v56, v19, v57, vcc
	v_and_b32_e32 v19, 0x7f800000, v56
	v_cmp_ne_u32_e64 s[26:27], s40, v19
                                        ; implicit-def: $vgpr19
	s_and_saveexec_b64 s[28:29], s[26:27]
	s_xor_b64 s[26:27], exec, s[28:29]
; %bb.977:                              ;   in Loop: Header=BB6_816 Depth=2
	v_bfe_u32 v19, v56, 16, 1
	v_add3_u32 v19, v56, v19, s41
                                        ; implicit-def: $vgpr56
; %bb.978:                              ;   in Loop: Header=BB6_816 Depth=2
	s_andn2_saveexec_b64 s[28:29], s[26:27]
; %bb.979:                              ;   in Loop: Header=BB6_816 Depth=2
	v_or_b32_e32 v19, 0x10000, v56
	v_cmp_eq_u32_sdwa s[26:27], v56, v3 src0_sel:WORD_0 src1_sel:DWORD
	s_nop 1
	v_cndmask_b32_e64 v19, v19, v56, s[26:27]
; %bb.980:                              ;   in Loop: Header=BB6_816 Depth=2
	s_or_b64 exec, exec, s[28:29]
	v_and_b32_e32 v8, 0xffff0000, v8
	v_and_b32_e32 v12, 0xffff0000, v12
	v_max_f32_e32 v12, v12, v12
	v_max_f32_e32 v8, v8, v8
	v_min_f32_e32 v56, v8, v12
	v_max_f32_e32 v8, v8, v12
	v_cndmask_b32_e32 v12, v8, v56, vcc
	v_and_b32_e32 v8, 0x7f800000, v12
	v_cmp_ne_u32_e64 s[26:27], s40, v8
                                        ; implicit-def: $vgpr8
	s_and_saveexec_b64 s[28:29], s[26:27]
	s_xor_b64 s[26:27], exec, s[28:29]
; %bb.981:                              ;   in Loop: Header=BB6_816 Depth=2
	v_bfe_u32 v8, v12, 16, 1
	v_add3_u32 v8, v12, v8, s41
                                        ; implicit-def: $vgpr12
; %bb.982:                              ;   in Loop: Header=BB6_816 Depth=2
	s_andn2_saveexec_b64 s[28:29], s[26:27]
; %bb.983:                              ;   in Loop: Header=BB6_816 Depth=2
	v_or_b32_e32 v8, 0x10000, v12
	v_cmp_eq_u32_sdwa s[26:27], v12, v3 src0_sel:WORD_0 src1_sel:DWORD
	s_nop 1
	v_cndmask_b32_e64 v8, v8, v12, s[26:27]
; %bb.984:                              ;   in Loop: Header=BB6_816 Depth=2
	s_or_b64 exec, exec, s[28:29]
	v_lshlrev_b32_e32 v12, 16, v9
	v_lshlrev_b32_e32 v56, 16, v13
	v_max_f32_e32 v56, v56, v56
	v_max_f32_e32 v12, v12, v12
	v_min_f32_e32 v57, v12, v56
	v_max_f32_e32 v12, v12, v56
	v_cndmask_b32_e32 v56, v12, v57, vcc
	v_and_b32_e32 v12, 0x7f800000, v56
	v_cmp_ne_u32_e64 s[26:27], s40, v12
                                        ; implicit-def: $vgpr12
	s_and_saveexec_b64 s[28:29], s[26:27]
	s_xor_b64 s[26:27], exec, s[28:29]
; %bb.985:                              ;   in Loop: Header=BB6_816 Depth=2
	v_bfe_u32 v12, v56, 16, 1
	v_add3_u32 v12, v56, v12, s41
                                        ; implicit-def: $vgpr56
; %bb.986:                              ;   in Loop: Header=BB6_816 Depth=2
	s_andn2_saveexec_b64 s[28:29], s[26:27]
; %bb.987:                              ;   in Loop: Header=BB6_816 Depth=2
	v_or_b32_e32 v12, 0x10000, v56
	v_cmp_eq_u32_sdwa s[26:27], v56, v3 src0_sel:WORD_0 src1_sel:DWORD
	s_nop 1
	v_cndmask_b32_e64 v12, v12, v56, s[26:27]
; %bb.988:                              ;   in Loop: Header=BB6_816 Depth=2
	s_or_b64 exec, exec, s[28:29]
	v_and_b32_e32 v9, 0xffff0000, v9
	v_and_b32_e32 v13, 0xffff0000, v13
	v_max_f32_e32 v13, v13, v13
	v_max_f32_e32 v9, v9, v9
	v_min_f32_e32 v56, v9, v13
	v_max_f32_e32 v9, v9, v13
	v_cndmask_b32_e32 v13, v9, v56, vcc
	v_and_b32_e32 v9, 0x7f800000, v13
	v_cmp_ne_u32_e64 s[26:27], s40, v9
                                        ; implicit-def: $vgpr9
	s_and_saveexec_b64 s[28:29], s[26:27]
	s_xor_b64 s[26:27], exec, s[28:29]
; %bb.989:                              ;   in Loop: Header=BB6_816 Depth=2
	v_bfe_u32 v9, v13, 16, 1
	v_add3_u32 v9, v13, v9, s41
                                        ; implicit-def: $vgpr13
; %bb.990:                              ;   in Loop: Header=BB6_816 Depth=2
	s_andn2_saveexec_b64 s[28:29], s[26:27]
; %bb.991:                              ;   in Loop: Header=BB6_816 Depth=2
	v_or_b32_e32 v9, 0x10000, v13
	v_cmp_eq_u32_sdwa s[26:27], v13, v3 src0_sel:WORD_0 src1_sel:DWORD
	s_nop 1
	v_cndmask_b32_e64 v9, v9, v13, s[26:27]
; %bb.992:                              ;   in Loop: Header=BB6_816 Depth=2
	s_or_b64 exec, exec, s[28:29]
	v_lshlrev_b32_e32 v13, 16, v10
	v_lshlrev_b32_e32 v56, 16, v14
	v_max_f32_e32 v56, v56, v56
	v_max_f32_e32 v13, v13, v13
	v_min_f32_e32 v57, v13, v56
	v_max_f32_e32 v13, v13, v56
	v_cndmask_b32_e32 v56, v13, v57, vcc
	v_and_b32_e32 v13, 0x7f800000, v56
	v_cmp_ne_u32_e64 s[26:27], s40, v13
                                        ; implicit-def: $vgpr13
	s_and_saveexec_b64 s[28:29], s[26:27]
	s_xor_b64 s[26:27], exec, s[28:29]
; %bb.993:                              ;   in Loop: Header=BB6_816 Depth=2
	v_bfe_u32 v13, v56, 16, 1
	v_add3_u32 v13, v56, v13, s41
                                        ; implicit-def: $vgpr56
; %bb.994:                              ;   in Loop: Header=BB6_816 Depth=2
	s_andn2_saveexec_b64 s[28:29], s[26:27]
; %bb.995:                              ;   in Loop: Header=BB6_816 Depth=2
	v_or_b32_e32 v13, 0x10000, v56
	v_cmp_eq_u32_sdwa s[26:27], v56, v3 src0_sel:WORD_0 src1_sel:DWORD
	s_nop 1
	v_cndmask_b32_e64 v13, v13, v56, s[26:27]
; %bb.996:                              ;   in Loop: Header=BB6_816 Depth=2
	s_or_b64 exec, exec, s[28:29]
	v_and_b32_e32 v10, 0xffff0000, v10
	v_and_b32_e32 v14, 0xffff0000, v14
	v_max_f32_e32 v14, v14, v14
	v_max_f32_e32 v10, v10, v10
	v_min_f32_e32 v56, v10, v14
	v_max_f32_e32 v10, v10, v14
	v_cndmask_b32_e32 v14, v10, v56, vcc
	v_and_b32_e32 v10, 0x7f800000, v14
	v_cmp_ne_u32_e64 s[26:27], s40, v10
                                        ; implicit-def: $vgpr10
	s_and_saveexec_b64 s[28:29], s[26:27]
	s_xor_b64 s[26:27], exec, s[28:29]
; %bb.997:                              ;   in Loop: Header=BB6_816 Depth=2
	v_bfe_u32 v10, v14, 16, 1
	v_add3_u32 v10, v14, v10, s41
                                        ; implicit-def: $vgpr14
; %bb.998:                              ;   in Loop: Header=BB6_816 Depth=2
	s_andn2_saveexec_b64 s[28:29], s[26:27]
; %bb.999:                              ;   in Loop: Header=BB6_816 Depth=2
	v_or_b32_e32 v10, 0x10000, v14
	v_cmp_eq_u32_sdwa s[26:27], v14, v3 src0_sel:WORD_0 src1_sel:DWORD
	s_nop 1
	v_cndmask_b32_e64 v10, v10, v14, s[26:27]
; %bb.1000:                             ;   in Loop: Header=BB6_816 Depth=2
	s_or_b64 exec, exec, s[28:29]
	v_lshlrev_b32_e32 v14, 16, v11
	v_lshlrev_b32_e32 v56, 16, v15
	v_max_f32_e32 v56, v56, v56
	v_max_f32_e32 v14, v14, v14
	v_min_f32_e32 v57, v14, v56
	v_max_f32_e32 v14, v14, v56
	v_cndmask_b32_e32 v56, v14, v57, vcc
	v_and_b32_e32 v14, 0x7f800000, v56
	v_cmp_ne_u32_e64 s[26:27], s40, v14
                                        ; implicit-def: $vgpr14
	s_and_saveexec_b64 s[28:29], s[26:27]
	s_xor_b64 s[26:27], exec, s[28:29]
; %bb.1001:                             ;   in Loop: Header=BB6_816 Depth=2
	v_bfe_u32 v14, v56, 16, 1
	v_add3_u32 v14, v56, v14, s41
                                        ; implicit-def: $vgpr56
; %bb.1002:                             ;   in Loop: Header=BB6_816 Depth=2
	s_andn2_saveexec_b64 s[28:29], s[26:27]
; %bb.1003:                             ;   in Loop: Header=BB6_816 Depth=2
	v_or_b32_e32 v14, 0x10000, v56
	v_cmp_eq_u32_sdwa s[26:27], v56, v3 src0_sel:WORD_0 src1_sel:DWORD
	s_nop 1
	v_cndmask_b32_e64 v14, v14, v56, s[26:27]
; %bb.1004:                             ;   in Loop: Header=BB6_816 Depth=2
	s_or_b64 exec, exec, s[28:29]
	v_and_b32_e32 v11, 0xffff0000, v11
	v_and_b32_e32 v15, 0xffff0000, v15
	v_max_f32_e32 v15, v15, v15
	v_max_f32_e32 v11, v11, v11
	v_min_f32_e32 v56, v11, v15
	v_max_f32_e32 v11, v11, v15
	v_cndmask_b32_e32 v15, v11, v56, vcc
	v_and_b32_e32 v11, 0x7f800000, v15
	v_cmp_ne_u32_e32 vcc, s40, v11
                                        ; implicit-def: $vgpr11
	s_and_saveexec_b64 s[26:27], vcc
	s_xor_b64 s[26:27], exec, s[26:27]
; %bb.1005:                             ;   in Loop: Header=BB6_816 Depth=2
	v_bfe_u32 v11, v15, 16, 1
	v_add3_u32 v11, v15, v11, s41
                                        ; implicit-def: $vgpr15
; %bb.1006:                             ;   in Loop: Header=BB6_816 Depth=2
	s_andn2_saveexec_b64 s[26:27], s[26:27]
; %bb.1007:                             ;   in Loop: Header=BB6_816 Depth=2
	v_or_b32_e32 v11, 0x10000, v15
	v_cmp_eq_u32_sdwa vcc, v15, v3 src0_sel:WORD_0 src1_sel:DWORD
	s_nop 1
	v_cndmask_b32_e32 v11, v11, v15, vcc
; %bb.1008:                             ;   in Loop: Header=BB6_816 Depth=2
	s_or_b64 exec, exec, s[26:27]
	v_lshrrev_b32_e32 v12, 16, v12
	v_and_or_b32 v9, v9, s72, v12
	v_lshrrev_b32_e32 v12, 16, v19
	v_and_or_b32 v8, v8, s72, v12
	;; [unrolled: 2-line block ×4, first 2 shown]
	s_mov_b64 s[36:37], 0
	s_mov_b64 s[34:35], -1
.LBB6_1009:                             ;   Parent Loop BB6_47 Depth=1
                                        ;     Parent Loop BB6_816 Depth=2
                                        ; =>    This Inner Loop Header: Depth=3
	s_cmp_eq_u32 s36, 1
	s_cselect_b64 vcc, -1, 0
	v_cndmask_b32_e32 v13, v45, v47, vcc
	s_cmp_eq_u32 s36, 0
	v_cndmask_b32_e32 v12, v44, v46, vcc
	global_store_dwordx4 v[12:13], v[8:11], off
	v_lshl_add_u64 v[12:13], v[12:13], 0, s[56:57]
	s_cselect_b64 s[26:27], -1, 0
	s_and_b64 s[28:29], exec, s[34:35]
	s_mov_b64 s[36:37], 1
	s_mov_b64 s[34:35], 0
	v_cndmask_b32_e32 v47, v47, v13, vcc
	v_cndmask_b32_e32 v46, v46, v12, vcc
	v_cndmask_b32_e64 v45, v45, v13, s[26:27]
	v_cndmask_b32_e64 v44, v44, v12, s[26:27]
	s_mov_b64 vcc, s[28:29]
	s_cbranch_vccnz .LBB6_1009
.LBB6_1010:                             ;   in Loop: Header=BB6_816 Depth=2
	s_or_b64 exec, exec, s[30:31]
	v_and_b32_e32 v9, 14, v17
	v_cndmask_b32_e64 v19, v90, v9, s[24:25]
	v_cmp_ne_u32_e32 vcc, 0, v19
                                        ; implicit-def: $vgpr45
                                        ; implicit-def: $vgpr44
                                        ; implicit-def: $vgpr8
                                        ; implicit-def: $vgpr46
	s_and_saveexec_b64 s[30:31], vcc
	s_cbranch_execz .LBB6_1130
; %bb.1011:                             ;   in Loop: Header=BB6_816 Depth=2
	v_sub_u32_e32 v8, v90, v9
	v_cndmask_b32_e64 v8, 0, v8, s[24:25]
	v_cmp_lt_i32_e32 vcc, 0, v91
	v_add_u32_e32 v58, v8, v61
	s_mov_b64 s[26:27], 0
	v_cndmask_b32_e32 v8, 0, v52, vcc
	v_sub_u32_e32 v8, v8, v91
	v_lshl_or_b32 v8, v8, 6, v63
	v_ashrrev_i32_e32 v9, 31, v8
	v_lshrrev_b32_e32 v9, 26, v9
	v_add_u32_e32 v9, v8, v9
	v_ashrrev_i32_e32 v10, 6, v9
	v_and_b32_e32 v9, 0xffffffc0, v9
	v_sub_u32_e32 v59, v8, v9
	v_lshlrev_b32_e32 v8, 4, v59
	v_lshl_add_u32 v9, v10, 10, v8
	v_add_u32_e32 v8, v9, v58
	v_sub_u32_e32 v92, v19, v9
	v_ashrrev_i32_e32 v9, 31, v19
	v_lshrrev_b32_e32 v9, 22, v9
	v_add_u32_e32 v9, v19, v9
	v_and_b32_e32 v61, 0xfffffc00, v9
	v_sub_u32_e32 v90, v19, v61
	v_ashrrev_i32_e32 v11, 10, v9
	v_cmp_lt_i32_e64 s[24:25], 15, v90
	v_ashrrev_i32_e32 v9, 31, v8
	v_lshl_add_u64 v[44:45], v[8:9], 0, v[118:119]
	v_addc_co_u32_e64 v11, vcc, 0, v11, s[24:25]
	v_sub_u32_e32 v91, v11, v10
	v_lshl_add_u64 v[46:47], v[8:9], 0, v[40:41]
	v_cmp_lt_i32_e32 vcc, 15, v92
	s_and_saveexec_b64 s[34:35], vcc
	s_cbranch_execz .LBB6_1092
; %bb.1012:                             ;   in Loop: Header=BB6_816 Depth=2
	s_and_b32 s26, 0xffff, s9
	s_cmp_eq_u32 s26, 0
	v_lshl_add_u64 v[56:57], v[8:9], 0, v[22:23]
	s_waitcnt lgkmcnt(0)
	v_lshl_add_u64 v[42:43], v[8:9], 0, v[42:43]
	s_mov_b64 s[48:49], 0
	s_mov_b64 s[36:37], 0
	s_cselect_b64 s[26:27], -1, 0
                                        ; implicit-def: $sgpr38_sgpr39
	s_branch .LBB6_1014
.LBB6_1013:                             ;   in Loop: Header=BB6_1014 Depth=3
	s_or_b64 exec, exec, s[28:29]
	v_cmp_gt_i32_e32 vcc, 16, v92
	s_or_b64 s[36:37], vcc, s[36:37]
	s_andn2_b64 s[28:29], s[38:39], exec
	s_and_b64 vcc, s[48:49], exec
	s_or_b64 s[38:39], s[28:29], vcc
	s_andn2_b64 exec, exec, s[36:37]
	s_cbranch_execz .LBB6_1091
.LBB6_1014:                             ;   Parent Loop BB6_47 Depth=1
                                        ;     Parent Loop BB6_816 Depth=2
                                        ; =>    This Loop Header: Depth=3
                                        ;         Child Loop BB6_1015 Depth 4
                                        ;         Child Loop BB6_1050 Depth 4
	;; [unrolled: 1-line block ×4, first 2 shown]
	s_add_i32 s28, s33, 0xa0
	s_mov_b32 s52, s28
	s_mov_b64 s[50:51], -1
	s_mov_b64 s[28:29], 0
.LBB6_1015:                             ;   Parent Loop BB6_47 Depth=1
                                        ;     Parent Loop BB6_816 Depth=2
                                        ;       Parent Loop BB6_1014 Depth=3
                                        ; =>      This Inner Loop Header: Depth=4
	s_cmp_eq_u32 s28, 1
	s_cselect_b64 vcc, -1, 0
	v_cndmask_b32_e32 v13, v57, v43, vcc
	v_cndmask_b32_e32 v12, v56, v42, vcc
	global_load_dwordx4 v[8:11], v[12:13], off nt
	s_cmp_eq_u32 s28, 0
	s_cselect_b64 s[28:29], -1, 0
	s_waitcnt vmcnt(0)
	scratch_store_dwordx4 off, v[8:11], s52
	s_nop 1
	v_lshl_add_u64 v[8:9], v[12:13], 0, s[56:57]
	v_cndmask_b32_e64 v57, v57, v9, s[28:29]
	v_cndmask_b32_e64 v56, v56, v8, s[28:29]
	v_cndmask_b32_e32 v43, v43, v9, vcc
	v_cndmask_b32_e32 v42, v42, v8, vcc
	s_mov_b64 s[28:29], 1
	s_and_b64 vcc, exec, s[50:51]
	s_mov_b64 s[50:51], 0
	s_mov_b32 s52, s85
	s_cbranch_vccnz .LBB6_1015
; %bb.1016:                             ;   in Loop: Header=BB6_1014 Depth=3
	s_and_saveexec_b64 s[28:29], s[48:49]
	s_cbranch_execz .LBB6_1052
; %bb.1017:                             ;   in Loop: Header=BB6_1014 Depth=3
	scratch_load_dwordx4 v[8:11], off, s33 offset:192
	scratch_load_dwordx4 v[12:15], off, s33 offset:208
	s_waitcnt vmcnt(1)
	v_lshlrev_b32_e32 v93, 16, v8
	s_waitcnt vmcnt(0)
	v_lshlrev_b32_e32 v94, 16, v12
	v_max_f32_e32 v94, v94, v94
	v_max_f32_e32 v93, v93, v93
	v_min_f32_e32 v95, v93, v94
	v_max_f32_e32 v93, v93, v94
	v_cndmask_b32_e64 v94, v93, v95, s[26:27]
	v_and_b32_e32 v93, 0x7f800000, v94
	v_cmp_ne_u32_e32 vcc, s40, v93
                                        ; implicit-def: $vgpr93
	s_and_saveexec_b64 s[48:49], vcc
	s_xor_b64 vcc, exec, s[48:49]
; %bb.1018:                             ;   in Loop: Header=BB6_1014 Depth=3
	v_bfe_u32 v93, v94, 16, 1
	v_add3_u32 v93, v94, v93, s41
                                        ; implicit-def: $vgpr94
; %bb.1019:                             ;   in Loop: Header=BB6_1014 Depth=3
	s_andn2_saveexec_b64 s[48:49], vcc
; %bb.1020:                             ;   in Loop: Header=BB6_1014 Depth=3
	v_or_b32_e32 v93, 0x10000, v94
	v_cmp_eq_u32_sdwa vcc, v94, v3 src0_sel:WORD_0 src1_sel:DWORD
	s_nop 1
	v_cndmask_b32_e32 v93, v93, v94, vcc
; %bb.1021:                             ;   in Loop: Header=BB6_1014 Depth=3
	s_or_b64 exec, exec, s[48:49]
	v_and_b32_e32 v8, 0xffff0000, v8
	v_and_b32_e32 v12, 0xffff0000, v12
	v_max_f32_e32 v12, v12, v12
	v_max_f32_e32 v8, v8, v8
	v_min_f32_e32 v94, v8, v12
	v_max_f32_e32 v8, v8, v12
	v_cndmask_b32_e64 v12, v8, v94, s[26:27]
	v_and_b32_e32 v8, 0x7f800000, v12
	v_cmp_ne_u32_e32 vcc, s40, v8
                                        ; implicit-def: $vgpr8
	s_and_saveexec_b64 s[48:49], vcc
	s_xor_b64 vcc, exec, s[48:49]
; %bb.1022:                             ;   in Loop: Header=BB6_1014 Depth=3
	v_bfe_u32 v8, v12, 16, 1
	v_add3_u32 v8, v12, v8, s41
                                        ; implicit-def: $vgpr12
; %bb.1023:                             ;   in Loop: Header=BB6_1014 Depth=3
	s_andn2_saveexec_b64 s[48:49], vcc
; %bb.1024:                             ;   in Loop: Header=BB6_1014 Depth=3
	v_or_b32_e32 v8, 0x10000, v12
	v_cmp_eq_u32_sdwa vcc, v12, v3 src0_sel:WORD_0 src1_sel:DWORD
	s_nop 1
	v_cndmask_b32_e32 v8, v8, v12, vcc
; %bb.1025:                             ;   in Loop: Header=BB6_1014 Depth=3
	s_or_b64 exec, exec, s[48:49]
	v_lshlrev_b32_e32 v12, 16, v9
	v_lshlrev_b32_e32 v94, 16, v13
	v_max_f32_e32 v94, v94, v94
	v_max_f32_e32 v12, v12, v12
	v_min_f32_e32 v95, v12, v94
	v_max_f32_e32 v12, v12, v94
	v_cndmask_b32_e64 v94, v12, v95, s[26:27]
	v_and_b32_e32 v12, 0x7f800000, v94
	v_cmp_ne_u32_e32 vcc, s40, v12
                                        ; implicit-def: $vgpr12
	s_and_saveexec_b64 s[48:49], vcc
	s_xor_b64 vcc, exec, s[48:49]
; %bb.1026:                             ;   in Loop: Header=BB6_1014 Depth=3
	v_bfe_u32 v12, v94, 16, 1
	v_add3_u32 v12, v94, v12, s41
                                        ; implicit-def: $vgpr94
; %bb.1027:                             ;   in Loop: Header=BB6_1014 Depth=3
	s_andn2_saveexec_b64 s[48:49], vcc
; %bb.1028:                             ;   in Loop: Header=BB6_1014 Depth=3
	v_or_b32_e32 v12, 0x10000, v94
	v_cmp_eq_u32_sdwa vcc, v94, v3 src0_sel:WORD_0 src1_sel:DWORD
	s_nop 1
	v_cndmask_b32_e32 v12, v12, v94, vcc
; %bb.1029:                             ;   in Loop: Header=BB6_1014 Depth=3
	s_or_b64 exec, exec, s[48:49]
	v_and_b32_e32 v9, 0xffff0000, v9
	v_and_b32_e32 v13, 0xffff0000, v13
	v_max_f32_e32 v13, v13, v13
	v_max_f32_e32 v9, v9, v9
	v_min_f32_e32 v94, v9, v13
	v_max_f32_e32 v9, v9, v13
	v_cndmask_b32_e64 v13, v9, v94, s[26:27]
	v_and_b32_e32 v9, 0x7f800000, v13
	v_cmp_ne_u32_e32 vcc, s40, v9
                                        ; implicit-def: $vgpr9
	s_and_saveexec_b64 s[48:49], vcc
	s_xor_b64 vcc, exec, s[48:49]
; %bb.1030:                             ;   in Loop: Header=BB6_1014 Depth=3
	v_bfe_u32 v9, v13, 16, 1
	v_add3_u32 v9, v13, v9, s41
                                        ; implicit-def: $vgpr13
; %bb.1031:                             ;   in Loop: Header=BB6_1014 Depth=3
	s_andn2_saveexec_b64 s[48:49], vcc
; %bb.1032:                             ;   in Loop: Header=BB6_1014 Depth=3
	v_or_b32_e32 v9, 0x10000, v13
	v_cmp_eq_u32_sdwa vcc, v13, v3 src0_sel:WORD_0 src1_sel:DWORD
	s_nop 1
	v_cndmask_b32_e32 v9, v9, v13, vcc
; %bb.1033:                             ;   in Loop: Header=BB6_1014 Depth=3
	s_or_b64 exec, exec, s[48:49]
	v_lshlrev_b32_e32 v13, 16, v10
	v_lshlrev_b32_e32 v94, 16, v14
	v_max_f32_e32 v94, v94, v94
	v_max_f32_e32 v13, v13, v13
	v_min_f32_e32 v95, v13, v94
	v_max_f32_e32 v13, v13, v94
	v_cndmask_b32_e64 v94, v13, v95, s[26:27]
	v_and_b32_e32 v13, 0x7f800000, v94
	v_cmp_ne_u32_e32 vcc, s40, v13
                                        ; implicit-def: $vgpr13
	s_and_saveexec_b64 s[48:49], vcc
	s_xor_b64 vcc, exec, s[48:49]
; %bb.1034:                             ;   in Loop: Header=BB6_1014 Depth=3
	v_bfe_u32 v13, v94, 16, 1
	v_add3_u32 v13, v94, v13, s41
                                        ; implicit-def: $vgpr94
; %bb.1035:                             ;   in Loop: Header=BB6_1014 Depth=3
	s_andn2_saveexec_b64 s[48:49], vcc
; %bb.1036:                             ;   in Loop: Header=BB6_1014 Depth=3
	v_or_b32_e32 v13, 0x10000, v94
	v_cmp_eq_u32_sdwa vcc, v94, v3 src0_sel:WORD_0 src1_sel:DWORD
	s_nop 1
	v_cndmask_b32_e32 v13, v13, v94, vcc
; %bb.1037:                             ;   in Loop: Header=BB6_1014 Depth=3
	s_or_b64 exec, exec, s[48:49]
	v_and_b32_e32 v10, 0xffff0000, v10
	v_and_b32_e32 v14, 0xffff0000, v14
	v_max_f32_e32 v14, v14, v14
	v_max_f32_e32 v10, v10, v10
	v_min_f32_e32 v94, v10, v14
	v_max_f32_e32 v10, v10, v14
	v_cndmask_b32_e64 v14, v10, v94, s[26:27]
	v_and_b32_e32 v10, 0x7f800000, v14
	v_cmp_ne_u32_e32 vcc, s40, v10
                                        ; implicit-def: $vgpr10
	s_and_saveexec_b64 s[48:49], vcc
	s_xor_b64 vcc, exec, s[48:49]
; %bb.1038:                             ;   in Loop: Header=BB6_1014 Depth=3
	v_bfe_u32 v10, v14, 16, 1
	v_add3_u32 v10, v14, v10, s41
                                        ; implicit-def: $vgpr14
; %bb.1039:                             ;   in Loop: Header=BB6_1014 Depth=3
	s_andn2_saveexec_b64 s[48:49], vcc
; %bb.1040:                             ;   in Loop: Header=BB6_1014 Depth=3
	v_or_b32_e32 v10, 0x10000, v14
	v_cmp_eq_u32_sdwa vcc, v14, v3 src0_sel:WORD_0 src1_sel:DWORD
	s_nop 1
	v_cndmask_b32_e32 v10, v10, v14, vcc
; %bb.1041:                             ;   in Loop: Header=BB6_1014 Depth=3
	s_or_b64 exec, exec, s[48:49]
	v_lshlrev_b32_e32 v14, 16, v11
	v_lshlrev_b32_e32 v94, 16, v15
	v_max_f32_e32 v94, v94, v94
	v_max_f32_e32 v14, v14, v14
	v_min_f32_e32 v95, v14, v94
	v_max_f32_e32 v14, v14, v94
	v_cndmask_b32_e64 v94, v14, v95, s[26:27]
	v_and_b32_e32 v14, 0x7f800000, v94
	v_cmp_ne_u32_e32 vcc, s40, v14
                                        ; implicit-def: $vgpr14
	s_and_saveexec_b64 s[48:49], vcc
	s_xor_b64 vcc, exec, s[48:49]
; %bb.1042:                             ;   in Loop: Header=BB6_1014 Depth=3
	v_bfe_u32 v14, v94, 16, 1
	v_add3_u32 v14, v94, v14, s41
                                        ; implicit-def: $vgpr94
; %bb.1043:                             ;   in Loop: Header=BB6_1014 Depth=3
	s_andn2_saveexec_b64 s[48:49], vcc
; %bb.1044:                             ;   in Loop: Header=BB6_1014 Depth=3
	v_or_b32_e32 v14, 0x10000, v94
	v_cmp_eq_u32_sdwa vcc, v94, v3 src0_sel:WORD_0 src1_sel:DWORD
	s_nop 1
	v_cndmask_b32_e32 v14, v14, v94, vcc
; %bb.1045:                             ;   in Loop: Header=BB6_1014 Depth=3
	s_or_b64 exec, exec, s[48:49]
	v_and_b32_e32 v11, 0xffff0000, v11
	v_and_b32_e32 v15, 0xffff0000, v15
	v_max_f32_e32 v15, v15, v15
	v_max_f32_e32 v11, v11, v11
	v_min_f32_e32 v94, v11, v15
	v_max_f32_e32 v11, v11, v15
	v_cndmask_b32_e64 v15, v11, v94, s[26:27]
	v_and_b32_e32 v11, 0x7f800000, v15
	v_cmp_ne_u32_e32 vcc, s40, v11
                                        ; implicit-def: $vgpr11
	s_and_saveexec_b64 s[48:49], vcc
	s_xor_b64 vcc, exec, s[48:49]
; %bb.1046:                             ;   in Loop: Header=BB6_1014 Depth=3
	v_bfe_u32 v11, v15, 16, 1
	v_add3_u32 v11, v15, v11, s41
                                        ; implicit-def: $vgpr15
; %bb.1047:                             ;   in Loop: Header=BB6_1014 Depth=3
	s_andn2_saveexec_b64 s[48:49], vcc
; %bb.1048:                             ;   in Loop: Header=BB6_1014 Depth=3
	v_or_b32_e32 v11, 0x10000, v15
	v_cmp_eq_u32_sdwa vcc, v15, v3 src0_sel:WORD_0 src1_sel:DWORD
	s_nop 1
	v_cndmask_b32_e32 v11, v11, v15, vcc
; %bb.1049:                             ;   in Loop: Header=BB6_1014 Depth=3
	s_or_b64 exec, exec, s[48:49]
	v_lshrrev_b32_e32 v12, 16, v12
	v_and_or_b32 v9, v9, s72, v12
	v_lshrrev_b32_e32 v12, 16, v93
	v_and_or_b32 v8, v8, s72, v12
	;; [unrolled: 2-line block ×4, first 2 shown]
	s_mov_b64 s[48:49], -1
	scratch_store_dwordx4 off, v[8:11], s33 offset:192
.LBB6_1050:                             ;   Parent Loop BB6_47 Depth=1
                                        ;     Parent Loop BB6_816 Depth=2
                                        ;       Parent Loop BB6_1014 Depth=3
                                        ; =>      This Inner Loop Header: Depth=4
	s_cmp_eq_u32 s50, 1
	s_cselect_b64 vcc, -1, 0
	v_cndmask_b32_e32 v13, v45, v47, vcc
	v_cndmask_b32_e32 v12, v44, v46, vcc
	global_store_dwordx4 v[12:13], v[8:11], off
	v_lshl_add_u64 v[12:13], v[12:13], 0, s[56:57]
	s_cmp_eq_u32 s50, 0
	v_cndmask_b32_e32 v47, v47, v13, vcc
	v_cndmask_b32_e32 v46, v46, v12, vcc
	s_cselect_b64 vcc, -1, 0
	v_cndmask_b32_e32 v45, v45, v13, vcc
	v_cndmask_b32_e32 v44, v44, v12, vcc
	s_mov_b64 s[50:51], 1
	s_and_b64 vcc, exec, s[48:49]
	s_mov_b64 s[48:49], 0
	s_cbranch_vccnz .LBB6_1050
; %bb.1051:                             ;   in Loop: Header=BB6_1014 Depth=3
	v_lshl_add_u64 v[44:45], v[44:45], 0, v[80:81]
	v_lshl_add_u64 v[46:47], v[46:47], 0, v[80:81]
.LBB6_1052:                             ;   in Loop: Header=BB6_1014 Depth=3
	s_or_b64 exec, exec, s[28:29]
	v_sub_u32_e32 v92, v92, v73
	v_lshl_add_u64 v[56:57], v[56:57], 0, v[80:81]
	v_lshl_add_u64 v[42:43], v[42:43], 0, v[80:81]
	v_cmp_lt_i32_e64 s[48:49], 15, v92
	s_and_saveexec_b64 s[50:51], s[48:49]
	s_cbranch_execz .LBB6_1055
; %bb.1053:                             ;   in Loop: Header=BB6_1014 Depth=3
	s_add_i32 s28, s33, 0xc0
	s_mov_b32 s54, s28
	s_mov_b64 s[28:29], 0
	s_mov_b64 s[52:53], -1
.LBB6_1054:                             ;   Parent Loop BB6_47 Depth=1
                                        ;     Parent Loop BB6_816 Depth=2
                                        ;       Parent Loop BB6_1014 Depth=3
                                        ; =>      This Inner Loop Header: Depth=4
	s_cmp_eq_u32 s28, 1
	s_cselect_b64 vcc, -1, 0
	v_cndmask_b32_e32 v13, v57, v43, vcc
	v_cndmask_b32_e32 v12, v56, v42, vcc
	global_load_dwordx4 v[8:11], v[12:13], off nt
	s_cmp_eq_u32 s28, 0
	s_cselect_b64 s[28:29], -1, 0
	s_waitcnt vmcnt(0)
	scratch_store_dwordx4 off, v[8:11], s54
	s_nop 1
	v_lshl_add_u64 v[8:9], v[12:13], 0, s[56:57]
	v_cndmask_b32_e64 v57, v57, v9, s[28:29]
	v_cndmask_b32_e64 v56, v56, v8, s[28:29]
	v_cndmask_b32_e32 v43, v43, v9, vcc
	v_cndmask_b32_e32 v42, v42, v8, vcc
	s_mov_b64 s[28:29], 1
	s_and_b64 vcc, exec, s[52:53]
	s_mov_b64 s[52:53], 0
	s_mov_b32 s54, s84
	s_cbranch_vccnz .LBB6_1054
.LBB6_1055:                             ;   in Loop: Header=BB6_1014 Depth=3
	s_or_b64 exec, exec, s[50:51]
	scratch_load_dwordx4 v[8:11], off, s33 offset:160
	scratch_load_dwordx4 v[12:15], off, s33 offset:176
	s_waitcnt vmcnt(1)
	v_lshlrev_b32_e32 v93, 16, v8
	s_waitcnt vmcnt(0)
	v_lshlrev_b32_e32 v94, 16, v12
	v_max_f32_e32 v94, v94, v94
	v_max_f32_e32 v93, v93, v93
	v_min_f32_e32 v95, v93, v94
	v_max_f32_e32 v93, v93, v94
	v_cndmask_b32_e64 v94, v93, v95, s[26:27]
	v_and_b32_e32 v93, 0x7f800000, v94
	v_cmp_ne_u32_e32 vcc, s40, v93
                                        ; implicit-def: $vgpr93
	s_and_saveexec_b64 s[28:29], vcc
	s_xor_b64 s[28:29], exec, s[28:29]
; %bb.1056:                             ;   in Loop: Header=BB6_1014 Depth=3
	v_bfe_u32 v93, v94, 16, 1
	v_add3_u32 v93, v94, v93, s41
                                        ; implicit-def: $vgpr94
; %bb.1057:                             ;   in Loop: Header=BB6_1014 Depth=3
	s_andn2_saveexec_b64 s[28:29], s[28:29]
; %bb.1058:                             ;   in Loop: Header=BB6_1014 Depth=3
	v_or_b32_e32 v93, 0x10000, v94
	v_cmp_eq_u32_sdwa vcc, v94, v3 src0_sel:WORD_0 src1_sel:DWORD
	s_nop 1
	v_cndmask_b32_e32 v93, v93, v94, vcc
; %bb.1059:                             ;   in Loop: Header=BB6_1014 Depth=3
	s_or_b64 exec, exec, s[28:29]
	v_and_b32_e32 v8, 0xffff0000, v8
	v_and_b32_e32 v12, 0xffff0000, v12
	v_max_f32_e32 v12, v12, v12
	v_max_f32_e32 v8, v8, v8
	v_min_f32_e32 v94, v8, v12
	v_max_f32_e32 v8, v8, v12
	v_cndmask_b32_e64 v12, v8, v94, s[26:27]
	v_and_b32_e32 v8, 0x7f800000, v12
	v_cmp_ne_u32_e32 vcc, s40, v8
                                        ; implicit-def: $vgpr8
	s_and_saveexec_b64 s[28:29], vcc
	s_xor_b64 s[28:29], exec, s[28:29]
; %bb.1060:                             ;   in Loop: Header=BB6_1014 Depth=3
	v_bfe_u32 v8, v12, 16, 1
	v_add3_u32 v8, v12, v8, s41
                                        ; implicit-def: $vgpr12
; %bb.1061:                             ;   in Loop: Header=BB6_1014 Depth=3
	s_andn2_saveexec_b64 s[28:29], s[28:29]
; %bb.1062:                             ;   in Loop: Header=BB6_1014 Depth=3
	v_or_b32_e32 v8, 0x10000, v12
	v_cmp_eq_u32_sdwa vcc, v12, v3 src0_sel:WORD_0 src1_sel:DWORD
	s_nop 1
	v_cndmask_b32_e32 v8, v8, v12, vcc
; %bb.1063:                             ;   in Loop: Header=BB6_1014 Depth=3
	s_or_b64 exec, exec, s[28:29]
	v_lshlrev_b32_e32 v12, 16, v9
	v_lshlrev_b32_e32 v94, 16, v13
	v_max_f32_e32 v94, v94, v94
	v_max_f32_e32 v12, v12, v12
	v_min_f32_e32 v95, v12, v94
	v_max_f32_e32 v12, v12, v94
	v_cndmask_b32_e64 v94, v12, v95, s[26:27]
	v_and_b32_e32 v12, 0x7f800000, v94
	v_cmp_ne_u32_e32 vcc, s40, v12
                                        ; implicit-def: $vgpr12
	s_and_saveexec_b64 s[28:29], vcc
	s_xor_b64 s[28:29], exec, s[28:29]
; %bb.1064:                             ;   in Loop: Header=BB6_1014 Depth=3
	v_bfe_u32 v12, v94, 16, 1
	v_add3_u32 v12, v94, v12, s41
                                        ; implicit-def: $vgpr94
; %bb.1065:                             ;   in Loop: Header=BB6_1014 Depth=3
	s_andn2_saveexec_b64 s[28:29], s[28:29]
; %bb.1066:                             ;   in Loop: Header=BB6_1014 Depth=3
	v_or_b32_e32 v12, 0x10000, v94
	v_cmp_eq_u32_sdwa vcc, v94, v3 src0_sel:WORD_0 src1_sel:DWORD
	s_nop 1
	v_cndmask_b32_e32 v12, v12, v94, vcc
; %bb.1067:                             ;   in Loop: Header=BB6_1014 Depth=3
	s_or_b64 exec, exec, s[28:29]
	v_and_b32_e32 v9, 0xffff0000, v9
	v_and_b32_e32 v13, 0xffff0000, v13
	v_max_f32_e32 v13, v13, v13
	v_max_f32_e32 v9, v9, v9
	v_min_f32_e32 v94, v9, v13
	v_max_f32_e32 v9, v9, v13
	v_cndmask_b32_e64 v13, v9, v94, s[26:27]
	v_and_b32_e32 v9, 0x7f800000, v13
	v_cmp_ne_u32_e32 vcc, s40, v9
                                        ; implicit-def: $vgpr9
	s_and_saveexec_b64 s[28:29], vcc
	s_xor_b64 s[28:29], exec, s[28:29]
; %bb.1068:                             ;   in Loop: Header=BB6_1014 Depth=3
	v_bfe_u32 v9, v13, 16, 1
	v_add3_u32 v9, v13, v9, s41
                                        ; implicit-def: $vgpr13
; %bb.1069:                             ;   in Loop: Header=BB6_1014 Depth=3
	s_andn2_saveexec_b64 s[28:29], s[28:29]
; %bb.1070:                             ;   in Loop: Header=BB6_1014 Depth=3
	v_or_b32_e32 v9, 0x10000, v13
	v_cmp_eq_u32_sdwa vcc, v13, v3 src0_sel:WORD_0 src1_sel:DWORD
	s_nop 1
	v_cndmask_b32_e32 v9, v9, v13, vcc
; %bb.1071:                             ;   in Loop: Header=BB6_1014 Depth=3
	s_or_b64 exec, exec, s[28:29]
	v_lshlrev_b32_e32 v13, 16, v10
	v_lshlrev_b32_e32 v94, 16, v14
	v_max_f32_e32 v94, v94, v94
	v_max_f32_e32 v13, v13, v13
	v_min_f32_e32 v95, v13, v94
	v_max_f32_e32 v13, v13, v94
	v_cndmask_b32_e64 v94, v13, v95, s[26:27]
	v_and_b32_e32 v13, 0x7f800000, v94
	v_cmp_ne_u32_e32 vcc, s40, v13
                                        ; implicit-def: $vgpr13
	s_and_saveexec_b64 s[28:29], vcc
	s_xor_b64 s[28:29], exec, s[28:29]
; %bb.1072:                             ;   in Loop: Header=BB6_1014 Depth=3
	v_bfe_u32 v13, v94, 16, 1
	v_add3_u32 v13, v94, v13, s41
                                        ; implicit-def: $vgpr94
; %bb.1073:                             ;   in Loop: Header=BB6_1014 Depth=3
	s_andn2_saveexec_b64 s[28:29], s[28:29]
; %bb.1074:                             ;   in Loop: Header=BB6_1014 Depth=3
	v_or_b32_e32 v13, 0x10000, v94
	v_cmp_eq_u32_sdwa vcc, v94, v3 src0_sel:WORD_0 src1_sel:DWORD
	s_nop 1
	v_cndmask_b32_e32 v13, v13, v94, vcc
; %bb.1075:                             ;   in Loop: Header=BB6_1014 Depth=3
	s_or_b64 exec, exec, s[28:29]
	v_and_b32_e32 v10, 0xffff0000, v10
	v_and_b32_e32 v14, 0xffff0000, v14
	v_max_f32_e32 v14, v14, v14
	v_max_f32_e32 v10, v10, v10
	v_min_f32_e32 v94, v10, v14
	v_max_f32_e32 v10, v10, v14
	v_cndmask_b32_e64 v14, v10, v94, s[26:27]
	v_and_b32_e32 v10, 0x7f800000, v14
	v_cmp_ne_u32_e32 vcc, s40, v10
                                        ; implicit-def: $vgpr10
	s_and_saveexec_b64 s[28:29], vcc
	s_xor_b64 s[28:29], exec, s[28:29]
; %bb.1076:                             ;   in Loop: Header=BB6_1014 Depth=3
	v_bfe_u32 v10, v14, 16, 1
	v_add3_u32 v10, v14, v10, s41
                                        ; implicit-def: $vgpr14
; %bb.1077:                             ;   in Loop: Header=BB6_1014 Depth=3
	s_andn2_saveexec_b64 s[28:29], s[28:29]
; %bb.1078:                             ;   in Loop: Header=BB6_1014 Depth=3
	v_or_b32_e32 v10, 0x10000, v14
	v_cmp_eq_u32_sdwa vcc, v14, v3 src0_sel:WORD_0 src1_sel:DWORD
	s_nop 1
	v_cndmask_b32_e32 v10, v10, v14, vcc
; %bb.1079:                             ;   in Loop: Header=BB6_1014 Depth=3
	s_or_b64 exec, exec, s[28:29]
	v_lshlrev_b32_e32 v14, 16, v11
	v_lshlrev_b32_e32 v94, 16, v15
	v_max_f32_e32 v94, v94, v94
	v_max_f32_e32 v14, v14, v14
	v_min_f32_e32 v95, v14, v94
	v_max_f32_e32 v14, v14, v94
	v_cndmask_b32_e64 v94, v14, v95, s[26:27]
	v_and_b32_e32 v14, 0x7f800000, v94
	v_cmp_ne_u32_e32 vcc, s40, v14
                                        ; implicit-def: $vgpr14
	s_and_saveexec_b64 s[28:29], vcc
	s_xor_b64 s[28:29], exec, s[28:29]
; %bb.1080:                             ;   in Loop: Header=BB6_1014 Depth=3
	v_bfe_u32 v14, v94, 16, 1
	v_add3_u32 v14, v94, v14, s41
                                        ; implicit-def: $vgpr94
; %bb.1081:                             ;   in Loop: Header=BB6_1014 Depth=3
	s_andn2_saveexec_b64 s[28:29], s[28:29]
; %bb.1082:                             ;   in Loop: Header=BB6_1014 Depth=3
	v_or_b32_e32 v14, 0x10000, v94
	v_cmp_eq_u32_sdwa vcc, v94, v3 src0_sel:WORD_0 src1_sel:DWORD
	s_nop 1
	v_cndmask_b32_e32 v14, v14, v94, vcc
; %bb.1083:                             ;   in Loop: Header=BB6_1014 Depth=3
	s_or_b64 exec, exec, s[28:29]
	v_and_b32_e32 v11, 0xffff0000, v11
	v_and_b32_e32 v15, 0xffff0000, v15
	v_max_f32_e32 v15, v15, v15
	v_max_f32_e32 v11, v11, v11
	v_min_f32_e32 v94, v11, v15
	v_max_f32_e32 v11, v11, v15
	v_cndmask_b32_e64 v15, v11, v94, s[26:27]
	v_and_b32_e32 v11, 0x7f800000, v15
	v_cmp_ne_u32_e32 vcc, s40, v11
                                        ; implicit-def: $vgpr11
	s_and_saveexec_b64 s[28:29], vcc
	s_xor_b64 s[28:29], exec, s[28:29]
; %bb.1084:                             ;   in Loop: Header=BB6_1014 Depth=3
	v_bfe_u32 v11, v15, 16, 1
	v_add3_u32 v11, v15, v11, s41
                                        ; implicit-def: $vgpr15
; %bb.1085:                             ;   in Loop: Header=BB6_1014 Depth=3
	s_andn2_saveexec_b64 s[28:29], s[28:29]
; %bb.1086:                             ;   in Loop: Header=BB6_1014 Depth=3
	v_or_b32_e32 v11, 0x10000, v15
	v_cmp_eq_u32_sdwa vcc, v15, v3 src0_sel:WORD_0 src1_sel:DWORD
	s_nop 1
	v_cndmask_b32_e32 v11, v11, v15, vcc
; %bb.1087:                             ;   in Loop: Header=BB6_1014 Depth=3
	s_or_b64 exec, exec, s[28:29]
	v_lshrrev_b32_e32 v12, 16, v12
	v_and_or_b32 v9, v9, s72, v12
	v_lshrrev_b32_e32 v12, 16, v93
	v_and_or_b32 v8, v8, s72, v12
	;; [unrolled: 2-line block ×4, first 2 shown]
	s_mov_b64 s[50:51], 0
	s_mov_b64 s[28:29], -1
	scratch_store_dwordx4 off, v[8:11], s33 offset:160
.LBB6_1088:                             ;   Parent Loop BB6_47 Depth=1
                                        ;     Parent Loop BB6_816 Depth=2
                                        ;       Parent Loop BB6_1014 Depth=3
                                        ; =>      This Inner Loop Header: Depth=4
	s_cmp_eq_u32 s50, 1
	s_cselect_b64 vcc, -1, 0
	v_cndmask_b32_e32 v13, v45, v47, vcc
	v_cndmask_b32_e32 v12, v44, v46, vcc
	global_store_dwordx4 v[12:13], v[8:11], off
	v_lshl_add_u64 v[12:13], v[12:13], 0, s[56:57]
	s_cmp_eq_u32 s50, 0
	v_cndmask_b32_e32 v47, v47, v13, vcc
	v_cndmask_b32_e32 v46, v46, v12, vcc
	s_cselect_b64 vcc, -1, 0
	v_cndmask_b32_e32 v45, v45, v13, vcc
	v_cndmask_b32_e32 v44, v44, v12, vcc
	s_mov_b64 s[50:51], 1
	s_and_b64 vcc, exec, s[28:29]
	s_mov_b64 s[28:29], 0
	s_cbranch_vccnz .LBB6_1088
; %bb.1089:                             ;   in Loop: Header=BB6_1014 Depth=3
	v_sub_u32_e32 v91, v91, v52
	s_and_saveexec_b64 s[28:29], s[48:49]
	s_cbranch_execz .LBB6_1013
; %bb.1090:                             ;   in Loop: Header=BB6_1014 Depth=3
	v_lshl_add_u64 v[44:45], v[44:45], 0, v[80:81]
	v_lshl_add_u64 v[46:47], v[46:47], 0, v[80:81]
	;; [unrolled: 1-line block ×4, first 2 shown]
	v_sub_u32_e32 v92, v92, v73
	v_sub_u32_e32 v91, v91, v52
	s_branch .LBB6_1013
.LBB6_1091:                             ;   in Loop: Header=BB6_816 Depth=2
	s_or_b64 exec, exec, s[36:37]
	s_and_b64 s[26:27], s[38:39], exec
.LBB6_1092:                             ;   in Loop: Header=BB6_816 Depth=2
	s_or_b64 exec, exec, s[34:35]
	s_and_saveexec_b64 s[34:35], s[26:27]
	s_cbranch_execz .LBB6_1127
; %bb.1093:                             ;   in Loop: Header=BB6_816 Depth=2
	scratch_load_dwordx4 v[8:11], off, s33 offset:192
	scratch_load_dwordx4 v[12:15], off, s33 offset:208
	s_and_b32 s26, 0xffff, s9
	s_cmp_eq_u32 s26, 0
	s_cselect_b64 vcc, -1, 0
	s_waitcnt vmcnt(0) lgkmcnt(0)
	v_lshlrev_b32_e32 v42, 16, v8
	v_lshlrev_b32_e32 v43, 16, v12
	v_max_f32_e32 v43, v43, v43
	v_max_f32_e32 v42, v42, v42
	v_min_f32_e32 v56, v42, v43
	v_max_f32_e32 v42, v42, v43
	v_cndmask_b32_e32 v43, v42, v56, vcc
	v_and_b32_e32 v42, 0x7f800000, v43
	v_cmp_ne_u32_e64 s[26:27], s40, v42
                                        ; implicit-def: $vgpr42
	s_and_saveexec_b64 s[28:29], s[26:27]
	s_xor_b64 s[26:27], exec, s[28:29]
; %bb.1094:                             ;   in Loop: Header=BB6_816 Depth=2
	v_bfe_u32 v42, v43, 16, 1
	v_add3_u32 v42, v43, v42, s41
                                        ; implicit-def: $vgpr43
; %bb.1095:                             ;   in Loop: Header=BB6_816 Depth=2
	s_andn2_saveexec_b64 s[28:29], s[26:27]
; %bb.1096:                             ;   in Loop: Header=BB6_816 Depth=2
	v_or_b32_e32 v42, 0x10000, v43
	v_cmp_eq_u32_sdwa s[26:27], v43, v3 src0_sel:WORD_0 src1_sel:DWORD
	s_nop 1
	v_cndmask_b32_e64 v42, v42, v43, s[26:27]
; %bb.1097:                             ;   in Loop: Header=BB6_816 Depth=2
	s_or_b64 exec, exec, s[28:29]
	v_and_b32_e32 v8, 0xffff0000, v8
	v_and_b32_e32 v12, 0xffff0000, v12
	v_max_f32_e32 v12, v12, v12
	v_max_f32_e32 v8, v8, v8
	v_min_f32_e32 v43, v8, v12
	v_max_f32_e32 v8, v8, v12
	v_cndmask_b32_e32 v12, v8, v43, vcc
	v_and_b32_e32 v8, 0x7f800000, v12
	v_cmp_ne_u32_e64 s[26:27], s40, v8
                                        ; implicit-def: $vgpr8
	s_and_saveexec_b64 s[28:29], s[26:27]
	s_xor_b64 s[26:27], exec, s[28:29]
; %bb.1098:                             ;   in Loop: Header=BB6_816 Depth=2
	v_bfe_u32 v8, v12, 16, 1
	v_add3_u32 v8, v12, v8, s41
                                        ; implicit-def: $vgpr12
; %bb.1099:                             ;   in Loop: Header=BB6_816 Depth=2
	s_andn2_saveexec_b64 s[28:29], s[26:27]
; %bb.1100:                             ;   in Loop: Header=BB6_816 Depth=2
	v_or_b32_e32 v8, 0x10000, v12
	v_cmp_eq_u32_sdwa s[26:27], v12, v3 src0_sel:WORD_0 src1_sel:DWORD
	s_nop 1
	v_cndmask_b32_e64 v8, v8, v12, s[26:27]
; %bb.1101:                             ;   in Loop: Header=BB6_816 Depth=2
	s_or_b64 exec, exec, s[28:29]
	v_lshlrev_b32_e32 v12, 16, v9
	v_lshlrev_b32_e32 v43, 16, v13
	v_max_f32_e32 v43, v43, v43
	v_max_f32_e32 v12, v12, v12
	v_min_f32_e32 v56, v12, v43
	v_max_f32_e32 v12, v12, v43
	v_cndmask_b32_e32 v43, v12, v56, vcc
	v_and_b32_e32 v12, 0x7f800000, v43
	v_cmp_ne_u32_e64 s[26:27], s40, v12
                                        ; implicit-def: $vgpr12
	s_and_saveexec_b64 s[28:29], s[26:27]
	s_xor_b64 s[26:27], exec, s[28:29]
; %bb.1102:                             ;   in Loop: Header=BB6_816 Depth=2
	v_bfe_u32 v12, v43, 16, 1
	v_add3_u32 v12, v43, v12, s41
                                        ; implicit-def: $vgpr43
; %bb.1103:                             ;   in Loop: Header=BB6_816 Depth=2
	s_andn2_saveexec_b64 s[28:29], s[26:27]
; %bb.1104:                             ;   in Loop: Header=BB6_816 Depth=2
	v_or_b32_e32 v12, 0x10000, v43
	v_cmp_eq_u32_sdwa s[26:27], v43, v3 src0_sel:WORD_0 src1_sel:DWORD
	s_nop 1
	v_cndmask_b32_e64 v12, v12, v43, s[26:27]
; %bb.1105:                             ;   in Loop: Header=BB6_816 Depth=2
	s_or_b64 exec, exec, s[28:29]
	v_and_b32_e32 v9, 0xffff0000, v9
	v_and_b32_e32 v13, 0xffff0000, v13
	v_max_f32_e32 v13, v13, v13
	v_max_f32_e32 v9, v9, v9
	v_min_f32_e32 v43, v9, v13
	v_max_f32_e32 v9, v9, v13
	v_cndmask_b32_e32 v13, v9, v43, vcc
	v_and_b32_e32 v9, 0x7f800000, v13
	v_cmp_ne_u32_e64 s[26:27], s40, v9
                                        ; implicit-def: $vgpr9
	s_and_saveexec_b64 s[28:29], s[26:27]
	s_xor_b64 s[26:27], exec, s[28:29]
; %bb.1106:                             ;   in Loop: Header=BB6_816 Depth=2
	v_bfe_u32 v9, v13, 16, 1
	v_add3_u32 v9, v13, v9, s41
                                        ; implicit-def: $vgpr13
; %bb.1107:                             ;   in Loop: Header=BB6_816 Depth=2
	s_andn2_saveexec_b64 s[28:29], s[26:27]
; %bb.1108:                             ;   in Loop: Header=BB6_816 Depth=2
	v_or_b32_e32 v9, 0x10000, v13
	v_cmp_eq_u32_sdwa s[26:27], v13, v3 src0_sel:WORD_0 src1_sel:DWORD
	s_nop 1
	v_cndmask_b32_e64 v9, v9, v13, s[26:27]
; %bb.1109:                             ;   in Loop: Header=BB6_816 Depth=2
	s_or_b64 exec, exec, s[28:29]
	v_lshlrev_b32_e32 v13, 16, v10
	v_lshlrev_b32_e32 v43, 16, v14
	v_max_f32_e32 v43, v43, v43
	v_max_f32_e32 v13, v13, v13
	v_min_f32_e32 v56, v13, v43
	v_max_f32_e32 v13, v13, v43
	v_cndmask_b32_e32 v43, v13, v56, vcc
	v_and_b32_e32 v13, 0x7f800000, v43
	v_cmp_ne_u32_e64 s[26:27], s40, v13
                                        ; implicit-def: $vgpr13
	s_and_saveexec_b64 s[28:29], s[26:27]
	s_xor_b64 s[26:27], exec, s[28:29]
; %bb.1110:                             ;   in Loop: Header=BB6_816 Depth=2
	v_bfe_u32 v13, v43, 16, 1
	v_add3_u32 v13, v43, v13, s41
                                        ; implicit-def: $vgpr43
; %bb.1111:                             ;   in Loop: Header=BB6_816 Depth=2
	s_andn2_saveexec_b64 s[28:29], s[26:27]
; %bb.1112:                             ;   in Loop: Header=BB6_816 Depth=2
	v_or_b32_e32 v13, 0x10000, v43
	v_cmp_eq_u32_sdwa s[26:27], v43, v3 src0_sel:WORD_0 src1_sel:DWORD
	s_nop 1
	v_cndmask_b32_e64 v13, v13, v43, s[26:27]
; %bb.1113:                             ;   in Loop: Header=BB6_816 Depth=2
	s_or_b64 exec, exec, s[28:29]
	v_and_b32_e32 v10, 0xffff0000, v10
	v_and_b32_e32 v14, 0xffff0000, v14
	v_max_f32_e32 v14, v14, v14
	v_max_f32_e32 v10, v10, v10
	v_min_f32_e32 v43, v10, v14
	v_max_f32_e32 v10, v10, v14
	v_cndmask_b32_e32 v14, v10, v43, vcc
	v_and_b32_e32 v10, 0x7f800000, v14
	v_cmp_ne_u32_e64 s[26:27], s40, v10
                                        ; implicit-def: $vgpr10
	s_and_saveexec_b64 s[28:29], s[26:27]
	s_xor_b64 s[26:27], exec, s[28:29]
; %bb.1114:                             ;   in Loop: Header=BB6_816 Depth=2
	v_bfe_u32 v10, v14, 16, 1
	v_add3_u32 v10, v14, v10, s41
                                        ; implicit-def: $vgpr14
; %bb.1115:                             ;   in Loop: Header=BB6_816 Depth=2
	s_andn2_saveexec_b64 s[28:29], s[26:27]
; %bb.1116:                             ;   in Loop: Header=BB6_816 Depth=2
	v_or_b32_e32 v10, 0x10000, v14
	v_cmp_eq_u32_sdwa s[26:27], v14, v3 src0_sel:WORD_0 src1_sel:DWORD
	s_nop 1
	v_cndmask_b32_e64 v10, v10, v14, s[26:27]
; %bb.1117:                             ;   in Loop: Header=BB6_816 Depth=2
	s_or_b64 exec, exec, s[28:29]
	v_lshlrev_b32_e32 v14, 16, v11
	v_lshlrev_b32_e32 v43, 16, v15
	v_max_f32_e32 v43, v43, v43
	v_max_f32_e32 v14, v14, v14
	v_min_f32_e32 v56, v14, v43
	v_max_f32_e32 v14, v14, v43
	v_cndmask_b32_e32 v43, v14, v56, vcc
	v_and_b32_e32 v14, 0x7f800000, v43
	v_cmp_ne_u32_e64 s[26:27], s40, v14
                                        ; implicit-def: $vgpr14
	s_and_saveexec_b64 s[28:29], s[26:27]
	s_xor_b64 s[26:27], exec, s[28:29]
; %bb.1118:                             ;   in Loop: Header=BB6_816 Depth=2
	v_bfe_u32 v14, v43, 16, 1
	v_add3_u32 v14, v43, v14, s41
                                        ; implicit-def: $vgpr43
; %bb.1119:                             ;   in Loop: Header=BB6_816 Depth=2
	s_andn2_saveexec_b64 s[28:29], s[26:27]
; %bb.1120:                             ;   in Loop: Header=BB6_816 Depth=2
	v_or_b32_e32 v14, 0x10000, v43
	v_cmp_eq_u32_sdwa s[26:27], v43, v3 src0_sel:WORD_0 src1_sel:DWORD
	s_nop 1
	v_cndmask_b32_e64 v14, v14, v43, s[26:27]
; %bb.1121:                             ;   in Loop: Header=BB6_816 Depth=2
	s_or_b64 exec, exec, s[28:29]
	v_and_b32_e32 v11, 0xffff0000, v11
	v_and_b32_e32 v15, 0xffff0000, v15
	v_max_f32_e32 v15, v15, v15
	v_max_f32_e32 v11, v11, v11
	v_min_f32_e32 v43, v11, v15
	v_max_f32_e32 v11, v11, v15
	v_cndmask_b32_e32 v15, v11, v43, vcc
	v_and_b32_e32 v11, 0x7f800000, v15
	v_cmp_ne_u32_e32 vcc, s40, v11
                                        ; implicit-def: $vgpr11
	s_and_saveexec_b64 s[26:27], vcc
	s_xor_b64 s[26:27], exec, s[26:27]
; %bb.1122:                             ;   in Loop: Header=BB6_816 Depth=2
	v_bfe_u32 v11, v15, 16, 1
	v_add3_u32 v11, v15, v11, s41
                                        ; implicit-def: $vgpr15
; %bb.1123:                             ;   in Loop: Header=BB6_816 Depth=2
	s_andn2_saveexec_b64 s[26:27], s[26:27]
; %bb.1124:                             ;   in Loop: Header=BB6_816 Depth=2
	v_or_b32_e32 v11, 0x10000, v15
	v_cmp_eq_u32_sdwa vcc, v15, v3 src0_sel:WORD_0 src1_sel:DWORD
	s_nop 1
	v_cndmask_b32_e32 v11, v11, v15, vcc
; %bb.1125:                             ;   in Loop: Header=BB6_816 Depth=2
	s_or_b64 exec, exec, s[26:27]
	v_lshrrev_b32_e32 v12, 16, v12
	v_and_or_b32 v9, v9, s72, v12
	v_lshrrev_b32_e32 v12, 16, v42
	v_and_or_b32 v8, v8, s72, v12
	;; [unrolled: 2-line block ×4, first 2 shown]
	s_mov_b64 s[38:39], 0
	s_mov_b64 s[36:37], -1
.LBB6_1126:                             ;   Parent Loop BB6_47 Depth=1
                                        ;     Parent Loop BB6_816 Depth=2
                                        ; =>    This Inner Loop Header: Depth=3
	s_cmp_eq_u32 s38, 1
	s_cselect_b64 vcc, -1, 0
	v_cndmask_b32_e32 v13, v45, v47, vcc
	s_cmp_eq_u32 s38, 0
	v_cndmask_b32_e32 v12, v44, v46, vcc
	global_store_dwordx4 v[12:13], v[8:11], off
	v_lshl_add_u64 v[12:13], v[12:13], 0, s[56:57]
	s_cselect_b64 s[26:27], -1, 0
	s_and_b64 s[28:29], exec, s[36:37]
	s_mov_b64 s[38:39], 1
	s_mov_b64 s[36:37], 0
	v_cndmask_b32_e32 v47, v47, v13, vcc
	v_cndmask_b32_e32 v46, v46, v12, vcc
	v_cndmask_b32_e64 v45, v45, v13, s[26:27]
	v_cndmask_b32_e64 v44, v44, v12, s[26:27]
	s_mov_b64 vcc, s[28:29]
	s_cbranch_vccnz .LBB6_1126
.LBB6_1127:                             ;   in Loop: Header=BB6_816 Depth=2
	s_or_b64 exec, exec, s[34:35]
	v_and_b32_e32 v9, 14, v19
	v_cndmask_b32_e64 v45, v90, v9, s[24:25]
	v_cmp_ne_u32_e32 vcc, 0, v45
	s_mov_b64 s[26:27], s[94:95]
                                        ; implicit-def: $vgpr44
                                        ; implicit-def: $vgpr8
                                        ; implicit-def: $vgpr46
	s_and_saveexec_b64 s[28:29], vcc
	s_cbranch_execz .LBB6_1129
; %bb.1128:                             ;   in Loop: Header=BB6_816 Depth=2
	v_sub_u32_e32 v8, v90, v9
	v_cndmask_b32_e64 v8, 0, v8, s[24:25]
	v_cmp_lt_i32_e32 vcc, 0, v91
	v_add3_u32 v44, v61, v58, v8
	s_or_b64 s[26:27], s[94:95], exec
	v_cndmask_b32_e32 v8, 0, v52, vcc
	v_sub_u32_e32 v8, v8, v91
	v_lshl_add_u32 v8, v8, 6, v59
	v_ashrrev_i32_e32 v9, 31, v8
	v_lshrrev_b32_e32 v9, 26, v9
	v_add_u32_e32 v9, v8, v9
	v_and_b32_e32 v9, 0xffffffc0, v9
	v_sub_u32_e32 v46, v8, v9
.LBB6_1129:                             ;   in Loop: Header=BB6_816 Depth=2
	s_or_b64 exec, exec, s[28:29]
	s_andn2_b64 s[24:25], s[94:95], exec
	s_and_b64 s[26:27], s[26:27], exec
	s_or_b64 s[94:95], s[24:25], s[26:27]
.LBB6_1130:                             ;   in Loop: Header=BB6_816 Depth=2
	s_or_b64 exec, exec, s[30:31]
	s_and_saveexec_b64 s[30:31], s[94:95]
	s_cbranch_execz .LBB6_1223
.LBB6_1131:                             ;   in Loop: Header=BB6_816 Depth=2
	v_ashrrev_i32_e32 v9, 31, v8
	v_lshrrev_b32_e32 v9, 26, v9
	v_add_u32_e32 v8, v8, v9
	v_ashrrev_i32_e32 v8, 6, v8
	v_lshlrev_b32_e32 v9, 9, v8
	v_lshlrev_b32_e32 v10, 1, v46
	v_add3_u32 v14, v44, v10, v9
	v_ashrrev_i32_e32 v9, 31, v45
	v_lshrrev_b32_e32 v9, 23, v9
	v_add_u32_e32 v9, v45, v9
	s_waitcnt lgkmcnt(0)
	v_ashrrev_i32_e32 v42, 9, v9
	v_ashrrev_i32_e32 v15, 31, v14
	v_sub_u32_e32 v19, v42, v8
	v_lshl_add_u64 v[10:11], v[118:119], 0, v[14:15]
	v_lshl_add_u64 v[8:9], v[40:41], 0, v[14:15]
	v_cmp_lt_i32_e32 vcc, 0, v19
	v_mov_b32_e32 v91, 0
	s_mov_b64 s[24:25], 0
	v_mov_b32_e32 v61, 0
	v_mov_b32_e32 v43, 0
	;; [unrolled: 1-line block ×7, first 2 shown]
	s_and_saveexec_b64 s[26:27], vcc
	s_cbranch_execz .LBB6_1173
; %bb.1132:                             ;   in Loop: Header=BB6_816 Depth=2
	s_trap 2
	ds_read_b64 v[56:57], v0
	s_and_b32 s24, s9, 0xff
	s_cmp_eq_u32 s24, 0
	v_lshl_add_u64 v[12:13], v[14:15], 0, v[22:23]
	s_mov_b64 s[34:35], 0
	s_waitcnt lgkmcnt(0)
	v_lshl_add_u64 v[14:15], v[56:57], 0, v[14:15]
	s_mov_b64 s[94:95], 0
	s_cselect_b64 vcc, -1, 0
                                        ; implicit-def: $sgpr28_sgpr29
                                        ; implicit-def: $vgpr92
                                        ; implicit-def: $vgpr61
                                        ; implicit-def: $vgpr59
                                        ; implicit-def: $vgpr58
                                        ; implicit-def: $vgpr43
                                        ; implicit-def: $vgpr47
                                        ; implicit-def: $vgpr56
                                        ; implicit-def: $vgpr57
	s_branch .LBB6_1134
.LBB6_1133:                             ;   in Loop: Header=BB6_1134 Depth=3
	s_or_b64 exec, exec, s[24:25]
	v_cmp_gt_i32_e64 s[24:25], 1, v19
	s_or_b64 s[94:95], s[24:25], s[94:95]
	s_andn2_b64 s[24:25], s[28:29], exec
	s_and_b64 s[28:29], s[34:35], exec
	s_or_b64 s[28:29], s[24:25], s[28:29]
	s_andn2_b64 exec, exec, s[94:95]
	s_cbranch_execz .LBB6_1172
.LBB6_1134:                             ;   Parent Loop BB6_47 Depth=1
                                        ;     Parent Loop BB6_816 Depth=2
                                        ; =>    This Inner Loop Header: Depth=3
	flat_load_ushort v105, v[12:13] nt
	flat_load_ushort v95, v[12:13] offset:128 nt
	flat_load_ushort v93, v[12:13] offset:256 nt
	;; [unrolled: 1-line block ×3, first 2 shown]
	flat_load_ushort v106, v[14:15] nt
	flat_load_ushort v104, v[14:15] offset:128 nt
	flat_load_ushort v94, v[14:15] offset:256 nt
	;; [unrolled: 1-line block ×3, first 2 shown]
	s_and_saveexec_b64 s[36:37], s[34:35]
	s_cbranch_execz .LBB6_1152
; %bb.1135:                             ;   in Loop: Header=BB6_1134 Depth=3
	v_lshlrev_b32_e32 v92, 16, v92
	v_lshlrev_b32_e32 v107, 16, v43
	v_max_f32_e32 v107, v107, v107
	v_max_f32_e32 v92, v92, v92
	v_min_f32_e32 v110, v92, v107
	v_max_f32_e32 v92, v92, v107
	v_cndmask_b32_e32 v107, v92, v110, vcc
	v_and_b32_e32 v92, 0x7f800000, v107
	v_cmp_ne_u32_e64 s[24:25], s40, v92
                                        ; implicit-def: $vgpr92
	s_and_saveexec_b64 s[34:35], s[24:25]
	s_xor_b64 s[24:25], exec, s[34:35]
; %bb.1136:                             ;   in Loop: Header=BB6_1134 Depth=3
	v_bfe_u32 v92, v107, 16, 1
	v_add3_u32 v92, v107, v92, s41
                                        ; implicit-def: $vgpr107
; %bb.1137:                             ;   in Loop: Header=BB6_1134 Depth=3
	s_andn2_saveexec_b64 s[34:35], s[24:25]
; %bb.1138:                             ;   in Loop: Header=BB6_1134 Depth=3
	v_or_b32_e32 v92, 0x10000, v107
	v_cmp_eq_u32_sdwa s[24:25], v107, v3 src0_sel:WORD_0 src1_sel:DWORD
	s_nop 1
	v_cndmask_b32_e64 v92, v92, v107, s[24:25]
; %bb.1139:                             ;   in Loop: Header=BB6_1134 Depth=3
	s_or_b64 exec, exec, s[34:35]
	v_lshlrev_b32_e32 v61, 16, v61
	v_lshlrev_b32_e32 v107, 16, v47
	v_max_f32_e32 v107, v107, v107
	v_max_f32_e32 v61, v61, v61
	v_min_f32_e32 v110, v61, v107
	v_max_f32_e32 v61, v61, v107
	v_cndmask_b32_e32 v107, v61, v110, vcc
	v_and_b32_e32 v61, 0x7f800000, v107
	v_cmp_ne_u32_e64 s[24:25], s40, v61
                                        ; implicit-def: $vgpr61
	s_and_saveexec_b64 s[34:35], s[24:25]
	s_xor_b64 s[24:25], exec, s[34:35]
; %bb.1140:                             ;   in Loop: Header=BB6_1134 Depth=3
	v_bfe_u32 v61, v107, 16, 1
	v_add3_u32 v61, v107, v61, s41
                                        ; implicit-def: $vgpr107
; %bb.1141:                             ;   in Loop: Header=BB6_1134 Depth=3
	s_andn2_saveexec_b64 s[34:35], s[24:25]
; %bb.1142:                             ;   in Loop: Header=BB6_1134 Depth=3
	v_or_b32_e32 v61, 0x10000, v107
	v_cmp_eq_u32_sdwa s[24:25], v107, v3 src0_sel:WORD_0 src1_sel:DWORD
	s_nop 1
	v_cndmask_b32_e64 v61, v61, v107, s[24:25]
; %bb.1143:                             ;   in Loop: Header=BB6_1134 Depth=3
	s_or_b64 exec, exec, s[34:35]
	v_lshlrev_b32_e32 v59, 16, v59
	v_lshlrev_b32_e32 v107, 16, v56
	v_max_f32_e32 v107, v107, v107
	v_max_f32_e32 v59, v59, v59
	v_min_f32_e32 v110, v59, v107
	v_max_f32_e32 v59, v59, v107
	v_cndmask_b32_e32 v107, v59, v110, vcc
	v_and_b32_e32 v59, 0x7f800000, v107
	v_cmp_ne_u32_e64 s[24:25], s40, v59
                                        ; implicit-def: $vgpr59
	s_and_saveexec_b64 s[34:35], s[24:25]
	s_xor_b64 s[24:25], exec, s[34:35]
; %bb.1144:                             ;   in Loop: Header=BB6_1134 Depth=3
	v_bfe_u32 v59, v107, 16, 1
	v_add3_u32 v59, v107, v59, s41
                                        ; implicit-def: $vgpr107
; %bb.1145:                             ;   in Loop: Header=BB6_1134 Depth=3
	s_andn2_saveexec_b64 s[34:35], s[24:25]
; %bb.1146:                             ;   in Loop: Header=BB6_1134 Depth=3
	v_or_b32_e32 v59, 0x10000, v107
	v_cmp_eq_u32_sdwa s[24:25], v107, v3 src0_sel:WORD_0 src1_sel:DWORD
	s_nop 1
	v_cndmask_b32_e64 v59, v59, v107, s[24:25]
; %bb.1147:                             ;   in Loop: Header=BB6_1134 Depth=3
	s_or_b64 exec, exec, s[34:35]
	v_lshlrev_b32_e32 v58, 16, v58
	v_lshlrev_b32_e32 v107, 16, v57
	v_max_f32_e32 v107, v107, v107
	v_max_f32_e32 v58, v58, v58
	v_min_f32_e32 v110, v58, v107
	v_max_f32_e32 v58, v58, v107
	v_cndmask_b32_e32 v107, v58, v110, vcc
	v_and_b32_e32 v58, 0x7f800000, v107
	v_cmp_ne_u32_e64 s[24:25], s40, v58
                                        ; implicit-def: $vgpr58
	s_and_saveexec_b64 s[34:35], s[24:25]
	s_xor_b64 s[24:25], exec, s[34:35]
; %bb.1148:                             ;   in Loop: Header=BB6_1134 Depth=3
	v_bfe_u32 v58, v107, 16, 1
	v_add3_u32 v58, v107, v58, s41
                                        ; implicit-def: $vgpr107
; %bb.1149:                             ;   in Loop: Header=BB6_1134 Depth=3
	s_andn2_saveexec_b64 s[34:35], s[24:25]
; %bb.1150:                             ;   in Loop: Header=BB6_1134 Depth=3
	v_or_b32_e32 v58, 0x10000, v107
	v_cmp_eq_u32_sdwa s[24:25], v107, v3 src0_sel:WORD_0 src1_sel:DWORD
	s_nop 1
	v_cndmask_b32_e64 v58, v58, v107, s[24:25]
; %bb.1151:                             ;   in Loop: Header=BB6_1134 Depth=3
	s_or_b64 exec, exec, s[34:35]
	v_lshrrev_b32_e32 v92, 16, v92
	v_lshrrev_b32_e32 v59, 16, v59
	;; [unrolled: 1-line block ×4, first 2 shown]
	flat_store_short v[10:11], v92 nt
	flat_store_short v[10:11], v61 offset:128 nt
	flat_store_short v[10:11], v59 offset:256 nt
	;; [unrolled: 1-line block ×3, first 2 shown]
	flat_store_short v[8:9], v92 nt
	flat_store_short v[8:9], v61 offset:128 nt
	flat_store_short v[8:9], v59 offset:256 nt
	;; [unrolled: 1-line block ×3, first 2 shown]
	v_lshl_add_u64 v[10:11], v[10:11], 0, v[86:87]
	v_lshl_add_u64 v[8:9], v[8:9], 0, v[86:87]
.LBB6_1152:                             ;   in Loop: Header=BB6_1134 Depth=3
	s_or_b64 exec, exec, s[36:37]
	v_sub_u32_e32 v19, v19, v52
	v_lshl_add_u64 v[12:13], v[12:13], 0, v[86:87]
	v_lshl_add_u64 v[14:15], v[14:15], 0, v[86:87]
	v_cmp_lt_i32_e64 s[34:35], 0, v19
	s_and_saveexec_b64 s[24:25], s[34:35]
	s_cbranch_execz .LBB6_1154
; %bb.1153:                             ;   in Loop: Header=BB6_1134 Depth=3
	flat_load_ushort v92, v[12:13] nt
	flat_load_ushort v61, v[12:13] offset:128 nt
	flat_load_ushort v59, v[12:13] offset:256 nt
	;; [unrolled: 1-line block ×3, first 2 shown]
	flat_load_ushort v43, v[14:15] nt
	flat_load_ushort v47, v[14:15] offset:128 nt
	flat_load_ushort v56, v[14:15] offset:256 nt
	flat_load_ushort v57, v[14:15] offset:384 nt
	v_lshl_add_u64 v[12:13], v[12:13], 0, s[58:59]
	v_lshl_add_u64 v[14:15], v[14:15], 0, s[58:59]
.LBB6_1154:                             ;   in Loop: Header=BB6_1134 Depth=3
	s_or_b64 exec, exec, s[24:25]
	s_waitcnt vmcnt(0) lgkmcnt(0)
	v_lshlrev_b32_e32 v105, 16, v105
	v_lshlrev_b32_e32 v106, 16, v106
	v_max_f32_e32 v106, v106, v106
	v_max_f32_e32 v105, v105, v105
	v_min_f32_e32 v107, v105, v106
	v_max_f32_e32 v105, v105, v106
	v_cndmask_b32_e32 v106, v105, v107, vcc
	v_and_b32_e32 v105, 0x7f800000, v106
	v_cmp_ne_u32_e64 s[24:25], s40, v105
                                        ; implicit-def: $vgpr105
	s_and_saveexec_b64 s[36:37], s[24:25]
	s_xor_b64 s[24:25], exec, s[36:37]
; %bb.1155:                             ;   in Loop: Header=BB6_1134 Depth=3
	v_bfe_u32 v105, v106, 16, 1
	v_add3_u32 v105, v106, v105, s41
                                        ; implicit-def: $vgpr106
; %bb.1156:                             ;   in Loop: Header=BB6_1134 Depth=3
	s_andn2_saveexec_b64 s[36:37], s[24:25]
; %bb.1157:                             ;   in Loop: Header=BB6_1134 Depth=3
	v_or_b32_e32 v105, 0x10000, v106
	v_cmp_eq_u32_sdwa s[24:25], v106, v3 src0_sel:WORD_0 src1_sel:DWORD
	s_nop 1
	v_cndmask_b32_e64 v105, v105, v106, s[24:25]
; %bb.1158:                             ;   in Loop: Header=BB6_1134 Depth=3
	s_or_b64 exec, exec, s[36:37]
	v_lshlrev_b32_e32 v95, 16, v95
	v_lshlrev_b32_e32 v104, 16, v104
	v_max_f32_e32 v104, v104, v104
	v_max_f32_e32 v95, v95, v95
	v_min_f32_e32 v106, v95, v104
	v_max_f32_e32 v95, v95, v104
	v_cndmask_b32_e32 v104, v95, v106, vcc
	v_and_b32_e32 v95, 0x7f800000, v104
	v_cmp_ne_u32_e64 s[24:25], s40, v95
                                        ; implicit-def: $vgpr95
	s_and_saveexec_b64 s[36:37], s[24:25]
	s_xor_b64 s[24:25], exec, s[36:37]
; %bb.1159:                             ;   in Loop: Header=BB6_1134 Depth=3
	v_bfe_u32 v95, v104, 16, 1
	v_add3_u32 v95, v104, v95, s41
                                        ; implicit-def: $vgpr104
; %bb.1160:                             ;   in Loop: Header=BB6_1134 Depth=3
	s_andn2_saveexec_b64 s[36:37], s[24:25]
; %bb.1161:                             ;   in Loop: Header=BB6_1134 Depth=3
	v_or_b32_e32 v95, 0x10000, v104
	v_cmp_eq_u32_sdwa s[24:25], v104, v3 src0_sel:WORD_0 src1_sel:DWORD
	s_nop 1
	v_cndmask_b32_e64 v95, v95, v104, s[24:25]
; %bb.1162:                             ;   in Loop: Header=BB6_1134 Depth=3
	s_or_b64 exec, exec, s[36:37]
	v_lshlrev_b32_e32 v93, 16, v93
	v_lshlrev_b32_e32 v94, 16, v94
	v_max_f32_e32 v94, v94, v94
	v_max_f32_e32 v93, v93, v93
	v_min_f32_e32 v104, v93, v94
	v_max_f32_e32 v93, v93, v94
	v_cndmask_b32_e32 v94, v93, v104, vcc
	v_and_b32_e32 v93, 0x7f800000, v94
	v_cmp_ne_u32_e64 s[24:25], s40, v93
                                        ; implicit-def: $vgpr93
	s_and_saveexec_b64 s[36:37], s[24:25]
	s_xor_b64 s[24:25], exec, s[36:37]
; %bb.1163:                             ;   in Loop: Header=BB6_1134 Depth=3
	v_bfe_u32 v93, v94, 16, 1
	v_add3_u32 v93, v94, v93, s41
                                        ; implicit-def: $vgpr94
; %bb.1164:                             ;   in Loop: Header=BB6_1134 Depth=3
	s_andn2_saveexec_b64 s[36:37], s[24:25]
; %bb.1165:                             ;   in Loop: Header=BB6_1134 Depth=3
	v_or_b32_e32 v93, 0x10000, v94
	v_cmp_eq_u32_sdwa s[24:25], v94, v3 src0_sel:WORD_0 src1_sel:DWORD
	s_nop 1
	v_cndmask_b32_e64 v93, v93, v94, s[24:25]
; %bb.1166:                             ;   in Loop: Header=BB6_1134 Depth=3
	s_or_b64 exec, exec, s[36:37]
	v_lshlrev_b32_e32 v90, 16, v90
	v_lshlrev_b32_e32 v91, 16, v91
	v_max_f32_e32 v91, v91, v91
	v_max_f32_e32 v90, v90, v90
	v_min_f32_e32 v94, v90, v91
	v_max_f32_e32 v90, v90, v91
	v_cndmask_b32_e32 v91, v90, v94, vcc
	v_and_b32_e32 v90, 0x7f800000, v91
	v_cmp_ne_u32_e64 s[24:25], s40, v90
                                        ; implicit-def: $vgpr90
	s_and_saveexec_b64 s[36:37], s[24:25]
	s_xor_b64 s[24:25], exec, s[36:37]
; %bb.1167:                             ;   in Loop: Header=BB6_1134 Depth=3
	v_bfe_u32 v90, v91, 16, 1
	v_add3_u32 v90, v91, v90, s41
                                        ; implicit-def: $vgpr91
; %bb.1168:                             ;   in Loop: Header=BB6_1134 Depth=3
	s_andn2_saveexec_b64 s[36:37], s[24:25]
; %bb.1169:                             ;   in Loop: Header=BB6_1134 Depth=3
	v_or_b32_e32 v90, 0x10000, v91
	v_cmp_eq_u32_sdwa s[24:25], v91, v3 src0_sel:WORD_0 src1_sel:DWORD
	s_nop 1
	v_cndmask_b32_e64 v90, v90, v91, s[24:25]
; %bb.1170:                             ;   in Loop: Header=BB6_1134 Depth=3
	s_or_b64 exec, exec, s[36:37]
	v_lshrrev_b32_e32 v94, 16, v105
	v_lshrrev_b32_e32 v91, 16, v93
	;; [unrolled: 1-line block ×4, first 2 shown]
	flat_store_short v[10:11], v94 nt
	flat_store_short v[10:11], v93 offset:128 nt
	flat_store_short v[10:11], v91 offset:256 nt
	;; [unrolled: 1-line block ×3, first 2 shown]
	v_lshl_add_u64 v[10:11], v[10:11], 0, s[58:59]
	flat_store_short v[8:9], v94 nt
	flat_store_short v[8:9], v93 offset:128 nt
	flat_store_short v[8:9], v91 offset:256 nt
	;; [unrolled: 1-line block ×3, first 2 shown]
	v_lshl_add_u64 v[8:9], v[8:9], 0, s[58:59]
	s_and_saveexec_b64 s[24:25], s[34:35]
	s_cbranch_execz .LBB6_1133
; %bb.1171:                             ;   in Loop: Header=BB6_1134 Depth=3
	v_lshl_add_u64 v[10:11], v[10:11], 0, v[70:71]
	v_lshl_add_u64 v[8:9], v[8:9], 0, v[70:71]
	;; [unrolled: 1-line block ×4, first 2 shown]
	v_sub_u32_e32 v19, v19, v52
	s_branch .LBB6_1133
.LBB6_1172:                             ;   in Loop: Header=BB6_816 Depth=2
	s_or_b64 exec, exec, s[94:95]
	v_lshlrev_b32_e32 v91, 16, v92
	v_lshlrev_b32_e32 v92, 16, v43
	;; [unrolled: 1-line block ×8, first 2 shown]
	s_and_b64 s[24:25], s[28:29], exec
.LBB6_1173:                             ;   in Loop: Header=BB6_816 Depth=2
	s_or_b64 exec, exec, s[26:27]
	s_and_saveexec_b64 s[26:27], s[24:25]
	s_cbranch_execz .LBB6_1191
; %bb.1174:                             ;   in Loop: Header=BB6_816 Depth=2
	s_and_b32 s24, s9, 0xff
	s_cmp_eq_u32 s24, 0
	v_max_f32_e32 v14, v92, v92
	v_max_f32_e32 v15, v91, v91
	v_min_f32_e32 v56, v15, v14
	v_max_f32_e32 v14, v15, v14
	s_cselect_b64 vcc, -1, 0
	v_cndmask_b32_e32 v15, v14, v56, vcc
	v_and_b32_e32 v14, 0x7f800000, v15
	v_cmp_ne_u32_e64 s[24:25], s40, v14
                                        ; implicit-def: $vgpr14
	s_and_saveexec_b64 s[28:29], s[24:25]
	s_xor_b64 s[24:25], exec, s[28:29]
; %bb.1175:                             ;   in Loop: Header=BB6_816 Depth=2
	v_bfe_u32 v14, v15, 16, 1
	v_add3_u32 v14, v15, v14, s41
                                        ; implicit-def: $vgpr15
; %bb.1176:                             ;   in Loop: Header=BB6_816 Depth=2
	s_andn2_saveexec_b64 s[28:29], s[24:25]
; %bb.1177:                             ;   in Loop: Header=BB6_816 Depth=2
	v_or_b32_e32 v14, 0x10000, v15
	v_cmp_eq_u32_sdwa s[24:25], v15, v3 src0_sel:WORD_0 src1_sel:DWORD
	s_nop 1
	v_cndmask_b32_e64 v14, v14, v15, s[24:25]
; %bb.1178:                             ;   in Loop: Header=BB6_816 Depth=2
	s_or_b64 exec, exec, s[28:29]
	v_max_f32_e32 v15, v90, v90
	v_max_f32_e32 v56, v61, v61
	v_min_f32_e32 v57, v56, v15
	v_max_f32_e32 v15, v56, v15
	v_cndmask_b32_e32 v56, v15, v57, vcc
	v_and_b32_e32 v15, 0x7f800000, v56
	v_cmp_ne_u32_e64 s[24:25], s40, v15
                                        ; implicit-def: $vgpr15
	s_and_saveexec_b64 s[28:29], s[24:25]
	s_xor_b64 s[24:25], exec, s[28:29]
; %bb.1179:                             ;   in Loop: Header=BB6_816 Depth=2
	v_bfe_u32 v15, v56, 16, 1
	v_add3_u32 v15, v56, v15, s41
                                        ; implicit-def: $vgpr56
; %bb.1180:                             ;   in Loop: Header=BB6_816 Depth=2
	s_andn2_saveexec_b64 s[28:29], s[24:25]
; %bb.1181:                             ;   in Loop: Header=BB6_816 Depth=2
	v_or_b32_e32 v15, 0x10000, v56
	v_cmp_eq_u32_sdwa s[24:25], v56, v3 src0_sel:WORD_0 src1_sel:DWORD
	s_nop 1
	v_cndmask_b32_e64 v15, v15, v56, s[24:25]
; %bb.1182:                             ;   in Loop: Header=BB6_816 Depth=2
	s_or_b64 exec, exec, s[28:29]
	v_max_f32_e32 v47, v47, v47
	v_max_f32_e32 v43, v43, v43
	v_min_f32_e32 v56, v43, v47
	v_max_f32_e32 v43, v43, v47
	v_cndmask_b32_e32 v47, v43, v56, vcc
	v_and_b32_e32 v43, 0x7f800000, v47
	v_cmp_ne_u32_e64 s[24:25], s40, v43
                                        ; implicit-def: $vgpr43
	s_and_saveexec_b64 s[28:29], s[24:25]
	s_xor_b64 s[24:25], exec, s[28:29]
; %bb.1183:                             ;   in Loop: Header=BB6_816 Depth=2
	v_bfe_u32 v43, v47, 16, 1
	v_add3_u32 v43, v47, v43, s41
                                        ; implicit-def: $vgpr47
; %bb.1184:                             ;   in Loop: Header=BB6_816 Depth=2
	s_andn2_saveexec_b64 s[28:29], s[24:25]
; %bb.1185:                             ;   in Loop: Header=BB6_816 Depth=2
	v_or_b32_e32 v43, 0x10000, v47
	v_cmp_eq_u32_sdwa s[24:25], v47, v3 src0_sel:WORD_0 src1_sel:DWORD
	s_nop 1
	v_cndmask_b32_e64 v43, v43, v47, s[24:25]
; %bb.1186:                             ;   in Loop: Header=BB6_816 Depth=2
	s_or_b64 exec, exec, s[28:29]
	v_max_f32_e32 v13, v13, v13
	v_max_f32_e32 v12, v12, v12
	v_min_f32_e32 v47, v12, v13
	v_max_f32_e32 v12, v12, v13
	v_cndmask_b32_e32 v13, v12, v47, vcc
	v_and_b32_e32 v12, 0x7f800000, v13
	v_cmp_ne_u32_e32 vcc, s40, v12
                                        ; implicit-def: $vgpr12
	s_and_saveexec_b64 s[24:25], vcc
	s_xor_b64 s[24:25], exec, s[24:25]
; %bb.1187:                             ;   in Loop: Header=BB6_816 Depth=2
	v_bfe_u32 v12, v13, 16, 1
	v_add3_u32 v12, v13, v12, s41
                                        ; implicit-def: $vgpr13
; %bb.1188:                             ;   in Loop: Header=BB6_816 Depth=2
	s_andn2_saveexec_b64 s[24:25], s[24:25]
; %bb.1189:                             ;   in Loop: Header=BB6_816 Depth=2
	v_or_b32_e32 v12, 0x10000, v13
	v_cmp_eq_u32_sdwa vcc, v13, v3 src0_sel:WORD_0 src1_sel:DWORD
	s_nop 1
	v_cndmask_b32_e32 v12, v12, v13, vcc
; %bb.1190:                             ;   in Loop: Header=BB6_816 Depth=2
	s_or_b64 exec, exec, s[24:25]
	v_lshrrev_b32_e32 v14, 16, v14
	v_lshrrev_b32_e32 v13, 16, v43
	;; [unrolled: 1-line block ×4, first 2 shown]
	flat_store_short v[10:11], v14 nt
	flat_store_short v[10:11], v15 offset:128 nt
	flat_store_short v[10:11], v13 offset:256 nt
	flat_store_short v[10:11], v12 offset:384 nt
	flat_store_short v[8:9], v14 nt
	flat_store_short v[8:9], v15 offset:128 nt
	flat_store_short v[8:9], v13 offset:256 nt
	;; [unrolled: 1-line block ×3, first 2 shown]
.LBB6_1191:                             ;   in Loop: Header=BB6_816 Depth=2
	s_or_b64 exec, exec, s[26:27]
	v_lshlrev_b32_e32 v8, 9, v42
	v_cmp_ne_u32_e32 vcc, v45, v8
	s_and_b64 exec, exec, vcc
	s_cbranch_execz .LBB6_1223
; %bb.1192:                             ;   in Loop: Header=BB6_816 Depth=2
	v_lshlrev_b32_e32 v9, 6, v19
	v_sub_u32_e32 v9, v46, v9
	v_ashrrev_i32_e32 v10, 31, v9
	v_lshrrev_b32_e32 v10, 26, v10
	v_add_u32_e32 v10, v9, v10
	v_and_b32_e32 v11, 0x7fffffc0, v10
	v_sub_u32_e32 v9, v9, v11
	v_lshlrev_b32_e32 v10, 1, v10
	v_and_b32_e32 v10, 0xffffff80, v10
	v_lshlrev_b32_e32 v9, 1, v9
	v_add3_u32 v8, v10, v9, v8
	v_sub_u32_e32 v19, v45, v8
	v_cmp_lt_i32_e32 vcc, 1, v19
	s_and_b64 exec, exec, vcc
	s_cbranch_execz .LBB6_1223
; %bb.1193:                             ;   in Loop: Header=BB6_816 Depth=2
	s_trap 2
	ds_read_b64 v[14:15], v0
	v_add_u32_e32 v42, v8, v44
	s_and_b32 s9, s9, 0xff
	v_ashrrev_i32_e32 v43, 31, v42
	s_cmp_eq_u32 s9, 0
	v_lshl_add_u64 v[8:9], v[118:119], 0, v[42:43]
	v_lshl_add_u64 v[10:11], v[40:41], 0, v[42:43]
	;; [unrolled: 1-line block ×3, first 2 shown]
	s_waitcnt lgkmcnt(0)
	v_lshl_add_u64 v[14:15], v[14:15], 0, v[42:43]
	s_mov_b64 s[36:37], 0
	s_mov_b64 s[94:95], 0
	s_cselect_b64 s[24:25], -1, 0
                                        ; implicit-def: $sgpr34_sgpr35
	s_branch .LBB6_1195
.LBB6_1194:                             ;   in Loop: Header=BB6_1195 Depth=3
	s_or_b64 exec, exec, s[26:27]
	v_cmp_gt_i32_e32 vcc, 2, v19
	s_or_b64 s[94:95], vcc, s[94:95]
	s_andn2_b64 s[26:27], s[34:35], exec
	s_and_b64 s[28:29], s[36:37], exec
	s_or_b64 s[34:35], s[26:27], s[28:29]
	s_andn2_b64 exec, exec, s[94:95]
	s_cbranch_execz .LBB6_1216
.LBB6_1195:                             ;   Parent Loop BB6_47 Depth=1
                                        ;     Parent Loop BB6_816 Depth=2
                                        ; =>    This Loop Header: Depth=3
                                        ;         Child Loop BB6_1196 Depth 4
                                        ;         Child Loop BB6_1203 Depth 4
	;; [unrolled: 1-line block ×4, first 2 shown]
	s_add_i32 s26, s33, 0xa0
	s_mov_b32 s9, s26
	s_mov_b64 s[38:39], -1
	s_mov_b64 s[48:49], 0
.LBB6_1196:                             ;   Parent Loop BB6_47 Depth=1
                                        ;     Parent Loop BB6_816 Depth=2
                                        ;       Parent Loop BB6_1195 Depth=3
                                        ; =>      This Inner Loop Header: Depth=4
	s_cmp_eq_u32 s48, 1
	s_cselect_b64 vcc, -1, 0
	v_cndmask_b32_e32 v41, v13, v15, vcc
	v_cndmask_b32_e32 v40, v12, v14, vcc
	flat_load_ushort v42, v[40:41] nt
	s_cmp_eq_u32 s48, 0
	v_lshl_add_u64 v[40:41], v[40:41], 0, s[60:61]
	s_cselect_b64 s[26:27], -1, 0
	s_and_b64 s[28:29], exec, s[38:39]
	v_cndmask_b32_e64 v13, v13, v41, s[26:27]
	v_cndmask_b32_e64 v12, v12, v40, s[26:27]
	s_add_i32 s26, s33, 0xc0
	s_mov_b64 s[48:49], 1
	s_mov_b64 s[38:39], 0
	v_cndmask_b32_e32 v15, v15, v41, vcc
	v_cndmask_b32_e32 v14, v14, v40, vcc
	s_mov_b64 vcc, s[28:29]
	s_waitcnt vmcnt(0) lgkmcnt(0)
	scratch_store_short off, v42, s9
	s_mov_b32 s9, s26
	s_cbranch_vccnz .LBB6_1196
; %bb.1197:                             ;   in Loop: Header=BB6_1195 Depth=3
	s_and_saveexec_b64 s[38:39], s[36:37]
	s_cbranch_execz .LBB6_1205
; %bb.1198:                             ;   in Loop: Header=BB6_1195 Depth=3
	scratch_load_ushort v40, off, s33 offset:156
	scratch_load_ushort v41, off, s33 offset:158
	s_waitcnt vmcnt(1)
	v_lshlrev_b32_e32 v40, 16, v40
	s_waitcnt vmcnt(0)
	v_lshlrev_b32_e32 v41, 16, v41
	v_max_f32_e32 v41, v41, v41
	v_max_f32_e32 v40, v40, v40
	v_min_f32_e32 v42, v40, v41
	v_max_f32_e32 v40, v40, v41
	v_cndmask_b32_e64 v40, v40, v42, s[24:25]
	v_and_b32_e32 v41, 0x7f800000, v40
	v_cmp_ne_u32_e32 vcc, s40, v41
                                        ; implicit-def: $vgpr41
	s_and_saveexec_b64 s[26:27], vcc
	s_xor_b64 s[26:27], exec, s[26:27]
; %bb.1199:                             ;   in Loop: Header=BB6_1195 Depth=3
	v_bfe_u32 v41, v40, 16, 1
	v_add3_u32 v41, v40, v41, s41
                                        ; implicit-def: $vgpr40
; %bb.1200:                             ;   in Loop: Header=BB6_1195 Depth=3
	s_andn2_saveexec_b64 s[26:27], s[26:27]
; %bb.1201:                             ;   in Loop: Header=BB6_1195 Depth=3
	v_or_b32_e32 v41, 0x10000, v40
	v_cmp_eq_u32_sdwa vcc, v40, v3 src0_sel:WORD_0 src1_sel:DWORD
	s_nop 1
	v_cndmask_b32_e32 v41, v41, v40, vcc
; %bb.1202:                             ;   in Loop: Header=BB6_1195 Depth=3
	s_or_b64 exec, exec, s[26:27]
	v_lshrrev_b32_e32 v40, 16, v41
	s_mov_b64 s[48:49], 0
	s_mov_b64 s[36:37], -1
	scratch_store_short off, v40, s33 offset:156
.LBB6_1203:                             ;   Parent Loop BB6_47 Depth=1
                                        ;     Parent Loop BB6_816 Depth=2
                                        ;       Parent Loop BB6_1195 Depth=3
                                        ; =>      This Inner Loop Header: Depth=4
	s_cmp_eq_u32 s48, 1
	s_cselect_b64 vcc, -1, 0
	v_cndmask_b32_e32 v43, v9, v11, vcc
	s_cmp_eq_u32 s48, 0
	v_cndmask_b32_e32 v42, v8, v10, vcc
	flat_store_short v[42:43], v40 nt
	v_lshl_add_u64 v[42:43], v[42:43], 0, s[60:61]
	s_cselect_b64 s[26:27], -1, 0
	s_and_b64 s[28:29], exec, s[36:37]
	s_mov_b64 s[48:49], 1
	s_mov_b64 s[36:37], 0
	v_cndmask_b32_e32 v11, v11, v43, vcc
	v_cndmask_b32_e32 v10, v10, v42, vcc
	v_cndmask_b32_e64 v9, v9, v43, s[26:27]
	v_cndmask_b32_e64 v8, v8, v42, s[26:27]
	s_mov_b64 vcc, s[28:29]
	s_cbranch_vccnz .LBB6_1203
; %bb.1204:                             ;   in Loop: Header=BB6_1195 Depth=3
	v_lshl_add_u64 v[8:9], v[8:9], 0, v[82:83]
	v_lshl_add_u64 v[10:11], v[10:11], 0, v[82:83]
.LBB6_1205:                             ;   in Loop: Header=BB6_1195 Depth=3
	s_or_b64 exec, exec, s[38:39]
	v_sub_u32_e32 v19, v19, v74
	v_lshl_add_u64 v[12:13], v[12:13], 0, v[82:83]
	v_lshl_add_u64 v[14:15], v[14:15], 0, v[82:83]
	v_cmp_lt_i32_e64 s[36:37], 1, v19
	s_and_saveexec_b64 s[28:29], s[36:37]
	s_cbranch_execz .LBB6_1208
; %bb.1206:                             ;   in Loop: Header=BB6_1195 Depth=3
	s_add_i32 s26, s33, 0x9c
	s_mov_b32 s9, s26
	s_mov_b64 s[26:27], 0
	s_mov_b64 s[38:39], -1
.LBB6_1207:                             ;   Parent Loop BB6_47 Depth=1
                                        ;     Parent Loop BB6_816 Depth=2
                                        ;       Parent Loop BB6_1195 Depth=3
                                        ; =>      This Inner Loop Header: Depth=4
	s_cmp_eq_u32 s26, 1
	s_cselect_b64 vcc, -1, 0
	v_cndmask_b32_e32 v41, v13, v15, vcc
	v_cndmask_b32_e32 v40, v12, v14, vcc
	flat_load_ushort v42, v[40:41] nt
	s_cmp_eq_u32 s26, 0
	v_lshl_add_u64 v[40:41], v[40:41], 0, s[60:61]
	s_cselect_b64 s[26:27], -1, 0
	v_cndmask_b32_e64 v13, v13, v41, s[26:27]
	v_cndmask_b32_e64 v12, v12, v40, s[26:27]
	s_add_i32 s26, s33, 0x9e
	v_cndmask_b32_e32 v15, v15, v41, vcc
	v_cndmask_b32_e32 v14, v14, v40, vcc
	s_and_b64 vcc, exec, s[38:39]
	s_mov_b64 s[38:39], 0
	s_waitcnt vmcnt(0) lgkmcnt(0)
	scratch_store_short off, v42, s9
	s_mov_b32 s9, s26
	s_mov_b64 s[26:27], 1
	s_cbranch_vccnz .LBB6_1207
.LBB6_1208:                             ;   in Loop: Header=BB6_1195 Depth=3
	s_or_b64 exec, exec, s[28:29]
	scratch_load_ushort v40, off, s33 offset:160
	scratch_load_ushort v41, off, s33 offset:192
	s_waitcnt vmcnt(0)
	v_lshlrev_b32_e32 v40, 16, v40
	v_lshlrev_b32_e32 v41, 16, v41
	v_max_f32_e32 v41, v41, v41
	v_max_f32_e32 v40, v40, v40
	v_min_f32_e32 v42, v40, v41
	v_max_f32_e32 v40, v40, v41
	v_cndmask_b32_e64 v40, v40, v42, s[24:25]
	v_and_b32_e32 v41, 0x7f800000, v40
	v_cmp_ne_u32_e32 vcc, s40, v41
                                        ; implicit-def: $vgpr41
	s_and_saveexec_b64 s[26:27], vcc
	s_xor_b64 s[26:27], exec, s[26:27]
; %bb.1209:                             ;   in Loop: Header=BB6_1195 Depth=3
	v_bfe_u32 v41, v40, 16, 1
	v_add3_u32 v41, v40, v41, s41
                                        ; implicit-def: $vgpr40
; %bb.1210:                             ;   in Loop: Header=BB6_1195 Depth=3
	s_andn2_saveexec_b64 s[26:27], s[26:27]
; %bb.1211:                             ;   in Loop: Header=BB6_1195 Depth=3
	v_or_b32_e32 v41, 0x10000, v40
	v_cmp_eq_u32_sdwa vcc, v40, v3 src0_sel:WORD_0 src1_sel:DWORD
	s_nop 1
	v_cndmask_b32_e32 v41, v41, v40, vcc
; %bb.1212:                             ;   in Loop: Header=BB6_1195 Depth=3
	s_or_b64 exec, exec, s[26:27]
	v_lshrrev_b32_e32 v40, 16, v41
	s_mov_b64 s[48:49], 0
	s_mov_b64 s[38:39], -1
	scratch_store_short off, v40, s33 offset:160
.LBB6_1213:                             ;   Parent Loop BB6_47 Depth=1
                                        ;     Parent Loop BB6_816 Depth=2
                                        ;       Parent Loop BB6_1195 Depth=3
                                        ; =>      This Inner Loop Header: Depth=4
	s_cmp_eq_u32 s48, 1
	s_cselect_b64 vcc, -1, 0
	v_cndmask_b32_e32 v43, v9, v11, vcc
	s_cmp_eq_u32 s48, 0
	v_cndmask_b32_e32 v42, v8, v10, vcc
	flat_store_short v[42:43], v40 nt
	v_lshl_add_u64 v[42:43], v[42:43], 0, s[60:61]
	s_cselect_b64 s[26:27], -1, 0
	s_and_b64 s[28:29], exec, s[38:39]
	s_mov_b64 s[48:49], 1
	s_mov_b64 s[38:39], 0
	v_cndmask_b32_e32 v11, v11, v43, vcc
	v_cndmask_b32_e32 v10, v10, v42, vcc
	v_cndmask_b32_e64 v9, v9, v43, s[26:27]
	v_cndmask_b32_e64 v8, v8, v42, s[26:27]
	s_mov_b64 vcc, s[28:29]
	s_cbranch_vccnz .LBB6_1213
; %bb.1214:                             ;   in Loop: Header=BB6_1195 Depth=3
	s_and_saveexec_b64 s[26:27], s[36:37]
	s_cbranch_execz .LBB6_1194
; %bb.1215:                             ;   in Loop: Header=BB6_1195 Depth=3
	v_lshl_add_u64 v[8:9], v[8:9], 0, v[82:83]
	v_lshl_add_u64 v[10:11], v[10:11], 0, v[82:83]
	;; [unrolled: 1-line block ×4, first 2 shown]
	v_sub_u32_e32 v19, v19, v74
	s_branch .LBB6_1194
.LBB6_1216:                             ;   in Loop: Header=BB6_816 Depth=2
	s_or_b64 exec, exec, s[94:95]
	s_and_b64 exec, exec, s[34:35]
	s_cbranch_execz .LBB6_1223
; %bb.1217:                             ;   in Loop: Header=BB6_816 Depth=2
	scratch_load_ushort v12, off, s33 offset:156
	scratch_load_ushort v13, off, s33 offset:158
	s_waitcnt vmcnt(0)
	v_lshlrev_b32_e32 v12, 16, v12
	v_lshlrev_b32_e32 v13, 16, v13
	v_max_f32_e32 v13, v13, v13
	v_max_f32_e32 v12, v12, v12
	v_min_f32_e32 v14, v12, v13
	v_max_f32_e32 v12, v12, v13
	v_cndmask_b32_e64 v12, v12, v14, s[24:25]
	v_and_b32_e32 v13, 0x7f800000, v12
	v_cmp_ne_u32_e32 vcc, s40, v13
                                        ; implicit-def: $vgpr13
	s_and_saveexec_b64 s[24:25], vcc
	s_xor_b64 s[24:25], exec, s[24:25]
; %bb.1218:                             ;   in Loop: Header=BB6_816 Depth=2
	v_bfe_u32 v13, v12, 16, 1
	v_add3_u32 v13, v12, v13, s41
                                        ; implicit-def: $vgpr12
; %bb.1219:                             ;   in Loop: Header=BB6_816 Depth=2
	s_andn2_saveexec_b64 s[24:25], s[24:25]
; %bb.1220:                             ;   in Loop: Header=BB6_816 Depth=2
	v_or_b32_e32 v13, 0x10000, v12
	v_cmp_eq_u32_sdwa vcc, v12, v3 src0_sel:WORD_0 src1_sel:DWORD
	s_nop 1
	v_cndmask_b32_e32 v13, v13, v12, vcc
; %bb.1221:                             ;   in Loop: Header=BB6_816 Depth=2
	s_or_b64 exec, exec, s[24:25]
	v_lshrrev_b32_e32 v12, 16, v13
	s_mov_b64 s[94:95], 0
	s_mov_b64 s[28:29], -1
.LBB6_1222:                             ;   Parent Loop BB6_47 Depth=1
                                        ;     Parent Loop BB6_816 Depth=2
                                        ; =>    This Inner Loop Header: Depth=3
	s_cmp_eq_u32 s94, 1
	s_cselect_b64 vcc, -1, 0
	v_cndmask_b32_e32 v15, v9, v11, vcc
	s_cmp_eq_u32 s94, 0
	v_cndmask_b32_e32 v14, v8, v10, vcc
	flat_store_short v[14:15], v12 nt
	v_lshl_add_u64 v[14:15], v[14:15], 0, s[60:61]
	s_cselect_b64 s[24:25], -1, 0
	s_and_b64 s[26:27], exec, s[28:29]
	s_mov_b64 s[94:95], 1
	s_mov_b64 s[28:29], 0
	v_cndmask_b32_e32 v11, v11, v15, vcc
	v_cndmask_b32_e32 v10, v10, v14, vcc
	v_cndmask_b32_e64 v9, v9, v15, s[24:25]
	v_cndmask_b32_e64 v8, v8, v14, s[24:25]
	s_mov_b64 vcc, s[26:27]
	s_cbranch_vccnz .LBB6_1222
.LBB6_1223:                             ;   in Loop: Header=BB6_816 Depth=2
	s_or_b64 exec, exec, s[30:31]
	s_mov_b64 s[24:25], 0
.LBB6_1224:                             ;   in Loop: Header=BB6_816 Depth=2
	s_and_b64 vcc, exec, s[24:25]
	s_cbranch_vccz .LBB6_1307
; %bb.1225:                             ;   in Loop: Header=BB6_816 Depth=2
	s_mov_b64 s[24:25], -1
	s_and_saveexec_b64 s[26:27], s[18:19]
	s_cbranch_execz .LBB6_1227
; %bb.1226:                             ;   in Loop: Header=BB6_816 Depth=2
	ds_read_b32 v8, v0 offset:720
	s_waitcnt lgkmcnt(0)
	v_and_b32_e32 v8, 15, v8
	v_cmp_eq_u32_e32 vcc, 0, v8
	s_orn2_b64 s[24:25], vcc, exec
.LBB6_1227:                             ;   in Loop: Header=BB6_816 Depth=2
	s_or_b64 exec, exec, s[26:27]
	s_and_saveexec_b64 s[26:27], s[14:15]
	s_cbranch_execz .LBB6_1229
; %bb.1228:                             ;   in Loop: Header=BB6_816 Depth=2
	ds_read_b32 v8, v0 offset:784
	s_waitcnt lgkmcnt(0)
	v_and_b32_e32 v8, 15, v8
	v_cmp_eq_u32_e32 vcc, 0, v8
	s_and_b64 s[28:29], s[24:25], vcc
	s_andn2_b64 s[24:25], s[24:25], exec
	s_and_b64 s[28:29], s[28:29], exec
	s_or_b64 s[24:25], s[24:25], s[28:29]
.LBB6_1229:                             ;   in Loop: Header=BB6_816 Depth=2
	s_or_b64 exec, exec, s[26:27]
	s_xor_b64 s[24:25], s[24:25], -1
	v_cndmask_b32_e64 v8, 0, 1, s[24:25]
	s_mov_b64 s[26:27], -1
	v_cmp_ne_u32_e32 vcc, 0, v8
	s_cbranch_vccz .LBB6_1308
; %bb.1230:                             ;   in Loop: Header=BB6_816 Depth=2
	s_and_b32 s9, s8, 1
	s_mov_b64 s[94:95], -1
	v_mov_b32_e32 v14, 0
	s_cbranch_execnz .LBB6_1309
.LBB6_1231:                             ;   in Loop: Header=BB6_816 Depth=2
	v_ashrrev_i32_e32 v8, 31, v17
	v_lshrrev_b32_e32 v8, 22, v8
	v_add_u32_e32 v8, v17, v8
	v_and_b32_e32 v56, 0xfffffc00, v8
	s_trap 2
	ds_read_b64 v[40:41], v0
	v_ashrrev_i32_e32 v9, 10, v8
	v_sub_u32_e32 v57, v17, v56
	v_sub_u32_e32 v8, v9, v72
	v_cmp_lt_i32_e64 s[24:25], 15, v57
	v_sub_u32_e32 v19, v17, v54
	s_and_b32 s9, s8, 1
	v_addc_co_u32_e64 v58, vcc, 0, v8, s[24:25]
	s_waitcnt lgkmcnt(0)
	v_lshl_add_u64 v[42:43], v[118:119], 0, v[54:55]
	v_cmp_lt_i32_e32 vcc, 15, v19
	s_mov_b64 s[26:27], 0
	s_and_saveexec_b64 s[30:31], vcc
	s_cbranch_execz .LBB6_1311
; %bb.1232:                             ;   in Loop: Header=BB6_816 Depth=2
	s_and_b32 s8, 0xffff, s9
	s_cmp_eq_u32 s8, 0
	v_lshl_add_u64 v[44:45], v[22:23], 0, v[54:55]
	v_lshl_add_u64 v[46:47], v[40:41], 0, v[54:55]
	s_mov_b64 s[38:39], 0
	s_mov_b64 s[34:35], 0
	s_cselect_b64 s[26:27], -1, 0
                                        ; implicit-def: $sgpr36_sgpr37
	s_branch .LBB6_1234
.LBB6_1233:                             ;   in Loop: Header=BB6_1234 Depth=3
	s_or_b64 exec, exec, s[28:29]
	v_cmp_gt_i32_e32 vcc, 16, v19
	s_or_b64 s[34:35], vcc, s[34:35]
	s_andn2_b64 s[28:29], s[36:37], exec
	s_and_b64 vcc, s[38:39], exec
	s_or_b64 s[36:37], s[28:29], vcc
	s_andn2_b64 exec, exec, s[34:35]
	s_cbranch_execz .LBB6_1310
.LBB6_1234:                             ;   Parent Loop BB6_47 Depth=1
                                        ;     Parent Loop BB6_816 Depth=2
                                        ; =>    This Loop Header: Depth=3
                                        ;         Child Loop BB6_1235 Depth 4
                                        ;         Child Loop BB6_1272 Depth 4
	s_add_i32 s28, s33, 0xa0
	s_mov_b32 s8, s28
	s_mov_b64 s[48:49], -1
	s_mov_b64 s[28:29], 0
.LBB6_1235:                             ;   Parent Loop BB6_47 Depth=1
                                        ;     Parent Loop BB6_816 Depth=2
                                        ;       Parent Loop BB6_1234 Depth=3
                                        ; =>      This Inner Loop Header: Depth=4
	s_cmp_eq_u32 s28, 1
	s_cselect_b64 vcc, -1, 0
	v_cndmask_b32_e32 v13, v45, v47, vcc
	v_cndmask_b32_e32 v12, v44, v46, vcc
	global_load_dwordx4 v[8:11], v[12:13], off nt
	s_cmp_eq_u32 s28, 0
	s_cselect_b64 s[28:29], -1, 0
	s_waitcnt vmcnt(0)
	scratch_store_dwordx4 off, v[8:11], s8
	s_nop 1
	v_lshl_add_u64 v[8:9], v[12:13], 0, s[56:57]
	v_cndmask_b32_e64 v45, v45, v9, s[28:29]
	v_cndmask_b32_e64 v44, v44, v8, s[28:29]
	v_cndmask_b32_e32 v47, v47, v9, vcc
	v_cndmask_b32_e32 v46, v46, v8, vcc
	s_mov_b64 s[28:29], 1
	s_and_b64 vcc, exec, s[48:49]
	s_mov_b64 s[48:49], 0
	s_mov_b32 s8, s87
	s_cbranch_vccnz .LBB6_1235
; %bb.1236:                             ;   in Loop: Header=BB6_1234 Depth=3
	s_and_saveexec_b64 s[28:29], s[38:39]
	s_cbranch_execz .LBB6_1270
; %bb.1237:                             ;   in Loop: Header=BB6_1234 Depth=3
	scratch_load_dwordx4 v[8:11], off, s33 offset:192
	scratch_load_dwordx4 v[12:15], off, s33 offset:208
	s_waitcnt vmcnt(1)
	v_lshlrev_b32_e32 v59, 16, v8
	s_waitcnt vmcnt(0)
	v_lshlrev_b32_e32 v61, 16, v12
	v_max_f32_e32 v61, v61, v61
	v_max_f32_e32 v59, v59, v59
	v_min_f32_e32 v90, v59, v61
	v_max_f32_e32 v59, v59, v61
	v_cndmask_b32_e64 v61, v59, v90, s[26:27]
	v_and_b32_e32 v59, 0x7f800000, v61
	v_cmp_ne_u32_e32 vcc, s40, v59
                                        ; implicit-def: $vgpr59
	s_and_saveexec_b64 s[38:39], vcc
	s_xor_b64 vcc, exec, s[38:39]
; %bb.1238:                             ;   in Loop: Header=BB6_1234 Depth=3
	v_bfe_u32 v59, v61, 16, 1
	v_add3_u32 v59, v61, v59, s41
                                        ; implicit-def: $vgpr61
; %bb.1239:                             ;   in Loop: Header=BB6_1234 Depth=3
	s_andn2_saveexec_b64 s[38:39], vcc
; %bb.1240:                             ;   in Loop: Header=BB6_1234 Depth=3
	v_or_b32_e32 v59, 0x10000, v61
	v_cmp_eq_u32_sdwa vcc, v61, v3 src0_sel:WORD_0 src1_sel:DWORD
	s_nop 1
	v_cndmask_b32_e32 v59, v59, v61, vcc
; %bb.1241:                             ;   in Loop: Header=BB6_1234 Depth=3
	s_or_b64 exec, exec, s[38:39]
	v_and_b32_e32 v8, 0xffff0000, v8
	v_and_b32_e32 v12, 0xffff0000, v12
	v_max_f32_e32 v12, v12, v12
	v_max_f32_e32 v8, v8, v8
	v_min_f32_e32 v61, v8, v12
	v_max_f32_e32 v8, v8, v12
	v_cndmask_b32_e64 v12, v8, v61, s[26:27]
	v_and_b32_e32 v8, 0x7f800000, v12
	v_cmp_ne_u32_e32 vcc, s40, v8
                                        ; implicit-def: $vgpr8
	s_and_saveexec_b64 s[38:39], vcc
	s_xor_b64 vcc, exec, s[38:39]
; %bb.1242:                             ;   in Loop: Header=BB6_1234 Depth=3
	v_bfe_u32 v8, v12, 16, 1
	v_add3_u32 v8, v12, v8, s41
                                        ; implicit-def: $vgpr12
; %bb.1243:                             ;   in Loop: Header=BB6_1234 Depth=3
	s_andn2_saveexec_b64 s[38:39], vcc
; %bb.1244:                             ;   in Loop: Header=BB6_1234 Depth=3
	v_or_b32_e32 v8, 0x10000, v12
	v_cmp_eq_u32_sdwa vcc, v12, v3 src0_sel:WORD_0 src1_sel:DWORD
	s_nop 1
	v_cndmask_b32_e32 v8, v8, v12, vcc
; %bb.1245:                             ;   in Loop: Header=BB6_1234 Depth=3
	s_or_b64 exec, exec, s[38:39]
	v_lshlrev_b32_e32 v12, 16, v9
	v_lshlrev_b32_e32 v61, 16, v13
	v_max_f32_e32 v61, v61, v61
	v_max_f32_e32 v12, v12, v12
	v_min_f32_e32 v90, v12, v61
	v_max_f32_e32 v12, v12, v61
	v_cndmask_b32_e64 v61, v12, v90, s[26:27]
	v_and_b32_e32 v12, 0x7f800000, v61
	v_cmp_ne_u32_e32 vcc, s40, v12
                                        ; implicit-def: $vgpr12
	s_and_saveexec_b64 s[38:39], vcc
	s_xor_b64 vcc, exec, s[38:39]
; %bb.1246:                             ;   in Loop: Header=BB6_1234 Depth=3
	v_bfe_u32 v12, v61, 16, 1
	v_add3_u32 v12, v61, v12, s41
                                        ; implicit-def: $vgpr61
; %bb.1247:                             ;   in Loop: Header=BB6_1234 Depth=3
	s_andn2_saveexec_b64 s[38:39], vcc
; %bb.1248:                             ;   in Loop: Header=BB6_1234 Depth=3
	v_or_b32_e32 v12, 0x10000, v61
	v_cmp_eq_u32_sdwa vcc, v61, v3 src0_sel:WORD_0 src1_sel:DWORD
	s_nop 1
	v_cndmask_b32_e32 v12, v12, v61, vcc
; %bb.1249:                             ;   in Loop: Header=BB6_1234 Depth=3
	s_or_b64 exec, exec, s[38:39]
	v_and_b32_e32 v9, 0xffff0000, v9
	v_and_b32_e32 v13, 0xffff0000, v13
	v_max_f32_e32 v13, v13, v13
	v_max_f32_e32 v9, v9, v9
	v_min_f32_e32 v61, v9, v13
	v_max_f32_e32 v9, v9, v13
	v_cndmask_b32_e64 v13, v9, v61, s[26:27]
	v_and_b32_e32 v9, 0x7f800000, v13
	v_cmp_ne_u32_e32 vcc, s40, v9
                                        ; implicit-def: $vgpr9
	s_and_saveexec_b64 s[38:39], vcc
	s_xor_b64 vcc, exec, s[38:39]
; %bb.1250:                             ;   in Loop: Header=BB6_1234 Depth=3
	v_bfe_u32 v9, v13, 16, 1
	v_add3_u32 v9, v13, v9, s41
                                        ; implicit-def: $vgpr13
; %bb.1251:                             ;   in Loop: Header=BB6_1234 Depth=3
	s_andn2_saveexec_b64 s[38:39], vcc
; %bb.1252:                             ;   in Loop: Header=BB6_1234 Depth=3
	v_or_b32_e32 v9, 0x10000, v13
	v_cmp_eq_u32_sdwa vcc, v13, v3 src0_sel:WORD_0 src1_sel:DWORD
	s_nop 1
	v_cndmask_b32_e32 v9, v9, v13, vcc
; %bb.1253:                             ;   in Loop: Header=BB6_1234 Depth=3
	s_or_b64 exec, exec, s[38:39]
	v_lshlrev_b32_e32 v13, 16, v10
	v_lshlrev_b32_e32 v61, 16, v14
	v_max_f32_e32 v61, v61, v61
	v_max_f32_e32 v13, v13, v13
	v_min_f32_e32 v90, v13, v61
	v_max_f32_e32 v13, v13, v61
	v_cndmask_b32_e64 v61, v13, v90, s[26:27]
	v_and_b32_e32 v13, 0x7f800000, v61
	v_cmp_ne_u32_e32 vcc, s40, v13
                                        ; implicit-def: $vgpr13
	s_and_saveexec_b64 s[38:39], vcc
	s_xor_b64 vcc, exec, s[38:39]
; %bb.1254:                             ;   in Loop: Header=BB6_1234 Depth=3
	v_bfe_u32 v13, v61, 16, 1
	v_add3_u32 v13, v61, v13, s41
                                        ; implicit-def: $vgpr61
; %bb.1255:                             ;   in Loop: Header=BB6_1234 Depth=3
	s_andn2_saveexec_b64 s[38:39], vcc
; %bb.1256:                             ;   in Loop: Header=BB6_1234 Depth=3
	v_or_b32_e32 v13, 0x10000, v61
	v_cmp_eq_u32_sdwa vcc, v61, v3 src0_sel:WORD_0 src1_sel:DWORD
	s_nop 1
	v_cndmask_b32_e32 v13, v13, v61, vcc
; %bb.1257:                             ;   in Loop: Header=BB6_1234 Depth=3
	s_or_b64 exec, exec, s[38:39]
	v_and_b32_e32 v10, 0xffff0000, v10
	v_and_b32_e32 v14, 0xffff0000, v14
	v_max_f32_e32 v14, v14, v14
	v_max_f32_e32 v10, v10, v10
	v_min_f32_e32 v61, v10, v14
	v_max_f32_e32 v10, v10, v14
	v_cndmask_b32_e64 v14, v10, v61, s[26:27]
	v_and_b32_e32 v10, 0x7f800000, v14
	v_cmp_ne_u32_e32 vcc, s40, v10
                                        ; implicit-def: $vgpr10
	s_and_saveexec_b64 s[38:39], vcc
	s_xor_b64 vcc, exec, s[38:39]
; %bb.1258:                             ;   in Loop: Header=BB6_1234 Depth=3
	v_bfe_u32 v10, v14, 16, 1
	v_add3_u32 v10, v14, v10, s41
                                        ; implicit-def: $vgpr14
; %bb.1259:                             ;   in Loop: Header=BB6_1234 Depth=3
	s_andn2_saveexec_b64 s[38:39], vcc
; %bb.1260:                             ;   in Loop: Header=BB6_1234 Depth=3
	v_or_b32_e32 v10, 0x10000, v14
	v_cmp_eq_u32_sdwa vcc, v14, v3 src0_sel:WORD_0 src1_sel:DWORD
	s_nop 1
	v_cndmask_b32_e32 v10, v10, v14, vcc
; %bb.1261:                             ;   in Loop: Header=BB6_1234 Depth=3
	s_or_b64 exec, exec, s[38:39]
	v_lshlrev_b32_e32 v14, 16, v11
	v_lshlrev_b32_e32 v61, 16, v15
	v_max_f32_e32 v61, v61, v61
	v_max_f32_e32 v14, v14, v14
	v_min_f32_e32 v90, v14, v61
	v_max_f32_e32 v14, v14, v61
	v_cndmask_b32_e64 v61, v14, v90, s[26:27]
	v_and_b32_e32 v14, 0x7f800000, v61
	v_cmp_ne_u32_e32 vcc, s40, v14
                                        ; implicit-def: $vgpr14
	s_and_saveexec_b64 s[38:39], vcc
	s_xor_b64 vcc, exec, s[38:39]
; %bb.1262:                             ;   in Loop: Header=BB6_1234 Depth=3
	v_bfe_u32 v14, v61, 16, 1
	v_add3_u32 v14, v61, v14, s41
                                        ; implicit-def: $vgpr61
; %bb.1263:                             ;   in Loop: Header=BB6_1234 Depth=3
	s_andn2_saveexec_b64 s[38:39], vcc
; %bb.1264:                             ;   in Loop: Header=BB6_1234 Depth=3
	v_or_b32_e32 v14, 0x10000, v61
	v_cmp_eq_u32_sdwa vcc, v61, v3 src0_sel:WORD_0 src1_sel:DWORD
	s_nop 1
	v_cndmask_b32_e32 v14, v14, v61, vcc
; %bb.1265:                             ;   in Loop: Header=BB6_1234 Depth=3
	s_or_b64 exec, exec, s[38:39]
	v_and_b32_e32 v11, 0xffff0000, v11
	v_and_b32_e32 v15, 0xffff0000, v15
	v_max_f32_e32 v15, v15, v15
	v_max_f32_e32 v11, v11, v11
	v_min_f32_e32 v61, v11, v15
	v_max_f32_e32 v11, v11, v15
	v_cndmask_b32_e64 v15, v11, v61, s[26:27]
	v_and_b32_e32 v11, 0x7f800000, v15
	v_cmp_ne_u32_e32 vcc, s40, v11
                                        ; implicit-def: $vgpr11
	s_and_saveexec_b64 s[38:39], vcc
	s_xor_b64 vcc, exec, s[38:39]
; %bb.1266:                             ;   in Loop: Header=BB6_1234 Depth=3
	v_bfe_u32 v11, v15, 16, 1
	v_add3_u32 v11, v15, v11, s41
                                        ; implicit-def: $vgpr15
; %bb.1267:                             ;   in Loop: Header=BB6_1234 Depth=3
	s_andn2_saveexec_b64 s[38:39], vcc
; %bb.1268:                             ;   in Loop: Header=BB6_1234 Depth=3
	v_or_b32_e32 v11, 0x10000, v15
	v_cmp_eq_u32_sdwa vcc, v15, v3 src0_sel:WORD_0 src1_sel:DWORD
	s_nop 1
	v_cndmask_b32_e32 v11, v11, v15, vcc
; %bb.1269:                             ;   in Loop: Header=BB6_1234 Depth=3
	s_or_b64 exec, exec, s[38:39]
	v_lshrrev_b32_e32 v12, 16, v12
	v_and_or_b32 v9, v9, s72, v12
	v_lshrrev_b32_e32 v12, 16, v59
	v_and_or_b32 v8, v8, s72, v12
	;; [unrolled: 2-line block ×4, first 2 shown]
	scratch_store_dwordx4 off, v[8:11], s33 offset:192
	global_store_dwordx4 v[42:43], v[8:11], off
	v_lshl_add_u64 v[42:43], v[96:97], 0, v[42:43]
.LBB6_1270:                             ;   in Loop: Header=BB6_1234 Depth=3
	s_or_b64 exec, exec, s[28:29]
	v_sub_u32_e32 v19, v19, v73
	v_lshl_add_u64 v[44:45], v[44:45], 0, v[80:81]
	v_lshl_add_u64 v[46:47], v[46:47], 0, v[80:81]
	v_cmp_lt_i32_e64 s[38:39], 15, v19
	s_and_saveexec_b64 s[48:49], s[38:39]
	s_cbranch_execz .LBB6_1273
; %bb.1271:                             ;   in Loop: Header=BB6_1234 Depth=3
	s_add_i32 s28, s33, 0xc0
	s_mov_b32 s8, s28
	s_mov_b64 s[28:29], 0
	s_mov_b64 s[50:51], -1
.LBB6_1272:                             ;   Parent Loop BB6_47 Depth=1
                                        ;     Parent Loop BB6_816 Depth=2
                                        ;       Parent Loop BB6_1234 Depth=3
                                        ; =>      This Inner Loop Header: Depth=4
	s_cmp_eq_u32 s28, 1
	s_cselect_b64 vcc, -1, 0
	v_cndmask_b32_e32 v13, v45, v47, vcc
	v_cndmask_b32_e32 v12, v44, v46, vcc
	global_load_dwordx4 v[8:11], v[12:13], off nt
	s_cmp_eq_u32 s28, 0
	s_cselect_b64 s[28:29], -1, 0
	s_waitcnt vmcnt(0)
	scratch_store_dwordx4 off, v[8:11], s8
	s_nop 1
	v_lshl_add_u64 v[8:9], v[12:13], 0, s[56:57]
	v_cndmask_b32_e64 v45, v45, v9, s[28:29]
	v_cndmask_b32_e64 v44, v44, v8, s[28:29]
	v_cndmask_b32_e32 v47, v47, v9, vcc
	v_cndmask_b32_e32 v46, v46, v8, vcc
	s_mov_b64 s[28:29], 1
	s_and_b64 vcc, exec, s[50:51]
	s_mov_b64 s[50:51], 0
	s_mov_b32 s8, s86
	s_cbranch_vccnz .LBB6_1272
.LBB6_1273:                             ;   in Loop: Header=BB6_1234 Depth=3
	s_or_b64 exec, exec, s[48:49]
	scratch_load_dwordx4 v[8:11], off, s33 offset:160
	scratch_load_dwordx4 v[12:15], off, s33 offset:176
	s_waitcnt vmcnt(1)
	v_lshlrev_b32_e32 v59, 16, v8
	s_waitcnt vmcnt(0)
	v_lshlrev_b32_e32 v61, 16, v12
	v_max_f32_e32 v61, v61, v61
	v_max_f32_e32 v59, v59, v59
	v_min_f32_e32 v90, v59, v61
	v_max_f32_e32 v59, v59, v61
	v_cndmask_b32_e64 v61, v59, v90, s[26:27]
	v_and_b32_e32 v59, 0x7f800000, v61
	v_cmp_ne_u32_e32 vcc, s40, v59
                                        ; implicit-def: $vgpr59
	s_and_saveexec_b64 s[28:29], vcc
	s_xor_b64 s[28:29], exec, s[28:29]
; %bb.1274:                             ;   in Loop: Header=BB6_1234 Depth=3
	v_bfe_u32 v59, v61, 16, 1
	v_add3_u32 v59, v61, v59, s41
                                        ; implicit-def: $vgpr61
; %bb.1275:                             ;   in Loop: Header=BB6_1234 Depth=3
	s_andn2_saveexec_b64 s[28:29], s[28:29]
; %bb.1276:                             ;   in Loop: Header=BB6_1234 Depth=3
	v_or_b32_e32 v59, 0x10000, v61
	v_cmp_eq_u32_sdwa vcc, v61, v3 src0_sel:WORD_0 src1_sel:DWORD
	s_nop 1
	v_cndmask_b32_e32 v59, v59, v61, vcc
; %bb.1277:                             ;   in Loop: Header=BB6_1234 Depth=3
	s_or_b64 exec, exec, s[28:29]
	v_and_b32_e32 v8, 0xffff0000, v8
	v_and_b32_e32 v12, 0xffff0000, v12
	v_max_f32_e32 v12, v12, v12
	v_max_f32_e32 v8, v8, v8
	v_min_f32_e32 v61, v8, v12
	v_max_f32_e32 v8, v8, v12
	v_cndmask_b32_e64 v12, v8, v61, s[26:27]
	v_and_b32_e32 v8, 0x7f800000, v12
	v_cmp_ne_u32_e32 vcc, s40, v8
                                        ; implicit-def: $vgpr8
	s_and_saveexec_b64 s[28:29], vcc
	s_xor_b64 s[28:29], exec, s[28:29]
; %bb.1278:                             ;   in Loop: Header=BB6_1234 Depth=3
	v_bfe_u32 v8, v12, 16, 1
	v_add3_u32 v8, v12, v8, s41
                                        ; implicit-def: $vgpr12
; %bb.1279:                             ;   in Loop: Header=BB6_1234 Depth=3
	s_andn2_saveexec_b64 s[28:29], s[28:29]
; %bb.1280:                             ;   in Loop: Header=BB6_1234 Depth=3
	v_or_b32_e32 v8, 0x10000, v12
	v_cmp_eq_u32_sdwa vcc, v12, v3 src0_sel:WORD_0 src1_sel:DWORD
	s_nop 1
	v_cndmask_b32_e32 v8, v8, v12, vcc
; %bb.1281:                             ;   in Loop: Header=BB6_1234 Depth=3
	s_or_b64 exec, exec, s[28:29]
	v_lshlrev_b32_e32 v12, 16, v9
	v_lshlrev_b32_e32 v61, 16, v13
	v_max_f32_e32 v61, v61, v61
	v_max_f32_e32 v12, v12, v12
	v_min_f32_e32 v90, v12, v61
	v_max_f32_e32 v12, v12, v61
	v_cndmask_b32_e64 v61, v12, v90, s[26:27]
	v_and_b32_e32 v12, 0x7f800000, v61
	v_cmp_ne_u32_e32 vcc, s40, v12
                                        ; implicit-def: $vgpr12
	s_and_saveexec_b64 s[28:29], vcc
	s_xor_b64 s[28:29], exec, s[28:29]
; %bb.1282:                             ;   in Loop: Header=BB6_1234 Depth=3
	v_bfe_u32 v12, v61, 16, 1
	v_add3_u32 v12, v61, v12, s41
                                        ; implicit-def: $vgpr61
; %bb.1283:                             ;   in Loop: Header=BB6_1234 Depth=3
	s_andn2_saveexec_b64 s[28:29], s[28:29]
; %bb.1284:                             ;   in Loop: Header=BB6_1234 Depth=3
	v_or_b32_e32 v12, 0x10000, v61
	v_cmp_eq_u32_sdwa vcc, v61, v3 src0_sel:WORD_0 src1_sel:DWORD
	s_nop 1
	v_cndmask_b32_e32 v12, v12, v61, vcc
; %bb.1285:                             ;   in Loop: Header=BB6_1234 Depth=3
	s_or_b64 exec, exec, s[28:29]
	v_and_b32_e32 v9, 0xffff0000, v9
	v_and_b32_e32 v13, 0xffff0000, v13
	v_max_f32_e32 v13, v13, v13
	v_max_f32_e32 v9, v9, v9
	v_min_f32_e32 v61, v9, v13
	v_max_f32_e32 v9, v9, v13
	v_cndmask_b32_e64 v13, v9, v61, s[26:27]
	v_and_b32_e32 v9, 0x7f800000, v13
	v_cmp_ne_u32_e32 vcc, s40, v9
                                        ; implicit-def: $vgpr9
	s_and_saveexec_b64 s[28:29], vcc
	s_xor_b64 s[28:29], exec, s[28:29]
; %bb.1286:                             ;   in Loop: Header=BB6_1234 Depth=3
	v_bfe_u32 v9, v13, 16, 1
	v_add3_u32 v9, v13, v9, s41
                                        ; implicit-def: $vgpr13
; %bb.1287:                             ;   in Loop: Header=BB6_1234 Depth=3
	s_andn2_saveexec_b64 s[28:29], s[28:29]
; %bb.1288:                             ;   in Loop: Header=BB6_1234 Depth=3
	v_or_b32_e32 v9, 0x10000, v13
	v_cmp_eq_u32_sdwa vcc, v13, v3 src0_sel:WORD_0 src1_sel:DWORD
	s_nop 1
	v_cndmask_b32_e32 v9, v9, v13, vcc
; %bb.1289:                             ;   in Loop: Header=BB6_1234 Depth=3
	s_or_b64 exec, exec, s[28:29]
	v_lshlrev_b32_e32 v13, 16, v10
	v_lshlrev_b32_e32 v61, 16, v14
	v_max_f32_e32 v61, v61, v61
	v_max_f32_e32 v13, v13, v13
	v_min_f32_e32 v90, v13, v61
	v_max_f32_e32 v13, v13, v61
	v_cndmask_b32_e64 v61, v13, v90, s[26:27]
	v_and_b32_e32 v13, 0x7f800000, v61
	v_cmp_ne_u32_e32 vcc, s40, v13
                                        ; implicit-def: $vgpr13
	s_and_saveexec_b64 s[28:29], vcc
	s_xor_b64 s[28:29], exec, s[28:29]
; %bb.1290:                             ;   in Loop: Header=BB6_1234 Depth=3
	v_bfe_u32 v13, v61, 16, 1
	v_add3_u32 v13, v61, v13, s41
                                        ; implicit-def: $vgpr61
; %bb.1291:                             ;   in Loop: Header=BB6_1234 Depth=3
	s_andn2_saveexec_b64 s[28:29], s[28:29]
; %bb.1292:                             ;   in Loop: Header=BB6_1234 Depth=3
	v_or_b32_e32 v13, 0x10000, v61
	v_cmp_eq_u32_sdwa vcc, v61, v3 src0_sel:WORD_0 src1_sel:DWORD
	s_nop 1
	v_cndmask_b32_e32 v13, v13, v61, vcc
; %bb.1293:                             ;   in Loop: Header=BB6_1234 Depth=3
	s_or_b64 exec, exec, s[28:29]
	v_and_b32_e32 v10, 0xffff0000, v10
	v_and_b32_e32 v14, 0xffff0000, v14
	v_max_f32_e32 v14, v14, v14
	v_max_f32_e32 v10, v10, v10
	v_min_f32_e32 v61, v10, v14
	v_max_f32_e32 v10, v10, v14
	v_cndmask_b32_e64 v14, v10, v61, s[26:27]
	v_and_b32_e32 v10, 0x7f800000, v14
	v_cmp_ne_u32_e32 vcc, s40, v10
                                        ; implicit-def: $vgpr10
	s_and_saveexec_b64 s[28:29], vcc
	s_xor_b64 s[28:29], exec, s[28:29]
; %bb.1294:                             ;   in Loop: Header=BB6_1234 Depth=3
	v_bfe_u32 v10, v14, 16, 1
	v_add3_u32 v10, v14, v10, s41
                                        ; implicit-def: $vgpr14
; %bb.1295:                             ;   in Loop: Header=BB6_1234 Depth=3
	s_andn2_saveexec_b64 s[28:29], s[28:29]
; %bb.1296:                             ;   in Loop: Header=BB6_1234 Depth=3
	v_or_b32_e32 v10, 0x10000, v14
	v_cmp_eq_u32_sdwa vcc, v14, v3 src0_sel:WORD_0 src1_sel:DWORD
	s_nop 1
	v_cndmask_b32_e32 v10, v10, v14, vcc
; %bb.1297:                             ;   in Loop: Header=BB6_1234 Depth=3
	s_or_b64 exec, exec, s[28:29]
	v_lshlrev_b32_e32 v14, 16, v11
	v_lshlrev_b32_e32 v61, 16, v15
	v_max_f32_e32 v61, v61, v61
	v_max_f32_e32 v14, v14, v14
	v_min_f32_e32 v90, v14, v61
	v_max_f32_e32 v14, v14, v61
	v_cndmask_b32_e64 v61, v14, v90, s[26:27]
	v_and_b32_e32 v14, 0x7f800000, v61
	v_cmp_ne_u32_e32 vcc, s40, v14
                                        ; implicit-def: $vgpr14
	s_and_saveexec_b64 s[28:29], vcc
	s_xor_b64 s[28:29], exec, s[28:29]
; %bb.1298:                             ;   in Loop: Header=BB6_1234 Depth=3
	v_bfe_u32 v14, v61, 16, 1
	v_add3_u32 v14, v61, v14, s41
                                        ; implicit-def: $vgpr61
; %bb.1299:                             ;   in Loop: Header=BB6_1234 Depth=3
	s_andn2_saveexec_b64 s[28:29], s[28:29]
; %bb.1300:                             ;   in Loop: Header=BB6_1234 Depth=3
	v_or_b32_e32 v14, 0x10000, v61
	v_cmp_eq_u32_sdwa vcc, v61, v3 src0_sel:WORD_0 src1_sel:DWORD
	s_nop 1
	v_cndmask_b32_e32 v14, v14, v61, vcc
; %bb.1301:                             ;   in Loop: Header=BB6_1234 Depth=3
	s_or_b64 exec, exec, s[28:29]
	v_and_b32_e32 v11, 0xffff0000, v11
	v_and_b32_e32 v15, 0xffff0000, v15
	v_max_f32_e32 v15, v15, v15
	v_max_f32_e32 v11, v11, v11
	v_min_f32_e32 v61, v11, v15
	v_max_f32_e32 v11, v11, v15
	v_cndmask_b32_e64 v15, v11, v61, s[26:27]
	v_and_b32_e32 v11, 0x7f800000, v15
	v_cmp_ne_u32_e32 vcc, s40, v11
                                        ; implicit-def: $vgpr11
	s_and_saveexec_b64 s[28:29], vcc
	s_xor_b64 s[28:29], exec, s[28:29]
; %bb.1302:                             ;   in Loop: Header=BB6_1234 Depth=3
	v_bfe_u32 v11, v15, 16, 1
	v_add3_u32 v11, v15, v11, s41
                                        ; implicit-def: $vgpr15
; %bb.1303:                             ;   in Loop: Header=BB6_1234 Depth=3
	s_andn2_saveexec_b64 s[28:29], s[28:29]
; %bb.1304:                             ;   in Loop: Header=BB6_1234 Depth=3
	v_or_b32_e32 v11, 0x10000, v15
	v_cmp_eq_u32_sdwa vcc, v15, v3 src0_sel:WORD_0 src1_sel:DWORD
	s_nop 1
	v_cndmask_b32_e32 v11, v11, v15, vcc
; %bb.1305:                             ;   in Loop: Header=BB6_1234 Depth=3
	s_or_b64 exec, exec, s[28:29]
	v_lshrrev_b32_e32 v12, 16, v12
	v_and_or_b32 v9, v9, s72, v12
	v_lshrrev_b32_e32 v12, 16, v59
	v_and_or_b32 v8, v8, s72, v12
	;; [unrolled: 2-line block ×4, first 2 shown]
	v_sub_u32_e32 v58, v58, v52
	scratch_store_dwordx4 off, v[8:11], s33 offset:160
	global_store_dwordx4 v[42:43], v[8:11], off
	v_lshl_add_u64 v[42:43], v[42:43], 0, s[56:57]
	s_and_saveexec_b64 s[28:29], s[38:39]
	s_cbranch_execz .LBB6_1233
; %bb.1306:                             ;   in Loop: Header=BB6_1234 Depth=3
	v_lshl_add_u64 v[44:45], v[44:45], 0, v[80:81]
	v_lshl_add_u64 v[46:47], v[46:47], 0, v[80:81]
	;; [unrolled: 1-line block ×3, first 2 shown]
	v_sub_u32_e32 v19, v19, v73
	v_sub_u32_e32 v58, v58, v52
	s_branch .LBB6_1233
.LBB6_1307:                             ;   in Loop: Header=BB6_816 Depth=2
	v_cmp_lt_i32_e64 s[24:25], 0, v2
	s_and_saveexec_b64 s[26:27], s[4:5]
	s_cbranch_execnz .LBB6_1545
	s_branch .LBB6_1563
.LBB6_1308:                             ;   in Loop: Header=BB6_816 Depth=2
	s_mov_b64 s[94:95], 0
                                        ; implicit-def: $sgpr9
	s_andn2_b64 vcc, exec, s[26:27]
	v_mov_b32_e32 v14, 0
	s_cbranch_vccz .LBB6_1231
.LBB6_1309:                             ;   in Loop: Header=BB6_816 Depth=2
	v_mov_b32_e32 v8, v0
	v_mov_b32_e32 v15, v63
	s_and_saveexec_b64 s[30:31], s[94:95]
	s_cbranch_execnz .LBB6_1461
	s_branch .LBB6_1544
.LBB6_1310:                             ;   in Loop: Header=BB6_816 Depth=2
	s_or_b64 exec, exec, s[34:35]
	s_and_b64 s[26:27], s[36:37], exec
.LBB6_1311:                             ;   in Loop: Header=BB6_816 Depth=2
	s_or_b64 exec, exec, s[30:31]
	s_and_saveexec_b64 s[28:29], s[26:27]
	s_cbranch_execz .LBB6_1345
; %bb.1312:                             ;   in Loop: Header=BB6_816 Depth=2
	scratch_load_dwordx4 v[8:11], off, s33 offset:192
	scratch_load_dwordx4 v[12:15], off, s33 offset:208
	s_and_b32 s8, 0xffff, s9
	s_cmp_eq_u32 s8, 0
	s_cselect_b64 vcc, -1, 0
	s_waitcnt vmcnt(0)
	v_lshlrev_b32_e32 v19, 16, v8
	v_lshlrev_b32_e32 v44, 16, v12
	v_max_f32_e32 v44, v44, v44
	v_max_f32_e32 v19, v19, v19
	v_min_f32_e32 v45, v19, v44
	v_max_f32_e32 v19, v19, v44
	v_cndmask_b32_e32 v44, v19, v45, vcc
	v_and_b32_e32 v19, 0x7f800000, v44
	v_cmp_ne_u32_e64 s[26:27], s40, v19
                                        ; implicit-def: $vgpr19
	s_and_saveexec_b64 s[30:31], s[26:27]
	s_xor_b64 s[26:27], exec, s[30:31]
; %bb.1313:                             ;   in Loop: Header=BB6_816 Depth=2
	v_bfe_u32 v19, v44, 16, 1
	v_add3_u32 v19, v44, v19, s41
                                        ; implicit-def: $vgpr44
; %bb.1314:                             ;   in Loop: Header=BB6_816 Depth=2
	s_andn2_saveexec_b64 s[30:31], s[26:27]
; %bb.1315:                             ;   in Loop: Header=BB6_816 Depth=2
	v_or_b32_e32 v19, 0x10000, v44
	v_cmp_eq_u32_sdwa s[26:27], v44, v3 src0_sel:WORD_0 src1_sel:DWORD
	s_nop 1
	v_cndmask_b32_e64 v19, v19, v44, s[26:27]
; %bb.1316:                             ;   in Loop: Header=BB6_816 Depth=2
	s_or_b64 exec, exec, s[30:31]
	v_and_b32_e32 v8, 0xffff0000, v8
	v_and_b32_e32 v12, 0xffff0000, v12
	v_max_f32_e32 v12, v12, v12
	v_max_f32_e32 v8, v8, v8
	v_min_f32_e32 v44, v8, v12
	v_max_f32_e32 v8, v8, v12
	v_cndmask_b32_e32 v12, v8, v44, vcc
	v_and_b32_e32 v8, 0x7f800000, v12
	v_cmp_ne_u32_e64 s[26:27], s40, v8
                                        ; implicit-def: $vgpr8
	s_and_saveexec_b64 s[30:31], s[26:27]
	s_xor_b64 s[26:27], exec, s[30:31]
; %bb.1317:                             ;   in Loop: Header=BB6_816 Depth=2
	v_bfe_u32 v8, v12, 16, 1
	v_add3_u32 v8, v12, v8, s41
                                        ; implicit-def: $vgpr12
; %bb.1318:                             ;   in Loop: Header=BB6_816 Depth=2
	s_andn2_saveexec_b64 s[30:31], s[26:27]
; %bb.1319:                             ;   in Loop: Header=BB6_816 Depth=2
	v_or_b32_e32 v8, 0x10000, v12
	v_cmp_eq_u32_sdwa s[26:27], v12, v3 src0_sel:WORD_0 src1_sel:DWORD
	s_nop 1
	v_cndmask_b32_e64 v8, v8, v12, s[26:27]
; %bb.1320:                             ;   in Loop: Header=BB6_816 Depth=2
	s_or_b64 exec, exec, s[30:31]
	v_lshlrev_b32_e32 v12, 16, v9
	v_lshlrev_b32_e32 v44, 16, v13
	v_max_f32_e32 v44, v44, v44
	v_max_f32_e32 v12, v12, v12
	v_min_f32_e32 v45, v12, v44
	v_max_f32_e32 v12, v12, v44
	v_cndmask_b32_e32 v44, v12, v45, vcc
	v_and_b32_e32 v12, 0x7f800000, v44
	v_cmp_ne_u32_e64 s[26:27], s40, v12
                                        ; implicit-def: $vgpr12
	s_and_saveexec_b64 s[30:31], s[26:27]
	s_xor_b64 s[26:27], exec, s[30:31]
; %bb.1321:                             ;   in Loop: Header=BB6_816 Depth=2
	v_bfe_u32 v12, v44, 16, 1
	v_add3_u32 v12, v44, v12, s41
                                        ; implicit-def: $vgpr44
; %bb.1322:                             ;   in Loop: Header=BB6_816 Depth=2
	s_andn2_saveexec_b64 s[30:31], s[26:27]
; %bb.1323:                             ;   in Loop: Header=BB6_816 Depth=2
	v_or_b32_e32 v12, 0x10000, v44
	v_cmp_eq_u32_sdwa s[26:27], v44, v3 src0_sel:WORD_0 src1_sel:DWORD
	s_nop 1
	v_cndmask_b32_e64 v12, v12, v44, s[26:27]
; %bb.1324:                             ;   in Loop: Header=BB6_816 Depth=2
	s_or_b64 exec, exec, s[30:31]
	v_and_b32_e32 v9, 0xffff0000, v9
	v_and_b32_e32 v13, 0xffff0000, v13
	v_max_f32_e32 v13, v13, v13
	v_max_f32_e32 v9, v9, v9
	v_min_f32_e32 v44, v9, v13
	v_max_f32_e32 v9, v9, v13
	v_cndmask_b32_e32 v13, v9, v44, vcc
	v_and_b32_e32 v9, 0x7f800000, v13
	v_cmp_ne_u32_e64 s[26:27], s40, v9
                                        ; implicit-def: $vgpr9
	s_and_saveexec_b64 s[30:31], s[26:27]
	s_xor_b64 s[26:27], exec, s[30:31]
; %bb.1325:                             ;   in Loop: Header=BB6_816 Depth=2
	v_bfe_u32 v9, v13, 16, 1
	v_add3_u32 v9, v13, v9, s41
                                        ; implicit-def: $vgpr13
; %bb.1326:                             ;   in Loop: Header=BB6_816 Depth=2
	s_andn2_saveexec_b64 s[30:31], s[26:27]
; %bb.1327:                             ;   in Loop: Header=BB6_816 Depth=2
	v_or_b32_e32 v9, 0x10000, v13
	v_cmp_eq_u32_sdwa s[26:27], v13, v3 src0_sel:WORD_0 src1_sel:DWORD
	s_nop 1
	v_cndmask_b32_e64 v9, v9, v13, s[26:27]
; %bb.1328:                             ;   in Loop: Header=BB6_816 Depth=2
	s_or_b64 exec, exec, s[30:31]
	v_lshlrev_b32_e32 v13, 16, v10
	v_lshlrev_b32_e32 v44, 16, v14
	v_max_f32_e32 v44, v44, v44
	v_max_f32_e32 v13, v13, v13
	v_min_f32_e32 v45, v13, v44
	v_max_f32_e32 v13, v13, v44
	v_cndmask_b32_e32 v44, v13, v45, vcc
	v_and_b32_e32 v13, 0x7f800000, v44
	v_cmp_ne_u32_e64 s[26:27], s40, v13
                                        ; implicit-def: $vgpr13
	s_and_saveexec_b64 s[30:31], s[26:27]
	s_xor_b64 s[26:27], exec, s[30:31]
; %bb.1329:                             ;   in Loop: Header=BB6_816 Depth=2
	v_bfe_u32 v13, v44, 16, 1
	v_add3_u32 v13, v44, v13, s41
                                        ; implicit-def: $vgpr44
; %bb.1330:                             ;   in Loop: Header=BB6_816 Depth=2
	s_andn2_saveexec_b64 s[30:31], s[26:27]
; %bb.1331:                             ;   in Loop: Header=BB6_816 Depth=2
	v_or_b32_e32 v13, 0x10000, v44
	v_cmp_eq_u32_sdwa s[26:27], v44, v3 src0_sel:WORD_0 src1_sel:DWORD
	s_nop 1
	v_cndmask_b32_e64 v13, v13, v44, s[26:27]
; %bb.1332:                             ;   in Loop: Header=BB6_816 Depth=2
	s_or_b64 exec, exec, s[30:31]
	v_and_b32_e32 v10, 0xffff0000, v10
	v_and_b32_e32 v14, 0xffff0000, v14
	v_max_f32_e32 v14, v14, v14
	v_max_f32_e32 v10, v10, v10
	v_min_f32_e32 v44, v10, v14
	v_max_f32_e32 v10, v10, v14
	v_cndmask_b32_e32 v14, v10, v44, vcc
	v_and_b32_e32 v10, 0x7f800000, v14
	v_cmp_ne_u32_e64 s[26:27], s40, v10
                                        ; implicit-def: $vgpr10
	s_and_saveexec_b64 s[30:31], s[26:27]
	s_xor_b64 s[26:27], exec, s[30:31]
; %bb.1333:                             ;   in Loop: Header=BB6_816 Depth=2
	v_bfe_u32 v10, v14, 16, 1
	v_add3_u32 v10, v14, v10, s41
                                        ; implicit-def: $vgpr14
; %bb.1334:                             ;   in Loop: Header=BB6_816 Depth=2
	s_andn2_saveexec_b64 s[30:31], s[26:27]
; %bb.1335:                             ;   in Loop: Header=BB6_816 Depth=2
	v_or_b32_e32 v10, 0x10000, v14
	v_cmp_eq_u32_sdwa s[26:27], v14, v3 src0_sel:WORD_0 src1_sel:DWORD
	s_nop 1
	v_cndmask_b32_e64 v10, v10, v14, s[26:27]
; %bb.1336:                             ;   in Loop: Header=BB6_816 Depth=2
	s_or_b64 exec, exec, s[30:31]
	v_lshlrev_b32_e32 v14, 16, v11
	v_lshlrev_b32_e32 v44, 16, v15
	v_max_f32_e32 v44, v44, v44
	v_max_f32_e32 v14, v14, v14
	v_min_f32_e32 v45, v14, v44
	v_max_f32_e32 v14, v14, v44
	v_cndmask_b32_e32 v44, v14, v45, vcc
	v_and_b32_e32 v14, 0x7f800000, v44
	v_cmp_ne_u32_e64 s[26:27], s40, v14
                                        ; implicit-def: $vgpr14
	s_and_saveexec_b64 s[30:31], s[26:27]
	s_xor_b64 s[26:27], exec, s[30:31]
; %bb.1337:                             ;   in Loop: Header=BB6_816 Depth=2
	v_bfe_u32 v14, v44, 16, 1
	v_add3_u32 v14, v44, v14, s41
                                        ; implicit-def: $vgpr44
; %bb.1338:                             ;   in Loop: Header=BB6_816 Depth=2
	s_andn2_saveexec_b64 s[30:31], s[26:27]
; %bb.1339:                             ;   in Loop: Header=BB6_816 Depth=2
	v_or_b32_e32 v14, 0x10000, v44
	v_cmp_eq_u32_sdwa s[26:27], v44, v3 src0_sel:WORD_0 src1_sel:DWORD
	s_nop 1
	v_cndmask_b32_e64 v14, v14, v44, s[26:27]
; %bb.1340:                             ;   in Loop: Header=BB6_816 Depth=2
	s_or_b64 exec, exec, s[30:31]
	v_and_b32_e32 v11, 0xffff0000, v11
	v_and_b32_e32 v15, 0xffff0000, v15
	v_max_f32_e32 v15, v15, v15
	v_max_f32_e32 v11, v11, v11
	v_min_f32_e32 v44, v11, v15
	v_max_f32_e32 v11, v11, v15
	v_cndmask_b32_e32 v15, v11, v44, vcc
	v_and_b32_e32 v11, 0x7f800000, v15
	v_cmp_ne_u32_e32 vcc, s40, v11
                                        ; implicit-def: $vgpr11
	s_and_saveexec_b64 s[26:27], vcc
	s_xor_b64 s[26:27], exec, s[26:27]
; %bb.1341:                             ;   in Loop: Header=BB6_816 Depth=2
	v_bfe_u32 v11, v15, 16, 1
	v_add3_u32 v11, v15, v11, s41
                                        ; implicit-def: $vgpr15
; %bb.1342:                             ;   in Loop: Header=BB6_816 Depth=2
	s_andn2_saveexec_b64 s[26:27], s[26:27]
; %bb.1343:                             ;   in Loop: Header=BB6_816 Depth=2
	v_or_b32_e32 v11, 0x10000, v15
	v_cmp_eq_u32_sdwa vcc, v15, v3 src0_sel:WORD_0 src1_sel:DWORD
	s_nop 1
	v_cndmask_b32_e32 v11, v11, v15, vcc
; %bb.1344:                             ;   in Loop: Header=BB6_816 Depth=2
	s_or_b64 exec, exec, s[26:27]
	v_lshrrev_b32_e32 v12, 16, v12
	v_and_or_b32 v9, v9, s72, v12
	v_lshrrev_b32_e32 v12, 16, v19
	v_and_or_b32 v8, v8, s72, v12
	;; [unrolled: 2-line block ×4, first 2 shown]
	global_store_dwordx4 v[42:43], v[8:11], off
.LBB6_1345:                             ;   in Loop: Header=BB6_816 Depth=2
	s_or_b64 exec, exec, s[28:29]
	s_nop 0
	v_and_b32_e32 v9, 14, v17
	v_cndmask_b32_e64 v19, v57, v9, s[24:25]
	v_cmp_ne_u32_e32 vcc, 0, v19
                                        ; implicit-def: $vgpr17
                                        ; implicit-def: $vgpr14
                                        ; implicit-def: $vgpr8
                                        ; implicit-def: $vgpr15
	s_and_saveexec_b64 s[30:31], vcc
	s_cbranch_execz .LBB6_1460
; %bb.1346:                             ;   in Loop: Header=BB6_816 Depth=2
	v_sub_u32_e32 v8, v57, v9
	v_cndmask_b32_e64 v8, 0, v8, s[24:25]
	v_cmp_lt_i32_e32 vcc, 0, v58
	v_add_u32_e32 v46, v8, v56
	s_mov_b64 s[26:27], 0
	v_cndmask_b32_e32 v8, 0, v52, vcc
	v_sub_u32_e32 v8, v8, v58
	v_lshl_or_b32 v8, v8, 6, v63
	v_ashrrev_i32_e32 v9, 31, v8
	v_lshrrev_b32_e32 v9, 26, v9
	v_add_u32_e32 v9, v8, v9
	v_ashrrev_i32_e32 v10, 6, v9
	v_and_b32_e32 v9, 0xffffffc0, v9
	v_sub_u32_e32 v47, v8, v9
	v_lshlrev_b32_e32 v8, 4, v47
	v_lshl_add_u32 v9, v10, 10, v8
	v_add_u32_e32 v8, v9, v46
	v_sub_u32_e32 v17, v19, v9
	v_ashrrev_i32_e32 v9, 31, v19
	v_lshrrev_b32_e32 v9, 22, v9
	v_add_u32_e32 v9, v19, v9
	v_and_b32_e32 v56, 0xfffffc00, v9
	v_sub_u32_e32 v57, v19, v56
	v_ashrrev_i32_e32 v11, 10, v9
	v_cmp_lt_i32_e64 s[24:25], 15, v57
	v_ashrrev_i32_e32 v9, 31, v8
	v_lshl_add_u64 v[42:43], v[8:9], 0, v[118:119]
	v_addc_co_u32_e64 v11, vcc, 0, v11, s[24:25]
	v_sub_u32_e32 v58, v11, v10
	v_cmp_lt_i32_e32 vcc, 15, v17
	s_and_saveexec_b64 s[34:35], vcc
	s_cbranch_execz .LBB6_1423
; %bb.1347:                             ;   in Loop: Header=BB6_816 Depth=2
	s_and_b32 s8, 0xffff, s9
	s_cmp_eq_u32 s8, 0
	v_lshl_add_u64 v[44:45], v[8:9], 0, v[22:23]
	v_lshl_add_u64 v[40:41], v[8:9], 0, v[40:41]
	s_mov_b64 s[48:49], 0
	s_mov_b64 s[36:37], 0
	s_cselect_b64 s[26:27], -1, 0
                                        ; implicit-def: $sgpr38_sgpr39
	s_branch .LBB6_1349
.LBB6_1348:                             ;   in Loop: Header=BB6_1349 Depth=3
	s_or_b64 exec, exec, s[28:29]
	v_cmp_gt_i32_e32 vcc, 16, v17
	s_or_b64 s[36:37], vcc, s[36:37]
	s_andn2_b64 s[28:29], s[38:39], exec
	s_and_b64 vcc, s[48:49], exec
	s_or_b64 s[38:39], s[28:29], vcc
	s_andn2_b64 exec, exec, s[36:37]
	s_cbranch_execz .LBB6_1422
.LBB6_1349:                             ;   Parent Loop BB6_47 Depth=1
                                        ;     Parent Loop BB6_816 Depth=2
                                        ; =>    This Loop Header: Depth=3
                                        ;         Child Loop BB6_1350 Depth 4
                                        ;         Child Loop BB6_1387 Depth 4
	s_add_i32 s28, s33, 0xa0
	s_mov_b32 s8, s28
	s_mov_b64 s[50:51], -1
	s_mov_b64 s[28:29], 0
.LBB6_1350:                             ;   Parent Loop BB6_47 Depth=1
                                        ;     Parent Loop BB6_816 Depth=2
                                        ;       Parent Loop BB6_1349 Depth=3
                                        ; =>      This Inner Loop Header: Depth=4
	s_cmp_eq_u32 s28, 1
	s_cselect_b64 vcc, -1, 0
	v_cndmask_b32_e32 v13, v45, v41, vcc
	v_cndmask_b32_e32 v12, v44, v40, vcc
	global_load_dwordx4 v[8:11], v[12:13], off nt
	s_cmp_eq_u32 s28, 0
	s_cselect_b64 s[28:29], -1, 0
	s_waitcnt vmcnt(0)
	scratch_store_dwordx4 off, v[8:11], s8
	s_nop 1
	v_lshl_add_u64 v[8:9], v[12:13], 0, s[56:57]
	v_cndmask_b32_e64 v45, v45, v9, s[28:29]
	v_cndmask_b32_e64 v44, v44, v8, s[28:29]
	v_cndmask_b32_e32 v41, v41, v9, vcc
	v_cndmask_b32_e32 v40, v40, v8, vcc
	s_mov_b64 s[28:29], 1
	s_and_b64 vcc, exec, s[50:51]
	s_mov_b64 s[50:51], 0
	s_mov_b32 s8, s97
	s_cbranch_vccnz .LBB6_1350
; %bb.1351:                             ;   in Loop: Header=BB6_1349 Depth=3
	s_and_saveexec_b64 s[28:29], s[48:49]
	s_cbranch_execz .LBB6_1385
; %bb.1352:                             ;   in Loop: Header=BB6_1349 Depth=3
	scratch_load_dwordx4 v[8:11], off, s33 offset:192
	scratch_load_dwordx4 v[12:15], off, s33 offset:208
	s_waitcnt vmcnt(1)
	v_lshlrev_b32_e32 v59, 16, v8
	s_waitcnt vmcnt(0)
	v_lshlrev_b32_e32 v61, 16, v12
	v_max_f32_e32 v61, v61, v61
	v_max_f32_e32 v59, v59, v59
	v_min_f32_e32 v90, v59, v61
	v_max_f32_e32 v59, v59, v61
	v_cndmask_b32_e64 v61, v59, v90, s[26:27]
	v_and_b32_e32 v59, 0x7f800000, v61
	v_cmp_ne_u32_e32 vcc, s40, v59
                                        ; implicit-def: $vgpr59
	s_and_saveexec_b64 s[48:49], vcc
	s_xor_b64 vcc, exec, s[48:49]
; %bb.1353:                             ;   in Loop: Header=BB6_1349 Depth=3
	v_bfe_u32 v59, v61, 16, 1
	v_add3_u32 v59, v61, v59, s41
                                        ; implicit-def: $vgpr61
; %bb.1354:                             ;   in Loop: Header=BB6_1349 Depth=3
	s_andn2_saveexec_b64 s[48:49], vcc
; %bb.1355:                             ;   in Loop: Header=BB6_1349 Depth=3
	v_or_b32_e32 v59, 0x10000, v61
	v_cmp_eq_u32_sdwa vcc, v61, v3 src0_sel:WORD_0 src1_sel:DWORD
	s_nop 1
	v_cndmask_b32_e32 v59, v59, v61, vcc
; %bb.1356:                             ;   in Loop: Header=BB6_1349 Depth=3
	s_or_b64 exec, exec, s[48:49]
	v_and_b32_e32 v8, 0xffff0000, v8
	v_and_b32_e32 v12, 0xffff0000, v12
	v_max_f32_e32 v12, v12, v12
	v_max_f32_e32 v8, v8, v8
	v_min_f32_e32 v61, v8, v12
	v_max_f32_e32 v8, v8, v12
	v_cndmask_b32_e64 v12, v8, v61, s[26:27]
	v_and_b32_e32 v8, 0x7f800000, v12
	v_cmp_ne_u32_e32 vcc, s40, v8
                                        ; implicit-def: $vgpr8
	s_and_saveexec_b64 s[48:49], vcc
	s_xor_b64 vcc, exec, s[48:49]
; %bb.1357:                             ;   in Loop: Header=BB6_1349 Depth=3
	v_bfe_u32 v8, v12, 16, 1
	v_add3_u32 v8, v12, v8, s41
                                        ; implicit-def: $vgpr12
; %bb.1358:                             ;   in Loop: Header=BB6_1349 Depth=3
	s_andn2_saveexec_b64 s[48:49], vcc
; %bb.1359:                             ;   in Loop: Header=BB6_1349 Depth=3
	v_or_b32_e32 v8, 0x10000, v12
	v_cmp_eq_u32_sdwa vcc, v12, v3 src0_sel:WORD_0 src1_sel:DWORD
	s_nop 1
	v_cndmask_b32_e32 v8, v8, v12, vcc
; %bb.1360:                             ;   in Loop: Header=BB6_1349 Depth=3
	s_or_b64 exec, exec, s[48:49]
	v_lshlrev_b32_e32 v12, 16, v9
	v_lshlrev_b32_e32 v61, 16, v13
	v_max_f32_e32 v61, v61, v61
	v_max_f32_e32 v12, v12, v12
	v_min_f32_e32 v90, v12, v61
	v_max_f32_e32 v12, v12, v61
	v_cndmask_b32_e64 v61, v12, v90, s[26:27]
	v_and_b32_e32 v12, 0x7f800000, v61
	v_cmp_ne_u32_e32 vcc, s40, v12
                                        ; implicit-def: $vgpr12
	s_and_saveexec_b64 s[48:49], vcc
	s_xor_b64 vcc, exec, s[48:49]
; %bb.1361:                             ;   in Loop: Header=BB6_1349 Depth=3
	v_bfe_u32 v12, v61, 16, 1
	v_add3_u32 v12, v61, v12, s41
                                        ; implicit-def: $vgpr61
; %bb.1362:                             ;   in Loop: Header=BB6_1349 Depth=3
	s_andn2_saveexec_b64 s[48:49], vcc
; %bb.1363:                             ;   in Loop: Header=BB6_1349 Depth=3
	v_or_b32_e32 v12, 0x10000, v61
	v_cmp_eq_u32_sdwa vcc, v61, v3 src0_sel:WORD_0 src1_sel:DWORD
	s_nop 1
	v_cndmask_b32_e32 v12, v12, v61, vcc
; %bb.1364:                             ;   in Loop: Header=BB6_1349 Depth=3
	s_or_b64 exec, exec, s[48:49]
	v_and_b32_e32 v9, 0xffff0000, v9
	v_and_b32_e32 v13, 0xffff0000, v13
	v_max_f32_e32 v13, v13, v13
	v_max_f32_e32 v9, v9, v9
	v_min_f32_e32 v61, v9, v13
	v_max_f32_e32 v9, v9, v13
	v_cndmask_b32_e64 v13, v9, v61, s[26:27]
	v_and_b32_e32 v9, 0x7f800000, v13
	v_cmp_ne_u32_e32 vcc, s40, v9
                                        ; implicit-def: $vgpr9
	s_and_saveexec_b64 s[48:49], vcc
	s_xor_b64 vcc, exec, s[48:49]
; %bb.1365:                             ;   in Loop: Header=BB6_1349 Depth=3
	v_bfe_u32 v9, v13, 16, 1
	v_add3_u32 v9, v13, v9, s41
                                        ; implicit-def: $vgpr13
; %bb.1366:                             ;   in Loop: Header=BB6_1349 Depth=3
	s_andn2_saveexec_b64 s[48:49], vcc
; %bb.1367:                             ;   in Loop: Header=BB6_1349 Depth=3
	v_or_b32_e32 v9, 0x10000, v13
	v_cmp_eq_u32_sdwa vcc, v13, v3 src0_sel:WORD_0 src1_sel:DWORD
	s_nop 1
	v_cndmask_b32_e32 v9, v9, v13, vcc
; %bb.1368:                             ;   in Loop: Header=BB6_1349 Depth=3
	s_or_b64 exec, exec, s[48:49]
	v_lshlrev_b32_e32 v13, 16, v10
	v_lshlrev_b32_e32 v61, 16, v14
	v_max_f32_e32 v61, v61, v61
	v_max_f32_e32 v13, v13, v13
	v_min_f32_e32 v90, v13, v61
	v_max_f32_e32 v13, v13, v61
	v_cndmask_b32_e64 v61, v13, v90, s[26:27]
	v_and_b32_e32 v13, 0x7f800000, v61
	v_cmp_ne_u32_e32 vcc, s40, v13
                                        ; implicit-def: $vgpr13
	s_and_saveexec_b64 s[48:49], vcc
	s_xor_b64 vcc, exec, s[48:49]
; %bb.1369:                             ;   in Loop: Header=BB6_1349 Depth=3
	v_bfe_u32 v13, v61, 16, 1
	v_add3_u32 v13, v61, v13, s41
                                        ; implicit-def: $vgpr61
; %bb.1370:                             ;   in Loop: Header=BB6_1349 Depth=3
	s_andn2_saveexec_b64 s[48:49], vcc
; %bb.1371:                             ;   in Loop: Header=BB6_1349 Depth=3
	v_or_b32_e32 v13, 0x10000, v61
	v_cmp_eq_u32_sdwa vcc, v61, v3 src0_sel:WORD_0 src1_sel:DWORD
	s_nop 1
	v_cndmask_b32_e32 v13, v13, v61, vcc
; %bb.1372:                             ;   in Loop: Header=BB6_1349 Depth=3
	s_or_b64 exec, exec, s[48:49]
	v_and_b32_e32 v10, 0xffff0000, v10
	v_and_b32_e32 v14, 0xffff0000, v14
	v_max_f32_e32 v14, v14, v14
	v_max_f32_e32 v10, v10, v10
	v_min_f32_e32 v61, v10, v14
	v_max_f32_e32 v10, v10, v14
	v_cndmask_b32_e64 v14, v10, v61, s[26:27]
	v_and_b32_e32 v10, 0x7f800000, v14
	v_cmp_ne_u32_e32 vcc, s40, v10
                                        ; implicit-def: $vgpr10
	s_and_saveexec_b64 s[48:49], vcc
	s_xor_b64 vcc, exec, s[48:49]
; %bb.1373:                             ;   in Loop: Header=BB6_1349 Depth=3
	v_bfe_u32 v10, v14, 16, 1
	v_add3_u32 v10, v14, v10, s41
                                        ; implicit-def: $vgpr14
; %bb.1374:                             ;   in Loop: Header=BB6_1349 Depth=3
	s_andn2_saveexec_b64 s[48:49], vcc
; %bb.1375:                             ;   in Loop: Header=BB6_1349 Depth=3
	v_or_b32_e32 v10, 0x10000, v14
	v_cmp_eq_u32_sdwa vcc, v14, v3 src0_sel:WORD_0 src1_sel:DWORD
	s_nop 1
	v_cndmask_b32_e32 v10, v10, v14, vcc
; %bb.1376:                             ;   in Loop: Header=BB6_1349 Depth=3
	s_or_b64 exec, exec, s[48:49]
	v_lshlrev_b32_e32 v14, 16, v11
	v_lshlrev_b32_e32 v61, 16, v15
	v_max_f32_e32 v61, v61, v61
	v_max_f32_e32 v14, v14, v14
	v_min_f32_e32 v90, v14, v61
	v_max_f32_e32 v14, v14, v61
	v_cndmask_b32_e64 v61, v14, v90, s[26:27]
	v_and_b32_e32 v14, 0x7f800000, v61
	v_cmp_ne_u32_e32 vcc, s40, v14
                                        ; implicit-def: $vgpr14
	s_and_saveexec_b64 s[48:49], vcc
	s_xor_b64 vcc, exec, s[48:49]
; %bb.1377:                             ;   in Loop: Header=BB6_1349 Depth=3
	v_bfe_u32 v14, v61, 16, 1
	v_add3_u32 v14, v61, v14, s41
                                        ; implicit-def: $vgpr61
; %bb.1378:                             ;   in Loop: Header=BB6_1349 Depth=3
	s_andn2_saveexec_b64 s[48:49], vcc
; %bb.1379:                             ;   in Loop: Header=BB6_1349 Depth=3
	v_or_b32_e32 v14, 0x10000, v61
	v_cmp_eq_u32_sdwa vcc, v61, v3 src0_sel:WORD_0 src1_sel:DWORD
	s_nop 1
	v_cndmask_b32_e32 v14, v14, v61, vcc
; %bb.1380:                             ;   in Loop: Header=BB6_1349 Depth=3
	s_or_b64 exec, exec, s[48:49]
	v_and_b32_e32 v11, 0xffff0000, v11
	v_and_b32_e32 v15, 0xffff0000, v15
	v_max_f32_e32 v15, v15, v15
	v_max_f32_e32 v11, v11, v11
	v_min_f32_e32 v61, v11, v15
	v_max_f32_e32 v11, v11, v15
	v_cndmask_b32_e64 v15, v11, v61, s[26:27]
	v_and_b32_e32 v11, 0x7f800000, v15
	v_cmp_ne_u32_e32 vcc, s40, v11
                                        ; implicit-def: $vgpr11
	s_and_saveexec_b64 s[48:49], vcc
	s_xor_b64 vcc, exec, s[48:49]
; %bb.1381:                             ;   in Loop: Header=BB6_1349 Depth=3
	v_bfe_u32 v11, v15, 16, 1
	v_add3_u32 v11, v15, v11, s41
                                        ; implicit-def: $vgpr15
; %bb.1382:                             ;   in Loop: Header=BB6_1349 Depth=3
	s_andn2_saveexec_b64 s[48:49], vcc
; %bb.1383:                             ;   in Loop: Header=BB6_1349 Depth=3
	v_or_b32_e32 v11, 0x10000, v15
	v_cmp_eq_u32_sdwa vcc, v15, v3 src0_sel:WORD_0 src1_sel:DWORD
	s_nop 1
	v_cndmask_b32_e32 v11, v11, v15, vcc
; %bb.1384:                             ;   in Loop: Header=BB6_1349 Depth=3
	s_or_b64 exec, exec, s[48:49]
	v_lshrrev_b32_e32 v12, 16, v12
	v_and_or_b32 v9, v9, s72, v12
	v_lshrrev_b32_e32 v12, 16, v59
	v_and_or_b32 v8, v8, s72, v12
	;; [unrolled: 2-line block ×4, first 2 shown]
	scratch_store_dwordx4 off, v[8:11], s33 offset:192
	global_store_dwordx4 v[42:43], v[8:11], off
	v_lshl_add_u64 v[42:43], v[96:97], 0, v[42:43]
.LBB6_1385:                             ;   in Loop: Header=BB6_1349 Depth=3
	s_or_b64 exec, exec, s[28:29]
	v_sub_u32_e32 v17, v17, v73
	v_lshl_add_u64 v[44:45], v[44:45], 0, v[80:81]
	v_lshl_add_u64 v[40:41], v[40:41], 0, v[80:81]
	v_cmp_lt_i32_e64 s[48:49], 15, v17
	s_and_saveexec_b64 s[50:51], s[48:49]
	s_cbranch_execz .LBB6_1388
; %bb.1386:                             ;   in Loop: Header=BB6_1349 Depth=3
	s_add_i32 s28, s33, 0xc0
	s_mov_b32 s8, s28
	s_mov_b64 s[28:29], 0
	s_mov_b64 s[52:53], -1
.LBB6_1387:                             ;   Parent Loop BB6_47 Depth=1
                                        ;     Parent Loop BB6_816 Depth=2
                                        ;       Parent Loop BB6_1349 Depth=3
                                        ; =>      This Inner Loop Header: Depth=4
	s_cmp_eq_u32 s28, 1
	s_cselect_b64 vcc, -1, 0
	v_cndmask_b32_e32 v13, v45, v41, vcc
	v_cndmask_b32_e32 v12, v44, v40, vcc
	global_load_dwordx4 v[8:11], v[12:13], off nt
	s_cmp_eq_u32 s28, 0
	s_cselect_b64 s[28:29], -1, 0
	s_waitcnt vmcnt(0)
	scratch_store_dwordx4 off, v[8:11], s8
	s_nop 1
	v_lshl_add_u64 v[8:9], v[12:13], 0, s[56:57]
	v_cndmask_b32_e64 v45, v45, v9, s[28:29]
	v_cndmask_b32_e64 v44, v44, v8, s[28:29]
	v_cndmask_b32_e32 v41, v41, v9, vcc
	v_cndmask_b32_e32 v40, v40, v8, vcc
	s_mov_b64 s[28:29], 1
	s_and_b64 vcc, exec, s[52:53]
	s_mov_b64 s[52:53], 0
	s_mov_b32 s8, s96
	s_cbranch_vccnz .LBB6_1387
.LBB6_1388:                             ;   in Loop: Header=BB6_1349 Depth=3
	s_or_b64 exec, exec, s[50:51]
	scratch_load_dwordx4 v[8:11], off, s33 offset:160
	scratch_load_dwordx4 v[12:15], off, s33 offset:176
	s_waitcnt vmcnt(1)
	v_lshlrev_b32_e32 v59, 16, v8
	s_waitcnt vmcnt(0)
	v_lshlrev_b32_e32 v61, 16, v12
	v_max_f32_e32 v61, v61, v61
	v_max_f32_e32 v59, v59, v59
	v_min_f32_e32 v90, v59, v61
	v_max_f32_e32 v59, v59, v61
	v_cndmask_b32_e64 v61, v59, v90, s[26:27]
	v_and_b32_e32 v59, 0x7f800000, v61
	v_cmp_ne_u32_e32 vcc, s40, v59
                                        ; implicit-def: $vgpr59
	s_and_saveexec_b64 s[28:29], vcc
	s_xor_b64 s[28:29], exec, s[28:29]
; %bb.1389:                             ;   in Loop: Header=BB6_1349 Depth=3
	v_bfe_u32 v59, v61, 16, 1
	v_add3_u32 v59, v61, v59, s41
                                        ; implicit-def: $vgpr61
; %bb.1390:                             ;   in Loop: Header=BB6_1349 Depth=3
	s_andn2_saveexec_b64 s[28:29], s[28:29]
; %bb.1391:                             ;   in Loop: Header=BB6_1349 Depth=3
	v_or_b32_e32 v59, 0x10000, v61
	v_cmp_eq_u32_sdwa vcc, v61, v3 src0_sel:WORD_0 src1_sel:DWORD
	s_nop 1
	v_cndmask_b32_e32 v59, v59, v61, vcc
; %bb.1392:                             ;   in Loop: Header=BB6_1349 Depth=3
	s_or_b64 exec, exec, s[28:29]
	v_and_b32_e32 v8, 0xffff0000, v8
	v_and_b32_e32 v12, 0xffff0000, v12
	v_max_f32_e32 v12, v12, v12
	v_max_f32_e32 v8, v8, v8
	v_min_f32_e32 v61, v8, v12
	v_max_f32_e32 v8, v8, v12
	v_cndmask_b32_e64 v12, v8, v61, s[26:27]
	v_and_b32_e32 v8, 0x7f800000, v12
	v_cmp_ne_u32_e32 vcc, s40, v8
                                        ; implicit-def: $vgpr8
	s_and_saveexec_b64 s[28:29], vcc
	s_xor_b64 s[28:29], exec, s[28:29]
; %bb.1393:                             ;   in Loop: Header=BB6_1349 Depth=3
	v_bfe_u32 v8, v12, 16, 1
	v_add3_u32 v8, v12, v8, s41
                                        ; implicit-def: $vgpr12
; %bb.1394:                             ;   in Loop: Header=BB6_1349 Depth=3
	s_andn2_saveexec_b64 s[28:29], s[28:29]
; %bb.1395:                             ;   in Loop: Header=BB6_1349 Depth=3
	v_or_b32_e32 v8, 0x10000, v12
	v_cmp_eq_u32_sdwa vcc, v12, v3 src0_sel:WORD_0 src1_sel:DWORD
	s_nop 1
	v_cndmask_b32_e32 v8, v8, v12, vcc
; %bb.1396:                             ;   in Loop: Header=BB6_1349 Depth=3
	s_or_b64 exec, exec, s[28:29]
	v_lshlrev_b32_e32 v12, 16, v9
	v_lshlrev_b32_e32 v61, 16, v13
	v_max_f32_e32 v61, v61, v61
	v_max_f32_e32 v12, v12, v12
	v_min_f32_e32 v90, v12, v61
	v_max_f32_e32 v12, v12, v61
	v_cndmask_b32_e64 v61, v12, v90, s[26:27]
	v_and_b32_e32 v12, 0x7f800000, v61
	v_cmp_ne_u32_e32 vcc, s40, v12
                                        ; implicit-def: $vgpr12
	s_and_saveexec_b64 s[28:29], vcc
	s_xor_b64 s[28:29], exec, s[28:29]
; %bb.1397:                             ;   in Loop: Header=BB6_1349 Depth=3
	v_bfe_u32 v12, v61, 16, 1
	v_add3_u32 v12, v61, v12, s41
                                        ; implicit-def: $vgpr61
; %bb.1398:                             ;   in Loop: Header=BB6_1349 Depth=3
	s_andn2_saveexec_b64 s[28:29], s[28:29]
; %bb.1399:                             ;   in Loop: Header=BB6_1349 Depth=3
	v_or_b32_e32 v12, 0x10000, v61
	v_cmp_eq_u32_sdwa vcc, v61, v3 src0_sel:WORD_0 src1_sel:DWORD
	s_nop 1
	v_cndmask_b32_e32 v12, v12, v61, vcc
; %bb.1400:                             ;   in Loop: Header=BB6_1349 Depth=3
	s_or_b64 exec, exec, s[28:29]
	v_and_b32_e32 v9, 0xffff0000, v9
	v_and_b32_e32 v13, 0xffff0000, v13
	v_max_f32_e32 v13, v13, v13
	v_max_f32_e32 v9, v9, v9
	v_min_f32_e32 v61, v9, v13
	v_max_f32_e32 v9, v9, v13
	v_cndmask_b32_e64 v13, v9, v61, s[26:27]
	v_and_b32_e32 v9, 0x7f800000, v13
	v_cmp_ne_u32_e32 vcc, s40, v9
                                        ; implicit-def: $vgpr9
	s_and_saveexec_b64 s[28:29], vcc
	s_xor_b64 s[28:29], exec, s[28:29]
; %bb.1401:                             ;   in Loop: Header=BB6_1349 Depth=3
	v_bfe_u32 v9, v13, 16, 1
	v_add3_u32 v9, v13, v9, s41
                                        ; implicit-def: $vgpr13
; %bb.1402:                             ;   in Loop: Header=BB6_1349 Depth=3
	s_andn2_saveexec_b64 s[28:29], s[28:29]
; %bb.1403:                             ;   in Loop: Header=BB6_1349 Depth=3
	v_or_b32_e32 v9, 0x10000, v13
	v_cmp_eq_u32_sdwa vcc, v13, v3 src0_sel:WORD_0 src1_sel:DWORD
	s_nop 1
	v_cndmask_b32_e32 v9, v9, v13, vcc
; %bb.1404:                             ;   in Loop: Header=BB6_1349 Depth=3
	s_or_b64 exec, exec, s[28:29]
	v_lshlrev_b32_e32 v13, 16, v10
	v_lshlrev_b32_e32 v61, 16, v14
	v_max_f32_e32 v61, v61, v61
	v_max_f32_e32 v13, v13, v13
	v_min_f32_e32 v90, v13, v61
	v_max_f32_e32 v13, v13, v61
	v_cndmask_b32_e64 v61, v13, v90, s[26:27]
	v_and_b32_e32 v13, 0x7f800000, v61
	v_cmp_ne_u32_e32 vcc, s40, v13
                                        ; implicit-def: $vgpr13
	s_and_saveexec_b64 s[28:29], vcc
	s_xor_b64 s[28:29], exec, s[28:29]
; %bb.1405:                             ;   in Loop: Header=BB6_1349 Depth=3
	v_bfe_u32 v13, v61, 16, 1
	v_add3_u32 v13, v61, v13, s41
                                        ; implicit-def: $vgpr61
; %bb.1406:                             ;   in Loop: Header=BB6_1349 Depth=3
	s_andn2_saveexec_b64 s[28:29], s[28:29]
; %bb.1407:                             ;   in Loop: Header=BB6_1349 Depth=3
	v_or_b32_e32 v13, 0x10000, v61
	v_cmp_eq_u32_sdwa vcc, v61, v3 src0_sel:WORD_0 src1_sel:DWORD
	s_nop 1
	v_cndmask_b32_e32 v13, v13, v61, vcc
; %bb.1408:                             ;   in Loop: Header=BB6_1349 Depth=3
	s_or_b64 exec, exec, s[28:29]
	v_and_b32_e32 v10, 0xffff0000, v10
	v_and_b32_e32 v14, 0xffff0000, v14
	v_max_f32_e32 v14, v14, v14
	v_max_f32_e32 v10, v10, v10
	v_min_f32_e32 v61, v10, v14
	v_max_f32_e32 v10, v10, v14
	v_cndmask_b32_e64 v14, v10, v61, s[26:27]
	v_and_b32_e32 v10, 0x7f800000, v14
	v_cmp_ne_u32_e32 vcc, s40, v10
                                        ; implicit-def: $vgpr10
	s_and_saveexec_b64 s[28:29], vcc
	s_xor_b64 s[28:29], exec, s[28:29]
; %bb.1409:                             ;   in Loop: Header=BB6_1349 Depth=3
	v_bfe_u32 v10, v14, 16, 1
	v_add3_u32 v10, v14, v10, s41
                                        ; implicit-def: $vgpr14
; %bb.1410:                             ;   in Loop: Header=BB6_1349 Depth=3
	s_andn2_saveexec_b64 s[28:29], s[28:29]
; %bb.1411:                             ;   in Loop: Header=BB6_1349 Depth=3
	v_or_b32_e32 v10, 0x10000, v14
	v_cmp_eq_u32_sdwa vcc, v14, v3 src0_sel:WORD_0 src1_sel:DWORD
	s_nop 1
	v_cndmask_b32_e32 v10, v10, v14, vcc
; %bb.1412:                             ;   in Loop: Header=BB6_1349 Depth=3
	s_or_b64 exec, exec, s[28:29]
	v_lshlrev_b32_e32 v14, 16, v11
	v_lshlrev_b32_e32 v61, 16, v15
	v_max_f32_e32 v61, v61, v61
	v_max_f32_e32 v14, v14, v14
	v_min_f32_e32 v90, v14, v61
	v_max_f32_e32 v14, v14, v61
	v_cndmask_b32_e64 v61, v14, v90, s[26:27]
	v_and_b32_e32 v14, 0x7f800000, v61
	v_cmp_ne_u32_e32 vcc, s40, v14
                                        ; implicit-def: $vgpr14
	s_and_saveexec_b64 s[28:29], vcc
	s_xor_b64 s[28:29], exec, s[28:29]
; %bb.1413:                             ;   in Loop: Header=BB6_1349 Depth=3
	v_bfe_u32 v14, v61, 16, 1
	v_add3_u32 v14, v61, v14, s41
                                        ; implicit-def: $vgpr61
; %bb.1414:                             ;   in Loop: Header=BB6_1349 Depth=3
	s_andn2_saveexec_b64 s[28:29], s[28:29]
; %bb.1415:                             ;   in Loop: Header=BB6_1349 Depth=3
	v_or_b32_e32 v14, 0x10000, v61
	v_cmp_eq_u32_sdwa vcc, v61, v3 src0_sel:WORD_0 src1_sel:DWORD
	s_nop 1
	v_cndmask_b32_e32 v14, v14, v61, vcc
; %bb.1416:                             ;   in Loop: Header=BB6_1349 Depth=3
	s_or_b64 exec, exec, s[28:29]
	v_and_b32_e32 v11, 0xffff0000, v11
	v_and_b32_e32 v15, 0xffff0000, v15
	v_max_f32_e32 v15, v15, v15
	v_max_f32_e32 v11, v11, v11
	v_min_f32_e32 v61, v11, v15
	v_max_f32_e32 v11, v11, v15
	v_cndmask_b32_e64 v15, v11, v61, s[26:27]
	v_and_b32_e32 v11, 0x7f800000, v15
	v_cmp_ne_u32_e32 vcc, s40, v11
                                        ; implicit-def: $vgpr11
	s_and_saveexec_b64 s[28:29], vcc
	s_xor_b64 s[28:29], exec, s[28:29]
; %bb.1417:                             ;   in Loop: Header=BB6_1349 Depth=3
	v_bfe_u32 v11, v15, 16, 1
	v_add3_u32 v11, v15, v11, s41
                                        ; implicit-def: $vgpr15
; %bb.1418:                             ;   in Loop: Header=BB6_1349 Depth=3
	s_andn2_saveexec_b64 s[28:29], s[28:29]
; %bb.1419:                             ;   in Loop: Header=BB6_1349 Depth=3
	v_or_b32_e32 v11, 0x10000, v15
	v_cmp_eq_u32_sdwa vcc, v15, v3 src0_sel:WORD_0 src1_sel:DWORD
	s_nop 1
	v_cndmask_b32_e32 v11, v11, v15, vcc
; %bb.1420:                             ;   in Loop: Header=BB6_1349 Depth=3
	s_or_b64 exec, exec, s[28:29]
	v_lshrrev_b32_e32 v12, 16, v12
	v_and_or_b32 v9, v9, s72, v12
	v_lshrrev_b32_e32 v12, 16, v59
	v_and_or_b32 v8, v8, s72, v12
	;; [unrolled: 2-line block ×4, first 2 shown]
	v_sub_u32_e32 v58, v58, v52
	scratch_store_dwordx4 off, v[8:11], s33 offset:160
	global_store_dwordx4 v[42:43], v[8:11], off
	v_lshl_add_u64 v[42:43], v[42:43], 0, s[56:57]
	s_and_saveexec_b64 s[28:29], s[48:49]
	s_cbranch_execz .LBB6_1348
; %bb.1421:                             ;   in Loop: Header=BB6_1349 Depth=3
	v_lshl_add_u64 v[44:45], v[44:45], 0, v[80:81]
	v_lshl_add_u64 v[40:41], v[40:41], 0, v[80:81]
	;; [unrolled: 1-line block ×3, first 2 shown]
	v_sub_u32_e32 v17, v17, v73
	v_sub_u32_e32 v58, v58, v52
	s_branch .LBB6_1348
.LBB6_1422:                             ;   in Loop: Header=BB6_816 Depth=2
	s_or_b64 exec, exec, s[36:37]
	s_and_b64 s[26:27], s[38:39], exec
.LBB6_1423:                             ;   in Loop: Header=BB6_816 Depth=2
	s_or_b64 exec, exec, s[34:35]
	s_and_saveexec_b64 s[28:29], s[26:27]
	s_cbranch_execz .LBB6_1457
; %bb.1424:                             ;   in Loop: Header=BB6_816 Depth=2
	scratch_load_dwordx4 v[8:11], off, s33 offset:192
	scratch_load_dwordx4 v[12:15], off, s33 offset:208
	s_and_b32 s8, 0xffff, s9
	s_cmp_eq_u32 s8, 0
	s_cselect_b64 vcc, -1, 0
	s_waitcnt vmcnt(0)
	v_lshlrev_b32_e32 v17, 16, v8
	v_lshlrev_b32_e32 v40, 16, v12
	v_max_f32_e32 v40, v40, v40
	v_max_f32_e32 v17, v17, v17
	v_min_f32_e32 v41, v17, v40
	v_max_f32_e32 v17, v17, v40
	v_cndmask_b32_e32 v40, v17, v41, vcc
	v_and_b32_e32 v17, 0x7f800000, v40
	v_cmp_ne_u32_e64 s[26:27], s40, v17
                                        ; implicit-def: $vgpr17
	s_and_saveexec_b64 s[34:35], s[26:27]
	s_xor_b64 s[26:27], exec, s[34:35]
; %bb.1425:                             ;   in Loop: Header=BB6_816 Depth=2
	v_bfe_u32 v17, v40, 16, 1
	v_add3_u32 v17, v40, v17, s41
                                        ; implicit-def: $vgpr40
; %bb.1426:                             ;   in Loop: Header=BB6_816 Depth=2
	s_andn2_saveexec_b64 s[34:35], s[26:27]
; %bb.1427:                             ;   in Loop: Header=BB6_816 Depth=2
	v_or_b32_e32 v17, 0x10000, v40
	v_cmp_eq_u32_sdwa s[26:27], v40, v3 src0_sel:WORD_0 src1_sel:DWORD
	s_nop 1
	v_cndmask_b32_e64 v17, v17, v40, s[26:27]
; %bb.1428:                             ;   in Loop: Header=BB6_816 Depth=2
	s_or_b64 exec, exec, s[34:35]
	v_and_b32_e32 v8, 0xffff0000, v8
	v_and_b32_e32 v12, 0xffff0000, v12
	v_max_f32_e32 v12, v12, v12
	v_max_f32_e32 v8, v8, v8
	v_min_f32_e32 v40, v8, v12
	v_max_f32_e32 v8, v8, v12
	v_cndmask_b32_e32 v12, v8, v40, vcc
	v_and_b32_e32 v8, 0x7f800000, v12
	v_cmp_ne_u32_e64 s[26:27], s40, v8
                                        ; implicit-def: $vgpr8
	s_and_saveexec_b64 s[34:35], s[26:27]
	s_xor_b64 s[26:27], exec, s[34:35]
; %bb.1429:                             ;   in Loop: Header=BB6_816 Depth=2
	v_bfe_u32 v8, v12, 16, 1
	v_add3_u32 v8, v12, v8, s41
                                        ; implicit-def: $vgpr12
; %bb.1430:                             ;   in Loop: Header=BB6_816 Depth=2
	s_andn2_saveexec_b64 s[34:35], s[26:27]
; %bb.1431:                             ;   in Loop: Header=BB6_816 Depth=2
	v_or_b32_e32 v8, 0x10000, v12
	v_cmp_eq_u32_sdwa s[26:27], v12, v3 src0_sel:WORD_0 src1_sel:DWORD
	s_nop 1
	v_cndmask_b32_e64 v8, v8, v12, s[26:27]
; %bb.1432:                             ;   in Loop: Header=BB6_816 Depth=2
	s_or_b64 exec, exec, s[34:35]
	v_lshlrev_b32_e32 v12, 16, v9
	v_lshlrev_b32_e32 v40, 16, v13
	v_max_f32_e32 v40, v40, v40
	v_max_f32_e32 v12, v12, v12
	v_min_f32_e32 v41, v12, v40
	v_max_f32_e32 v12, v12, v40
	v_cndmask_b32_e32 v40, v12, v41, vcc
	v_and_b32_e32 v12, 0x7f800000, v40
	v_cmp_ne_u32_e64 s[26:27], s40, v12
                                        ; implicit-def: $vgpr12
	s_and_saveexec_b64 s[34:35], s[26:27]
	s_xor_b64 s[26:27], exec, s[34:35]
; %bb.1433:                             ;   in Loop: Header=BB6_816 Depth=2
	v_bfe_u32 v12, v40, 16, 1
	v_add3_u32 v12, v40, v12, s41
                                        ; implicit-def: $vgpr40
; %bb.1434:                             ;   in Loop: Header=BB6_816 Depth=2
	s_andn2_saveexec_b64 s[34:35], s[26:27]
; %bb.1435:                             ;   in Loop: Header=BB6_816 Depth=2
	v_or_b32_e32 v12, 0x10000, v40
	v_cmp_eq_u32_sdwa s[26:27], v40, v3 src0_sel:WORD_0 src1_sel:DWORD
	s_nop 1
	v_cndmask_b32_e64 v12, v12, v40, s[26:27]
; %bb.1436:                             ;   in Loop: Header=BB6_816 Depth=2
	s_or_b64 exec, exec, s[34:35]
	v_and_b32_e32 v9, 0xffff0000, v9
	v_and_b32_e32 v13, 0xffff0000, v13
	v_max_f32_e32 v13, v13, v13
	v_max_f32_e32 v9, v9, v9
	v_min_f32_e32 v40, v9, v13
	v_max_f32_e32 v9, v9, v13
	v_cndmask_b32_e32 v13, v9, v40, vcc
	v_and_b32_e32 v9, 0x7f800000, v13
	v_cmp_ne_u32_e64 s[26:27], s40, v9
                                        ; implicit-def: $vgpr9
	s_and_saveexec_b64 s[34:35], s[26:27]
	s_xor_b64 s[26:27], exec, s[34:35]
; %bb.1437:                             ;   in Loop: Header=BB6_816 Depth=2
	v_bfe_u32 v9, v13, 16, 1
	v_add3_u32 v9, v13, v9, s41
                                        ; implicit-def: $vgpr13
; %bb.1438:                             ;   in Loop: Header=BB6_816 Depth=2
	s_andn2_saveexec_b64 s[34:35], s[26:27]
; %bb.1439:                             ;   in Loop: Header=BB6_816 Depth=2
	v_or_b32_e32 v9, 0x10000, v13
	v_cmp_eq_u32_sdwa s[26:27], v13, v3 src0_sel:WORD_0 src1_sel:DWORD
	s_nop 1
	v_cndmask_b32_e64 v9, v9, v13, s[26:27]
; %bb.1440:                             ;   in Loop: Header=BB6_816 Depth=2
	s_or_b64 exec, exec, s[34:35]
	v_lshlrev_b32_e32 v13, 16, v10
	v_lshlrev_b32_e32 v40, 16, v14
	v_max_f32_e32 v40, v40, v40
	v_max_f32_e32 v13, v13, v13
	v_min_f32_e32 v41, v13, v40
	v_max_f32_e32 v13, v13, v40
	v_cndmask_b32_e32 v40, v13, v41, vcc
	v_and_b32_e32 v13, 0x7f800000, v40
	v_cmp_ne_u32_e64 s[26:27], s40, v13
                                        ; implicit-def: $vgpr13
	s_and_saveexec_b64 s[34:35], s[26:27]
	s_xor_b64 s[26:27], exec, s[34:35]
; %bb.1441:                             ;   in Loop: Header=BB6_816 Depth=2
	v_bfe_u32 v13, v40, 16, 1
	v_add3_u32 v13, v40, v13, s41
                                        ; implicit-def: $vgpr40
; %bb.1442:                             ;   in Loop: Header=BB6_816 Depth=2
	s_andn2_saveexec_b64 s[34:35], s[26:27]
; %bb.1443:                             ;   in Loop: Header=BB6_816 Depth=2
	v_or_b32_e32 v13, 0x10000, v40
	v_cmp_eq_u32_sdwa s[26:27], v40, v3 src0_sel:WORD_0 src1_sel:DWORD
	s_nop 1
	v_cndmask_b32_e64 v13, v13, v40, s[26:27]
; %bb.1444:                             ;   in Loop: Header=BB6_816 Depth=2
	s_or_b64 exec, exec, s[34:35]
	v_and_b32_e32 v10, 0xffff0000, v10
	v_and_b32_e32 v14, 0xffff0000, v14
	v_max_f32_e32 v14, v14, v14
	v_max_f32_e32 v10, v10, v10
	v_min_f32_e32 v40, v10, v14
	v_max_f32_e32 v10, v10, v14
	v_cndmask_b32_e32 v14, v10, v40, vcc
	v_and_b32_e32 v10, 0x7f800000, v14
	v_cmp_ne_u32_e64 s[26:27], s40, v10
                                        ; implicit-def: $vgpr10
	s_and_saveexec_b64 s[34:35], s[26:27]
	s_xor_b64 s[26:27], exec, s[34:35]
; %bb.1445:                             ;   in Loop: Header=BB6_816 Depth=2
	v_bfe_u32 v10, v14, 16, 1
	v_add3_u32 v10, v14, v10, s41
                                        ; implicit-def: $vgpr14
; %bb.1446:                             ;   in Loop: Header=BB6_816 Depth=2
	s_andn2_saveexec_b64 s[34:35], s[26:27]
; %bb.1447:                             ;   in Loop: Header=BB6_816 Depth=2
	v_or_b32_e32 v10, 0x10000, v14
	v_cmp_eq_u32_sdwa s[26:27], v14, v3 src0_sel:WORD_0 src1_sel:DWORD
	s_nop 1
	v_cndmask_b32_e64 v10, v10, v14, s[26:27]
; %bb.1448:                             ;   in Loop: Header=BB6_816 Depth=2
	s_or_b64 exec, exec, s[34:35]
	v_lshlrev_b32_e32 v14, 16, v11
	v_lshlrev_b32_e32 v40, 16, v15
	v_max_f32_e32 v40, v40, v40
	v_max_f32_e32 v14, v14, v14
	v_min_f32_e32 v41, v14, v40
	v_max_f32_e32 v14, v14, v40
	v_cndmask_b32_e32 v40, v14, v41, vcc
	v_and_b32_e32 v14, 0x7f800000, v40
	v_cmp_ne_u32_e64 s[26:27], s40, v14
                                        ; implicit-def: $vgpr14
	s_and_saveexec_b64 s[34:35], s[26:27]
	s_xor_b64 s[26:27], exec, s[34:35]
; %bb.1449:                             ;   in Loop: Header=BB6_816 Depth=2
	v_bfe_u32 v14, v40, 16, 1
	v_add3_u32 v14, v40, v14, s41
                                        ; implicit-def: $vgpr40
; %bb.1450:                             ;   in Loop: Header=BB6_816 Depth=2
	s_andn2_saveexec_b64 s[34:35], s[26:27]
; %bb.1451:                             ;   in Loop: Header=BB6_816 Depth=2
	v_or_b32_e32 v14, 0x10000, v40
	v_cmp_eq_u32_sdwa s[26:27], v40, v3 src0_sel:WORD_0 src1_sel:DWORD
	s_nop 1
	v_cndmask_b32_e64 v14, v14, v40, s[26:27]
; %bb.1452:                             ;   in Loop: Header=BB6_816 Depth=2
	s_or_b64 exec, exec, s[34:35]
	v_and_b32_e32 v11, 0xffff0000, v11
	v_and_b32_e32 v15, 0xffff0000, v15
	v_max_f32_e32 v15, v15, v15
	v_max_f32_e32 v11, v11, v11
	v_min_f32_e32 v40, v11, v15
	v_max_f32_e32 v11, v11, v15
	v_cndmask_b32_e32 v15, v11, v40, vcc
	v_and_b32_e32 v11, 0x7f800000, v15
	v_cmp_ne_u32_e32 vcc, s40, v11
                                        ; implicit-def: $vgpr11
	s_and_saveexec_b64 s[26:27], vcc
	s_xor_b64 s[26:27], exec, s[26:27]
; %bb.1453:                             ;   in Loop: Header=BB6_816 Depth=2
	v_bfe_u32 v11, v15, 16, 1
	v_add3_u32 v11, v15, v11, s41
                                        ; implicit-def: $vgpr15
; %bb.1454:                             ;   in Loop: Header=BB6_816 Depth=2
	s_andn2_saveexec_b64 s[26:27], s[26:27]
; %bb.1455:                             ;   in Loop: Header=BB6_816 Depth=2
	v_or_b32_e32 v11, 0x10000, v15
	v_cmp_eq_u32_sdwa vcc, v15, v3 src0_sel:WORD_0 src1_sel:DWORD
	s_nop 1
	v_cndmask_b32_e32 v11, v11, v15, vcc
; %bb.1456:                             ;   in Loop: Header=BB6_816 Depth=2
	s_or_b64 exec, exec, s[26:27]
	v_lshrrev_b32_e32 v12, 16, v12
	v_and_or_b32 v9, v9, s72, v12
	v_lshrrev_b32_e32 v12, 16, v17
	v_and_or_b32 v8, v8, s72, v12
	;; [unrolled: 2-line block ×4, first 2 shown]
	global_store_dwordx4 v[42:43], v[8:11], off
.LBB6_1457:                             ;   in Loop: Header=BB6_816 Depth=2
	s_or_b64 exec, exec, s[28:29]
	s_nop 0
	v_and_b32_e32 v9, 14, v19
	v_cndmask_b32_e64 v17, v57, v9, s[24:25]
	v_cmp_ne_u32_e32 vcc, 0, v17
	s_mov_b64 s[28:29], s[94:95]
                                        ; implicit-def: $vgpr14
                                        ; implicit-def: $vgpr8
                                        ; implicit-def: $vgpr15
	s_and_saveexec_b64 s[26:27], vcc
	s_cbranch_execz .LBB6_1459
; %bb.1458:                             ;   in Loop: Header=BB6_816 Depth=2
	v_sub_u32_e32 v8, v57, v9
	v_cndmask_b32_e64 v8, 0, v8, s[24:25]
	v_cmp_lt_i32_e32 vcc, 0, v58
	v_add3_u32 v14, v56, v46, v8
	s_or_b64 s[28:29], s[94:95], exec
	v_cndmask_b32_e32 v8, 0, v52, vcc
	v_sub_u32_e32 v8, v8, v58
	v_lshl_add_u32 v8, v8, 6, v47
	v_ashrrev_i32_e32 v9, 31, v8
	v_lshrrev_b32_e32 v9, 26, v9
	v_add_u32_e32 v9, v8, v9
	v_and_b32_e32 v9, 0xffffffc0, v9
	v_sub_u32_e32 v15, v8, v9
.LBB6_1459:                             ;   in Loop: Header=BB6_816 Depth=2
	s_or_b64 exec, exec, s[26:27]
	s_andn2_b64 s[24:25], s[94:95], exec
	s_and_b64 s[26:27], s[28:29], exec
	s_or_b64 s[94:95], s[24:25], s[26:27]
.LBB6_1460:                             ;   in Loop: Header=BB6_816 Depth=2
	s_or_b64 exec, exec, s[30:31]
	s_and_saveexec_b64 s[30:31], s[94:95]
	s_cbranch_execz .LBB6_1544
.LBB6_1461:                             ;   in Loop: Header=BB6_816 Depth=2
	v_ashrrev_i32_e32 v9, 31, v8
	v_lshrrev_b32_e32 v9, 26, v9
	v_add_u32_e32 v8, v8, v9
	v_ashrrev_i32_e32 v8, 6, v8
	v_lshlrev_b32_e32 v9, 9, v8
	v_lshlrev_b32_e32 v10, 1, v15
	v_add3_u32 v12, v14, v10, v9
	v_ashrrev_i32_e32 v9, 31, v17
	v_lshrrev_b32_e32 v9, 23, v9
	v_add_u32_e32 v9, v17, v9
	v_ashrrev_i32_e32 v19, 9, v9
	v_ashrrev_i32_e32 v13, 31, v12
	v_sub_u32_e32 v40, v19, v8
	v_lshl_add_u64 v[8:9], v[118:119], 0, v[12:13]
	v_cmp_lt_i32_e32 vcc, 0, v40
	v_mov_b32_e32 v58, 0
	s_mov_b64 s[24:25], 0
	v_mov_b32_e32 v47, 0
	v_mov_b32_e32 v41, 0
	v_mov_b32_e32 v10, 0
	v_mov_b32_e32 v59, 0
	v_mov_b32_e32 v56, 0
	s_waitcnt lgkmcnt(0)
	v_mov_b32_e32 v42, 0
	v_mov_b32_e32 v11, 0
	s_and_saveexec_b64 s[26:27], vcc
	s_cbranch_execz .LBB6_1501
; %bb.1462:                             ;   in Loop: Header=BB6_816 Depth=2
	s_trap 2
	ds_read_b64 v[42:43], v0
	s_and_b32 s8, s9, 0xff
	s_cmp_eq_u32 s8, 0
	v_lshl_add_u64 v[10:11], v[12:13], 0, v[22:23]
	s_mov_b64 s[34:35], 0
	s_waitcnt lgkmcnt(0)
	v_lshl_add_u64 v[12:13], v[42:43], 0, v[12:13]
	s_mov_b64 s[94:95], 0
	s_cselect_b64 vcc, -1, 0
                                        ; implicit-def: $sgpr28_sgpr29
                                        ; implicit-def: $vgpr61
                                        ; implicit-def: $vgpr57
                                        ; implicit-def: $vgpr46
                                        ; implicit-def: $vgpr45
                                        ; implicit-def: $vgpr41
                                        ; implicit-def: $vgpr42
                                        ; implicit-def: $vgpr43
                                        ; implicit-def: $vgpr44
	s_branch .LBB6_1464
.LBB6_1463:                             ;   in Loop: Header=BB6_1464 Depth=3
	s_or_b64 exec, exec, s[36:37]
	flat_store_short_d16_hi v[8:9], v92 nt
	flat_store_short_d16_hi v[8:9], v90 offset:128 nt
	flat_store_short_d16_hi v[8:9], v58 offset:256 nt
	;; [unrolled: 1-line block ×3, first 2 shown]
	v_cndmask_b32_e64 v47, 0, v52, s[34:35]
	v_sub_u32_e32 v40, v40, v47
	v_cmp_gt_i32_e64 s[24:25], 1, v40
	s_or_b64 s[94:95], s[24:25], s[94:95]
	v_lshl_add_u64 v[58:59], v[10:11], 0, v[70:71]
	v_lshl_add_u64 v[90:91], v[12:13], 0, v[70:71]
	v_cndmask_b32_e64 v93, 0, v87, s[34:35]
	v_cndmask_b32_e64 v92, v78, v86, s[34:35]
	s_andn2_b64 s[24:25], s[28:29], exec
	s_and_b64 s[28:29], s[34:35], exec
	v_lshl_add_u64 v[8:9], v[8:9], 0, v[92:93]
	v_cndmask_b32_e64 v11, v11, v59, s[34:35]
	v_cndmask_b32_e64 v10, v10, v58, s[34:35]
	;; [unrolled: 1-line block ×4, first 2 shown]
	s_or_b64 s[28:29], s[24:25], s[28:29]
	s_andn2_b64 exec, exec, s[94:95]
	s_cbranch_execz .LBB6_1500
.LBB6_1464:                             ;   Parent Loop BB6_47 Depth=1
                                        ;     Parent Loop BB6_816 Depth=2
                                        ; =>    This Inner Loop Header: Depth=3
	flat_load_ushort v92, v[10:11] nt
	flat_load_ushort v90, v[10:11] offset:128 nt
	flat_load_ushort v58, v[10:11] offset:256 nt
	;; [unrolled: 1-line block ×3, first 2 shown]
	flat_load_ushort v93, v[12:13] nt
	flat_load_ushort v91, v[12:13] offset:128 nt
	flat_load_ushort v59, v[12:13] offset:256 nt
	;; [unrolled: 1-line block ×3, first 2 shown]
	s_and_saveexec_b64 s[36:37], s[34:35]
	s_cbranch_execz .LBB6_1482
; %bb.1465:                             ;   in Loop: Header=BB6_1464 Depth=3
	v_lshlrev_b32_e32 v61, 16, v61
	v_lshlrev_b32_e32 v94, 16, v41
	v_max_f32_e32 v94, v94, v94
	v_max_f32_e32 v61, v61, v61
	v_min_f32_e32 v95, v61, v94
	v_max_f32_e32 v61, v61, v94
	v_cndmask_b32_e32 v94, v61, v95, vcc
	v_and_b32_e32 v61, 0x7f800000, v94
	v_cmp_ne_u32_e64 s[24:25], s40, v61
                                        ; implicit-def: $vgpr61
	s_and_saveexec_b64 s[34:35], s[24:25]
	s_xor_b64 s[24:25], exec, s[34:35]
; %bb.1466:                             ;   in Loop: Header=BB6_1464 Depth=3
	v_bfe_u32 v61, v94, 16, 1
	v_add3_u32 v61, v94, v61, s41
                                        ; implicit-def: $vgpr94
; %bb.1467:                             ;   in Loop: Header=BB6_1464 Depth=3
	s_andn2_saveexec_b64 s[34:35], s[24:25]
; %bb.1468:                             ;   in Loop: Header=BB6_1464 Depth=3
	v_or_b32_e32 v61, 0x10000, v94
	v_cmp_eq_u32_sdwa s[24:25], v94, v3 src0_sel:WORD_0 src1_sel:DWORD
	s_nop 1
	v_cndmask_b32_e64 v61, v61, v94, s[24:25]
; %bb.1469:                             ;   in Loop: Header=BB6_1464 Depth=3
	s_or_b64 exec, exec, s[34:35]
	v_lshlrev_b32_e32 v57, 16, v57
	v_lshlrev_b32_e32 v94, 16, v42
	v_max_f32_e32 v94, v94, v94
	v_max_f32_e32 v57, v57, v57
	v_min_f32_e32 v95, v57, v94
	v_max_f32_e32 v57, v57, v94
	v_cndmask_b32_e32 v94, v57, v95, vcc
	v_and_b32_e32 v57, 0x7f800000, v94
	v_cmp_ne_u32_e64 s[24:25], s40, v57
                                        ; implicit-def: $vgpr57
	s_and_saveexec_b64 s[34:35], s[24:25]
	s_xor_b64 s[24:25], exec, s[34:35]
; %bb.1470:                             ;   in Loop: Header=BB6_1464 Depth=3
	v_bfe_u32 v57, v94, 16, 1
	v_add3_u32 v57, v94, v57, s41
                                        ; implicit-def: $vgpr94
; %bb.1471:                             ;   in Loop: Header=BB6_1464 Depth=3
	s_andn2_saveexec_b64 s[34:35], s[24:25]
; %bb.1472:                             ;   in Loop: Header=BB6_1464 Depth=3
	v_or_b32_e32 v57, 0x10000, v94
	v_cmp_eq_u32_sdwa s[24:25], v94, v3 src0_sel:WORD_0 src1_sel:DWORD
	s_nop 1
	v_cndmask_b32_e64 v57, v57, v94, s[24:25]
; %bb.1473:                             ;   in Loop: Header=BB6_1464 Depth=3
	s_or_b64 exec, exec, s[34:35]
	v_lshlrev_b32_e32 v46, 16, v46
	v_lshlrev_b32_e32 v94, 16, v43
	v_max_f32_e32 v94, v94, v94
	v_max_f32_e32 v46, v46, v46
	v_min_f32_e32 v95, v46, v94
	v_max_f32_e32 v46, v46, v94
	v_cndmask_b32_e32 v94, v46, v95, vcc
	v_and_b32_e32 v46, 0x7f800000, v94
	v_cmp_ne_u32_e64 s[24:25], s40, v46
                                        ; implicit-def: $vgpr46
	s_and_saveexec_b64 s[34:35], s[24:25]
	s_xor_b64 s[24:25], exec, s[34:35]
; %bb.1474:                             ;   in Loop: Header=BB6_1464 Depth=3
	v_bfe_u32 v46, v94, 16, 1
	v_add3_u32 v46, v94, v46, s41
                                        ; implicit-def: $vgpr94
; %bb.1475:                             ;   in Loop: Header=BB6_1464 Depth=3
	s_andn2_saveexec_b64 s[34:35], s[24:25]
; %bb.1476:                             ;   in Loop: Header=BB6_1464 Depth=3
	v_or_b32_e32 v46, 0x10000, v94
	v_cmp_eq_u32_sdwa s[24:25], v94, v3 src0_sel:WORD_0 src1_sel:DWORD
	s_nop 1
	v_cndmask_b32_e64 v46, v46, v94, s[24:25]
; %bb.1477:                             ;   in Loop: Header=BB6_1464 Depth=3
	s_or_b64 exec, exec, s[34:35]
	v_lshlrev_b32_e32 v45, 16, v45
	v_lshlrev_b32_e32 v94, 16, v44
	v_max_f32_e32 v94, v94, v94
	v_max_f32_e32 v45, v45, v45
	v_min_f32_e32 v95, v45, v94
	v_max_f32_e32 v45, v45, v94
	v_cndmask_b32_e32 v94, v45, v95, vcc
	v_and_b32_e32 v45, 0x7f800000, v94
	v_cmp_ne_u32_e64 s[24:25], s40, v45
                                        ; implicit-def: $vgpr45
	s_and_saveexec_b64 s[34:35], s[24:25]
	s_xor_b64 s[24:25], exec, s[34:35]
; %bb.1478:                             ;   in Loop: Header=BB6_1464 Depth=3
	v_bfe_u32 v45, v94, 16, 1
	v_add3_u32 v45, v94, v45, s41
                                        ; implicit-def: $vgpr94
; %bb.1479:                             ;   in Loop: Header=BB6_1464 Depth=3
	s_andn2_saveexec_b64 s[34:35], s[24:25]
; %bb.1480:                             ;   in Loop: Header=BB6_1464 Depth=3
	v_or_b32_e32 v45, 0x10000, v94
	v_cmp_eq_u32_sdwa s[24:25], v94, v3 src0_sel:WORD_0 src1_sel:DWORD
	s_nop 1
	v_cndmask_b32_e64 v45, v45, v94, s[24:25]
; %bb.1481:                             ;   in Loop: Header=BB6_1464 Depth=3
	s_or_b64 exec, exec, s[34:35]
	v_lshrrev_b32_e32 v61, 16, v61
	v_lshrrev_b32_e32 v46, 16, v46
	;; [unrolled: 1-line block ×4, first 2 shown]
	flat_store_short v[8:9], v61 nt
	flat_store_short v[8:9], v57 offset:128 nt
	flat_store_short v[8:9], v46 offset:256 nt
	;; [unrolled: 1-line block ×3, first 2 shown]
	v_lshl_add_u64 v[8:9], v[8:9], 0, v[86:87]
.LBB6_1482:                             ;   in Loop: Header=BB6_1464 Depth=3
	s_or_b64 exec, exec, s[36:37]
	v_sub_u32_e32 v40, v40, v52
	v_lshl_add_u64 v[10:11], v[10:11], 0, v[86:87]
	v_lshl_add_u64 v[12:13], v[12:13], 0, v[86:87]
	v_cmp_lt_i32_e64 s[34:35], 0, v40
	s_and_saveexec_b64 s[24:25], s[34:35]
	s_cbranch_execz .LBB6_1484
; %bb.1483:                             ;   in Loop: Header=BB6_1464 Depth=3
	flat_load_ushort v61, v[10:11] nt
	flat_load_ushort v57, v[10:11] offset:128 nt
	flat_load_ushort v46, v[10:11] offset:256 nt
	;; [unrolled: 1-line block ×3, first 2 shown]
	flat_load_ushort v41, v[12:13] nt
	flat_load_ushort v42, v[12:13] offset:128 nt
	flat_load_ushort v43, v[12:13] offset:256 nt
	;; [unrolled: 1-line block ×3, first 2 shown]
	v_lshl_add_u64 v[10:11], v[10:11], 0, s[58:59]
	v_lshl_add_u64 v[12:13], v[12:13], 0, s[58:59]
.LBB6_1484:                             ;   in Loop: Header=BB6_1464 Depth=3
	s_or_b64 exec, exec, s[24:25]
	s_waitcnt vmcnt(0) lgkmcnt(0)
	v_lshlrev_b32_e32 v92, 16, v92
	v_lshlrev_b32_e32 v93, 16, v93
	v_max_f32_e32 v93, v93, v93
	v_max_f32_e32 v92, v92, v92
	v_min_f32_e32 v94, v92, v93
	v_max_f32_e32 v92, v92, v93
	v_cndmask_b32_e32 v93, v92, v94, vcc
	v_and_b32_e32 v92, 0x7f800000, v93
	v_cmp_ne_u32_e64 s[24:25], s40, v92
                                        ; implicit-def: $vgpr92
	s_and_saveexec_b64 s[36:37], s[24:25]
	s_xor_b64 s[24:25], exec, s[36:37]
; %bb.1485:                             ;   in Loop: Header=BB6_1464 Depth=3
	v_bfe_u32 v92, v93, 16, 1
	v_add3_u32 v92, v93, v92, s41
                                        ; implicit-def: $vgpr93
; %bb.1486:                             ;   in Loop: Header=BB6_1464 Depth=3
	s_andn2_saveexec_b64 s[36:37], s[24:25]
; %bb.1487:                             ;   in Loop: Header=BB6_1464 Depth=3
	v_or_b32_e32 v92, 0x10000, v93
	v_cmp_eq_u32_sdwa s[24:25], v93, v3 src0_sel:WORD_0 src1_sel:DWORD
	s_nop 1
	v_cndmask_b32_e64 v92, v92, v93, s[24:25]
; %bb.1488:                             ;   in Loop: Header=BB6_1464 Depth=3
	s_or_b64 exec, exec, s[36:37]
	v_lshlrev_b32_e32 v90, 16, v90
	v_lshlrev_b32_e32 v91, 16, v91
	v_max_f32_e32 v91, v91, v91
	v_max_f32_e32 v90, v90, v90
	v_min_f32_e32 v93, v90, v91
	v_max_f32_e32 v90, v90, v91
	v_cndmask_b32_e32 v91, v90, v93, vcc
	v_and_b32_e32 v90, 0x7f800000, v91
	v_cmp_ne_u32_e64 s[24:25], s40, v90
                                        ; implicit-def: $vgpr90
	s_and_saveexec_b64 s[36:37], s[24:25]
	s_xor_b64 s[24:25], exec, s[36:37]
; %bb.1489:                             ;   in Loop: Header=BB6_1464 Depth=3
	v_bfe_u32 v90, v91, 16, 1
	v_add3_u32 v90, v91, v90, s41
                                        ; implicit-def: $vgpr91
; %bb.1490:                             ;   in Loop: Header=BB6_1464 Depth=3
	s_andn2_saveexec_b64 s[36:37], s[24:25]
; %bb.1491:                             ;   in Loop: Header=BB6_1464 Depth=3
	v_or_b32_e32 v90, 0x10000, v91
	v_cmp_eq_u32_sdwa s[24:25], v91, v3 src0_sel:WORD_0 src1_sel:DWORD
	s_nop 1
	v_cndmask_b32_e64 v90, v90, v91, s[24:25]
; %bb.1492:                             ;   in Loop: Header=BB6_1464 Depth=3
	s_or_b64 exec, exec, s[36:37]
	v_lshlrev_b32_e32 v58, 16, v58
	v_lshlrev_b32_e32 v59, 16, v59
	v_max_f32_e32 v59, v59, v59
	v_max_f32_e32 v58, v58, v58
	v_min_f32_e32 v91, v58, v59
	v_max_f32_e32 v58, v58, v59
	v_cndmask_b32_e32 v59, v58, v91, vcc
	v_and_b32_e32 v58, 0x7f800000, v59
	v_cmp_ne_u32_e64 s[24:25], s40, v58
                                        ; implicit-def: $vgpr58
	s_and_saveexec_b64 s[36:37], s[24:25]
	s_xor_b64 s[24:25], exec, s[36:37]
; %bb.1493:                             ;   in Loop: Header=BB6_1464 Depth=3
	v_bfe_u32 v58, v59, 16, 1
	v_add3_u32 v58, v59, v58, s41
                                        ; implicit-def: $vgpr59
; %bb.1494:                             ;   in Loop: Header=BB6_1464 Depth=3
	s_andn2_saveexec_b64 s[36:37], s[24:25]
; %bb.1495:                             ;   in Loop: Header=BB6_1464 Depth=3
	v_or_b32_e32 v58, 0x10000, v59
	v_cmp_eq_u32_sdwa s[24:25], v59, v3 src0_sel:WORD_0 src1_sel:DWORD
	s_nop 1
	v_cndmask_b32_e64 v58, v58, v59, s[24:25]
; %bb.1496:                             ;   in Loop: Header=BB6_1464 Depth=3
	s_or_b64 exec, exec, s[36:37]
	v_lshlrev_b32_e32 v47, 16, v47
	v_lshlrev_b32_e32 v56, 16, v56
	v_max_f32_e32 v56, v56, v56
	v_max_f32_e32 v47, v47, v47
	v_min_f32_e32 v59, v47, v56
	v_max_f32_e32 v47, v47, v56
	v_cndmask_b32_e32 v56, v47, v59, vcc
	v_and_b32_e32 v47, 0x7f800000, v56
	v_cmp_ne_u32_e64 s[24:25], s40, v47
                                        ; implicit-def: $vgpr47
	s_and_saveexec_b64 s[36:37], s[24:25]
	s_xor_b64 s[24:25], exec, s[36:37]
; %bb.1497:                             ;   in Loop: Header=BB6_1464 Depth=3
	v_bfe_u32 v47, v56, 16, 1
	v_add3_u32 v47, v56, v47, s41
                                        ; implicit-def: $vgpr56
; %bb.1498:                             ;   in Loop: Header=BB6_1464 Depth=3
	s_andn2_saveexec_b64 s[36:37], s[24:25]
	s_cbranch_execz .LBB6_1463
; %bb.1499:                             ;   in Loop: Header=BB6_1464 Depth=3
	v_or_b32_e32 v47, 0x10000, v56
	v_cmp_eq_u32_sdwa s[24:25], v56, v3 src0_sel:WORD_0 src1_sel:DWORD
	s_nop 1
	v_cndmask_b32_e64 v47, v47, v56, s[24:25]
	s_branch .LBB6_1463
.LBB6_1500:                             ;   in Loop: Header=BB6_816 Depth=2
	s_or_b64 exec, exec, s[94:95]
	v_lshlrev_b32_e32 v58, 16, v61
	v_lshlrev_b32_e32 v59, 16, v41
	;; [unrolled: 1-line block ×8, first 2 shown]
	s_and_b64 s[24:25], s[28:29], exec
.LBB6_1501:                             ;   in Loop: Header=BB6_816 Depth=2
	s_or_b64 exec, exec, s[26:27]
	s_and_saveexec_b64 s[26:27], s[24:25]
	s_cbranch_execz .LBB6_1519
; %bb.1502:                             ;   in Loop: Header=BB6_816 Depth=2
	s_and_b32 s8, s9, 0xff
	s_cmp_eq_u32 s8, 0
	v_max_f32_e32 v12, v59, v59
	v_max_f32_e32 v13, v58, v58
	v_min_f32_e32 v43, v13, v12
	v_max_f32_e32 v12, v13, v12
	s_cselect_b64 vcc, -1, 0
	v_cndmask_b32_e32 v13, v12, v43, vcc
	v_and_b32_e32 v12, 0x7f800000, v13
	v_cmp_ne_u32_e64 s[24:25], s40, v12
                                        ; implicit-def: $vgpr12
	s_and_saveexec_b64 s[28:29], s[24:25]
	s_xor_b64 s[24:25], exec, s[28:29]
; %bb.1503:                             ;   in Loop: Header=BB6_816 Depth=2
	v_bfe_u32 v12, v13, 16, 1
	v_add3_u32 v12, v13, v12, s41
                                        ; implicit-def: $vgpr13
; %bb.1504:                             ;   in Loop: Header=BB6_816 Depth=2
	s_andn2_saveexec_b64 s[28:29], s[24:25]
; %bb.1505:                             ;   in Loop: Header=BB6_816 Depth=2
	v_or_b32_e32 v12, 0x10000, v13
	v_cmp_eq_u32_sdwa s[24:25], v13, v3 src0_sel:WORD_0 src1_sel:DWORD
	s_nop 1
	v_cndmask_b32_e64 v12, v12, v13, s[24:25]
; %bb.1506:                             ;   in Loop: Header=BB6_816 Depth=2
	s_or_b64 exec, exec, s[28:29]
	v_max_f32_e32 v13, v56, v56
	v_max_f32_e32 v43, v47, v47
	v_min_f32_e32 v44, v43, v13
	v_max_f32_e32 v13, v43, v13
	v_cndmask_b32_e32 v43, v13, v44, vcc
	v_and_b32_e32 v13, 0x7f800000, v43
	v_cmp_ne_u32_e64 s[24:25], s40, v13
                                        ; implicit-def: $vgpr13
	s_and_saveexec_b64 s[28:29], s[24:25]
	s_xor_b64 s[24:25], exec, s[28:29]
; %bb.1507:                             ;   in Loop: Header=BB6_816 Depth=2
	v_bfe_u32 v13, v43, 16, 1
	v_add3_u32 v13, v43, v13, s41
                                        ; implicit-def: $vgpr43
; %bb.1508:                             ;   in Loop: Header=BB6_816 Depth=2
	s_andn2_saveexec_b64 s[28:29], s[24:25]
; %bb.1509:                             ;   in Loop: Header=BB6_816 Depth=2
	v_or_b32_e32 v13, 0x10000, v43
	v_cmp_eq_u32_sdwa s[24:25], v43, v3 src0_sel:WORD_0 src1_sel:DWORD
	s_nop 1
	v_cndmask_b32_e64 v13, v13, v43, s[24:25]
; %bb.1510:                             ;   in Loop: Header=BB6_816 Depth=2
	s_or_b64 exec, exec, s[28:29]
	v_max_f32_e32 v42, v42, v42
	v_max_f32_e32 v41, v41, v41
	v_min_f32_e32 v43, v41, v42
	v_max_f32_e32 v41, v41, v42
	v_cndmask_b32_e32 v42, v41, v43, vcc
	v_and_b32_e32 v41, 0x7f800000, v42
	v_cmp_ne_u32_e64 s[24:25], s40, v41
                                        ; implicit-def: $vgpr41
	s_and_saveexec_b64 s[28:29], s[24:25]
	s_xor_b64 s[24:25], exec, s[28:29]
; %bb.1511:                             ;   in Loop: Header=BB6_816 Depth=2
	v_bfe_u32 v41, v42, 16, 1
	v_add3_u32 v41, v42, v41, s41
                                        ; implicit-def: $vgpr42
; %bb.1512:                             ;   in Loop: Header=BB6_816 Depth=2
	s_andn2_saveexec_b64 s[28:29], s[24:25]
; %bb.1513:                             ;   in Loop: Header=BB6_816 Depth=2
	v_or_b32_e32 v41, 0x10000, v42
	v_cmp_eq_u32_sdwa s[24:25], v42, v3 src0_sel:WORD_0 src1_sel:DWORD
	s_nop 1
	v_cndmask_b32_e64 v41, v41, v42, s[24:25]
; %bb.1514:                             ;   in Loop: Header=BB6_816 Depth=2
	s_or_b64 exec, exec, s[28:29]
	v_max_f32_e32 v11, v11, v11
	v_max_f32_e32 v10, v10, v10
	v_min_f32_e32 v42, v10, v11
	v_max_f32_e32 v10, v10, v11
	v_cndmask_b32_e32 v11, v10, v42, vcc
	v_and_b32_e32 v10, 0x7f800000, v11
	v_cmp_ne_u32_e32 vcc, s40, v10
                                        ; implicit-def: $vgpr10
	s_and_saveexec_b64 s[24:25], vcc
	s_xor_b64 s[24:25], exec, s[24:25]
; %bb.1515:                             ;   in Loop: Header=BB6_816 Depth=2
	v_bfe_u32 v10, v11, 16, 1
	v_add3_u32 v10, v11, v10, s41
                                        ; implicit-def: $vgpr11
; %bb.1516:                             ;   in Loop: Header=BB6_816 Depth=2
	s_andn2_saveexec_b64 s[24:25], s[24:25]
; %bb.1517:                             ;   in Loop: Header=BB6_816 Depth=2
	v_or_b32_e32 v10, 0x10000, v11
	v_cmp_eq_u32_sdwa vcc, v11, v3 src0_sel:WORD_0 src1_sel:DWORD
	s_nop 1
	v_cndmask_b32_e32 v10, v10, v11, vcc
; %bb.1518:                             ;   in Loop: Header=BB6_816 Depth=2
	s_or_b64 exec, exec, s[24:25]
	flat_store_short_d16_hi v[8:9], v12 nt
	flat_store_short_d16_hi v[8:9], v13 offset:128 nt
	flat_store_short_d16_hi v[8:9], v41 offset:256 nt
	;; [unrolled: 1-line block ×3, first 2 shown]
.LBB6_1519:                             ;   in Loop: Header=BB6_816 Depth=2
	s_or_b64 exec, exec, s[26:27]
	v_lshlrev_b32_e32 v8, 9, v19
	v_cmp_ne_u32_e32 vcc, v17, v8
	s_and_b64 exec, exec, vcc
	s_cbranch_execz .LBB6_1544
; %bb.1520:                             ;   in Loop: Header=BB6_816 Depth=2
	v_lshlrev_b32_e32 v9, 6, v40
	v_sub_u32_e32 v9, v15, v9
	v_ashrrev_i32_e32 v10, 31, v9
	v_lshrrev_b32_e32 v10, 26, v10
	v_add_u32_e32 v10, v9, v10
	v_and_b32_e32 v11, 0x7fffffc0, v10
	v_sub_u32_e32 v9, v9, v11
	v_lshlrev_b32_e32 v10, 1, v10
	v_and_b32_e32 v10, 0xffffff80, v10
	v_lshlrev_b32_e32 v9, 1, v9
	v_add3_u32 v8, v10, v9, v8
	v_sub_u32_e32 v15, v17, v8
	v_cmp_lt_i32_e32 vcc, 1, v15
	s_and_b64 exec, exec, vcc
	s_cbranch_execz .LBB6_1544
; %bb.1521:                             ;   in Loop: Header=BB6_816 Depth=2
	s_trap 2
	ds_read_b64 v[10:11], v0
	v_add_u32_e32 v40, v8, v14
	s_and_b32 s8, s9, 0xff
	v_ashrrev_i32_e32 v41, 31, v40
	s_cmp_eq_u32 s8, 0
	v_lshl_add_u64 v[8:9], v[118:119], 0, v[40:41]
	v_lshl_add_u64 v[12:13], v[40:41], 0, v[22:23]
	s_waitcnt lgkmcnt(0)
	v_lshl_add_u64 v[10:11], v[10:11], 0, v[40:41]
	s_mov_b64 s[36:37], 0
	s_mov_b64 s[94:95], 0
	s_cselect_b64 s[24:25], -1, 0
                                        ; implicit-def: $sgpr34_sgpr35
	s_branch .LBB6_1523
.LBB6_1522:                             ;   in Loop: Header=BB6_1523 Depth=3
	s_or_b64 exec, exec, s[26:27]
	v_lshrrev_b32_e32 v15, 16, v17
	scratch_store_short off, v15, s33 offset:160
	flat_store_short v[8:9], v15 nt
	v_cndmask_b32_e64 v15, 0, v74, s[36:37]
	v_sub_u32_e32 v15, v14, v15
	v_cmp_gt_i32_e32 vcc, 2, v15
	s_or_b64 s[94:95], vcc, s[94:95]
	v_lshl_add_u64 v[22:23], v[12:13], 0, v[82:83]
	v_lshl_add_u64 v[118:119], v[10:11], 0, v[82:83]
	v_cndmask_b32_e64 v41, 0, v99, s[36:37]
	v_cndmask_b32_e64 v40, v79, v98, s[36:37]
	s_andn2_b64 s[8:9], s[34:35], exec
	s_and_b64 s[26:27], s[36:37], exec
	v_lshl_add_u64 v[8:9], v[8:9], 0, v[40:41]
	v_cndmask_b32_e64 v11, v11, v119, s[36:37]
	v_cndmask_b32_e64 v10, v10, v118, s[36:37]
	;; [unrolled: 1-line block ×4, first 2 shown]
	s_or_b64 s[34:35], s[8:9], s[26:27]
	s_andn2_b64 exec, exec, s[94:95]
	s_cbranch_execz .LBB6_1538
.LBB6_1523:                             ;   Parent Loop BB6_47 Depth=1
                                        ;     Parent Loop BB6_816 Depth=2
                                        ; =>    This Loop Header: Depth=3
                                        ;         Child Loop BB6_1524 Depth 4
                                        ;         Child Loop BB6_1533 Depth 4
	s_add_i32 s9, s33, 0xa0
	s_mov_b32 s8, s9
	s_mov_b64 s[38:39], -1
	s_mov_b64 s[48:49], 0
.LBB6_1524:                             ;   Parent Loop BB6_47 Depth=1
                                        ;     Parent Loop BB6_816 Depth=2
                                        ;       Parent Loop BB6_1523 Depth=3
                                        ; =>      This Inner Loop Header: Depth=4
	s_cmp_eq_u32 s48, 1
	s_cselect_b64 vcc, -1, 0
	v_cndmask_b32_e32 v23, v13, v11, vcc
	v_cndmask_b32_e32 v22, v12, v10, vcc
	flat_load_ushort v14, v[22:23] nt
	s_cmp_eq_u32 s48, 0
	s_cselect_b64 s[26:27], -1, 0
	s_and_b64 s[28:29], exec, s[38:39]
	v_lshl_add_u64 v[22:23], v[22:23], 0, s[60:61]
	s_add_i32 s9, s33, 0xc0
	s_mov_b64 s[48:49], 1
	s_mov_b64 s[38:39], 0
	v_cndmask_b32_e32 v11, v11, v23, vcc
	v_cndmask_b32_e32 v10, v10, v22, vcc
	v_cndmask_b32_e64 v13, v13, v23, s[26:27]
	v_cndmask_b32_e64 v12, v12, v22, s[26:27]
	s_mov_b64 vcc, s[28:29]
	s_waitcnt vmcnt(0) lgkmcnt(0)
	scratch_store_short off, v14, s8
	s_mov_b32 s8, s9
	s_cbranch_vccnz .LBB6_1524
; %bb.1525:                             ;   in Loop: Header=BB6_1523 Depth=3
	s_and_saveexec_b64 s[26:27], s[36:37]
	s_cbranch_execz .LBB6_1531
; %bb.1526:                             ;   in Loop: Header=BB6_1523 Depth=3
	scratch_load_ushort v14, off, s33 offset:156
	scratch_load_ushort v17, off, s33 offset:158
	s_waitcnt vmcnt(1)
	v_lshlrev_b32_e32 v14, 16, v14
	s_waitcnt vmcnt(0)
	v_lshlrev_b32_e32 v17, 16, v17
	v_max_f32_e32 v17, v17, v17
	v_max_f32_e32 v14, v14, v14
	v_min_f32_e32 v19, v14, v17
	v_max_f32_e32 v14, v14, v17
	v_cndmask_b32_e64 v14, v14, v19, s[24:25]
	v_and_b32_e32 v17, 0x7f800000, v14
	v_cmp_ne_u32_e32 vcc, s40, v17
                                        ; implicit-def: $vgpr17
	s_and_saveexec_b64 s[8:9], vcc
	s_xor_b64 s[28:29], exec, s[8:9]
; %bb.1527:                             ;   in Loop: Header=BB6_1523 Depth=3
	v_bfe_u32 v17, v14, 16, 1
	v_add3_u32 v17, v14, v17, s41
                                        ; implicit-def: $vgpr14
; %bb.1528:                             ;   in Loop: Header=BB6_1523 Depth=3
	s_andn2_saveexec_b64 s[28:29], s[28:29]
; %bb.1529:                             ;   in Loop: Header=BB6_1523 Depth=3
	v_or_b32_e32 v17, 0x10000, v14
	v_cmp_eq_u32_sdwa vcc, v14, v3 src0_sel:WORD_0 src1_sel:DWORD
	s_nop 1
	v_cndmask_b32_e32 v17, v17, v14, vcc
; %bb.1530:                             ;   in Loop: Header=BB6_1523 Depth=3
	s_or_b64 exec, exec, s[28:29]
	v_lshrrev_b32_e32 v14, 16, v17
	scratch_store_short off, v14, s33 offset:156
	flat_store_short v[8:9], v14 nt
	v_lshl_add_u64 v[8:9], v[8:9], 0, v[98:99]
.LBB6_1531:                             ;   in Loop: Header=BB6_1523 Depth=3
	s_or_b64 exec, exec, s[26:27]
	v_sub_u32_e32 v14, v15, v74
	v_lshl_add_u64 v[12:13], v[12:13], 0, v[82:83]
	v_lshl_add_u64 v[10:11], v[10:11], 0, v[82:83]
	v_cmp_lt_i32_e64 s[36:37], 1, v14
	s_and_saveexec_b64 s[38:39], s[36:37]
	s_cbranch_execz .LBB6_1534
; %bb.1532:                             ;   in Loop: Header=BB6_1523 Depth=3
	s_add_i32 s9, s33, 0x9c
	s_mov_b32 s8, s9
	s_mov_b64 s[50:51], 0
	s_mov_b64 s[48:49], -1
.LBB6_1533:                             ;   Parent Loop BB6_47 Depth=1
                                        ;     Parent Loop BB6_816 Depth=2
                                        ;       Parent Loop BB6_1523 Depth=3
                                        ; =>      This Inner Loop Header: Depth=4
	s_cmp_eq_u32 s50, 1
	s_cselect_b64 vcc, -1, 0
	v_cndmask_b32_e32 v23, v13, v11, vcc
	v_cndmask_b32_e32 v22, v12, v10, vcc
	flat_load_ushort v15, v[22:23] nt
	s_cmp_eq_u32 s50, 0
	s_cselect_b64 s[26:27], -1, 0
	s_and_b64 s[28:29], exec, s[48:49]
	v_lshl_add_u64 v[22:23], v[22:23], 0, s[60:61]
	s_add_i32 s9, s33, 0x9e
	s_mov_b64 s[50:51], 1
	s_mov_b64 s[48:49], 0
	v_cndmask_b32_e64 v13, v13, v23, s[26:27]
	v_cndmask_b32_e64 v12, v12, v22, s[26:27]
	v_cndmask_b32_e32 v11, v11, v23, vcc
	v_cndmask_b32_e32 v10, v10, v22, vcc
	s_mov_b64 vcc, s[28:29]
	s_waitcnt vmcnt(0) lgkmcnt(0)
	scratch_store_short off, v15, s8
	s_mov_b32 s8, s9
	s_cbranch_vccnz .LBB6_1533
.LBB6_1534:                             ;   in Loop: Header=BB6_1523 Depth=3
	s_or_b64 exec, exec, s[38:39]
	scratch_load_ushort v15, off, s33 offset:160
	scratch_load_ushort v17, off, s33 offset:192
	s_waitcnt vmcnt(0)
	v_lshlrev_b32_e32 v15, 16, v15
	v_lshlrev_b32_e32 v17, 16, v17
	v_max_f32_e32 v17, v17, v17
	v_max_f32_e32 v15, v15, v15
	v_min_f32_e32 v19, v15, v17
	v_max_f32_e32 v15, v15, v17
	v_cndmask_b32_e64 v15, v15, v19, s[24:25]
	v_and_b32_e32 v17, 0x7f800000, v15
	v_cmp_ne_u32_e32 vcc, s40, v17
                                        ; implicit-def: $vgpr17
	s_and_saveexec_b64 s[8:9], vcc
	s_xor_b64 s[26:27], exec, s[8:9]
; %bb.1535:                             ;   in Loop: Header=BB6_1523 Depth=3
	v_bfe_u32 v17, v15, 16, 1
	v_add3_u32 v17, v15, v17, s41
                                        ; implicit-def: $vgpr15
; %bb.1536:                             ;   in Loop: Header=BB6_1523 Depth=3
	s_andn2_saveexec_b64 s[26:27], s[26:27]
	s_cbranch_execz .LBB6_1522
; %bb.1537:                             ;   in Loop: Header=BB6_1523 Depth=3
	v_or_b32_e32 v17, 0x10000, v15
	v_cmp_eq_u32_sdwa vcc, v15, v3 src0_sel:WORD_0 src1_sel:DWORD
	s_nop 1
	v_cndmask_b32_e32 v17, v17, v15, vcc
	s_branch .LBB6_1522
.LBB6_1538:                             ;   in Loop: Header=BB6_816 Depth=2
	s_or_b64 exec, exec, s[94:95]
	s_and_b64 exec, exec, s[34:35]
	s_cbranch_execz .LBB6_1544
; %bb.1539:                             ;   in Loop: Header=BB6_816 Depth=2
	scratch_load_ushort v10, off, s33 offset:156
	scratch_load_ushort v11, off, s33 offset:158
	s_waitcnt vmcnt(0)
	v_lshlrev_b32_e32 v10, 16, v10
	v_lshlrev_b32_e32 v11, 16, v11
	v_max_f32_e32 v11, v11, v11
	v_max_f32_e32 v10, v10, v10
	v_min_f32_e32 v12, v10, v11
	v_max_f32_e32 v10, v10, v11
	v_cndmask_b32_e64 v10, v10, v12, s[24:25]
	v_and_b32_e32 v11, 0x7f800000, v10
	v_cmp_ne_u32_e32 vcc, s40, v11
                                        ; implicit-def: $vgpr11
	s_and_saveexec_b64 s[8:9], vcc
	s_xor_b64 s[24:25], exec, s[8:9]
; %bb.1540:                             ;   in Loop: Header=BB6_816 Depth=2
	v_bfe_u32 v11, v10, 16, 1
	v_add3_u32 v11, v10, v11, s41
                                        ; implicit-def: $vgpr10
; %bb.1541:                             ;   in Loop: Header=BB6_816 Depth=2
	s_andn2_saveexec_b64 s[24:25], s[24:25]
; %bb.1542:                             ;   in Loop: Header=BB6_816 Depth=2
	v_or_b32_e32 v11, 0x10000, v10
	v_cmp_eq_u32_sdwa vcc, v10, v3 src0_sel:WORD_0 src1_sel:DWORD
	s_nop 1
	v_cndmask_b32_e32 v11, v11, v10, vcc
; %bb.1543:                             ;   in Loop: Header=BB6_816 Depth=2
	s_or_b64 exec, exec, s[24:25]
	flat_store_short_d16_hi v[8:9], v11 nt
.LBB6_1544:                             ;   in Loop: Header=BB6_816 Depth=2
	s_or_b64 exec, exec, s[30:31]
	v_cmp_lt_i32_e64 s[24:25], 0, v2
	s_and_saveexec_b64 s[26:27], s[4:5]
	s_cbranch_execz .LBB6_1563
.LBB6_1545:                             ;   in Loop: Header=BB6_816 Depth=2
	s_and_saveexec_b64 s[8:9], s[44:45]
	s_xor_b64 s[28:29], exec, s[8:9]
	s_cbranch_execz .LBB6_1560
; %bb.1546:                             ;   in Loop: Header=BB6_816 Depth=2
	s_and_saveexec_b64 s[94:95], s[12:13]
	s_cbranch_execz .LBB6_1559
; %bb.1547:                             ;   in Loop: Header=BB6_816 Depth=2
	s_mov_b64 s[34:35], exec
	v_mbcnt_lo_u32_b32 v2, s34, 0
	v_mbcnt_hi_u32_b32 v2, s35, v2
	v_cmp_eq_u32_e32 vcc, 0, v2
	s_waitcnt lgkmcnt(0)
	s_and_saveexec_b64 s[30:31], vcc
	s_cbranch_execz .LBB6_1549
; %bb.1548:                             ;   in Loop: Header=BB6_816 Depth=2
	s_bcnt1_i32_b64 s8, s[34:35]
	v_mov_b32_e32 v2, s8
	ds_add_u64 v0, v[2:3]
	s_trap 2
.LBB6_1549:                             ;   in Loop: Header=BB6_816 Depth=2
	s_or_b64 exec, exec, s[30:31]
	s_trap 2
	ds_read_b64 v[8:9], v0
	s_waitcnt lgkmcnt(0)
	v_lshl_add_u64 v[38:39], v[38:39], 0, v[52:53]
	v_cmp_lt_u64_e32 vcc, v[8:9], v[38:39]
	s_and_saveexec_b64 s[30:31], vcc
	s_cbranch_execz .LBB6_1558
; %bb.1550:                             ;   in Loop: Header=BB6_816 Depth=2
	s_mov_b32 s8, 0
	s_mov_b64 s[34:35], 0
                                        ; implicit-def: $sgpr36_sgpr37
                                        ; implicit-def: $sgpr38_sgpr39
	s_branch .LBB6_1552
.LBB6_1551:                             ;   in Loop: Header=BB6_1552 Depth=3
	s_or_b64 exec, exec, s[50:51]
	s_and_b64 vcc, exec, vcc
	s_or_b64 s[34:35], vcc, s[34:35]
	s_andn2_b64 vcc, s[36:37], exec
	s_and_b64 s[36:37], s[38:39], exec
	s_or_b64 s[36:37], vcc, s[36:37]
	s_andn2_b64 exec, exec, s[34:35]
	s_cbranch_execz .LBB6_1556
.LBB6_1552:                             ;   Parent Loop BB6_47 Depth=1
                                        ;     Parent Loop BB6_816 Depth=2
                                        ; =>    This Inner Loop Header: Depth=3
	s_add_i32 s8, s8, 1
	s_cmpk_lg_i32 s8, 0x2710
	s_cselect_b64 s[48:49], -1, 0
	s_and_b64 vcc, exec, s[48:49]
	s_cbranch_vccz .LBB6_1554
; %bb.1553:                             ;   in Loop: Header=BB6_1552 Depth=3
	s_mov_b64 vcc, -1
	s_or_b64 s[38:39], s[38:39], exec
	s_and_saveexec_b64 s[50:51], s[48:49]
	s_cbranch_execz .LBB6_1551
	s_branch .LBB6_1555
.LBB6_1554:                             ;   in Loop: Header=BB6_1552 Depth=3
	s_trap 2
	ds_read_b64 v[8:9], v0
	s_andn2_b64 s[48:49], s[48:49], exec
	s_mov_b32 s8, 0
	s_waitcnt vmcnt(0) lgkmcnt(0)
	flat_load_dword v2, v[8:9] sc0 sc1
	s_waitcnt vmcnt(0) lgkmcnt(0)
	buffer_inv sc0 sc1
	v_cmp_eq_u32_e32 vcc, 0, v2
	s_and_b64 vcc, vcc, exec
	s_or_b64 s[48:49], s[48:49], vcc
	s_mov_b64 vcc, -1
	s_or_b64 s[38:39], s[38:39], exec
	s_and_saveexec_b64 s[50:51], s[48:49]
	s_cbranch_execz .LBB6_1551
.LBB6_1555:                             ;   in Loop: Header=BB6_1552 Depth=3
	s_sleep 1
	s_trap 2
	ds_read_b64 v[8:9], v0
	s_waitcnt lgkmcnt(0)
	s_andn2_b64 s[38:39], s[38:39], exec
	v_cmp_ge_u64_e32 vcc, v[8:9], v[38:39]
	s_orn2_b64 vcc, vcc, exec
	s_branch .LBB6_1551
.LBB6_1556:                             ;   in Loop: Header=BB6_816 Depth=2
	s_or_b64 exec, exec, s[34:35]
	s_and_saveexec_b64 s[8:9], s[36:37]
	s_xor_b64 s[8:9], exec, s[8:9]
	s_cbranch_execz .LBB6_1558
; %bb.1557:                             ;   in Loop: Header=BB6_816 Depth=2
	ds_write_b32 v0, v75
	s_trap 2
.LBB6_1558:                             ;   in Loop: Header=BB6_816 Depth=2
	s_or_b64 exec, exec, s[30:31]
	;;#ASMSTART
	s_wakeup
	;;#ASMEND
.LBB6_1559:                             ;   in Loop: Header=BB6_816 Depth=2
	s_or_b64 exec, exec, s[94:95]
.LBB6_1560:                             ;   in Loop: Header=BB6_816 Depth=2
	s_andn2_saveexec_b64 s[28:29], s[28:29]
	s_cbranch_execz .LBB6_1562
; %bb.1561:                             ;   in Loop: Header=BB6_816 Depth=2
	s_waitcnt lgkmcnt(0)
	s_barrier
.LBB6_1562:                             ;   in Loop: Header=BB6_816 Depth=2
	s_or_b64 exec, exec, s[28:29]
.LBB6_1563:                             ;   in Loop: Header=BB6_816 Depth=2
	s_or_b64 exec, exec, s[26:27]
	v_and_b32_e32 v8, 16, v62
	s_and_saveexec_b64 s[8:9], s[20:21]
	s_xor_b64 s[26:27], exec, s[8:9]
	s_cbranch_execz .LBB6_1567
; %bb.1564:                             ;   in Loop: Header=BB6_816 Depth=2
	v_and_b32_e32 v2, 16, v62
	v_cmp_ne_u32_e32 vcc, 0, v2
	v_and_b32_e32 v8, 16, v62
	s_and_b64 s[8:9], vcc, s[24:25]
	s_and_saveexec_b64 s[24:25], s[8:9]
	s_cbranch_execz .LBB6_1566
; %bb.1565:                             ;   in Loop: Header=BB6_816 Depth=2
	v_mov_b32_e32 v8, 1
	buffer_wbl2 sc1
	s_waitcnt vmcnt(0) lgkmcnt(0)
	buffer_inv sc1
.LBB6_1566:                             ;   in Loop: Header=BB6_816 Depth=2
	s_or_b64 exec, exec, s[24:25]
.LBB6_1567:                             ;   in Loop: Header=BB6_816 Depth=2
	s_andn2_saveexec_b64 s[24:25], s[26:27]
	s_cbranch_execz .LBB6_1586
; %bb.1568:                             ;   in Loop: Header=BB6_816 Depth=2
	s_and_saveexec_b64 s[8:9], s[44:45]
	s_xor_b64 s[26:27], exec, s[8:9]
	s_cbranch_execz .LBB6_1583
; %bb.1569:                             ;   in Loop: Header=BB6_816 Depth=2
	s_and_saveexec_b64 s[28:29], s[12:13]
	s_cbranch_execz .LBB6_1582
; %bb.1570:                             ;   in Loop: Header=BB6_816 Depth=2
	s_mov_b64 s[30:31], exec
	v_mbcnt_lo_u32_b32 v2, s30, 0
	v_mbcnt_hi_u32_b32 v2, s31, v2
	v_cmp_eq_u32_e32 vcc, 0, v2
	;;#ASMSTART
	s_waitcnt lgkmcnt(0) vmcnt(0)
	;;#ASMEND
	s_and_saveexec_b64 s[94:95], vcc
	s_cbranch_execz .LBB6_1572
; %bb.1571:                             ;   in Loop: Header=BB6_816 Depth=2
	s_bcnt1_i32_b64 s8, s[30:31]
	v_mov_b32_e32 v2, s8
	s_waitcnt lgkmcnt(0)
	ds_add_u64 v0, v[2:3]
	s_trap 2
.LBB6_1572:                             ;   in Loop: Header=BB6_816 Depth=2
	s_or_b64 exec, exec, s[94:95]
	s_trap 2
	ds_read_b64 v[10:11], v0
	s_waitcnt lgkmcnt(0)
	v_lshl_add_u64 v[38:39], v[38:39], 0, v[52:53]
	v_cmp_lt_u64_e32 vcc, v[10:11], v[38:39]
	s_and_saveexec_b64 s[94:95], vcc
	s_cbranch_execz .LBB6_1581
; %bb.1573:                             ;   in Loop: Header=BB6_816 Depth=2
	s_mov_b32 s8, 0
	s_mov_b64 s[30:31], 0
                                        ; implicit-def: $sgpr34_sgpr35
                                        ; implicit-def: $sgpr36_sgpr37
	s_branch .LBB6_1575
.LBB6_1574:                             ;   in Loop: Header=BB6_1575 Depth=3
	s_or_b64 exec, exec, s[48:49]
	s_and_b64 vcc, exec, vcc
	s_or_b64 s[30:31], vcc, s[30:31]
	s_andn2_b64 vcc, s[34:35], exec
	s_and_b64 s[34:35], s[36:37], exec
	s_or_b64 s[34:35], vcc, s[34:35]
	s_andn2_b64 exec, exec, s[30:31]
	s_cbranch_execz .LBB6_1579
.LBB6_1575:                             ;   Parent Loop BB6_47 Depth=1
                                        ;     Parent Loop BB6_816 Depth=2
                                        ; =>    This Inner Loop Header: Depth=3
	s_add_i32 s8, s8, 1
	s_cmpk_lg_i32 s8, 0x2710
	s_cselect_b64 s[38:39], -1, 0
	s_and_b64 vcc, exec, s[38:39]
	s_cbranch_vccz .LBB6_1577
; %bb.1576:                             ;   in Loop: Header=BB6_1575 Depth=3
	s_mov_b64 vcc, -1
	s_or_b64 s[36:37], s[36:37], exec
	s_and_saveexec_b64 s[48:49], s[38:39]
	s_cbranch_execz .LBB6_1574
	s_branch .LBB6_1578
.LBB6_1577:                             ;   in Loop: Header=BB6_1575 Depth=3
	s_trap 2
	ds_read_b64 v[10:11], v0
	s_andn2_b64 s[38:39], s[38:39], exec
	s_mov_b32 s8, 0
	s_waitcnt vmcnt(0) lgkmcnt(0)
	flat_load_dword v2, v[10:11] sc0 sc1
	s_waitcnt vmcnt(0) lgkmcnt(0)
	buffer_inv sc0 sc1
	v_cmp_eq_u32_e32 vcc, 0, v2
	s_and_b64 vcc, vcc, exec
	s_or_b64 s[38:39], s[38:39], vcc
	s_mov_b64 vcc, -1
	s_or_b64 s[36:37], s[36:37], exec
	s_and_saveexec_b64 s[48:49], s[38:39]
	s_cbranch_execz .LBB6_1574
.LBB6_1578:                             ;   in Loop: Header=BB6_1575 Depth=3
	s_sleep 1
	s_trap 2
	ds_read_b64 v[10:11], v0
	s_waitcnt lgkmcnt(0)
	s_andn2_b64 s[36:37], s[36:37], exec
	v_cmp_ge_u64_e32 vcc, v[10:11], v[38:39]
	s_orn2_b64 vcc, vcc, exec
	s_branch .LBB6_1574
.LBB6_1579:                             ;   in Loop: Header=BB6_816 Depth=2
	s_or_b64 exec, exec, s[30:31]
	s_and_saveexec_b64 s[8:9], s[34:35]
	s_xor_b64 s[8:9], exec, s[8:9]
	s_cbranch_execz .LBB6_1581
; %bb.1580:                             ;   in Loop: Header=BB6_816 Depth=2
	ds_write_b32 v0, v75
	s_trap 2
.LBB6_1581:                             ;   in Loop: Header=BB6_816 Depth=2
	s_or_b64 exec, exec, s[94:95]
	;;#ASMSTART
	s_wakeup
	;;#ASMEND
.LBB6_1582:                             ;   in Loop: Header=BB6_816 Depth=2
	s_or_b64 exec, exec, s[28:29]
.LBB6_1583:                             ;   in Loop: Header=BB6_816 Depth=2
	s_andn2_saveexec_b64 s[26:27], s[26:27]
	s_cbranch_execz .LBB6_1585
; %bb.1584:                             ;   in Loop: Header=BB6_816 Depth=2
	;;#ASMSTART
	s_waitcnt lgkmcnt(0) vmcnt(0)
	;;#ASMEND
	s_barrier
.LBB6_1585:                             ;   in Loop: Header=BB6_816 Depth=2
	s_or_b64 exec, exec, s[26:27]
.LBB6_1586:                             ;   in Loop: Header=BB6_816 Depth=2
	s_or_b64 exec, exec, s[24:25]
	v_cmp_ne_u32_e32 vcc, 0, v8
	s_xor_b64 s[8:9], s[6:7], -1
	s_and_b64 s[8:9], vcc, s[8:9]
	s_and_saveexec_b64 s[24:25], s[8:9]
	s_cbranch_execz .LBB6_1588
; %bb.1587:                             ;   in Loop: Header=BB6_816 Depth=2
	flat_store_dword v[36:37], v75 sc0 sc1
.LBB6_1588:                             ;   in Loop: Header=BB6_816 Depth=2
	s_or_b64 exec, exec, s[24:25]
	v_and_b32_e32 v2, 48, v62
	v_cmp_ne_u32_e32 vcc, 0, v2
	s_and_saveexec_b64 s[24:25], vcc
	s_cbranch_execz .LBB6_815
; %bb.1589:                             ;   in Loop: Header=BB6_816 Depth=2
	v_lshl_add_u64 v[112:113], v[112:113], 0, 2
	flat_store_dwordx2 v[32:33], v[112:113] sc0 sc1
	s_branch .LBB6_815
.LBB6_1590:                             ;   in Loop: Header=BB6_47 Depth=1
	s_or_b64 exec, exec, s[88:89]
	v_cmp_gt_i32_e32 vcc, 2, v2
	s_and_saveexec_b64 s[26:27], vcc
	s_cbranch_execz .LBB6_1666
.LBB6_1591:                             ;   in Loop: Header=BB6_47 Depth=1
	v_cmp_eq_u32_e64 s[88:89], 0, v2
	s_mov_b64 s[28:29], 0
	s_branch .LBB6_1593
.LBB6_1592:                             ;   in Loop: Header=BB6_1593 Depth=2
	s_or_b64 exec, exec, s[24:25]
	v_add_u32_e32 v18, v16, v18
	s_mov_b64 s[88:89], 0
	s_andn2_b64 exec, exec, s[28:29]
	s_cbranch_execz .LBB6_1667
.LBB6_1593:                             ;   Parent Loop BB6_47 Depth=1
                                        ; =>  This Loop Header: Depth=2
                                        ;       Child Loop BB6_1599 Depth 3
                                        ;       Child Loop BB6_1627 Depth 3
	;; [unrolled: 1-line block ×3, first 2 shown]
	v_sub_u32_e32 v2, v60, v18
	v_min_i32_e32 v16, v16, v2
	v_and_b32_e32 v2, 12, v62
	v_cmp_ne_u32_e32 vcc, 0, v2
	s_and_saveexec_b64 s[90:91], vcc
	s_cbranch_execz .LBB6_1619
; %bb.1594:                             ;   in Loop: Header=BB6_1593 Depth=2
	v_and_b32_e32 v2, 8, v62
	s_waitcnt vmcnt(0) lgkmcnt(0)
	v_lshl_add_u64 v[10:11], v[48:49], 0, v[2:3]
	v_lshl_add_u64 v[8:9], v[112:113], 0, 2
	v_cmp_lt_u64_e32 vcc, v[10:11], v[8:9]
	s_and_saveexec_b64 s[92:93], vcc
	s_cbranch_execz .LBB6_1606
; %bb.1595:                             ;   in Loop: Header=BB6_1593 Depth=2
	v_and_b32_e32 v10, 64, v62
	s_mov_b32 s8, 0
	v_cmp_eq_u32_e32 vcc, 0, v10
	s_mov_b64 s[94:95], 0
                                        ; implicit-def: $sgpr30_sgpr31
                                        ; implicit-def: $sgpr34_sgpr35
                                        ; implicit-def: $sgpr36_sgpr37
	s_branch .LBB6_1599
.LBB6_1596:                             ;   in Loop: Header=BB6_1599 Depth=3
	s_waitcnt vmcnt(0) lgkmcnt(0)
	v_lshl_add_u64 v[12:13], v[48:49], 0, v[2:3]
	v_cmp_ge_u64_e64 s[24:25], v[12:13], v[8:9]
	s_or_b64 s[50:51], s[50:51], exec
	s_orn2_b64 s[48:49], s[24:25], exec
.LBB6_1597:                             ;   in Loop: Header=BB6_1599 Depth=3
	s_or_b64 exec, exec, s[54:55]
	s_andn2_b64 s[24:25], s[36:37], exec
	s_and_b64 s[36:37], s[50:51], exec
	s_or_b64 s[36:37], s[24:25], s[36:37]
	s_andn2_b64 s[24:25], s[34:35], exec
	s_and_b64 s[34:35], s[48:49], exec
	s_or_b64 s[34:35], s[24:25], s[34:35]
.LBB6_1598:                             ;   in Loop: Header=BB6_1599 Depth=3
	s_or_b64 exec, exec, s[38:39]
	s_and_b64 s[24:25], exec, s[34:35]
	s_or_b64 s[94:95], s[24:25], s[94:95]
	s_andn2_b64 s[24:25], s[30:31], exec
	s_and_b64 s[30:31], s[36:37], exec
	s_or_b64 s[30:31], s[24:25], s[30:31]
	s_andn2_b64 exec, exec, s[94:95]
	s_cbranch_execz .LBB6_1603
.LBB6_1599:                             ;   Parent Loop BB6_47 Depth=1
                                        ;     Parent Loop BB6_1593 Depth=2
                                        ; =>    This Inner Loop Header: Depth=3
	s_sleep 1
	s_waitcnt vmcnt(0) lgkmcnt(0)
	flat_load_dwordx2 v[48:49], v[32:33] sc0 sc1
	s_or_b64 s[36:37], s[36:37], exec
	s_or_b64 s[34:35], s[34:35], exec
                                        ; implicit-def: $vgpr10
	s_and_saveexec_b64 s[38:39], vcc
	s_cbranch_execz .LBB6_1598
; %bb.1600:                             ;   in Loop: Header=BB6_1599 Depth=3
	s_cmpk_lt_i32 s8, 0x270f
	s_cselect_b64 s[52:53], -1, 0
	s_cmpk_gt_i32 s8, 0x270e
	s_mov_b64 s[48:49], -1
	s_cbranch_scc0 .LBB6_1602
; %bb.1601:                             ;   in Loop: Header=BB6_1599 Depth=3
	s_trap 2
	ds_read_b64 v[10:11], v0
	s_andn2_b64 s[52:53], s[52:53], exec
	s_mov_b32 s8, 0
	s_mov_b64 s[50:51], 0
	s_waitcnt vmcnt(0) lgkmcnt(0)
	flat_load_dword v10, v[10:11] sc0 sc1
	s_waitcnt vmcnt(0) lgkmcnt(0)
	buffer_inv sc0 sc1
	v_cmp_eq_u32_e64 s[24:25], 0, v10
	s_and_b64 s[24:25], s[24:25], exec
	s_or_b64 s[52:53], s[52:53], s[24:25]
	s_and_saveexec_b64 s[54:55], s[52:53]
	s_cbranch_execz .LBB6_1597
	s_branch .LBB6_1596
.LBB6_1602:                             ;   in Loop: Header=BB6_1599 Depth=3
	s_add_i32 s8, s8, 1
	s_mov_b64 s[50:51], -1
                                        ; implicit-def: $vgpr10
	s_and_saveexec_b64 s[54:55], s[52:53]
	s_cbranch_execz .LBB6_1597
	s_branch .LBB6_1596
.LBB6_1603:                             ;   in Loop: Header=BB6_1593 Depth=2
	s_or_b64 exec, exec, s[94:95]
	s_xor_b64 s[8:9], s[30:31], -1
	s_and_saveexec_b64 s[24:25], s[8:9]
	s_xor_b64 s[24:25], exec, s[24:25]
	s_cbranch_execz .LBB6_1605
; %bb.1604:                             ;   in Loop: Header=BB6_1593 Depth=2
	v_or_b32_e32 v62, 64, v62
	s_waitcnt lgkmcnt(0)
	ds_write_b32 v0, v10
	s_trap 2
.LBB6_1605:                             ;   in Loop: Header=BB6_1593 Depth=2
	s_or_b64 exec, exec, s[24:25]
.LBB6_1606:                             ;   in Loop: Header=BB6_1593 Depth=2
	s_or_b64 exec, exec, s[92:93]
	v_and_b32_e32 v10, 0x108, v62
	v_cmp_ne_u32_e32 vcc, s43, v10
	;;#ASMSTART
	s_wakeup
	;;#ASMEND
                                        ; implicit-def: $vgpr10_vgpr11
	s_and_saveexec_b64 s[8:9], vcc
	s_xor_b64 s[24:25], exec, s[8:9]
; %bb.1607:                             ;   in Loop: Header=BB6_1593 Depth=2
	v_and_b32_e32 v10, 7, v112
	v_mov_b32_e32 v11, v3
                                        ; implicit-def: $vgpr112_vgpr113
; %bb.1608:                             ;   in Loop: Header=BB6_1593 Depth=2
	s_andn2_saveexec_b64 s[24:25], s[24:25]
	s_cbranch_execz .LBB6_1610
; %bb.1609:                             ;   in Loop: Header=BB6_1593 Depth=2
	v_and_b32_e32 v10, 7, v112
	v_ashrrev_i32_e32 v17, 31, v16
	v_mov_b32_e32 v11, v3
	v_mad_u64_u32 v[12:13], s[8:9], v10, 24, v[6:7]
	v_lshlrev_b64 v[14:15], 1, v[16:17]
	flat_store_dwordx2 v[12:13], v[14:15] offset:8
.LBB6_1610:                             ;   in Loop: Header=BB6_1593 Depth=2
	s_or_b64 exec, exec, s[24:25]
	v_and_b32_e32 v12, 0x100, v62
	v_cmp_ne_u32_e32 vcc, 0, v12
	s_mov_b64 s[24:25], -1
                                        ; implicit-def: $vgpr12_vgpr13
	s_and_saveexec_b64 s[92:93], vcc
	s_cbranch_execz .LBB6_1614
; %bb.1611:                             ;   in Loop: Header=BB6_1593 Depth=2
	v_mad_u64_u32 v[14:15], s[8:9], v10, 24, v[6:7]
	v_mov_b32_e32 v12, v15
	v_mad_u64_u32 v[12:13], s[8:9], v11, 24, v[12:13]
	v_mov_b32_e32 v15, v12
	flat_load_dword v12, v[14:15]
	s_waitcnt vmcnt(0) lgkmcnt(0)
	v_cmp_ne_u32_e32 vcc, 1, v12
	v_cmp_eq_u32_e64 s[24:25], 1, v12
                                        ; implicit-def: $vgpr12_vgpr13
	s_and_saveexec_b64 s[94:95], s[24:25]
	s_cbranch_execz .LBB6_1613
; %bb.1612:                             ;   in Loop: Header=BB6_1593 Depth=2
	flat_load_dword v12, v[14:15] offset:4 sc0 sc1
	s_waitcnt vmcnt(0) lgkmcnt(0)
	v_ashrrev_i32_e32 v13, 31, v12
	v_lshrrev_b64 v[12:13], 1, v[12:13]
.LBB6_1613:                             ;   in Loop: Header=BB6_1593 Depth=2
	s_or_b64 exec, exec, s[94:95]
	s_orn2_b64 s[24:25], vcc, exec
.LBB6_1614:                             ;   in Loop: Header=BB6_1593 Depth=2
	s_or_b64 exec, exec, s[92:93]
	s_and_saveexec_b64 s[92:93], s[24:25]
; %bb.1615:                             ;   in Loop: Header=BB6_1593 Depth=2
	v_mul_lo_u32 v11, v11, v30
	v_mul_lo_u32 v14, v10, v51
	v_mad_u64_u32 v[12:13], s[8:9], v10, v30, 0
	v_add3_u32 v13, v13, v14, v11
; %bb.1616:                             ;   in Loop: Header=BB6_1593 Depth=2
	s_or_b64 exec, exec, s[92:93]
	v_cmp_eq_u32_e32 vcc, 0, v2
	v_lshl_add_u64 v[10:11], v[12:13], 1, v[34:35]
	s_nop 0
	v_cndmask_b32_e32 v2, v88, v77, vcc
	v_add_u32_e32 v2, v0, v2
	ds_write_b64 v2, v[10:11] offset:584
	v_and_b32_e32 v2, 0x2000, v62
	v_cmp_ne_u32_e32 vcc, 0, v2
	s_and_saveexec_b64 s[24:25], vcc
	s_cbranch_execz .LBB6_1618
; %bb.1617:                             ;   in Loop: Header=BB6_1593 Depth=2
	ds_read_b64 v[10:11], v0 offset:872
	s_waitcnt lgkmcnt(0)
	v_lshl_add_u64 v[10:11], v[10:11], 0, 1
	ds_write_b64 v0, v[10:11] offset:872
.LBB6_1618:                             ;   in Loop: Header=BB6_1593 Depth=2
	s_or_b64 exec, exec, s[24:25]
	v_mov_b64_e32 v[112:113], v[8:9]
.LBB6_1619:                             ;   in Loop: Header=BB6_1593 Depth=2
	s_or_b64 exec, exec, s[90:91]
	s_xor_b64 s[8:9], s[88:89], -1
	s_and_b64 s[8:9], exec, s[8:9]
	s_or_b64 s[28:29], s[8:9], s[28:29]
	s_and_saveexec_b64 s[24:25], s[4:5]
	s_cbranch_execz .LBB6_1638
; %bb.1620:                             ;   in Loop: Header=BB6_1593 Depth=2
	s_and_saveexec_b64 s[8:9], s[44:45]
	s_xor_b64 s[88:89], exec, s[8:9]
	s_cbranch_execz .LBB6_1635
; %bb.1621:                             ;   in Loop: Header=BB6_1593 Depth=2
	s_and_saveexec_b64 s[90:91], s[12:13]
	s_cbranch_execz .LBB6_1634
; %bb.1622:                             ;   in Loop: Header=BB6_1593 Depth=2
	s_mov_b64 s[94:95], exec
	v_mbcnt_lo_u32_b32 v2, s94, 0
	v_mbcnt_hi_u32_b32 v2, s95, v2
	v_cmp_eq_u32_e32 vcc, 0, v2
	s_waitcnt lgkmcnt(0)
	s_and_saveexec_b64 s[92:93], vcc
	s_cbranch_execz .LBB6_1624
; %bb.1623:                             ;   in Loop: Header=BB6_1593 Depth=2
	s_bcnt1_i32_b64 s8, s[94:95]
	v_mov_b32_e32 v2, s8
	ds_add_u64 v0, v[2:3]
	s_trap 2
.LBB6_1624:                             ;   in Loop: Header=BB6_1593 Depth=2
	s_or_b64 exec, exec, s[92:93]
	s_trap 2
	ds_read_b64 v[8:9], v0
	s_waitcnt lgkmcnt(0)
	v_lshl_add_u64 v[38:39], v[38:39], 0, v[52:53]
	v_cmp_lt_u64_e32 vcc, v[8:9], v[38:39]
	s_and_saveexec_b64 s[92:93], vcc
	s_cbranch_execz .LBB6_1633
; %bb.1625:                             ;   in Loop: Header=BB6_1593 Depth=2
	s_mov_b32 s8, 0
	s_mov_b64 s[94:95], 0
                                        ; implicit-def: $sgpr30_sgpr31
                                        ; implicit-def: $sgpr34_sgpr35
	s_branch .LBB6_1627
.LBB6_1626:                             ;   in Loop: Header=BB6_1627 Depth=3
	s_or_b64 exec, exec, s[38:39]
	s_and_b64 vcc, exec, vcc
	s_or_b64 s[94:95], vcc, s[94:95]
	s_andn2_b64 vcc, s[30:31], exec
	s_and_b64 s[30:31], s[34:35], exec
	s_or_b64 s[30:31], vcc, s[30:31]
	s_andn2_b64 exec, exec, s[94:95]
	s_cbranch_execz .LBB6_1631
.LBB6_1627:                             ;   Parent Loop BB6_47 Depth=1
                                        ;     Parent Loop BB6_1593 Depth=2
                                        ; =>    This Inner Loop Header: Depth=3
	s_add_i32 s8, s8, 1
	s_cmpk_lg_i32 s8, 0x2710
	s_cselect_b64 s[36:37], -1, 0
	s_and_b64 vcc, exec, s[36:37]
	s_cbranch_vccz .LBB6_1629
; %bb.1628:                             ;   in Loop: Header=BB6_1627 Depth=3
	s_mov_b64 vcc, -1
	s_or_b64 s[34:35], s[34:35], exec
	s_and_saveexec_b64 s[38:39], s[36:37]
	s_cbranch_execz .LBB6_1626
	s_branch .LBB6_1630
.LBB6_1629:                             ;   in Loop: Header=BB6_1627 Depth=3
	s_trap 2
	ds_read_b64 v[8:9], v0
	s_andn2_b64 s[36:37], s[36:37], exec
	s_mov_b32 s8, 0
	s_waitcnt vmcnt(0) lgkmcnt(0)
	flat_load_dword v2, v[8:9] sc0 sc1
	s_waitcnt vmcnt(0) lgkmcnt(0)
	buffer_inv sc0 sc1
	v_cmp_eq_u32_e32 vcc, 0, v2
	s_and_b64 vcc, vcc, exec
	s_or_b64 s[36:37], s[36:37], vcc
	s_mov_b64 vcc, -1
	s_or_b64 s[34:35], s[34:35], exec
	s_and_saveexec_b64 s[38:39], s[36:37]
	s_cbranch_execz .LBB6_1626
.LBB6_1630:                             ;   in Loop: Header=BB6_1627 Depth=3
	s_sleep 1
	s_trap 2
	ds_read_b64 v[8:9], v0
	s_waitcnt lgkmcnt(0)
	s_andn2_b64 s[34:35], s[34:35], exec
	v_cmp_ge_u64_e32 vcc, v[8:9], v[38:39]
	s_orn2_b64 vcc, vcc, exec
	s_branch .LBB6_1626
.LBB6_1631:                             ;   in Loop: Header=BB6_1593 Depth=2
	s_or_b64 exec, exec, s[94:95]
	s_and_saveexec_b64 s[8:9], s[30:31]
	s_xor_b64 s[8:9], exec, s[8:9]
	s_cbranch_execz .LBB6_1633
; %bb.1632:                             ;   in Loop: Header=BB6_1593 Depth=2
	ds_write_b32 v0, v75
	s_trap 2
.LBB6_1633:                             ;   in Loop: Header=BB6_1593 Depth=2
	s_or_b64 exec, exec, s[92:93]
	;;#ASMSTART
	s_wakeup
	;;#ASMEND
.LBB6_1634:                             ;   in Loop: Header=BB6_1593 Depth=2
	s_or_b64 exec, exec, s[90:91]
.LBB6_1635:                             ;   in Loop: Header=BB6_1593 Depth=2
	s_andn2_saveexec_b64 s[88:89], s[88:89]
	s_cbranch_execz .LBB6_1637
; %bb.1636:                             ;   in Loop: Header=BB6_1593 Depth=2
	s_waitcnt lgkmcnt(0)
	s_barrier
.LBB6_1637:                             ;   in Loop: Header=BB6_1593 Depth=2
	s_or_b64 exec, exec, s[88:89]
.LBB6_1638:                             ;   in Loop: Header=BB6_1593 Depth=2
	s_or_b64 exec, exec, s[24:25]
	v_and_b32_e32 v8, 16, v62
	s_and_saveexec_b64 s[8:9], s[20:21]
	s_xor_b64 s[24:25], exec, s[8:9]
	s_cbranch_execz .LBB6_1642
; %bb.1639:                             ;   in Loop: Header=BB6_1593 Depth=2
	s_trap 2
	ds_read_b32 v2, v0
	v_cmp_lt_i32_e32 vcc, 0, v16
	v_and_b32_e32 v9, 16, v62
	v_and_b32_e32 v8, 16, v62
	s_waitcnt lgkmcnt(0)
	v_readfirstlane_b32 s8, v2
	s_cmp_eq_u32 s8, 0
	s_cselect_b64 s[8:9], -1, 0
	s_and_b64 s[8:9], vcc, s[8:9]
	v_cmp_ne_u32_e32 vcc, 0, v9
	s_and_b64 s[8:9], vcc, s[8:9]
	s_and_saveexec_b64 s[88:89], s[8:9]
	s_cbranch_execz .LBB6_1641
; %bb.1640:                             ;   in Loop: Header=BB6_1593 Depth=2
	v_mov_b32_e32 v8, 1
	buffer_wbl2 sc1
	s_waitcnt vmcnt(0)
	buffer_inv sc1
.LBB6_1641:                             ;   in Loop: Header=BB6_1593 Depth=2
	s_or_b64 exec, exec, s[88:89]
.LBB6_1642:                             ;   in Loop: Header=BB6_1593 Depth=2
	s_andn2_saveexec_b64 s[24:25], s[24:25]
	s_cbranch_execz .LBB6_1661
; %bb.1643:                             ;   in Loop: Header=BB6_1593 Depth=2
	s_and_saveexec_b64 s[8:9], s[44:45]
	s_xor_b64 s[88:89], exec, s[8:9]
	s_cbranch_execz .LBB6_1658
; %bb.1644:                             ;   in Loop: Header=BB6_1593 Depth=2
	s_and_saveexec_b64 s[90:91], s[12:13]
	s_cbranch_execz .LBB6_1657
; %bb.1645:                             ;   in Loop: Header=BB6_1593 Depth=2
	s_mov_b64 s[94:95], exec
	v_mbcnt_lo_u32_b32 v2, s94, 0
	v_mbcnt_hi_u32_b32 v2, s95, v2
	v_cmp_eq_u32_e32 vcc, 0, v2
	;;#ASMSTART
	s_waitcnt lgkmcnt(0) vmcnt(0)
	;;#ASMEND
	s_and_saveexec_b64 s[92:93], vcc
	s_cbranch_execz .LBB6_1647
; %bb.1646:                             ;   in Loop: Header=BB6_1593 Depth=2
	s_bcnt1_i32_b64 s8, s[94:95]
	v_mov_b32_e32 v2, s8
	s_waitcnt lgkmcnt(0)
	ds_add_u64 v0, v[2:3]
	s_trap 2
.LBB6_1647:                             ;   in Loop: Header=BB6_1593 Depth=2
	s_or_b64 exec, exec, s[92:93]
	s_trap 2
	ds_read_b64 v[10:11], v0
	s_waitcnt lgkmcnt(0)
	v_lshl_add_u64 v[38:39], v[38:39], 0, v[52:53]
	v_cmp_lt_u64_e32 vcc, v[10:11], v[38:39]
	s_and_saveexec_b64 s[92:93], vcc
	s_cbranch_execz .LBB6_1656
; %bb.1648:                             ;   in Loop: Header=BB6_1593 Depth=2
	s_mov_b32 s8, 0
	s_mov_b64 s[94:95], 0
                                        ; implicit-def: $sgpr30_sgpr31
                                        ; implicit-def: $sgpr34_sgpr35
	s_branch .LBB6_1650
.LBB6_1649:                             ;   in Loop: Header=BB6_1650 Depth=3
	s_or_b64 exec, exec, s[38:39]
	s_and_b64 vcc, exec, vcc
	s_or_b64 s[94:95], vcc, s[94:95]
	s_andn2_b64 vcc, s[30:31], exec
	s_and_b64 s[30:31], s[34:35], exec
	s_or_b64 s[30:31], vcc, s[30:31]
	s_andn2_b64 exec, exec, s[94:95]
	s_cbranch_execz .LBB6_1654
.LBB6_1650:                             ;   Parent Loop BB6_47 Depth=1
                                        ;     Parent Loop BB6_1593 Depth=2
                                        ; =>    This Inner Loop Header: Depth=3
	s_add_i32 s8, s8, 1
	s_cmpk_lg_i32 s8, 0x2710
	s_cselect_b64 s[36:37], -1, 0
	s_and_b64 vcc, exec, s[36:37]
	s_cbranch_vccz .LBB6_1652
; %bb.1651:                             ;   in Loop: Header=BB6_1650 Depth=3
	s_mov_b64 vcc, -1
	s_or_b64 s[34:35], s[34:35], exec
	s_and_saveexec_b64 s[38:39], s[36:37]
	s_cbranch_execz .LBB6_1649
	s_branch .LBB6_1653
.LBB6_1652:                             ;   in Loop: Header=BB6_1650 Depth=3
	s_trap 2
	ds_read_b64 v[10:11], v0
	s_andn2_b64 s[36:37], s[36:37], exec
	s_mov_b32 s8, 0
	s_waitcnt vmcnt(0) lgkmcnt(0)
	flat_load_dword v2, v[10:11] sc0 sc1
	s_waitcnt vmcnt(0) lgkmcnt(0)
	buffer_inv sc0 sc1
	v_cmp_eq_u32_e32 vcc, 0, v2
	s_and_b64 vcc, vcc, exec
	s_or_b64 s[36:37], s[36:37], vcc
	s_mov_b64 vcc, -1
	s_or_b64 s[34:35], s[34:35], exec
	s_and_saveexec_b64 s[38:39], s[36:37]
	s_cbranch_execz .LBB6_1649
.LBB6_1653:                             ;   in Loop: Header=BB6_1650 Depth=3
	s_sleep 1
	s_trap 2
	ds_read_b64 v[10:11], v0
	s_waitcnt lgkmcnt(0)
	s_andn2_b64 s[34:35], s[34:35], exec
	v_cmp_ge_u64_e32 vcc, v[10:11], v[38:39]
	s_orn2_b64 vcc, vcc, exec
	s_branch .LBB6_1649
.LBB6_1654:                             ;   in Loop: Header=BB6_1593 Depth=2
	s_or_b64 exec, exec, s[94:95]
	s_and_saveexec_b64 s[8:9], s[30:31]
	s_xor_b64 s[8:9], exec, s[8:9]
	s_cbranch_execz .LBB6_1656
; %bb.1655:                             ;   in Loop: Header=BB6_1593 Depth=2
	ds_write_b32 v0, v75
	s_trap 2
.LBB6_1656:                             ;   in Loop: Header=BB6_1593 Depth=2
	s_or_b64 exec, exec, s[92:93]
	;;#ASMSTART
	s_wakeup
	;;#ASMEND
.LBB6_1657:                             ;   in Loop: Header=BB6_1593 Depth=2
	s_or_b64 exec, exec, s[90:91]
.LBB6_1658:                             ;   in Loop: Header=BB6_1593 Depth=2
	s_andn2_saveexec_b64 s[88:89], s[88:89]
	s_cbranch_execz .LBB6_1660
; %bb.1659:                             ;   in Loop: Header=BB6_1593 Depth=2
	;;#ASMSTART
	s_waitcnt lgkmcnt(0) vmcnt(0)
	;;#ASMEND
	s_barrier
.LBB6_1660:                             ;   in Loop: Header=BB6_1593 Depth=2
	s_or_b64 exec, exec, s[88:89]
.LBB6_1661:                             ;   in Loop: Header=BB6_1593 Depth=2
	s_or_b64 exec, exec, s[24:25]
	v_cmp_ne_u32_e32 vcc, 0, v8
	s_xor_b64 s[8:9], s[6:7], -1
	s_and_b64 s[8:9], vcc, s[8:9]
	s_and_saveexec_b64 s[24:25], s[8:9]
	s_cbranch_execz .LBB6_1663
; %bb.1662:                             ;   in Loop: Header=BB6_1593 Depth=2
	flat_store_dword v[36:37], v75 sc0 sc1
.LBB6_1663:                             ;   in Loop: Header=BB6_1593 Depth=2
	s_or_b64 exec, exec, s[24:25]
	v_and_b32_e32 v2, 48, v62
	v_cmp_ne_u32_e32 vcc, 0, v2
	s_and_saveexec_b64 s[24:25], vcc
	s_cbranch_execz .LBB6_1592
; %bb.1664:                             ;   in Loop: Header=BB6_1593 Depth=2
	v_lshl_add_u64 v[112:113], v[112:113], 0, 2
	flat_store_dwordx2 v[32:33], v[112:113] sc0 sc1
	s_branch .LBB6_1592
.LBB6_1665:                             ;   in Loop: Header=BB6_47 Depth=1
	s_or_b64 exec, exec, s[90:91]
	s_or_b64 exec, exec, s[88:89]
	v_cmp_gt_i32_e32 vcc, 2, v2
	s_and_saveexec_b64 s[26:27], vcc
	s_cbranch_execnz .LBB6_1591
.LBB6_1666:                             ;   in Loop: Header=BB6_47 Depth=1
	s_or_b64 exec, exec, s[26:27]
	s_and_b64 vcc, exec, s[22:23]
	s_cbranch_vccz .LBB6_1668
	s_branch .LBB6_1997
.LBB6_1667:                             ;   in Loop: Header=BB6_47 Depth=1
	s_or_b64 exec, exec, s[28:29]
	s_or_b64 exec, exec, s[26:27]
	s_and_b64 vcc, exec, s[22:23]
	s_cbranch_vccnz .LBB6_1997
.LBB6_1668:                             ;   in Loop: Header=BB6_47 Depth=1
	s_mov_b32 s8, 1
.LBB6_1669:                             ;   Parent Loop BB6_47 Depth=1
                                        ; =>  This Loop Header: Depth=2
                                        ;       Child Loop BB6_1672 Depth 3
                                        ;         Child Loop BB6_1680 Depth 4
                                        ;         Child Loop BB6_1708 Depth 4
                                        ;         Child Loop BB6_1727 Depth 4
                                        ;         Child Loop BB6_1750 Depth 4
                                        ;           Child Loop BB6_1752 Depth 5
                                        ;           Child Loop BB6_1757 Depth 5
                                        ;         Child Loop BB6_1770 Depth 4
                                        ;         Child Loop BB6_1775 Depth 4
                                        ;           Child Loop BB6_1777 Depth 5
                                        ;           Child Loop BB6_1782 Depth 5
                                        ;         Child Loop BB6_1788 Depth 4
                                        ;         Child Loop BB6_1796 Depth 4
	;; [unrolled: 1-line block ×3, first 2 shown]
                                        ;           Child Loop BB6_1808 Depth 5
                                        ;           Child Loop BB6_1813 Depth 5
                                        ;         Child Loop BB6_1817 Depth 4
                                        ;         Child Loop BB6_1829 Depth 4
	;; [unrolled: 1-line block ×7, first 2 shown]
                                        ;       Child Loop BB6_1921 Depth 3
                                        ;         Child Loop BB6_1927 Depth 4
                                        ;         Child Loop BB6_1955 Depth 4
	;; [unrolled: 1-line block ×3, first 2 shown]
	s_sub_i32 s9, s66, s8
	s_cmp_ge_i32 s9, s64
	s_cselect_b32 s22, s64, 0
	s_sub_i32 s9, s9, s22
	s_ashr_i32 s22, s9, 31
	v_mul_lo_u32 v2, v102, s22
	v_mul_lo_u32 v10, v103, s9
	v_mad_u64_u32 v[8:9], s[22:23], v102, s9, 0
	v_add3_u32 v9, v9, v2, v10
	v_sub_co_u32_e32 v10, vcc, v114, v8
	s_waitcnt lgkmcnt(0)
	v_mov_b32_e32 v40, 0
	v_subb_co_u32_e32 v11, vcc, v115, v9, vcc
	v_cmp_lt_i64_e32 vcc, v[102:103], v[10:11]
	s_nop 1
	v_cndmask_b32_e32 v2, v10, v102, vcc
	v_max_i32_e32 v90, 0, v2
	v_add_u32_e32 v10, 31, v90
	v_ashrrev_i32_e32 v11, 31, v10
	v_lshrrev_b32_e32 v11, 27, v11
	v_add_u32_e32 v10, v10, v11
	v_ashrrev_i32_e32 v10, 5, v10
	v_lshlrev_b32_e32 v10, 4, v10
	v_cmp_lt_i32_e32 vcc, 0, v2
	v_max_i32_e32 v118, s69, v10
	s_and_b64 s[22:23], s[78:79], vcc
	v_mov_b32_e32 v2, 0
	s_and_saveexec_b64 s[28:29], s[22:23]
	s_cbranch_execz .LBB6_1918
; %bb.1670:                             ;   in Loop: Header=BB6_1669 Depth=2
	v_lshl_add_u64 v[8:9], v[8:9], 0, v[116:117]
	s_mov_b32 s9, 1
	s_mov_b64 s[90:91], -1
	v_mov_b32_e32 v40, 0
	s_mov_b64 s[88:89], 0
	v_lshlrev_b64 v[42:43], 1, v[8:9]
	s_branch .LBB6_1672
.LBB6_1671:                             ;   in Loop: Header=BB6_1672 Depth=3
	s_or_b64 exec, exec, s[22:23]
	v_add_u32_e32 v40, v118, v40
	v_cmp_ge_i32_e32 vcc, v40, v90
	s_xor_b64 s[22:23], s[90:91], -1
	s_or_b64 s[22:23], s[22:23], vcc
	s_and_b64 s[22:23], exec, s[22:23]
	s_or_b64 s[88:89], s[22:23], s[88:89]
	s_mov_b64 s[90:91], 0
	v_mov_b32_e32 v2, s9
	s_mov_b32 s9, 2
	s_andn2_b64 exec, exec, s[88:89]
	s_cbranch_execz .LBB6_1993
.LBB6_1672:                             ;   Parent Loop BB6_47 Depth=1
                                        ;     Parent Loop BB6_1669 Depth=2
                                        ; =>    This Loop Header: Depth=3
                                        ;         Child Loop BB6_1680 Depth 4
                                        ;         Child Loop BB6_1708 Depth 4
	;; [unrolled: 1-line block ×4, first 2 shown]
                                        ;           Child Loop BB6_1752 Depth 5
                                        ;           Child Loop BB6_1757 Depth 5
                                        ;         Child Loop BB6_1770 Depth 4
                                        ;         Child Loop BB6_1775 Depth 4
                                        ;           Child Loop BB6_1777 Depth 5
                                        ;           Child Loop BB6_1782 Depth 5
                                        ;         Child Loop BB6_1788 Depth 4
                                        ;         Child Loop BB6_1796 Depth 4
	;; [unrolled: 1-line block ×3, first 2 shown]
                                        ;           Child Loop BB6_1808 Depth 5
                                        ;           Child Loop BB6_1813 Depth 5
                                        ;         Child Loop BB6_1817 Depth 4
                                        ;         Child Loop BB6_1829 Depth 4
	;; [unrolled: 1-line block ×7, first 2 shown]
	s_and_saveexec_b64 s[22:23], s[0:1]
	s_cbranch_execz .LBB6_1674
; %bb.1673:                             ;   in Loop: Header=BB6_1672 Depth=3
	s_trap 2
	ds_read_b128 v[8:11], v0
	v_ashrrev_i32_e32 v41, 31, v40
	v_lshlrev_b64 v[12:13], 1, v[40:41]
	s_waitcnt lgkmcnt(0)
	v_lshl_add_u64 v[8:9], v[8:9], 0, v[42:43]
	v_lshl_add_u64 v[14:15], v[10:11], 0, v[42:43]
	;; [unrolled: 1-line block ×3, first 2 shown]
	ds_write_b64 v0, v[8:9]
	v_lshl_add_u64 v[8:9], v[14:15], 0, v[12:13]
	v_cmp_ne_u64_e32 vcc, 0, v[10:11]
	s_nop 1
	v_cndmask_b32_e32 v9, 0, v9, vcc
	v_cndmask_b32_e32 v8, 0, v8, vcc
	ds_write_b64 v0, v[8:9]
.LBB6_1674:                             ;   in Loop: Header=BB6_1672 Depth=3
	s_or_b64 exec, exec, s[22:23]
	v_sub_u32_e32 v2, v90, v40
	v_min_i32_e32 v118, v118, v2
	v_and_b32_e32 v2, 12, v62
	v_cmp_ne_u32_e32 vcc, 0, v2
	s_and_saveexec_b64 s[24:25], vcc
	s_cbranch_execz .LBB6_1700
; %bb.1675:                             ;   in Loop: Header=BB6_1672 Depth=3
	v_and_b32_e32 v2, 8, v62
	s_waitcnt vmcnt(0)
	v_lshl_add_u64 v[10:11], v[48:49], 0, v[2:3]
	v_lshl_add_u64 v[8:9], v[112:113], 0, 2
	v_cmp_lt_u64_e32 vcc, v[10:11], v[8:9]
	s_and_saveexec_b64 s[26:27], vcc
	s_cbranch_execz .LBB6_1687
; %bb.1676:                             ;   in Loop: Header=BB6_1672 Depth=3
	v_and_b32_e32 v10, 64, v62
	s_mov_b32 s73, 0
	v_cmp_eq_u32_e32 vcc, 0, v10
	s_mov_b64 s[92:93], 0
                                        ; implicit-def: $sgpr94_sgpr95
                                        ; implicit-def: $sgpr30_sgpr31
                                        ; implicit-def: $sgpr34_sgpr35
	s_branch .LBB6_1680
.LBB6_1677:                             ;   in Loop: Header=BB6_1680 Depth=4
	s_waitcnt vmcnt(0) lgkmcnt(0)
	v_lshl_add_u64 v[12:13], v[48:49], 0, v[2:3]
	v_cmp_ge_u64_e64 s[22:23], v[12:13], v[8:9]
	s_or_b64 s[48:49], s[48:49], exec
	s_orn2_b64 s[38:39], s[22:23], exec
.LBB6_1678:                             ;   in Loop: Header=BB6_1680 Depth=4
	s_or_b64 exec, exec, s[52:53]
	s_andn2_b64 s[22:23], s[34:35], exec
	s_and_b64 s[34:35], s[48:49], exec
	s_or_b64 s[34:35], s[22:23], s[34:35]
	s_andn2_b64 s[22:23], s[30:31], exec
	s_and_b64 s[30:31], s[38:39], exec
	s_or_b64 s[30:31], s[22:23], s[30:31]
.LBB6_1679:                             ;   in Loop: Header=BB6_1680 Depth=4
	s_or_b64 exec, exec, s[36:37]
	s_and_b64 s[22:23], exec, s[30:31]
	s_or_b64 s[92:93], s[22:23], s[92:93]
	s_andn2_b64 s[22:23], s[94:95], exec
	s_and_b64 s[94:95], s[34:35], exec
	s_or_b64 s[94:95], s[22:23], s[94:95]
	s_andn2_b64 exec, exec, s[92:93]
	s_cbranch_execz .LBB6_1684
.LBB6_1680:                             ;   Parent Loop BB6_47 Depth=1
                                        ;     Parent Loop BB6_1669 Depth=2
                                        ;       Parent Loop BB6_1672 Depth=3
                                        ; =>      This Inner Loop Header: Depth=4
	s_sleep 1
	s_waitcnt vmcnt(0) lgkmcnt(0)
	flat_load_dwordx2 v[48:49], v[32:33] sc0 sc1
	s_or_b64 s[34:35], s[34:35], exec
	s_or_b64 s[30:31], s[30:31], exec
                                        ; implicit-def: $vgpr10
	s_and_saveexec_b64 s[36:37], vcc
	s_cbranch_execz .LBB6_1679
; %bb.1681:                             ;   in Loop: Header=BB6_1680 Depth=4
	s_cmpk_lt_i32 s73, 0x270f
	s_cselect_b64 s[50:51], -1, 0
	s_cmpk_gt_i32 s73, 0x270e
	s_mov_b64 s[38:39], -1
	s_cbranch_scc0 .LBB6_1683
; %bb.1682:                             ;   in Loop: Header=BB6_1680 Depth=4
	s_trap 2
	ds_read_b64 v[10:11], v0
	s_andn2_b64 s[50:51], s[50:51], exec
	s_mov_b32 s73, 0
	s_mov_b64 s[48:49], 0
	s_waitcnt vmcnt(0) lgkmcnt(0)
	flat_load_dword v10, v[10:11] sc0 sc1
	s_waitcnt vmcnt(0) lgkmcnt(0)
	buffer_inv sc0 sc1
	v_cmp_eq_u32_e64 s[22:23], 0, v10
	s_and_b64 s[22:23], s[22:23], exec
	s_or_b64 s[50:51], s[50:51], s[22:23]
	s_and_saveexec_b64 s[52:53], s[50:51]
	s_cbranch_execz .LBB6_1678
	s_branch .LBB6_1677
.LBB6_1683:                             ;   in Loop: Header=BB6_1680 Depth=4
	s_add_i32 s73, s73, 1
	s_mov_b64 s[48:49], -1
                                        ; implicit-def: $vgpr10
	s_and_saveexec_b64 s[52:53], s[50:51]
	s_cbranch_execz .LBB6_1678
	s_branch .LBB6_1677
.LBB6_1684:                             ;   in Loop: Header=BB6_1672 Depth=3
	s_or_b64 exec, exec, s[92:93]
	s_xor_b64 s[22:23], s[94:95], -1
	s_and_saveexec_b64 s[92:93], s[22:23]
	s_xor_b64 s[22:23], exec, s[92:93]
	s_cbranch_execz .LBB6_1686
; %bb.1685:                             ;   in Loop: Header=BB6_1672 Depth=3
	v_or_b32_e32 v62, 64, v62
	s_waitcnt lgkmcnt(0)
	ds_write_b32 v0, v10
	s_trap 2
.LBB6_1686:                             ;   in Loop: Header=BB6_1672 Depth=3
	s_or_b64 exec, exec, s[22:23]
.LBB6_1687:                             ;   in Loop: Header=BB6_1672 Depth=3
	s_or_b64 exec, exec, s[26:27]
	v_and_b32_e32 v10, 0x108, v62
	v_cmp_ne_u32_e32 vcc, s43, v10
	;;#ASMSTART
	s_wakeup
	;;#ASMEND
                                        ; implicit-def: $vgpr10_vgpr11
	s_and_saveexec_b64 s[22:23], vcc
	s_xor_b64 s[22:23], exec, s[22:23]
; %bb.1688:                             ;   in Loop: Header=BB6_1672 Depth=3
	v_and_b32_e32 v10, 7, v112
	v_mov_b32_e32 v11, v3
                                        ; implicit-def: $vgpr112_vgpr113
; %bb.1689:                             ;   in Loop: Header=BB6_1672 Depth=3
	s_andn2_saveexec_b64 s[22:23], s[22:23]
	s_cbranch_execz .LBB6_1691
; %bb.1690:                             ;   in Loop: Header=BB6_1672 Depth=3
	v_and_b32_e32 v10, 7, v112
	v_ashrrev_i32_e32 v119, 31, v118
	v_mov_b32_e32 v11, v3
	v_mad_u64_u32 v[12:13], s[26:27], v10, 24, v[6:7]
	v_lshlrev_b64 v[14:15], 1, v[118:119]
	flat_store_dwordx2 v[12:13], v[14:15] offset:8
.LBB6_1691:                             ;   in Loop: Header=BB6_1672 Depth=3
	s_or_b64 exec, exec, s[22:23]
	v_and_b32_e32 v12, 0x100, v62
	v_cmp_ne_u32_e32 vcc, 0, v12
	s_mov_b64 s[22:23], -1
                                        ; implicit-def: $vgpr12_vgpr13
	s_and_saveexec_b64 s[26:27], vcc
	s_cbranch_execz .LBB6_1695
; %bb.1692:                             ;   in Loop: Header=BB6_1672 Depth=3
	v_mad_u64_u32 v[14:15], s[22:23], v10, 24, v[6:7]
	v_mov_b32_e32 v12, v15
	v_mad_u64_u32 v[12:13], s[22:23], v11, 24, v[12:13]
	v_mov_b32_e32 v15, v12
	flat_load_dword v12, v[14:15]
	s_waitcnt vmcnt(0) lgkmcnt(0)
	v_cmp_ne_u32_e32 vcc, 1, v12
	v_cmp_eq_u32_e64 s[22:23], 1, v12
                                        ; implicit-def: $vgpr12_vgpr13
	s_and_saveexec_b64 s[92:93], s[22:23]
	s_cbranch_execz .LBB6_1694
; %bb.1693:                             ;   in Loop: Header=BB6_1672 Depth=3
	flat_load_dword v12, v[14:15] offset:4 sc0 sc1
	s_waitcnt vmcnt(0) lgkmcnt(0)
	v_ashrrev_i32_e32 v13, 31, v12
	v_lshrrev_b64 v[12:13], 1, v[12:13]
.LBB6_1694:                             ;   in Loop: Header=BB6_1672 Depth=3
	s_or_b64 exec, exec, s[92:93]
	s_orn2_b64 s[22:23], vcc, exec
.LBB6_1695:                             ;   in Loop: Header=BB6_1672 Depth=3
	s_or_b64 exec, exec, s[26:27]
	s_and_saveexec_b64 s[26:27], s[22:23]
; %bb.1696:                             ;   in Loop: Header=BB6_1672 Depth=3
	v_mul_lo_u32 v11, v11, v30
	v_mul_lo_u32 v14, v10, v51
	v_mad_u64_u32 v[12:13], s[22:23], v10, v30, 0
	v_add3_u32 v13, v13, v14, v11
; %bb.1697:                             ;   in Loop: Header=BB6_1672 Depth=3
	s_or_b64 exec, exec, s[26:27]
	v_cmp_eq_u32_e32 vcc, 0, v2
	v_lshl_add_u64 v[10:11], v[12:13], 1, v[34:35]
	s_nop 0
	v_cndmask_b32_e32 v2, v88, v89, vcc
	v_add_u32_e32 v2, v0, v2
	ds_write_b64 v2, v[10:11] offset:584
	v_and_b32_e32 v2, 0x2000, v62
	v_cmp_ne_u32_e32 vcc, 0, v2
	s_and_saveexec_b64 s[22:23], vcc
	s_cbranch_execz .LBB6_1699
; %bb.1698:                             ;   in Loop: Header=BB6_1672 Depth=3
	ds_read_b64 v[10:11], v0 offset:872
	s_waitcnt lgkmcnt(0)
	v_lshl_add_u64 v[10:11], v[10:11], 0, 1
	ds_write_b64 v0, v[10:11] offset:872
.LBB6_1699:                             ;   in Loop: Header=BB6_1672 Depth=3
	s_or_b64 exec, exec, s[22:23]
	v_mov_b64_e32 v[112:113], v[8:9]
.LBB6_1700:                             ;   in Loop: Header=BB6_1672 Depth=3
	s_or_b64 exec, exec, s[24:25]
	s_and_saveexec_b64 s[22:23], s[4:5]
	s_cbranch_execz .LBB6_1719
; %bb.1701:                             ;   in Loop: Header=BB6_1672 Depth=3
	s_and_saveexec_b64 s[24:25], s[44:45]
	s_xor_b64 s[24:25], exec, s[24:25]
	s_cbranch_execz .LBB6_1716
; %bb.1702:                             ;   in Loop: Header=BB6_1672 Depth=3
	s_and_saveexec_b64 s[26:27], s[12:13]
	s_cbranch_execz .LBB6_1715
; %bb.1703:                             ;   in Loop: Header=BB6_1672 Depth=3
	s_mov_b64 s[94:95], exec
	v_mbcnt_lo_u32_b32 v2, s94, 0
	v_mbcnt_hi_u32_b32 v2, s95, v2
	v_cmp_eq_u32_e32 vcc, 0, v2
	s_waitcnt lgkmcnt(0)
	s_and_saveexec_b64 s[92:93], vcc
	s_cbranch_execz .LBB6_1705
; %bb.1704:                             ;   in Loop: Header=BB6_1672 Depth=3
	s_bcnt1_i32_b64 s73, s[94:95]
	v_mov_b32_e32 v2, s73
	ds_add_u64 v0, v[2:3]
	s_trap 2
.LBB6_1705:                             ;   in Loop: Header=BB6_1672 Depth=3
	s_or_b64 exec, exec, s[92:93]
	s_trap 2
	ds_read_b64 v[8:9], v0
	s_waitcnt lgkmcnt(0)
	v_lshl_add_u64 v[38:39], v[38:39], 0, v[52:53]
	v_cmp_lt_u64_e32 vcc, v[8:9], v[38:39]
	s_and_saveexec_b64 s[92:93], vcc
	s_cbranch_execz .LBB6_1714
; %bb.1706:                             ;   in Loop: Header=BB6_1672 Depth=3
	s_mov_b32 s73, 0
	s_mov_b64 s[94:95], 0
                                        ; implicit-def: $sgpr30_sgpr31
                                        ; implicit-def: $sgpr34_sgpr35
	s_branch .LBB6_1708
.LBB6_1707:                             ;   in Loop: Header=BB6_1708 Depth=4
	s_or_b64 exec, exec, s[38:39]
	s_and_b64 vcc, exec, vcc
	s_or_b64 s[94:95], vcc, s[94:95]
	s_andn2_b64 vcc, s[30:31], exec
	s_and_b64 s[30:31], s[34:35], exec
	s_or_b64 s[30:31], vcc, s[30:31]
	s_andn2_b64 exec, exec, s[94:95]
	s_cbranch_execz .LBB6_1712
.LBB6_1708:                             ;   Parent Loop BB6_47 Depth=1
                                        ;     Parent Loop BB6_1669 Depth=2
                                        ;       Parent Loop BB6_1672 Depth=3
                                        ; =>      This Inner Loop Header: Depth=4
	s_add_i32 s73, s73, 1
	s_cmpk_lg_i32 s73, 0x2710
	s_cselect_b64 s[36:37], -1, 0
	s_and_b64 vcc, exec, s[36:37]
	s_cbranch_vccz .LBB6_1710
; %bb.1709:                             ;   in Loop: Header=BB6_1708 Depth=4
	s_mov_b64 vcc, -1
	s_or_b64 s[34:35], s[34:35], exec
	s_and_saveexec_b64 s[38:39], s[36:37]
	s_cbranch_execz .LBB6_1707
	s_branch .LBB6_1711
.LBB6_1710:                             ;   in Loop: Header=BB6_1708 Depth=4
	s_trap 2
	ds_read_b64 v[8:9], v0
	s_andn2_b64 s[36:37], s[36:37], exec
	s_mov_b32 s73, 0
	s_waitcnt vmcnt(0) lgkmcnt(0)
	flat_load_dword v2, v[8:9] sc0 sc1
	s_waitcnt vmcnt(0) lgkmcnt(0)
	buffer_inv sc0 sc1
	v_cmp_eq_u32_e32 vcc, 0, v2
	s_and_b64 vcc, vcc, exec
	s_or_b64 s[36:37], s[36:37], vcc
	s_mov_b64 vcc, -1
	s_or_b64 s[34:35], s[34:35], exec
	s_and_saveexec_b64 s[38:39], s[36:37]
	s_cbranch_execz .LBB6_1707
.LBB6_1711:                             ;   in Loop: Header=BB6_1708 Depth=4
	s_sleep 1
	s_trap 2
	ds_read_b64 v[8:9], v0
	s_waitcnt lgkmcnt(0)
	s_andn2_b64 s[34:35], s[34:35], exec
	v_cmp_ge_u64_e32 vcc, v[8:9], v[38:39]
	s_orn2_b64 vcc, vcc, exec
	s_branch .LBB6_1707
.LBB6_1712:                             ;   in Loop: Header=BB6_1672 Depth=3
	s_or_b64 exec, exec, s[94:95]
	s_and_saveexec_b64 s[94:95], s[30:31]
	s_xor_b64 s[94:95], exec, s[94:95]
	s_cbranch_execz .LBB6_1714
; %bb.1713:                             ;   in Loop: Header=BB6_1672 Depth=3
	ds_write_b32 v0, v75
	s_trap 2
.LBB6_1714:                             ;   in Loop: Header=BB6_1672 Depth=3
	s_or_b64 exec, exec, s[92:93]
	;;#ASMSTART
	s_wakeup
	;;#ASMEND
.LBB6_1715:                             ;   in Loop: Header=BB6_1672 Depth=3
	s_or_b64 exec, exec, s[26:27]
.LBB6_1716:                             ;   in Loop: Header=BB6_1672 Depth=3
	s_andn2_saveexec_b64 s[24:25], s[24:25]
	s_cbranch_execz .LBB6_1718
; %bb.1717:                             ;   in Loop: Header=BB6_1672 Depth=3
	s_waitcnt lgkmcnt(0)
	s_barrier
.LBB6_1718:                             ;   in Loop: Header=BB6_1672 Depth=3
	s_or_b64 exec, exec, s[24:25]
.LBB6_1719:                             ;   in Loop: Header=BB6_1672 Depth=3
	s_or_b64 exec, exec, s[22:23]
	s_trap 2
	ds_read_b32 v8, v0
	v_and_b32_e32 v2, 0x4000, v62
	v_cmp_ne_u32_e32 vcc, 0, v2
	s_xor_b64 s[22:23], s[2:3], -1
	s_and_b64 s[24:25], s[22:23], vcc
	s_and_saveexec_b64 s[22:23], s[24:25]
	s_cbranch_execz .LBB6_1738
; %bb.1720:                             ;   in Loop: Header=BB6_1672 Depth=3
	s_and_saveexec_b64 s[24:25], s[44:45]
	s_xor_b64 s[24:25], exec, s[24:25]
	s_cbranch_execz .LBB6_1735
; %bb.1721:                             ;   in Loop: Header=BB6_1672 Depth=3
	s_and_saveexec_b64 s[26:27], s[12:13]
	s_cbranch_execz .LBB6_1734
; %bb.1722:                             ;   in Loop: Header=BB6_1672 Depth=3
	s_mov_b64 s[94:95], exec
	v_mbcnt_lo_u32_b32 v2, s94, 0
	v_mbcnt_hi_u32_b32 v2, s95, v2
	v_cmp_eq_u32_e32 vcc, 0, v2
	s_waitcnt lgkmcnt(0)
	s_and_saveexec_b64 s[92:93], vcc
	s_cbranch_execz .LBB6_1724
; %bb.1723:                             ;   in Loop: Header=BB6_1672 Depth=3
	s_bcnt1_i32_b64 s73, s[94:95]
	v_mov_b32_e32 v2, s73
	ds_add_u64 v0, v[2:3]
	s_trap 2
.LBB6_1724:                             ;   in Loop: Header=BB6_1672 Depth=3
	s_or_b64 exec, exec, s[92:93]
	s_trap 2
	ds_read_b64 v[10:11], v0
	s_waitcnt lgkmcnt(0)
	v_lshl_add_u64 v[38:39], v[38:39], 0, v[52:53]
	v_cmp_lt_u64_e32 vcc, v[10:11], v[38:39]
	s_and_saveexec_b64 s[92:93], vcc
	s_cbranch_execz .LBB6_1733
; %bb.1725:                             ;   in Loop: Header=BB6_1672 Depth=3
	s_mov_b32 s73, 0
	s_mov_b64 s[94:95], 0
                                        ; implicit-def: $sgpr30_sgpr31
                                        ; implicit-def: $sgpr34_sgpr35
	s_branch .LBB6_1727
.LBB6_1726:                             ;   in Loop: Header=BB6_1727 Depth=4
	s_or_b64 exec, exec, s[38:39]
	s_and_b64 vcc, exec, vcc
	s_or_b64 s[94:95], vcc, s[94:95]
	s_andn2_b64 vcc, s[30:31], exec
	s_and_b64 s[30:31], s[34:35], exec
	s_or_b64 s[30:31], vcc, s[30:31]
	s_andn2_b64 exec, exec, s[94:95]
	s_cbranch_execz .LBB6_1731
.LBB6_1727:                             ;   Parent Loop BB6_47 Depth=1
                                        ;     Parent Loop BB6_1669 Depth=2
                                        ;       Parent Loop BB6_1672 Depth=3
                                        ; =>      This Inner Loop Header: Depth=4
	s_add_i32 s73, s73, 1
	s_cmpk_lg_i32 s73, 0x2710
	s_cselect_b64 s[36:37], -1, 0
	s_and_b64 vcc, exec, s[36:37]
	s_cbranch_vccz .LBB6_1729
; %bb.1728:                             ;   in Loop: Header=BB6_1727 Depth=4
	s_mov_b64 vcc, -1
	s_or_b64 s[34:35], s[34:35], exec
	s_and_saveexec_b64 s[38:39], s[36:37]
	s_cbranch_execz .LBB6_1726
	s_branch .LBB6_1730
.LBB6_1729:                             ;   in Loop: Header=BB6_1727 Depth=4
	s_trap 2
	ds_read_b64 v[10:11], v0
	s_andn2_b64 s[36:37], s[36:37], exec
	s_mov_b32 s73, 0
	s_waitcnt vmcnt(0) lgkmcnt(0)
	flat_load_dword v2, v[10:11] sc0 sc1
	s_waitcnt vmcnt(0) lgkmcnt(0)
	buffer_inv sc0 sc1
	v_cmp_eq_u32_e32 vcc, 0, v2
	s_and_b64 vcc, vcc, exec
	s_or_b64 s[36:37], s[36:37], vcc
	s_mov_b64 vcc, -1
	s_or_b64 s[34:35], s[34:35], exec
	s_and_saveexec_b64 s[38:39], s[36:37]
	s_cbranch_execz .LBB6_1726
.LBB6_1730:                             ;   in Loop: Header=BB6_1727 Depth=4
	s_sleep 1
	s_trap 2
	ds_read_b64 v[10:11], v0
	s_waitcnt lgkmcnt(0)
	s_andn2_b64 s[34:35], s[34:35], exec
	v_cmp_ge_u64_e32 vcc, v[10:11], v[38:39]
	s_orn2_b64 vcc, vcc, exec
	s_branch .LBB6_1726
.LBB6_1731:                             ;   in Loop: Header=BB6_1672 Depth=3
	s_or_b64 exec, exec, s[94:95]
	s_and_saveexec_b64 s[94:95], s[30:31]
	s_xor_b64 s[94:95], exec, s[94:95]
	s_cbranch_execz .LBB6_1733
; %bb.1732:                             ;   in Loop: Header=BB6_1672 Depth=3
	ds_write_b32 v0, v75
	s_trap 2
.LBB6_1733:                             ;   in Loop: Header=BB6_1672 Depth=3
	s_or_b64 exec, exec, s[92:93]
	;;#ASMSTART
	s_wakeup
	;;#ASMEND
.LBB6_1734:                             ;   in Loop: Header=BB6_1672 Depth=3
	s_or_b64 exec, exec, s[26:27]
.LBB6_1735:                             ;   in Loop: Header=BB6_1672 Depth=3
	s_andn2_saveexec_b64 s[24:25], s[24:25]
	s_cbranch_execz .LBB6_1737
; %bb.1736:                             ;   in Loop: Header=BB6_1672 Depth=3
	s_waitcnt lgkmcnt(0)
	s_barrier
.LBB6_1737:                             ;   in Loop: Header=BB6_1672 Depth=3
	s_or_b64 exec, exec, s[24:25]
.LBB6_1738:                             ;   in Loop: Header=BB6_1672 Depth=3
	s_or_b64 exec, exec, s[22:23]
	s_trap 2
	ds_read_b64 v[44:45], v0
	s_waitcnt lgkmcnt(0)
	v_cmp_eq_u64_e32 vcc, 0, v[44:45]
	s_cbranch_vccnz .LBB6_1760
; %bb.1739:                             ;   in Loop: Header=BB6_1672 Depth=3
	s_trap 2
	ds_read_b64 v[46:47], v0
	s_waitcnt lgkmcnt(0)
	v_cmp_eq_u64_e32 vcc, 0, v[46:47]
	s_cbranch_vccnz .LBB6_1760
; %bb.1740:                             ;   in Loop: Header=BB6_1672 Depth=3
	s_trap 2
	ds_read_b64 v[16:17], v0
	v_cmp_eq_u32_e32 vcc, 0, v8
	s_mov_b64 s[22:23], -1
	s_nop 0
	v_cndmask_b32_e32 v2, 0, v118, vcc
	s_waitcnt lgkmcnt(0)
	v_cmp_ne_u64_e32 vcc, 0, v[16:17]
	v_lshlrev_b32_e32 v119, 1, v2
	s_cbranch_vccz .LBB6_1819
; %bb.1741:                             ;   in Loop: Header=BB6_1672 Depth=3
	s_and_saveexec_b64 s[24:25], s[16:17]
	s_cbranch_execz .LBB6_1743
; %bb.1742:                             ;   in Loop: Header=BB6_1672 Depth=3
	ds_read_b32 v8, v0 offset:720
	s_waitcnt lgkmcnt(0)
	v_and_b32_e32 v8, 15, v8
	v_cmp_eq_u32_e32 vcc, 0, v8
	s_orn2_b64 s[22:23], vcc, exec
.LBB6_1743:                             ;   in Loop: Header=BB6_1672 Depth=3
	s_or_b64 exec, exec, s[24:25]
	s_and_saveexec_b64 s[24:25], s[18:19]
	s_cbranch_execz .LBB6_1745
; %bb.1744:                             ;   in Loop: Header=BB6_1672 Depth=3
	ds_read_b32 v8, v0 offset:784
	s_waitcnt lgkmcnt(0)
	v_and_b32_e32 v8, 15, v8
	v_cmp_eq_u32_e32 vcc, 0, v8
	s_and_b64 s[26:27], s[22:23], vcc
	s_andn2_b64 s[22:23], s[22:23], exec
	s_and_b64 s[26:27], s[26:27], exec
	s_or_b64 s[22:23], s[22:23], s[26:27]
.LBB6_1745:                             ;   in Loop: Header=BB6_1672 Depth=3
	s_or_b64 exec, exec, s[24:25]
	s_xor_b64 s[22:23], s[22:23], -1
	v_cndmask_b32_e64 v8, 0, 1, s[22:23]
	s_mov_b64 s[24:25], -1
	v_cmp_ne_u32_e32 vcc, 0, v8
	s_cbranch_vccz .LBB6_1765
; %bb.1746:                             ;   in Loop: Header=BB6_1672 Depth=3
	s_mov_b64 s[92:93], -1
	v_mov_b32_e32 v18, 0
	s_cbranch_execnz .LBB6_1766
.LBB6_1747:                             ;   in Loop: Header=BB6_1672 Depth=3
	v_ashrrev_i32_e32 v8, 31, v119
	v_lshrrev_b32_e32 v8, 22, v8
	v_add_u32_e32 v8, v119, v8
	v_and_b32_e32 v56, 0xfffffc00, v8
	v_ashrrev_i32_e32 v9, 10, v8
	v_sub_u32_e32 v57, v119, v56
	v_sub_u32_e32 v8, v9, v72
	v_cmp_lt_i32_e64 s[22:23], 15, v57
	v_sub_u32_e32 v41, v119, v54
	v_lshl_add_u64 v[18:19], v[46:47], 0, v[54:55]
	v_addc_co_u32_e64 v58, vcc, 0, v8, s[22:23]
	v_lshl_add_u64 v[20:21], v[16:17], 0, v[54:55]
	v_cmp_lt_i32_e32 vcc, 15, v41
	s_mov_b64 s[24:25], 0
                                        ; implicit-def: $vgpr8_vgpr9
	s_and_saveexec_b64 s[94:95], vcc
	s_cbranch_execz .LBB6_1768
; %bb.1748:                             ;   in Loop: Header=BB6_1672 Depth=3
	v_lshl_add_u64 v[22:23], v[44:45], 0, v[54:55]
	s_mov_b64 s[36:37], 0
	s_mov_b64 s[30:31], 0
                                        ; implicit-def: $sgpr34_sgpr35
                                        ; implicit-def: $vgpr8_vgpr9
	s_branch .LBB6_1750
.LBB6_1749:                             ;   in Loop: Header=BB6_1750 Depth=4
	s_or_b64 exec, exec, s[24:25]
	v_cmp_gt_i32_e32 vcc, 16, v41
	s_or_b64 s[30:31], vcc, s[30:31]
	s_andn2_b64 s[24:25], s[34:35], exec
	s_and_b64 s[26:27], s[36:37], exec
	s_or_b64 s[34:35], s[24:25], s[26:27]
	s_andn2_b64 exec, exec, s[30:31]
	s_cbranch_execz .LBB6_1767
.LBB6_1750:                             ;   Parent Loop BB6_47 Depth=1
                                        ;     Parent Loop BB6_1669 Depth=2
                                        ;       Parent Loop BB6_1672 Depth=3
                                        ; =>      This Loop Header: Depth=4
                                        ;           Child Loop BB6_1752 Depth 5
                                        ;           Child Loop BB6_1757 Depth 5
	global_load_dwordx4 v[12:15], v[22:23], off nt
	s_and_saveexec_b64 s[38:39], s[36:37]
	s_cbranch_execz .LBB6_1754
; %bb.1751:                             ;   in Loop: Header=BB6_1750 Depth=4
	s_mov_b64 s[48:49], 0
	s_mov_b64 s[36:37], -1
.LBB6_1752:                             ;   Parent Loop BB6_47 Depth=1
                                        ;     Parent Loop BB6_1669 Depth=2
                                        ;       Parent Loop BB6_1672 Depth=3
                                        ;         Parent Loop BB6_1750 Depth=4
                                        ; =>        This Inner Loop Header: Depth=5
	s_cmp_eq_u32 s48, 1
	s_cselect_b64 vcc, -1, 0
	v_cndmask_b32_e32 v61, v19, v21, vcc
	s_cmp_eq_u32 s48, 0
	v_cndmask_b32_e32 v60, v18, v20, vcc
	global_store_dwordx4 v[60:61], v[8:11], off
	v_lshl_add_u64 v[60:61], v[60:61], 0, s[56:57]
	s_cselect_b64 s[24:25], -1, 0
	s_and_b64 s[26:27], exec, s[36:37]
	s_mov_b64 s[48:49], 1
	s_mov_b64 s[36:37], 0
	v_cndmask_b32_e32 v21, v21, v61, vcc
	v_cndmask_b32_e32 v20, v20, v60, vcc
	v_cndmask_b32_e64 v19, v19, v61, s[24:25]
	v_cndmask_b32_e64 v18, v18, v60, s[24:25]
	s_mov_b64 vcc, s[26:27]
	s_cbranch_vccnz .LBB6_1752
; %bb.1753:                             ;   in Loop: Header=BB6_1750 Depth=4
	v_lshl_add_u64 v[18:19], v[18:19], 0, v[80:81]
	v_lshl_add_u64 v[20:21], v[20:21], 0, v[80:81]
.LBB6_1754:                             ;   in Loop: Header=BB6_1750 Depth=4
	s_or_b64 exec, exec, s[38:39]
	v_sub_u32_e32 v41, v41, v73
	v_lshl_add_u64 v[22:23], v[96:97], 0, v[22:23]
	v_cmp_lt_i32_e64 s[36:37], 15, v41
	s_and_saveexec_b64 s[24:25], s[36:37]
	s_cbranch_execz .LBB6_1756
; %bb.1755:                             ;   in Loop: Header=BB6_1750 Depth=4
	global_load_dwordx4 v[8:11], v[22:23], off nt
	v_lshl_add_u64 v[22:23], v[22:23], 0, s[56:57]
.LBB6_1756:                             ;   in Loop: Header=BB6_1750 Depth=4
	s_or_b64 exec, exec, s[24:25]
	s_mov_b64 s[48:49], 0
	s_mov_b64 s[38:39], -1
	s_waitcnt vmcnt(0)
.LBB6_1757:                             ;   Parent Loop BB6_47 Depth=1
                                        ;     Parent Loop BB6_1669 Depth=2
                                        ;       Parent Loop BB6_1672 Depth=3
                                        ;         Parent Loop BB6_1750 Depth=4
                                        ; =>        This Inner Loop Header: Depth=5
	s_cmp_eq_u32 s48, 1
	s_cselect_b64 vcc, -1, 0
	v_cndmask_b32_e32 v61, v19, v21, vcc
	s_cmp_eq_u32 s48, 0
	v_cndmask_b32_e32 v60, v18, v20, vcc
	global_store_dwordx4 v[60:61], v[12:15], off
	v_lshl_add_u64 v[60:61], v[60:61], 0, s[56:57]
	s_cselect_b64 s[24:25], -1, 0
	s_and_b64 s[26:27], exec, s[38:39]
	s_mov_b64 s[48:49], 1
	s_mov_b64 s[38:39], 0
	v_cndmask_b32_e32 v21, v21, v61, vcc
	v_cndmask_b32_e32 v20, v20, v60, vcc
	v_cndmask_b32_e64 v19, v19, v61, s[24:25]
	v_cndmask_b32_e64 v18, v18, v60, s[24:25]
	s_mov_b64 vcc, s[26:27]
	s_cbranch_vccnz .LBB6_1757
; %bb.1758:                             ;   in Loop: Header=BB6_1750 Depth=4
	v_sub_u32_e32 v58, v58, v52
	s_and_saveexec_b64 s[24:25], s[36:37]
	s_cbranch_execz .LBB6_1749
; %bb.1759:                             ;   in Loop: Header=BB6_1750 Depth=4
	v_lshl_add_u64 v[18:19], v[18:19], 0, v[80:81]
	v_lshl_add_u64 v[20:21], v[20:21], 0, v[80:81]
	;; [unrolled: 1-line block ×3, first 2 shown]
	v_sub_u32_e32 v41, v41, v73
	v_sub_u32_e32 v58, v58, v52
	s_branch .LBB6_1749
.LBB6_1760:                             ;   in Loop: Header=BB6_1672 Depth=3
	s_mov_b64 s[22:23], 0
	s_and_saveexec_b64 s[24:25], s[4:5]
	s_cbranch_execnz .LBB6_1877
.LBB6_1761:                             ;   in Loop: Header=BB6_1672 Depth=3
	s_or_b64 exec, exec, s[24:25]
                                        ; implicit-def: $vgpr2
	s_and_saveexec_b64 s[24:25], s[20:21]
	s_xor_b64 s[24:25], exec, s[24:25]
	s_cbranch_execz .LBB6_1895
.LBB6_1762:                             ;   in Loop: Header=BB6_1672 Depth=3
	v_and_b32_e32 v8, 16, v62
	v_cmp_ne_u32_e32 vcc, 0, v8
	v_and_b32_e32 v2, 16, v62
	s_and_b64 s[26:27], vcc, s[22:23]
	s_and_saveexec_b64 s[22:23], s[26:27]
	s_cbranch_execz .LBB6_1764
; %bb.1763:                             ;   in Loop: Header=BB6_1672 Depth=3
	v_mov_b32_e32 v2, 1
	buffer_wbl2 sc1
	s_waitcnt vmcnt(0) lgkmcnt(0)
	buffer_inv sc1
.LBB6_1764:                             ;   in Loop: Header=BB6_1672 Depth=3
	s_or_b64 exec, exec, s[22:23]
	s_andn2_saveexec_b64 s[22:23], s[24:25]
	s_cbranch_execz .LBB6_1914
	s_branch .LBB6_1896
.LBB6_1765:                             ;   in Loop: Header=BB6_1672 Depth=3
	s_mov_b64 s[92:93], 0
	s_andn2_b64 vcc, exec, s[24:25]
	v_mov_b32_e32 v18, 0
	s_cbranch_vccz .LBB6_1747
.LBB6_1766:                             ;   in Loop: Header=BB6_1672 Depth=3
	v_mov_b32_e32 v19, v119
	v_mov_b32_e32 v8, v0
	;; [unrolled: 1-line block ×3, first 2 shown]
	s_and_saveexec_b64 s[26:27], s[92:93]
	s_cbranch_execnz .LBB6_1793
	s_branch .LBB6_1818
.LBB6_1767:                             ;   in Loop: Header=BB6_1672 Depth=3
	s_or_b64 exec, exec, s[30:31]
	s_and_b64 s[24:25], s[34:35], exec
.LBB6_1768:                             ;   in Loop: Header=BB6_1672 Depth=3
	s_or_b64 exec, exec, s[94:95]
	s_and_saveexec_b64 s[94:95], s[24:25]
	s_cbranch_execz .LBB6_1771
; %bb.1769:                             ;   in Loop: Header=BB6_1672 Depth=3
	s_mov_b64 s[34:35], 0
	s_mov_b64 s[30:31], -1
.LBB6_1770:                             ;   Parent Loop BB6_47 Depth=1
                                        ;     Parent Loop BB6_1669 Depth=2
                                        ;       Parent Loop BB6_1672 Depth=3
                                        ; =>      This Inner Loop Header: Depth=4
	s_cmp_eq_u32 s34, 1
	s_cselect_b64 vcc, -1, 0
	v_cndmask_b32_e32 v13, v19, v21, vcc
	s_cmp_eq_u32 s34, 0
	v_cndmask_b32_e32 v12, v18, v20, vcc
	global_store_dwordx4 v[12:13], v[8:11], off
	v_lshl_add_u64 v[12:13], v[12:13], 0, s[56:57]
	s_cselect_b64 s[24:25], -1, 0
	s_and_b64 s[26:27], exec, s[30:31]
	s_mov_b64 s[34:35], 1
	s_mov_b64 s[30:31], 0
	v_cndmask_b32_e32 v21, v21, v13, vcc
	v_cndmask_b32_e32 v20, v20, v12, vcc
	v_cndmask_b32_e64 v19, v19, v13, s[24:25]
	v_cndmask_b32_e64 v18, v18, v12, s[24:25]
	s_mov_b64 vcc, s[26:27]
	s_cbranch_vccnz .LBB6_1770
.LBB6_1771:                             ;   in Loop: Header=BB6_1672 Depth=3
	s_or_b64 exec, exec, s[94:95]
	v_and_b32_e32 v9, 14, v119
	v_cndmask_b32_e64 v41, v57, v9, s[22:23]
	v_cmp_ne_u32_e32 vcc, 0, v41
                                        ; implicit-def: $vgpr19
                                        ; implicit-def: $vgpr18
                                        ; implicit-def: $vgpr8
                                        ; implicit-def: $vgpr20
	s_and_saveexec_b64 s[94:95], vcc
	s_cbranch_execz .LBB6_1792
; %bb.1772:                             ;   in Loop: Header=BB6_1672 Depth=3
	v_sub_u32_e32 v8, v57, v9
	v_cndmask_b32_e64 v8, 0, v8, s[22:23]
	v_cmp_lt_i32_e32 vcc, 0, v58
	v_add_u32_e32 v56, v8, v56
	s_mov_b64 s[24:25], 0
	v_cndmask_b32_e32 v8, 0, v52, vcc
	v_sub_u32_e32 v8, v8, v58
	v_lshl_or_b32 v8, v8, 6, v63
	v_ashrrev_i32_e32 v9, 31, v8
	v_lshrrev_b32_e32 v9, 26, v9
	v_add_u32_e32 v9, v8, v9
	v_ashrrev_i32_e32 v12, 6, v9
	v_and_b32_e32 v9, 0xffffffc0, v9
	v_sub_u32_e32 v57, v8, v9
	v_lshlrev_b32_e32 v8, 4, v57
	v_lshl_add_u32 v8, v12, 10, v8
	v_add_u32_e32 v10, v8, v56
	v_sub_u32_e32 v61, v41, v8
	v_ashrrev_i32_e32 v8, 31, v41
	v_lshrrev_b32_e32 v8, 22, v8
	v_add_u32_e32 v8, v41, v8
	v_and_b32_e32 v58, 0xfffffc00, v8
	v_sub_u32_e32 v59, v41, v58
	v_ashrrev_i32_e32 v9, 10, v8
	v_cmp_lt_i32_e64 s[22:23], 15, v59
	v_ashrrev_i32_e32 v11, 31, v10
	v_lshl_add_u64 v[18:19], v[10:11], 0, v[46:47]
	v_addc_co_u32_e64 v8, vcc, 0, v9, s[22:23]
	v_lshl_add_u64 v[20:21], v[10:11], 0, v[16:17]
	v_sub_u32_e32 v60, v8, v12
	v_cmp_lt_i32_e32 vcc, 15, v61
                                        ; implicit-def: $vgpr8_vgpr9
	s_and_saveexec_b64 s[30:31], vcc
	s_cbranch_execz .LBB6_1786
; %bb.1773:                             ;   in Loop: Header=BB6_1672 Depth=3
	v_lshl_add_u64 v[22:23], v[10:11], 0, v[44:45]
	s_mov_b64 s[38:39], 0
	s_mov_b64 s[34:35], 0
                                        ; implicit-def: $sgpr36_sgpr37
                                        ; implicit-def: $vgpr8_vgpr9
	s_branch .LBB6_1775
.LBB6_1774:                             ;   in Loop: Header=BB6_1775 Depth=4
	s_or_b64 exec, exec, s[24:25]
	v_cmp_gt_i32_e32 vcc, 16, v61
	s_or_b64 s[34:35], vcc, s[34:35]
	s_andn2_b64 s[24:25], s[36:37], exec
	s_and_b64 s[26:27], s[38:39], exec
	s_or_b64 s[36:37], s[24:25], s[26:27]
	s_andn2_b64 exec, exec, s[34:35]
	s_cbranch_execz .LBB6_1785
.LBB6_1775:                             ;   Parent Loop BB6_47 Depth=1
                                        ;     Parent Loop BB6_1669 Depth=2
                                        ;       Parent Loop BB6_1672 Depth=3
                                        ; =>      This Loop Header: Depth=4
                                        ;           Child Loop BB6_1777 Depth 5
                                        ;           Child Loop BB6_1782 Depth 5
	global_load_dwordx4 v[12:15], v[22:23], off nt
	s_and_saveexec_b64 s[48:49], s[38:39]
	s_cbranch_execz .LBB6_1779
; %bb.1776:                             ;   in Loop: Header=BB6_1775 Depth=4
	s_mov_b64 s[50:51], 0
	s_mov_b64 s[38:39], -1
.LBB6_1777:                             ;   Parent Loop BB6_47 Depth=1
                                        ;     Parent Loop BB6_1669 Depth=2
                                        ;       Parent Loop BB6_1672 Depth=3
                                        ;         Parent Loop BB6_1775 Depth=4
                                        ; =>        This Inner Loop Header: Depth=5
	s_cmp_eq_u32 s50, 1
	s_cselect_b64 vcc, -1, 0
	v_cndmask_b32_e32 v93, v19, v21, vcc
	s_cmp_eq_u32 s50, 0
	v_cndmask_b32_e32 v92, v18, v20, vcc
	global_store_dwordx4 v[92:93], v[8:11], off
	v_lshl_add_u64 v[92:93], v[92:93], 0, s[56:57]
	s_cselect_b64 s[24:25], -1, 0
	s_and_b64 s[26:27], exec, s[38:39]
	s_mov_b64 s[50:51], 1
	s_mov_b64 s[38:39], 0
	v_cndmask_b32_e32 v21, v21, v93, vcc
	v_cndmask_b32_e32 v20, v20, v92, vcc
	v_cndmask_b32_e64 v19, v19, v93, s[24:25]
	v_cndmask_b32_e64 v18, v18, v92, s[24:25]
	s_mov_b64 vcc, s[26:27]
	s_cbranch_vccnz .LBB6_1777
; %bb.1778:                             ;   in Loop: Header=BB6_1775 Depth=4
	v_lshl_add_u64 v[18:19], v[18:19], 0, v[80:81]
	v_lshl_add_u64 v[20:21], v[20:21], 0, v[80:81]
.LBB6_1779:                             ;   in Loop: Header=BB6_1775 Depth=4
	s_or_b64 exec, exec, s[48:49]
	v_sub_u32_e32 v61, v61, v73
	v_lshl_add_u64 v[22:23], v[96:97], 0, v[22:23]
	v_cmp_lt_i32_e64 s[38:39], 15, v61
	s_and_saveexec_b64 s[24:25], s[38:39]
	s_cbranch_execz .LBB6_1781
; %bb.1780:                             ;   in Loop: Header=BB6_1775 Depth=4
	global_load_dwordx4 v[8:11], v[22:23], off nt
	v_lshl_add_u64 v[22:23], v[22:23], 0, s[56:57]
.LBB6_1781:                             ;   in Loop: Header=BB6_1775 Depth=4
	s_or_b64 exec, exec, s[24:25]
	s_mov_b64 s[50:51], 0
	s_mov_b64 s[48:49], -1
	s_waitcnt vmcnt(0)
.LBB6_1782:                             ;   Parent Loop BB6_47 Depth=1
                                        ;     Parent Loop BB6_1669 Depth=2
                                        ;       Parent Loop BB6_1672 Depth=3
                                        ;         Parent Loop BB6_1775 Depth=4
                                        ; =>        This Inner Loop Header: Depth=5
	s_cmp_eq_u32 s50, 1
	s_cselect_b64 vcc, -1, 0
	v_cndmask_b32_e32 v93, v19, v21, vcc
	s_cmp_eq_u32 s50, 0
	v_cndmask_b32_e32 v92, v18, v20, vcc
	global_store_dwordx4 v[92:93], v[12:15], off
	v_lshl_add_u64 v[92:93], v[92:93], 0, s[56:57]
	s_cselect_b64 s[24:25], -1, 0
	s_and_b64 s[26:27], exec, s[48:49]
	s_mov_b64 s[50:51], 1
	s_mov_b64 s[48:49], 0
	v_cndmask_b32_e32 v21, v21, v93, vcc
	v_cndmask_b32_e32 v20, v20, v92, vcc
	v_cndmask_b32_e64 v19, v19, v93, s[24:25]
	v_cndmask_b32_e64 v18, v18, v92, s[24:25]
	s_mov_b64 vcc, s[26:27]
	s_cbranch_vccnz .LBB6_1782
; %bb.1783:                             ;   in Loop: Header=BB6_1775 Depth=4
	v_sub_u32_e32 v60, v60, v52
	s_and_saveexec_b64 s[24:25], s[38:39]
	s_cbranch_execz .LBB6_1774
; %bb.1784:                             ;   in Loop: Header=BB6_1775 Depth=4
	v_lshl_add_u64 v[18:19], v[18:19], 0, v[80:81]
	v_lshl_add_u64 v[20:21], v[20:21], 0, v[80:81]
	;; [unrolled: 1-line block ×3, first 2 shown]
	v_sub_u32_e32 v61, v61, v73
	v_sub_u32_e32 v60, v60, v52
	s_branch .LBB6_1774
.LBB6_1785:                             ;   in Loop: Header=BB6_1672 Depth=3
	s_or_b64 exec, exec, s[34:35]
	s_and_b64 s[24:25], s[36:37], exec
.LBB6_1786:                             ;   in Loop: Header=BB6_1672 Depth=3
	s_or_b64 exec, exec, s[30:31]
	s_and_saveexec_b64 s[30:31], s[24:25]
	s_cbranch_execz .LBB6_1789
; %bb.1787:                             ;   in Loop: Header=BB6_1672 Depth=3
	s_mov_b64 s[36:37], 0
	s_mov_b64 s[34:35], -1
.LBB6_1788:                             ;   Parent Loop BB6_47 Depth=1
                                        ;     Parent Loop BB6_1669 Depth=2
                                        ;       Parent Loop BB6_1672 Depth=3
                                        ; =>      This Inner Loop Header: Depth=4
	s_cmp_eq_u32 s36, 1
	s_cselect_b64 vcc, -1, 0
	v_cndmask_b32_e32 v13, v19, v21, vcc
	s_cmp_eq_u32 s36, 0
	v_cndmask_b32_e32 v12, v18, v20, vcc
	global_store_dwordx4 v[12:13], v[8:11], off
	v_lshl_add_u64 v[12:13], v[12:13], 0, s[56:57]
	s_cselect_b64 s[24:25], -1, 0
	s_and_b64 s[26:27], exec, s[34:35]
	s_mov_b64 s[36:37], 1
	s_mov_b64 s[34:35], 0
	v_cndmask_b32_e32 v21, v21, v13, vcc
	v_cndmask_b32_e32 v20, v20, v12, vcc
	v_cndmask_b32_e64 v19, v19, v13, s[24:25]
	v_cndmask_b32_e64 v18, v18, v12, s[24:25]
	s_mov_b64 vcc, s[26:27]
	s_cbranch_vccnz .LBB6_1788
.LBB6_1789:                             ;   in Loop: Header=BB6_1672 Depth=3
	s_or_b64 exec, exec, s[30:31]
	v_and_b32_e32 v9, 14, v41
	v_cndmask_b32_e64 v19, v59, v9, s[22:23]
	v_cmp_ne_u32_e32 vcc, 0, v19
	s_mov_b64 s[24:25], s[92:93]
                                        ; implicit-def: $vgpr18
                                        ; implicit-def: $vgpr8
                                        ; implicit-def: $vgpr20
	s_and_saveexec_b64 s[26:27], vcc
	s_cbranch_execz .LBB6_1791
; %bb.1790:                             ;   in Loop: Header=BB6_1672 Depth=3
	v_sub_u32_e32 v8, v59, v9
	v_cndmask_b32_e64 v8, 0, v8, s[22:23]
	v_cmp_lt_i32_e32 vcc, 0, v60
	v_add3_u32 v18, v58, v56, v8
	s_or_b64 s[24:25], s[92:93], exec
	v_cndmask_b32_e32 v8, 0, v52, vcc
	v_sub_u32_e32 v8, v8, v60
	v_lshl_add_u32 v8, v8, 6, v57
	v_ashrrev_i32_e32 v9, 31, v8
	v_lshrrev_b32_e32 v9, 26, v9
	v_add_u32_e32 v9, v8, v9
	v_and_b32_e32 v9, 0xffffffc0, v9
	v_sub_u32_e32 v20, v8, v9
.LBB6_1791:                             ;   in Loop: Header=BB6_1672 Depth=3
	s_or_b64 exec, exec, s[26:27]
	s_andn2_b64 s[22:23], s[92:93], exec
	s_and_b64 s[24:25], s[24:25], exec
	s_or_b64 s[92:93], s[22:23], s[24:25]
.LBB6_1792:                             ;   in Loop: Header=BB6_1672 Depth=3
	s_or_b64 exec, exec, s[94:95]
	s_and_saveexec_b64 s[26:27], s[92:93]
	s_cbranch_execz .LBB6_1818
.LBB6_1793:                             ;   in Loop: Header=BB6_1672 Depth=3
	v_ashrrev_i32_e32 v9, 31, v8
	v_lshrrev_b32_e32 v9, 26, v9
	v_add_u32_e32 v8, v8, v9
	v_ashrrev_i32_e32 v14, 6, v8
	v_lshlrev_b32_e32 v8, 9, v14
	v_lshlrev_b32_e32 v9, 1, v20
	v_add3_u32 v12, v18, v9, v8
	v_ashrrev_i32_e32 v8, 31, v19
	v_lshrrev_b32_e32 v8, 23, v8
	v_add_u32_e32 v8, v19, v8
	v_ashrrev_i32_e32 v21, 9, v8
	v_ashrrev_i32_e32 v13, 31, v12
	v_sub_u32_e32 v14, v21, v14
	v_lshl_add_u64 v[10:11], v[46:47], 0, v[12:13]
	v_lshl_add_u64 v[8:9], v[16:17], 0, v[12:13]
	v_cmp_lt_i32_e32 vcc, 0, v14
	s_mov_b64 s[24:25], 0
                                        ; implicit-def: $vgpr22
                                        ; implicit-def: $vgpr23
                                        ; implicit-def: $vgpr41
                                        ; implicit-def: $vgpr56
	s_and_saveexec_b64 s[22:23], vcc
	s_cbranch_execz .LBB6_1801
; %bb.1794:                             ;   in Loop: Header=BB6_1672 Depth=3
	v_lshl_add_u64 v[12:13], v[12:13], 0, v[44:45]
	s_mov_b64 s[94:95], 0
                                        ; implicit-def: $sgpr92_sgpr93
                                        ; implicit-def: $vgpr22
                                        ; implicit-def: $vgpr23
                                        ; implicit-def: $vgpr41
                                        ; implicit-def: $vgpr56
	s_branch .LBB6_1796
.LBB6_1795:                             ;   in Loop: Header=BB6_1796 Depth=4
	s_or_b64 exec, exec, vcc
	v_lshl_add_u64 v[12:13], v[12:13], 0, v[14:15]
	v_sub_u32_e32 v14, v61, v91
	v_cmp_gt_i32_e32 vcc, 1, v14
	s_waitcnt vmcnt(0) lgkmcnt(0)
	flat_store_short v[10:11], v57 nt
	flat_store_short v[10:11], v58 offset:128 nt
	flat_store_short v[10:11], v59 offset:256 nt
	;; [unrolled: 1-line block ×3, first 2 shown]
	v_lshl_add_u64 v[10:11], v[10:11], 0, s[58:59]
	flat_store_short v[8:9], v57 nt
	flat_store_short v[8:9], v58 offset:128 nt
	flat_store_short v[8:9], v59 offset:256 nt
	;; [unrolled: 1-line block ×3, first 2 shown]
	v_lshl_add_u64 v[8:9], v[8:9], 0, s[58:59]
	s_or_b64 s[24:25], vcc, s[24:25]
	v_lshl_add_u64 v[58:59], v[10:11], 0, v[70:71]
	v_lshl_add_u64 v[92:93], v[8:9], 0, v[70:71]
	s_andn2_b64 s[92:93], s[92:93], exec
	s_and_b64 vcc, s[94:95], exec
	v_cndmask_b32_e64 v11, v11, v59, s[94:95]
	v_cndmask_b32_e64 v10, v10, v58, s[94:95]
	;; [unrolled: 1-line block ×4, first 2 shown]
	s_or_b64 s[92:93], s[92:93], vcc
	s_andn2_b64 exec, exec, s[24:25]
	s_cbranch_execz .LBB6_1800
.LBB6_1796:                             ;   Parent Loop BB6_47 Depth=1
                                        ;     Parent Loop BB6_1669 Depth=2
                                        ;       Parent Loop BB6_1672 Depth=3
                                        ; =>      This Inner Loop Header: Depth=4
	flat_load_ushort v57, v[12:13] nt
	flat_load_ushort v58, v[12:13] offset:128 nt
	flat_load_ushort v59, v[12:13] offset:256 nt
	;; [unrolled: 1-line block ×3, first 2 shown]
	s_and_saveexec_b64 vcc, s[94:95]
	s_cbranch_execz .LBB6_1798
; %bb.1797:                             ;   in Loop: Header=BB6_1796 Depth=4
	flat_store_short v[10:11], v22 nt
	flat_store_short v[10:11], v23 offset:128 nt
	flat_store_short v[10:11], v41 offset:256 nt
	;; [unrolled: 1-line block ×3, first 2 shown]
	flat_store_short v[8:9], v22 nt
	flat_store_short v[8:9], v23 offset:128 nt
	flat_store_short v[8:9], v41 offset:256 nt
	;; [unrolled: 1-line block ×3, first 2 shown]
	v_lshl_add_u64 v[10:11], v[10:11], 0, v[86:87]
	v_lshl_add_u64 v[8:9], v[8:9], 0, v[86:87]
.LBB6_1798:                             ;   in Loop: Header=BB6_1796 Depth=4
	s_or_b64 exec, exec, vcc
	v_sub_u32_e32 v61, v14, v52
	v_lshl_add_u64 v[12:13], v[12:13], 0, v[86:87]
	v_mov_b32_e32 v91, 0
	v_cmp_lt_i32_e64 s[94:95], 0, v61
	v_mov_b64_e32 v[14:15], 0
	s_and_saveexec_b64 vcc, s[94:95]
	s_cbranch_execz .LBB6_1795
; %bb.1799:                             ;   in Loop: Header=BB6_1796 Depth=4
	flat_load_ushort v22, v[12:13] nt
	flat_load_ushort v23, v[12:13] offset:128 nt
	flat_load_ushort v41, v[12:13] offset:256 nt
	;; [unrolled: 1-line block ×3, first 2 shown]
	v_lshl_add_u64 v[12:13], v[12:13], 0, s[58:59]
	v_mov_b32_e32 v91, v52
	v_mov_b64_e32 v[14:15], v[70:71]
	s_branch .LBB6_1795
.LBB6_1800:                             ;   in Loop: Header=BB6_1672 Depth=3
	s_or_b64 exec, exec, s[24:25]
	s_and_b64 s[24:25], s[92:93], exec
.LBB6_1801:                             ;   in Loop: Header=BB6_1672 Depth=3
	s_or_b64 exec, exec, s[22:23]
	s_and_saveexec_b64 s[22:23], s[24:25]
	s_cbranch_execz .LBB6_1803
; %bb.1802:                             ;   in Loop: Header=BB6_1672 Depth=3
	flat_store_short v[10:11], v22 nt
	flat_store_short v[10:11], v23 offset:128 nt
	flat_store_short v[10:11], v41 offset:256 nt
	;; [unrolled: 1-line block ×3, first 2 shown]
	flat_store_short v[8:9], v22 nt
	flat_store_short v[8:9], v23 offset:128 nt
	flat_store_short v[8:9], v41 offset:256 nt
	flat_store_short v[8:9], v56 offset:384 nt
.LBB6_1803:                             ;   in Loop: Header=BB6_1672 Depth=3
	s_or_b64 exec, exec, s[22:23]
	v_lshlrev_b32_e32 v8, 9, v21
	v_cmp_ne_u32_e32 vcc, v19, v8
	s_and_b64 exec, exec, vcc
	s_cbranch_execz .LBB6_1818
; %bb.1804:                             ;   in Loop: Header=BB6_1672 Depth=3
	v_lshlrev_b32_e32 v9, 6, v14
	v_sub_u32_e32 v9, v20, v9
	v_ashrrev_i32_e32 v10, 31, v9
	v_lshrrev_b32_e32 v10, 26, v10
	v_add_u32_e32 v10, v9, v10
	v_and_b32_e32 v11, 0x7fffffc0, v10
	v_sub_u32_e32 v9, v9, v11
	v_lshlrev_b32_e32 v10, 1, v10
	v_and_b32_e32 v10, 0xffffff80, v10
	v_lshlrev_b32_e32 v9, 1, v9
	v_add3_u32 v8, v10, v9, v8
	v_sub_u32_e32 v19, v19, v8
	v_cmp_lt_i32_e32 vcc, 1, v19
	s_and_b64 exec, exec, vcc
	s_cbranch_execz .LBB6_1818
; %bb.1805:                             ;   in Loop: Header=BB6_1672 Depth=3
	v_add_u32_e32 v12, v8, v18
	v_ashrrev_i32_e32 v13, 31, v12
	v_lshl_add_u64 v[8:9], v[46:47], 0, v[12:13]
	v_lshl_add_u64 v[10:11], v[16:17], 0, v[12:13]
	v_lshl_add_u64 v[12:13], v[12:13], 0, v[44:45]
	s_mov_b64 s[30:31], 0
	s_mov_b64 s[92:93], 0
                                        ; implicit-def: $sgpr94_sgpr95
                                        ; implicit-def: $vgpr18
.LBB6_1806:                             ;   Parent Loop BB6_47 Depth=1
                                        ;     Parent Loop BB6_1669 Depth=2
                                        ;       Parent Loop BB6_1672 Depth=3
                                        ; =>      This Loop Header: Depth=4
                                        ;           Child Loop BB6_1808 Depth 5
                                        ;           Child Loop BB6_1813 Depth 5
	flat_load_ushort v14, v[12:13] nt
	s_and_saveexec_b64 s[34:35], s[30:31]
	s_cbranch_execz .LBB6_1810
; %bb.1807:                             ;   in Loop: Header=BB6_1806 Depth=4
	s_mov_b64 s[36:37], 0
	s_mov_b64 s[30:31], -1
.LBB6_1808:                             ;   Parent Loop BB6_47 Depth=1
                                        ;     Parent Loop BB6_1669 Depth=2
                                        ;       Parent Loop BB6_1672 Depth=3
                                        ;         Parent Loop BB6_1806 Depth=4
                                        ; =>        This Inner Loop Header: Depth=5
	s_cmp_eq_u32 s36, 1
	s_cselect_b64 vcc, -1, 0
	v_cndmask_b32_e32 v17, v9, v11, vcc
	s_cmp_eq_u32 s36, 0
	v_cndmask_b32_e32 v16, v8, v10, vcc
	flat_store_short v[16:17], v18 nt
	v_lshl_add_u64 v[16:17], v[16:17], 0, s[60:61]
	s_cselect_b64 s[22:23], -1, 0
	s_and_b64 s[24:25], exec, s[30:31]
	s_mov_b64 s[36:37], 1
	s_mov_b64 s[30:31], 0
	v_cndmask_b32_e32 v11, v11, v17, vcc
	v_cndmask_b32_e32 v10, v10, v16, vcc
	v_cndmask_b32_e64 v9, v9, v17, s[22:23]
	v_cndmask_b32_e64 v8, v8, v16, s[22:23]
	s_mov_b64 vcc, s[24:25]
	s_cbranch_vccnz .LBB6_1808
; %bb.1809:                             ;   in Loop: Header=BB6_1806 Depth=4
	v_lshl_add_u64 v[8:9], v[8:9], 0, v[82:83]
	v_lshl_add_u64 v[10:11], v[10:11], 0, v[82:83]
.LBB6_1810:                             ;   in Loop: Header=BB6_1806 Depth=4
	s_or_b64 exec, exec, s[34:35]
	v_sub_u32_e32 v19, v19, v74
	v_lshl_add_u64 v[12:13], v[98:99], 0, v[12:13]
	v_cmp_lt_i32_e64 s[30:31], 1, v19
	s_and_saveexec_b64 s[22:23], s[30:31]
	s_cbranch_execz .LBB6_1812
; %bb.1811:                             ;   in Loop: Header=BB6_1806 Depth=4
	flat_load_ushort v18, v[12:13] nt
	v_lshl_add_u64 v[12:13], v[12:13], 0, s[60:61]
.LBB6_1812:                             ;   in Loop: Header=BB6_1806 Depth=4
	s_or_b64 exec, exec, s[22:23]
	s_mov_b64 s[36:37], 0
	s_mov_b64 s[34:35], -1
	s_waitcnt vmcnt(0)
.LBB6_1813:                             ;   Parent Loop BB6_47 Depth=1
                                        ;     Parent Loop BB6_1669 Depth=2
                                        ;       Parent Loop BB6_1672 Depth=3
                                        ;         Parent Loop BB6_1806 Depth=4
                                        ; =>        This Inner Loop Header: Depth=5
	s_cmp_eq_u32 s36, 1
	s_cselect_b64 vcc, -1, 0
	v_cndmask_b32_e32 v17, v9, v11, vcc
	s_cmp_eq_u32 s36, 0
	v_cndmask_b32_e32 v16, v8, v10, vcc
	s_waitcnt lgkmcnt(0)
	flat_store_short v[16:17], v14 nt
	v_lshl_add_u64 v[16:17], v[16:17], 0, s[60:61]
	s_cselect_b64 s[22:23], -1, 0
	s_and_b64 s[24:25], exec, s[34:35]
	s_mov_b64 s[36:37], 1
	s_mov_b64 s[34:35], 0
	v_cndmask_b32_e32 v11, v11, v17, vcc
	v_cndmask_b32_e32 v10, v10, v16, vcc
	v_cndmask_b32_e64 v9, v9, v17, s[22:23]
	v_cndmask_b32_e64 v8, v8, v16, s[22:23]
	s_mov_b64 vcc, s[24:25]
	s_cbranch_vccnz .LBB6_1813
; %bb.1814:                             ;   in Loop: Header=BB6_1806 Depth=4
	v_cndmask_b32_e64 v21, 0, v83, s[30:31]
	v_cndmask_b32_e64 v20, 0, v82, s[30:31]
	v_lshl_add_u64 v[12:13], v[12:13], 0, v[20:21]
	v_cndmask_b32_e64 v20, 0, v74, s[30:31]
	v_sub_u32_e32 v19, v19, v20
	v_cmp_gt_i32_e32 vcc, 2, v19
	s_or_b64 s[92:93], vcc, s[92:93]
	v_lshl_add_u64 v[14:15], v[8:9], 0, v[82:83]
	v_lshl_add_u64 v[16:17], v[10:11], 0, v[82:83]
	s_andn2_b64 s[22:23], s[94:95], exec
	s_and_b64 s[24:25], s[30:31], exec
	v_cndmask_b32_e64 v11, v11, v17, s[30:31]
	v_cndmask_b32_e64 v10, v10, v16, s[30:31]
	;; [unrolled: 1-line block ×4, first 2 shown]
	s_or_b64 s[94:95], s[22:23], s[24:25]
	s_andn2_b64 exec, exec, s[92:93]
	s_cbranch_execnz .LBB6_1806
; %bb.1815:                             ;   in Loop: Header=BB6_1672 Depth=3
	s_or_b64 exec, exec, s[92:93]
	s_and_b64 exec, exec, s[94:95]
	s_cbranch_execz .LBB6_1818
; %bb.1816:                             ;   in Loop: Header=BB6_1672 Depth=3
	s_mov_b64 s[94:95], 0
	s_mov_b64 s[92:93], -1
.LBB6_1817:                             ;   Parent Loop BB6_47 Depth=1
                                        ;     Parent Loop BB6_1669 Depth=2
                                        ;       Parent Loop BB6_1672 Depth=3
                                        ; =>      This Inner Loop Header: Depth=4
	s_cmp_eq_u32 s94, 1
	s_cselect_b64 vcc, -1, 0
	v_cndmask_b32_e32 v9, v15, v17, vcc
	s_cmp_eq_u32 s94, 0
	v_cndmask_b32_e32 v8, v14, v16, vcc
	flat_store_short v[8:9], v18 nt
	v_lshl_add_u64 v[8:9], v[8:9], 0, s[60:61]
	s_cselect_b64 s[22:23], -1, 0
	s_and_b64 s[24:25], exec, s[92:93]
	s_mov_b64 s[94:95], 1
	s_mov_b64 s[92:93], 0
	v_cndmask_b32_e64 v15, v15, v9, s[22:23]
	v_cndmask_b32_e64 v14, v14, v8, s[22:23]
	v_cndmask_b32_e32 v17, v17, v9, vcc
	v_cndmask_b32_e32 v16, v16, v8, vcc
	s_mov_b64 vcc, s[24:25]
	s_cbranch_vccnz .LBB6_1817
.LBB6_1818:                             ;   in Loop: Header=BB6_1672 Depth=3
	s_or_b64 exec, exec, s[26:27]
	s_mov_b64 s[22:23], 0
.LBB6_1819:                             ;   in Loop: Header=BB6_1672 Depth=3
	s_and_b64 vcc, exec, s[22:23]
	s_cbranch_vccz .LBB6_1833
; %bb.1820:                             ;   in Loop: Header=BB6_1672 Depth=3
	s_mov_b64 s[22:23], -1
	s_and_saveexec_b64 s[24:25], s[16:17]
	s_cbranch_execz .LBB6_1822
; %bb.1821:                             ;   in Loop: Header=BB6_1672 Depth=3
	ds_read_b32 v8, v0 offset:720
	s_waitcnt lgkmcnt(0)
	v_and_b32_e32 v8, 15, v8
	v_cmp_eq_u32_e32 vcc, 0, v8
	s_orn2_b64 s[22:23], vcc, exec
.LBB6_1822:                             ;   in Loop: Header=BB6_1672 Depth=3
	s_or_b64 exec, exec, s[24:25]
	s_and_saveexec_b64 s[24:25], s[14:15]
	s_cbranch_execz .LBB6_1824
; %bb.1823:                             ;   in Loop: Header=BB6_1672 Depth=3
	ds_read_b32 v8, v0 offset:784
	s_waitcnt lgkmcnt(0)
	v_and_b32_e32 v8, 15, v8
	v_cmp_eq_u32_e32 vcc, 0, v8
	s_and_b64 s[26:27], s[22:23], vcc
	s_andn2_b64 s[22:23], s[22:23], exec
	s_and_b64 s[26:27], s[26:27], exec
	s_or_b64 s[22:23], s[22:23], s[26:27]
.LBB6_1824:                             ;   in Loop: Header=BB6_1672 Depth=3
	s_or_b64 exec, exec, s[24:25]
	s_xor_b64 s[22:23], s[22:23], -1
	v_cndmask_b32_e64 v8, 0, 1, s[22:23]
	s_mov_b64 s[26:27], -1
	v_cmp_ne_u32_e32 vcc, 0, v8
	s_cbranch_vccz .LBB6_1834
; %bb.1825:                             ;   in Loop: Header=BB6_1672 Depth=3
	s_mov_b64 s[24:25], -1
	v_mov_b32_e32 v14, 0
	s_cbranch_execnz .LBB6_1835
.LBB6_1826:                             ;   in Loop: Header=BB6_1672 Depth=3
	v_ashrrev_i32_e32 v8, 31, v119
	v_lshrrev_b32_e32 v8, 21, v8
	v_add_u32_e32 v8, v119, v8
	v_ashrrev_i32_e32 v41, 11, v8
	v_sub_u32_e32 v60, v41, v72
	v_lshl_add_u64 v[56:57], v[46:47], 0, v[66:67]
	v_cmp_lt_i32_e32 vcc, 0, v60
	s_mov_b64 s[26:27], 0
                                        ; implicit-def: $vgpr8_vgpr9
                                        ; implicit-def: $vgpr12_vgpr13
	s_and_saveexec_b64 s[22:23], vcc
	s_cbranch_execz .LBB6_1837
; %bb.1827:                             ;   in Loop: Header=BB6_1672 Depth=3
	v_lshl_add_u64 v[58:59], v[44:45], 0, v[66:67]
	s_mov_b64 s[94:95], 0
                                        ; implicit-def: $sgpr92_sgpr93
                                        ; implicit-def: $vgpr8_vgpr9
                                        ; implicit-def: $vgpr12_vgpr13
	s_branch .LBB6_1829
.LBB6_1828:                             ;   in Loop: Header=BB6_1829 Depth=4
	s_or_b64 exec, exec, vcc
	s_waitcnt vmcnt(0)
	global_store_dwordx4 v[56:57], v[16:19], off
	global_store_dwordx4 v[56:57], v[20:23], off offset:1024
	v_lshl_add_u64 v[58:59], v[58:59], 0, v[60:61]
	v_lshl_add_u64 v[16:17], v[56:57], 0, v[60:61]
	v_sub_u32_e32 v60, v91, v92
	v_cmp_gt_i32_e32 vcc, 1, v60
	s_or_b64 s[26:27], vcc, s[26:27]
	s_andn2_b64 s[92:93], s[92:93], exec
	s_and_b64 vcc, s[94:95], exec
	v_lshl_add_u64 v[56:57], v[16:17], 0, s[46:47]
	s_or_b64 s[92:93], s[92:93], vcc
	s_andn2_b64 exec, exec, s[26:27]
	s_cbranch_execz .LBB6_1836
.LBB6_1829:                             ;   Parent Loop BB6_47 Depth=1
                                        ;     Parent Loop BB6_1669 Depth=2
                                        ;       Parent Loop BB6_1672 Depth=3
                                        ; =>      This Inner Loop Header: Depth=4
	global_load_dwordx4 v[16:19], v[58:59], off nt
	global_load_dwordx4 v[20:23], v[58:59], off offset:1024 nt
	s_and_saveexec_b64 vcc, s[94:95]
	s_cbranch_execz .LBB6_1831
; %bb.1830:                             ;   in Loop: Header=BB6_1829 Depth=4
	v_lshl_add_u64 v[92:93], v[56:57], 0, v[84:85]
	global_store_dwordx4 v[56:57], v[8:11], off
	global_store_dwordx4 v[56:57], v[12:15], off offset:1024
	v_mov_b64_e32 v[56:57], v[92:93]
.LBB6_1831:                             ;   in Loop: Header=BB6_1829 Depth=4
	s_or_b64 exec, exec, vcc
	v_sub_u32_e32 v91, v60, v52
	v_lshl_add_u64 v[58:59], v[58:59], 0, v[84:85]
	v_mov_b32_e32 v92, 0
	v_cmp_lt_i32_e64 s[94:95], 0, v91
	v_mov_b64_e32 v[60:61], 0
	s_and_saveexec_b64 vcc, s[94:95]
	s_cbranch_execz .LBB6_1828
; %bb.1832:                             ;   in Loop: Header=BB6_1829 Depth=4
	global_load_dwordx4 v[8:11], v[58:59], off nt
	global_load_dwordx4 v[12:15], v[58:59], off offset:1024 nt
	v_lshl_add_u64 v[58:59], v[58:59], 0, s[46:47]
	v_mov_b32_e32 v92, v52
	v_mov_b64_e32 v[60:61], v[68:69]
	s_branch .LBB6_1828
.LBB6_1833:                             ;   in Loop: Header=BB6_1672 Depth=3
	v_cmp_lt_i32_e64 s[22:23], 0, v2
	s_and_saveexec_b64 s[24:25], s[4:5]
	s_cbranch_execnz .LBB6_1877
	s_branch .LBB6_1761
.LBB6_1834:                             ;   in Loop: Header=BB6_1672 Depth=3
	s_mov_b64 s[24:25], 0
	s_andn2_b64 vcc, exec, s[26:27]
	v_mov_b32_e32 v14, 0
	s_cbranch_vccz .LBB6_1826
.LBB6_1835:                             ;   in Loop: Header=BB6_1672 Depth=3
	v_mov_b32_e32 v8, v0
	v_mov_b32_e32 v15, v63
	s_and_saveexec_b64 s[22:23], s[24:25]
	s_cbranch_execnz .LBB6_1856
	s_branch .LBB6_1876
.LBB6_1836:                             ;   in Loop: Header=BB6_1672 Depth=3
	s_or_b64 exec, exec, s[26:27]
	s_and_b64 s[26:27], s[92:93], exec
.LBB6_1837:                             ;   in Loop: Header=BB6_1672 Depth=3
	s_or_b64 exec, exec, s[22:23]
	s_and_saveexec_b64 s[22:23], s[26:27]
	s_cbranch_execz .LBB6_1839
; %bb.1838:                             ;   in Loop: Header=BB6_1672 Depth=3
	global_store_dwordx4 v[56:57], v[8:11], off
	global_store_dwordx4 v[56:57], v[12:15], off offset:1024
.LBB6_1839:                             ;   in Loop: Header=BB6_1672 Depth=3
	s_or_b64 exec, exec, s[22:23]
	v_lshlrev_b32_e32 v20, 11, v41
	v_cmp_ne_u32_e32 vcc, v119, v20
                                        ; implicit-def: $vgpr14
                                        ; implicit-def: $vgpr8
                                        ; implicit-def: $vgpr15
	s_and_saveexec_b64 s[26:27], vcc
	s_cbranch_execz .LBB6_1855
; %bb.1840:                             ;   in Loop: Header=BB6_1672 Depth=3
	v_lshlrev_b32_e32 v9, 6, v60
	v_sub_u32_e32 v9, v63, v9
	v_ashrrev_i32_e32 v10, 31, v9
	v_lshrrev_b32_e32 v10, 26, v10
	v_add_u32_e32 v10, v9, v10
	v_ashrrev_i32_e32 v11, 6, v10
	v_and_b32_e32 v10, 0xffffffc0, v10
	v_sub_u32_e32 v21, v9, v10
	v_lshlrev_b32_e32 v9, 4, v21
	v_sub_u32_e32 v8, v119, v20
	v_lshl_add_u32 v9, v11, 10, v9
	v_add_u32_e32 v10, v9, v20
	v_sub_u32_e32 v56, v8, v9
	v_ashrrev_i32_e32 v9, 31, v8
	v_lshrrev_b32_e32 v9, 22, v9
	v_add_u32_e32 v9, v8, v9
	v_and_b32_e32 v22, 0xfffffc00, v9
	v_sub_u32_e32 v41, v8, v22
	v_ashrrev_i32_e32 v12, 10, v9
	v_cmp_lt_i32_e32 vcc, 15, v41
	s_mov_b64 s[94:95], 0
	s_nop 0
	v_addc_co_u32_e64 v8, s[22:23], 0, v12, vcc
	v_sub_u32_e32 v23, v8, v11
	v_ashrrev_i32_e32 v11, 31, v10
	v_lshl_add_u64 v[16:17], v[10:11], 0, v[46:47]
	v_cmp_lt_i32_e64 s[22:23], 15, v56
                                        ; implicit-def: $vgpr8_vgpr9
	s_and_saveexec_b64 s[92:93], s[22:23]
	s_cbranch_execz .LBB6_1850
; %bb.1841:                             ;   in Loop: Header=BB6_1672 Depth=3
	v_lshl_add_u64 v[18:19], v[10:11], 0, v[44:45]
	s_mov_b64 s[34:35], 0
                                        ; implicit-def: $sgpr30_sgpr31
                                        ; implicit-def: $vgpr8_vgpr9
	s_branch .LBB6_1843
.LBB6_1842:                             ;   in Loop: Header=BB6_1843 Depth=4
	s_or_b64 exec, exec, s[22:23]
	v_cmp_gt_i32_e64 s[22:23], 16, v56
	s_or_b64 s[94:95], s[22:23], s[94:95]
	s_andn2_b64 s[22:23], s[30:31], exec
	s_and_b64 s[30:31], s[34:35], exec
	s_or_b64 s[30:31], s[22:23], s[30:31]
	s_andn2_b64 exec, exec, s[94:95]
	s_cbranch_execz .LBB6_1849
.LBB6_1843:                             ;   Parent Loop BB6_47 Depth=1
                                        ;     Parent Loop BB6_1669 Depth=2
                                        ;       Parent Loop BB6_1672 Depth=3
                                        ; =>      This Inner Loop Header: Depth=4
	global_load_dwordx4 v[12:15], v[18:19], off nt
	s_and_saveexec_b64 s[22:23], s[34:35]
	s_cbranch_execz .LBB6_1845
; %bb.1844:                             ;   in Loop: Header=BB6_1843 Depth=4
	v_lshl_add_u64 v[58:59], v[16:17], 0, v[96:97]
	global_store_dwordx4 v[16:17], v[8:11], off
	v_mov_b64_e32 v[16:17], v[58:59]
.LBB6_1845:                             ;   in Loop: Header=BB6_1843 Depth=4
	s_or_b64 exec, exec, s[22:23]
	v_sub_u32_e32 v56, v56, v73
	v_lshl_add_u64 v[18:19], v[18:19], 0, v[96:97]
	v_cmp_lt_i32_e64 s[34:35], 15, v56
	s_and_saveexec_b64 s[22:23], s[34:35]
	s_cbranch_execz .LBB6_1847
; %bb.1846:                             ;   in Loop: Header=BB6_1843 Depth=4
	global_load_dwordx4 v[8:11], v[18:19], off nt
	v_lshl_add_u64 v[18:19], v[18:19], 0, s[56:57]
.LBB6_1847:                             ;   in Loop: Header=BB6_1843 Depth=4
	s_or_b64 exec, exec, s[22:23]
	v_sub_u32_e32 v23, v23, v52
	s_waitcnt vmcnt(0)
	global_store_dwordx4 v[16:17], v[12:15], off
	v_lshl_add_u64 v[16:17], v[16:17], 0, s[56:57]
	s_and_saveexec_b64 s[22:23], s[34:35]
	s_cbranch_execz .LBB6_1842
; %bb.1848:                             ;   in Loop: Header=BB6_1843 Depth=4
	v_sub_u32_e32 v23, v23, v52
	v_sub_u32_e32 v56, v56, v73
	v_lshl_add_u64 v[18:19], v[18:19], 0, v[80:81]
	v_lshl_add_u64 v[16:17], v[16:17], 0, v[80:81]
	s_branch .LBB6_1842
.LBB6_1849:                             ;   in Loop: Header=BB6_1672 Depth=3
	s_or_b64 exec, exec, s[94:95]
	s_and_b64 s[94:95], s[30:31], exec
.LBB6_1850:                             ;   in Loop: Header=BB6_1672 Depth=3
	s_or_b64 exec, exec, s[92:93]
	s_and_saveexec_b64 s[22:23], s[94:95]
	s_cbranch_execz .LBB6_1852
; %bb.1851:                             ;   in Loop: Header=BB6_1672 Depth=3
	global_store_dwordx4 v[16:17], v[8:11], off
.LBB6_1852:                             ;   in Loop: Header=BB6_1672 Depth=3
	s_or_b64 exec, exec, s[22:23]
	s_nop 0
	v_and_b32_e32 v9, 14, v119
	v_cndmask_b32_e32 v119, v41, v9, vcc
	v_cmp_ne_u32_e64 s[22:23], 0, v119
	s_mov_b64 s[94:95], s[24:25]
                                        ; implicit-def: $vgpr14
                                        ; implicit-def: $vgpr8
                                        ; implicit-def: $vgpr15
	s_and_saveexec_b64 s[92:93], s[22:23]
	s_cbranch_execz .LBB6_1854
; %bb.1853:                             ;   in Loop: Header=BB6_1672 Depth=3
	v_sub_u32_e32 v8, v41, v9
	v_cndmask_b32_e32 v8, 0, v8, vcc
	v_cmp_lt_i32_e32 vcc, 0, v23
	v_add3_u32 v14, v22, v20, v8
	s_or_b64 s[94:95], s[24:25], exec
	v_cndmask_b32_e32 v8, 0, v52, vcc
	v_sub_u32_e32 v8, v8, v23
	v_lshl_add_u32 v8, v8, 6, v21
	v_ashrrev_i32_e32 v9, 31, v8
	v_lshrrev_b32_e32 v9, 26, v9
	v_add_u32_e32 v9, v8, v9
	v_and_b32_e32 v9, 0xffffffc0, v9
	v_sub_u32_e32 v15, v8, v9
.LBB6_1854:                             ;   in Loop: Header=BB6_1672 Depth=3
	s_or_b64 exec, exec, s[92:93]
	s_andn2_b64 s[22:23], s[24:25], exec
	s_and_b64 s[24:25], s[94:95], exec
	s_or_b64 s[24:25], s[22:23], s[24:25]
.LBB6_1855:                             ;   in Loop: Header=BB6_1672 Depth=3
	s_or_b64 exec, exec, s[26:27]
	s_and_saveexec_b64 s[22:23], s[24:25]
	s_cbranch_execz .LBB6_1876
.LBB6_1856:                             ;   in Loop: Header=BB6_1672 Depth=3
	v_ashrrev_i32_e32 v9, 31, v8
	v_lshrrev_b32_e32 v9, 26, v9
	v_add_u32_e32 v8, v8, v9
	v_ashrrev_i32_e32 v8, 6, v8
	v_lshlrev_b32_e32 v9, 9, v8
	v_lshlrev_b32_e32 v10, 1, v15
	v_add3_u32 v10, v14, v10, v9
	v_ashrrev_i32_e32 v9, 31, v119
	v_lshrrev_b32_e32 v9, 23, v9
	v_add_u32_e32 v9, v119, v9
	v_ashrrev_i32_e32 v16, 9, v9
	v_sub_u32_e32 v12, v16, v8
	v_ashrrev_i32_e32 v11, 31, v10
	v_lshl_add_u64 v[8:9], v[46:47], 0, v[10:11]
	v_cmp_lt_i32_e32 vcc, 0, v12
	s_mov_b64 s[26:27], 0
                                        ; implicit-def: $vgpr17
                                        ; implicit-def: $vgpr18
                                        ; implicit-def: $vgpr19
                                        ; implicit-def: $vgpr20
	s_and_saveexec_b64 s[24:25], vcc
	s_cbranch_execz .LBB6_1864
; %bb.1857:                             ;   in Loop: Header=BB6_1672 Depth=3
	v_lshl_add_u64 v[10:11], v[10:11], 0, v[44:45]
	s_mov_b64 s[94:95], 0
                                        ; implicit-def: $sgpr92_sgpr93
                                        ; implicit-def: $vgpr17
                                        ; implicit-def: $vgpr18
                                        ; implicit-def: $vgpr19
                                        ; implicit-def: $vgpr20
	s_branch .LBB6_1859
.LBB6_1858:                             ;   in Loop: Header=BB6_1859 Depth=4
	s_or_b64 exec, exec, vcc
	s_waitcnt vmcnt(0) lgkmcnt(0)
	flat_store_short v[8:9], v21 nt
	flat_store_short v[8:9], v22 offset:128 nt
	flat_store_short v[8:9], v23 offset:256 nt
	;; [unrolled: 1-line block ×3, first 2 shown]
	v_lshl_add_u64 v[8:9], v[8:9], 0, v[12:13]
	v_lshl_add_u64 v[10:11], v[10:11], 0, v[12:13]
	v_sub_u32_e32 v12, v56, v57
	v_cmp_gt_i32_e32 vcc, 1, v12
	s_or_b64 s[26:27], vcc, s[26:27]
	s_andn2_b64 s[92:93], s[92:93], exec
	s_and_b64 vcc, s[94:95], exec
	v_lshl_add_u64 v[8:9], v[8:9], 0, s[58:59]
	s_or_b64 s[92:93], s[92:93], vcc
	s_andn2_b64 exec, exec, s[26:27]
	s_cbranch_execz .LBB6_1863
.LBB6_1859:                             ;   Parent Loop BB6_47 Depth=1
                                        ;     Parent Loop BB6_1669 Depth=2
                                        ;       Parent Loop BB6_1672 Depth=3
                                        ; =>      This Inner Loop Header: Depth=4
	flat_load_ushort v21, v[10:11] nt
	flat_load_ushort v22, v[10:11] offset:128 nt
	flat_load_ushort v23, v[10:11] offset:256 nt
	;; [unrolled: 1-line block ×3, first 2 shown]
	s_and_saveexec_b64 vcc, s[94:95]
	s_cbranch_execz .LBB6_1861
; %bb.1860:                             ;   in Loop: Header=BB6_1859 Depth=4
	flat_store_short v[8:9], v17 nt
	flat_store_short v[8:9], v18 offset:128 nt
	flat_store_short v[8:9], v19 offset:256 nt
	;; [unrolled: 1-line block ×3, first 2 shown]
	v_lshl_add_u64 v[8:9], v[8:9], 0, v[86:87]
.LBB6_1861:                             ;   in Loop: Header=BB6_1859 Depth=4
	s_or_b64 exec, exec, vcc
	v_sub_u32_e32 v56, v12, v52
	v_lshl_add_u64 v[10:11], v[10:11], 0, v[86:87]
	v_mov_b32_e32 v57, 0
	v_cmp_lt_i32_e64 s[94:95], 0, v56
	v_mov_b64_e32 v[12:13], 0
	s_and_saveexec_b64 vcc, s[94:95]
	s_cbranch_execz .LBB6_1858
; %bb.1862:                             ;   in Loop: Header=BB6_1859 Depth=4
	flat_load_ushort v17, v[10:11] nt
	flat_load_ushort v18, v[10:11] offset:128 nt
	flat_load_ushort v19, v[10:11] offset:256 nt
	;; [unrolled: 1-line block ×3, first 2 shown]
	v_lshl_add_u64 v[10:11], v[10:11], 0, s[58:59]
	v_mov_b32_e32 v57, v52
	v_mov_b64_e32 v[12:13], v[70:71]
	s_branch .LBB6_1858
.LBB6_1863:                             ;   in Loop: Header=BB6_1672 Depth=3
	s_or_b64 exec, exec, s[26:27]
	s_and_b64 s[26:27], s[92:93], exec
.LBB6_1864:                             ;   in Loop: Header=BB6_1672 Depth=3
	s_or_b64 exec, exec, s[24:25]
	s_and_saveexec_b64 s[24:25], s[26:27]
	s_cbranch_execz .LBB6_1866
; %bb.1865:                             ;   in Loop: Header=BB6_1672 Depth=3
	flat_store_short v[8:9], v17 nt
	flat_store_short v[8:9], v18 offset:128 nt
	flat_store_short v[8:9], v19 offset:256 nt
	;; [unrolled: 1-line block ×3, first 2 shown]
.LBB6_1866:                             ;   in Loop: Header=BB6_1672 Depth=3
	s_or_b64 exec, exec, s[24:25]
	v_lshlrev_b32_e32 v8, 9, v16
	v_cmp_ne_u32_e32 vcc, v119, v8
	s_and_b64 exec, exec, vcc
	s_cbranch_execz .LBB6_1876
; %bb.1867:                             ;   in Loop: Header=BB6_1672 Depth=3
	v_lshlrev_b32_e32 v9, 6, v12
	v_sub_u32_e32 v9, v15, v9
	v_ashrrev_i32_e32 v10, 31, v9
	v_lshrrev_b32_e32 v10, 26, v10
	v_add_u32_e32 v10, v9, v10
	v_and_b32_e32 v11, 0x7fffffc0, v10
	v_sub_u32_e32 v9, v9, v11
	v_lshlrev_b32_e32 v10, 1, v10
	v_and_b32_e32 v10, 0xffffff80, v10
	v_lshlrev_b32_e32 v9, 1, v9
	v_add3_u32 v8, v10, v9, v8
	v_sub_u32_e32 v12, v119, v8
	v_cmp_lt_i32_e32 vcc, 1, v12
	s_and_b64 exec, exec, vcc
	s_cbranch_execz .LBB6_1876
; %bb.1868:                             ;   in Loop: Header=BB6_1672 Depth=3
	v_add_u32_e32 v10, v8, v14
	v_ashrrev_i32_e32 v11, 31, v10
	v_lshl_add_u64 v[8:9], v[46:47], 0, v[10:11]
	v_lshl_add_u64 v[10:11], v[10:11], 0, v[44:45]
	s_mov_b64 s[92:93], 0
	s_mov_b64 s[24:25], 0
                                        ; implicit-def: $sgpr26_sgpr27
                                        ; implicit-def: $vgpr14
	s_branch .LBB6_1870
.LBB6_1869:                             ;   in Loop: Header=BB6_1870 Depth=4
	s_or_b64 exec, exec, s[94:95]
	s_waitcnt vmcnt(0) lgkmcnt(0)
	flat_store_short v[8:9], v15 nt
	v_lshl_add_u64 v[8:9], v[8:9], 0, v[12:13]
	v_lshl_add_u64 v[10:11], v[10:11], 0, v[12:13]
	v_sub_u32_e32 v12, v16, v17
	v_cmp_gt_i32_e32 vcc, 2, v12
	s_or_b64 s[24:25], vcc, s[24:25]
	s_andn2_b64 s[26:27], s[26:27], exec
	s_and_b64 s[94:95], s[92:93], exec
	v_lshl_add_u64 v[8:9], v[8:9], 0, s[60:61]
	s_or_b64 s[26:27], s[26:27], s[94:95]
	s_andn2_b64 exec, exec, s[24:25]
	s_cbranch_execz .LBB6_1874
.LBB6_1870:                             ;   Parent Loop BB6_47 Depth=1
                                        ;     Parent Loop BB6_1669 Depth=2
                                        ;       Parent Loop BB6_1672 Depth=3
                                        ; =>      This Inner Loop Header: Depth=4
	flat_load_ushort v15, v[10:11] nt
	s_and_saveexec_b64 s[94:95], s[92:93]
	s_cbranch_execz .LBB6_1872
; %bb.1871:                             ;   in Loop: Header=BB6_1870 Depth=4
	v_lshl_add_u64 v[16:17], v[8:9], 0, v[98:99]
	flat_store_short v[8:9], v14 nt
	v_mov_b64_e32 v[8:9], v[16:17]
.LBB6_1872:                             ;   in Loop: Header=BB6_1870 Depth=4
	s_or_b64 exec, exec, s[94:95]
	v_sub_u32_e32 v16, v12, v74
	v_lshl_add_u64 v[10:11], v[10:11], 0, v[98:99]
	v_cmp_lt_i32_e64 s[92:93], 1, v16
	v_mov_b64_e32 v[12:13], 0
	v_mov_b32_e32 v17, 0
	s_and_saveexec_b64 s[94:95], s[92:93]
	s_cbranch_execz .LBB6_1869
; %bb.1873:                             ;   in Loop: Header=BB6_1870 Depth=4
	flat_load_ushort v14, v[10:11] nt
	v_lshl_add_u64 v[10:11], v[10:11], 0, s[60:61]
	v_mov_b32_e32 v17, v74
	v_mov_b64_e32 v[12:13], v[82:83]
	s_branch .LBB6_1869
.LBB6_1874:                             ;   in Loop: Header=BB6_1672 Depth=3
	s_or_b64 exec, exec, s[24:25]
	s_and_b64 exec, exec, s[26:27]
	s_cbranch_execz .LBB6_1876
; %bb.1875:                             ;   in Loop: Header=BB6_1672 Depth=3
	flat_store_short v[8:9], v14 nt
.LBB6_1876:                             ;   in Loop: Header=BB6_1672 Depth=3
	s_or_b64 exec, exec, s[22:23]
	v_cmp_lt_i32_e64 s[22:23], 0, v2
	s_and_saveexec_b64 s[24:25], s[4:5]
	s_cbranch_execz .LBB6_1761
.LBB6_1877:                             ;   in Loop: Header=BB6_1672 Depth=3
	s_and_saveexec_b64 s[26:27], s[44:45]
	s_xor_b64 s[26:27], exec, s[26:27]
	s_cbranch_execz .LBB6_1892
; %bb.1878:                             ;   in Loop: Header=BB6_1672 Depth=3
	s_and_saveexec_b64 s[92:93], s[12:13]
	s_cbranch_execz .LBB6_1891
; %bb.1879:                             ;   in Loop: Header=BB6_1672 Depth=3
	s_mov_b64 s[30:31], exec
	v_mbcnt_lo_u32_b32 v2, s30, 0
	v_mbcnt_hi_u32_b32 v2, s31, v2
	v_cmp_eq_u32_e32 vcc, 0, v2
	s_waitcnt lgkmcnt(0)
	s_and_saveexec_b64 s[94:95], vcc
	s_cbranch_execz .LBB6_1881
; %bb.1880:                             ;   in Loop: Header=BB6_1672 Depth=3
	s_bcnt1_i32_b64 s73, s[30:31]
	v_mov_b32_e32 v2, s73
	ds_add_u64 v0, v[2:3]
	s_trap 2
.LBB6_1881:                             ;   in Loop: Header=BB6_1672 Depth=3
	s_or_b64 exec, exec, s[94:95]
	s_trap 2
	ds_read_b64 v[8:9], v0
	s_waitcnt lgkmcnt(0)
	v_lshl_add_u64 v[38:39], v[38:39], 0, v[52:53]
	v_cmp_lt_u64_e32 vcc, v[8:9], v[38:39]
	s_and_saveexec_b64 s[94:95], vcc
	s_cbranch_execz .LBB6_1890
; %bb.1882:                             ;   in Loop: Header=BB6_1672 Depth=3
	s_mov_b32 s73, 0
	s_mov_b64 s[30:31], 0
                                        ; implicit-def: $sgpr34_sgpr35
                                        ; implicit-def: $sgpr36_sgpr37
	s_branch .LBB6_1884
.LBB6_1883:                             ;   in Loop: Header=BB6_1884 Depth=4
	s_or_b64 exec, exec, s[48:49]
	s_and_b64 vcc, exec, vcc
	s_or_b64 s[30:31], vcc, s[30:31]
	s_andn2_b64 vcc, s[34:35], exec
	s_and_b64 s[34:35], s[36:37], exec
	s_or_b64 s[34:35], vcc, s[34:35]
	s_andn2_b64 exec, exec, s[30:31]
	s_cbranch_execz .LBB6_1888
.LBB6_1884:                             ;   Parent Loop BB6_47 Depth=1
                                        ;     Parent Loop BB6_1669 Depth=2
                                        ;       Parent Loop BB6_1672 Depth=3
                                        ; =>      This Inner Loop Header: Depth=4
	s_add_i32 s73, s73, 1
	s_cmpk_lg_i32 s73, 0x2710
	s_cselect_b64 s[38:39], -1, 0
	s_and_b64 vcc, exec, s[38:39]
	s_cbranch_vccz .LBB6_1886
; %bb.1885:                             ;   in Loop: Header=BB6_1884 Depth=4
	s_mov_b64 vcc, -1
	s_or_b64 s[36:37], s[36:37], exec
	s_and_saveexec_b64 s[48:49], s[38:39]
	s_cbranch_execz .LBB6_1883
	s_branch .LBB6_1887
.LBB6_1886:                             ;   in Loop: Header=BB6_1884 Depth=4
	s_trap 2
	ds_read_b64 v[8:9], v0
	s_andn2_b64 s[38:39], s[38:39], exec
	s_mov_b32 s73, 0
	s_waitcnt vmcnt(0) lgkmcnt(0)
	flat_load_dword v2, v[8:9] sc0 sc1
	s_waitcnt vmcnt(0) lgkmcnt(0)
	buffer_inv sc0 sc1
	v_cmp_eq_u32_e32 vcc, 0, v2
	s_and_b64 vcc, vcc, exec
	s_or_b64 s[38:39], s[38:39], vcc
	s_mov_b64 vcc, -1
	s_or_b64 s[36:37], s[36:37], exec
	s_and_saveexec_b64 s[48:49], s[38:39]
	s_cbranch_execz .LBB6_1883
.LBB6_1887:                             ;   in Loop: Header=BB6_1884 Depth=4
	s_sleep 1
	s_trap 2
	ds_read_b64 v[8:9], v0
	s_waitcnt lgkmcnt(0)
	s_andn2_b64 s[36:37], s[36:37], exec
	v_cmp_ge_u64_e32 vcc, v[8:9], v[38:39]
	s_orn2_b64 vcc, vcc, exec
	s_branch .LBB6_1883
.LBB6_1888:                             ;   in Loop: Header=BB6_1672 Depth=3
	s_or_b64 exec, exec, s[30:31]
	s_and_saveexec_b64 vcc, s[34:35]
	s_xor_b64 vcc, exec, vcc
	s_cbranch_execz .LBB6_1890
; %bb.1889:                             ;   in Loop: Header=BB6_1672 Depth=3
	ds_write_b32 v0, v75
	s_trap 2
.LBB6_1890:                             ;   in Loop: Header=BB6_1672 Depth=3
	s_or_b64 exec, exec, s[94:95]
	;;#ASMSTART
	s_wakeup
	;;#ASMEND
.LBB6_1891:                             ;   in Loop: Header=BB6_1672 Depth=3
	s_or_b64 exec, exec, s[92:93]
.LBB6_1892:                             ;   in Loop: Header=BB6_1672 Depth=3
	s_andn2_saveexec_b64 s[26:27], s[26:27]
	s_cbranch_execz .LBB6_1894
; %bb.1893:                             ;   in Loop: Header=BB6_1672 Depth=3
	s_waitcnt lgkmcnt(0)
	s_barrier
.LBB6_1894:                             ;   in Loop: Header=BB6_1672 Depth=3
	s_or_b64 exec, exec, s[26:27]
	s_or_b64 exec, exec, s[24:25]
                                        ; implicit-def: $vgpr2
	s_and_saveexec_b64 s[24:25], s[20:21]
	s_xor_b64 s[24:25], exec, s[24:25]
	s_cbranch_execnz .LBB6_1762
.LBB6_1895:                             ;   in Loop: Header=BB6_1672 Depth=3
	s_andn2_saveexec_b64 s[22:23], s[24:25]
	s_cbranch_execz .LBB6_1914
.LBB6_1896:                             ;   in Loop: Header=BB6_1672 Depth=3
	s_and_saveexec_b64 s[24:25], s[44:45]
	s_xor_b64 s[24:25], exec, s[24:25]
	s_cbranch_execz .LBB6_1911
; %bb.1897:                             ;   in Loop: Header=BB6_1672 Depth=3
	s_and_saveexec_b64 s[26:27], s[12:13]
	s_cbranch_execz .LBB6_1910
; %bb.1898:                             ;   in Loop: Header=BB6_1672 Depth=3
	s_mov_b64 s[94:95], exec
	v_mbcnt_lo_u32_b32 v2, s94, 0
	v_mbcnt_hi_u32_b32 v2, s95, v2
	v_cmp_eq_u32_e32 vcc, 0, v2
	;;#ASMSTART
	s_waitcnt lgkmcnt(0) vmcnt(0)
	;;#ASMEND
	s_and_saveexec_b64 s[92:93], vcc
	s_cbranch_execz .LBB6_1900
; %bb.1899:                             ;   in Loop: Header=BB6_1672 Depth=3
	s_bcnt1_i32_b64 s73, s[94:95]
	v_mov_b32_e32 v2, s73
	s_waitcnt lgkmcnt(0)
	ds_add_u64 v0, v[2:3]
	s_trap 2
.LBB6_1900:                             ;   in Loop: Header=BB6_1672 Depth=3
	s_or_b64 exec, exec, s[92:93]
	s_trap 2
	ds_read_b64 v[8:9], v0
	s_waitcnt lgkmcnt(0)
	v_lshl_add_u64 v[38:39], v[38:39], 0, v[52:53]
	v_cmp_lt_u64_e32 vcc, v[8:9], v[38:39]
	s_and_saveexec_b64 s[92:93], vcc
	s_cbranch_execz .LBB6_1909
; %bb.1901:                             ;   in Loop: Header=BB6_1672 Depth=3
	s_mov_b32 s73, 0
	s_mov_b64 s[94:95], 0
                                        ; implicit-def: $sgpr30_sgpr31
                                        ; implicit-def: $sgpr34_sgpr35
	s_branch .LBB6_1903
.LBB6_1902:                             ;   in Loop: Header=BB6_1903 Depth=4
	s_or_b64 exec, exec, s[38:39]
	s_and_b64 vcc, exec, vcc
	s_or_b64 s[94:95], vcc, s[94:95]
	s_andn2_b64 vcc, s[30:31], exec
	s_and_b64 s[30:31], s[34:35], exec
	s_or_b64 s[30:31], vcc, s[30:31]
	s_andn2_b64 exec, exec, s[94:95]
	s_cbranch_execz .LBB6_1907
.LBB6_1903:                             ;   Parent Loop BB6_47 Depth=1
                                        ;     Parent Loop BB6_1669 Depth=2
                                        ;       Parent Loop BB6_1672 Depth=3
                                        ; =>      This Inner Loop Header: Depth=4
	s_add_i32 s73, s73, 1
	s_cmpk_lg_i32 s73, 0x2710
	s_cselect_b64 s[36:37], -1, 0
	s_and_b64 vcc, exec, s[36:37]
	s_cbranch_vccz .LBB6_1905
; %bb.1904:                             ;   in Loop: Header=BB6_1903 Depth=4
	s_mov_b64 vcc, -1
	s_or_b64 s[34:35], s[34:35], exec
	s_and_saveexec_b64 s[38:39], s[36:37]
	s_cbranch_execz .LBB6_1902
	s_branch .LBB6_1906
.LBB6_1905:                             ;   in Loop: Header=BB6_1903 Depth=4
	s_trap 2
	ds_read_b64 v[8:9], v0
	s_andn2_b64 s[36:37], s[36:37], exec
	s_mov_b32 s73, 0
	s_waitcnt vmcnt(0) lgkmcnt(0)
	flat_load_dword v2, v[8:9] sc0 sc1
	s_waitcnt vmcnt(0) lgkmcnt(0)
	buffer_inv sc0 sc1
	v_cmp_eq_u32_e32 vcc, 0, v2
	s_and_b64 vcc, vcc, exec
	s_or_b64 s[36:37], s[36:37], vcc
	s_mov_b64 vcc, -1
	s_or_b64 s[34:35], s[34:35], exec
	s_and_saveexec_b64 s[38:39], s[36:37]
	s_cbranch_execz .LBB6_1902
.LBB6_1906:                             ;   in Loop: Header=BB6_1903 Depth=4
	s_sleep 1
	s_trap 2
	ds_read_b64 v[8:9], v0
	s_waitcnt lgkmcnt(0)
	s_andn2_b64 s[34:35], s[34:35], exec
	v_cmp_ge_u64_e32 vcc, v[8:9], v[38:39]
	s_orn2_b64 vcc, vcc, exec
	s_branch .LBB6_1902
.LBB6_1907:                             ;   in Loop: Header=BB6_1672 Depth=3
	s_or_b64 exec, exec, s[94:95]
	s_and_saveexec_b64 s[94:95], s[30:31]
	s_xor_b64 s[94:95], exec, s[94:95]
	s_cbranch_execz .LBB6_1909
; %bb.1908:                             ;   in Loop: Header=BB6_1672 Depth=3
	ds_write_b32 v0, v75
	s_trap 2
.LBB6_1909:                             ;   in Loop: Header=BB6_1672 Depth=3
	s_or_b64 exec, exec, s[92:93]
	;;#ASMSTART
	s_wakeup
	;;#ASMEND
.LBB6_1910:                             ;   in Loop: Header=BB6_1672 Depth=3
	s_or_b64 exec, exec, s[26:27]
.LBB6_1911:                             ;   in Loop: Header=BB6_1672 Depth=3
	s_andn2_saveexec_b64 s[24:25], s[24:25]
	s_cbranch_execz .LBB6_1913
; %bb.1912:                             ;   in Loop: Header=BB6_1672 Depth=3
	;;#ASMSTART
	s_waitcnt lgkmcnt(0) vmcnt(0)
	;;#ASMEND
	s_barrier
.LBB6_1913:                             ;   in Loop: Header=BB6_1672 Depth=3
	s_or_b64 exec, exec, s[24:25]
	v_and_b32_e32 v2, 16, v62
.LBB6_1914:                             ;   in Loop: Header=BB6_1672 Depth=3
	s_or_b64 exec, exec, s[22:23]
	v_cmp_ne_u32_e32 vcc, 0, v2
	s_xor_b64 s[22:23], s[6:7], -1
	s_and_b64 s[24:25], vcc, s[22:23]
	s_and_saveexec_b64 s[22:23], s[24:25]
	s_cbranch_execz .LBB6_1916
; %bb.1915:                             ;   in Loop: Header=BB6_1672 Depth=3
	flat_store_dword v[36:37], v75 sc0 sc1
.LBB6_1916:                             ;   in Loop: Header=BB6_1672 Depth=3
	s_or_b64 exec, exec, s[22:23]
	v_and_b32_e32 v2, 48, v62
	v_cmp_ne_u32_e32 vcc, 0, v2
	s_and_saveexec_b64 s[22:23], vcc
	s_cbranch_execz .LBB6_1671
; %bb.1917:                             ;   in Loop: Header=BB6_1672 Depth=3
	v_lshl_add_u64 v[112:113], v[112:113], 0, 2
	flat_store_dwordx2 v[32:33], v[112:113] sc0 sc1
	s_branch .LBB6_1671
.LBB6_1918:                             ;   in Loop: Header=BB6_1669 Depth=2
	s_or_b64 exec, exec, s[28:29]
	v_cmp_gt_i32_e32 vcc, 2, v2
	s_and_saveexec_b64 s[24:25], vcc
	s_cbranch_execz .LBB6_1994
.LBB6_1919:                             ;   in Loop: Header=BB6_1669 Depth=2
	v_cmp_eq_u32_e64 s[28:29], 0, v2
	s_mov_b64 s[26:27], 0
	s_branch .LBB6_1921
.LBB6_1920:                             ;   in Loop: Header=BB6_1921 Depth=3
	s_or_b64 exec, exec, s[22:23]
	v_add_u32_e32 v40, v118, v40
	s_mov_b64 s[28:29], 0
	s_andn2_b64 exec, exec, s[26:27]
	s_cbranch_execz .LBB6_1995
.LBB6_1921:                             ;   Parent Loop BB6_47 Depth=1
                                        ;     Parent Loop BB6_1669 Depth=2
                                        ; =>    This Loop Header: Depth=3
                                        ;         Child Loop BB6_1927 Depth 4
                                        ;         Child Loop BB6_1955 Depth 4
	;; [unrolled: 1-line block ×3, first 2 shown]
	v_sub_u32_e32 v2, v90, v40
	v_min_i32_e32 v118, v118, v2
	v_and_b32_e32 v2, 12, v62
	v_cmp_ne_u32_e32 vcc, 0, v2
	s_and_saveexec_b64 s[88:89], vcc
	s_cbranch_execz .LBB6_1947
; %bb.1922:                             ;   in Loop: Header=BB6_1921 Depth=3
	v_and_b32_e32 v2, 8, v62
	s_waitcnt vmcnt(0) lgkmcnt(0)
	v_lshl_add_u64 v[10:11], v[48:49], 0, v[2:3]
	v_lshl_add_u64 v[8:9], v[112:113], 0, 2
	v_cmp_lt_u64_e32 vcc, v[10:11], v[8:9]
	s_and_saveexec_b64 s[90:91], vcc
	s_cbranch_execz .LBB6_1934
; %bb.1923:                             ;   in Loop: Header=BB6_1921 Depth=3
	v_and_b32_e32 v10, 64, v62
	s_mov_b32 s9, 0
	v_cmp_eq_u32_e32 vcc, 0, v10
	s_mov_b64 s[92:93], 0
                                        ; implicit-def: $sgpr94_sgpr95
                                        ; implicit-def: $sgpr30_sgpr31
                                        ; implicit-def: $sgpr34_sgpr35
	s_branch .LBB6_1927
.LBB6_1924:                             ;   in Loop: Header=BB6_1927 Depth=4
	s_waitcnt vmcnt(0) lgkmcnt(0)
	v_lshl_add_u64 v[12:13], v[48:49], 0, v[2:3]
	v_cmp_ge_u64_e64 s[22:23], v[12:13], v[8:9]
	s_or_b64 s[48:49], s[48:49], exec
	s_orn2_b64 s[38:39], s[22:23], exec
.LBB6_1925:                             ;   in Loop: Header=BB6_1927 Depth=4
	s_or_b64 exec, exec, s[52:53]
	s_andn2_b64 s[22:23], s[34:35], exec
	s_and_b64 s[34:35], s[48:49], exec
	s_or_b64 s[34:35], s[22:23], s[34:35]
	s_andn2_b64 s[22:23], s[30:31], exec
	s_and_b64 s[30:31], s[38:39], exec
	s_or_b64 s[30:31], s[22:23], s[30:31]
.LBB6_1926:                             ;   in Loop: Header=BB6_1927 Depth=4
	s_or_b64 exec, exec, s[36:37]
	s_and_b64 s[22:23], exec, s[30:31]
	s_or_b64 s[92:93], s[22:23], s[92:93]
	s_andn2_b64 s[22:23], s[94:95], exec
	s_and_b64 s[94:95], s[34:35], exec
	s_or_b64 s[94:95], s[22:23], s[94:95]
	s_andn2_b64 exec, exec, s[92:93]
	s_cbranch_execz .LBB6_1931
.LBB6_1927:                             ;   Parent Loop BB6_47 Depth=1
                                        ;     Parent Loop BB6_1669 Depth=2
                                        ;       Parent Loop BB6_1921 Depth=3
                                        ; =>      This Inner Loop Header: Depth=4
	s_sleep 1
	s_waitcnt vmcnt(0) lgkmcnt(0)
	flat_load_dwordx2 v[48:49], v[32:33] sc0 sc1
	s_or_b64 s[34:35], s[34:35], exec
	s_or_b64 s[30:31], s[30:31], exec
                                        ; implicit-def: $vgpr10
	s_and_saveexec_b64 s[36:37], vcc
	s_cbranch_execz .LBB6_1926
; %bb.1928:                             ;   in Loop: Header=BB6_1927 Depth=4
	s_cmpk_lt_i32 s9, 0x270f
	s_cselect_b64 s[50:51], -1, 0
	s_cmpk_gt_i32 s9, 0x270e
	s_mov_b64 s[38:39], -1
	s_cbranch_scc0 .LBB6_1930
; %bb.1929:                             ;   in Loop: Header=BB6_1927 Depth=4
	s_trap 2
	ds_read_b64 v[10:11], v0
	s_andn2_b64 s[50:51], s[50:51], exec
	s_mov_b32 s9, 0
	s_mov_b64 s[48:49], 0
	s_waitcnt vmcnt(0) lgkmcnt(0)
	flat_load_dword v10, v[10:11] sc0 sc1
	s_waitcnt vmcnt(0) lgkmcnt(0)
	buffer_inv sc0 sc1
	v_cmp_eq_u32_e64 s[22:23], 0, v10
	s_and_b64 s[22:23], s[22:23], exec
	s_or_b64 s[50:51], s[50:51], s[22:23]
	s_and_saveexec_b64 s[52:53], s[50:51]
	s_cbranch_execz .LBB6_1925
	s_branch .LBB6_1924
.LBB6_1930:                             ;   in Loop: Header=BB6_1927 Depth=4
	s_add_i32 s9, s9, 1
	s_mov_b64 s[48:49], -1
                                        ; implicit-def: $vgpr10
	s_and_saveexec_b64 s[52:53], s[50:51]
	s_cbranch_execz .LBB6_1925
	s_branch .LBB6_1924
.LBB6_1931:                             ;   in Loop: Header=BB6_1921 Depth=3
	s_or_b64 exec, exec, s[92:93]
	s_xor_b64 s[22:23], s[94:95], -1
	s_and_saveexec_b64 s[92:93], s[22:23]
	s_xor_b64 s[22:23], exec, s[92:93]
	s_cbranch_execz .LBB6_1933
; %bb.1932:                             ;   in Loop: Header=BB6_1921 Depth=3
	v_or_b32_e32 v62, 64, v62
	s_waitcnt lgkmcnt(0)
	ds_write_b32 v0, v10
	s_trap 2
.LBB6_1933:                             ;   in Loop: Header=BB6_1921 Depth=3
	s_or_b64 exec, exec, s[22:23]
.LBB6_1934:                             ;   in Loop: Header=BB6_1921 Depth=3
	s_or_b64 exec, exec, s[90:91]
	v_and_b32_e32 v10, 0x108, v62
	v_cmp_ne_u32_e32 vcc, s43, v10
	;;#ASMSTART
	s_wakeup
	;;#ASMEND
                                        ; implicit-def: $vgpr10_vgpr11
	s_and_saveexec_b64 s[22:23], vcc
	s_xor_b64 s[22:23], exec, s[22:23]
; %bb.1935:                             ;   in Loop: Header=BB6_1921 Depth=3
	v_and_b32_e32 v10, 7, v112
	v_mov_b32_e32 v11, v3
                                        ; implicit-def: $vgpr112_vgpr113
; %bb.1936:                             ;   in Loop: Header=BB6_1921 Depth=3
	s_andn2_saveexec_b64 s[22:23], s[22:23]
	s_cbranch_execz .LBB6_1938
; %bb.1937:                             ;   in Loop: Header=BB6_1921 Depth=3
	v_and_b32_e32 v10, 7, v112
	v_ashrrev_i32_e32 v119, 31, v118
	v_mov_b32_e32 v11, v3
	v_mad_u64_u32 v[12:13], s[90:91], v10, 24, v[6:7]
	v_lshlrev_b64 v[14:15], 1, v[118:119]
	flat_store_dwordx2 v[12:13], v[14:15] offset:8
.LBB6_1938:                             ;   in Loop: Header=BB6_1921 Depth=3
	s_or_b64 exec, exec, s[22:23]
	v_and_b32_e32 v12, 0x100, v62
	v_cmp_ne_u32_e32 vcc, 0, v12
	s_mov_b64 s[22:23], -1
                                        ; implicit-def: $vgpr12_vgpr13
	s_and_saveexec_b64 s[90:91], vcc
	s_cbranch_execz .LBB6_1942
; %bb.1939:                             ;   in Loop: Header=BB6_1921 Depth=3
	v_mad_u64_u32 v[14:15], s[22:23], v10, 24, v[6:7]
	v_mov_b32_e32 v12, v15
	v_mad_u64_u32 v[12:13], s[22:23], v11, 24, v[12:13]
	v_mov_b32_e32 v15, v12
	flat_load_dword v12, v[14:15]
	s_waitcnt vmcnt(0) lgkmcnt(0)
	v_cmp_ne_u32_e32 vcc, 1, v12
	v_cmp_eq_u32_e64 s[22:23], 1, v12
                                        ; implicit-def: $vgpr12_vgpr13
	s_and_saveexec_b64 s[92:93], s[22:23]
	s_cbranch_execz .LBB6_1941
; %bb.1940:                             ;   in Loop: Header=BB6_1921 Depth=3
	flat_load_dword v12, v[14:15] offset:4 sc0 sc1
	s_waitcnt vmcnt(0) lgkmcnt(0)
	v_ashrrev_i32_e32 v13, 31, v12
	v_lshrrev_b64 v[12:13], 1, v[12:13]
.LBB6_1941:                             ;   in Loop: Header=BB6_1921 Depth=3
	s_or_b64 exec, exec, s[92:93]
	s_orn2_b64 s[22:23], vcc, exec
.LBB6_1942:                             ;   in Loop: Header=BB6_1921 Depth=3
	s_or_b64 exec, exec, s[90:91]
	s_and_saveexec_b64 s[90:91], s[22:23]
; %bb.1943:                             ;   in Loop: Header=BB6_1921 Depth=3
	v_mul_lo_u32 v11, v11, v30
	v_mul_lo_u32 v14, v10, v51
	v_mad_u64_u32 v[12:13], s[22:23], v10, v30, 0
	v_add3_u32 v13, v13, v14, v11
; %bb.1944:                             ;   in Loop: Header=BB6_1921 Depth=3
	s_or_b64 exec, exec, s[90:91]
	v_cmp_eq_u32_e32 vcc, 0, v2
	v_lshl_add_u64 v[10:11], v[12:13], 1, v[34:35]
	s_nop 0
	v_cndmask_b32_e32 v2, v88, v89, vcc
	v_add_u32_e32 v2, v0, v2
	ds_write_b64 v2, v[10:11] offset:584
	v_and_b32_e32 v2, 0x2000, v62
	v_cmp_ne_u32_e32 vcc, 0, v2
	s_and_saveexec_b64 s[22:23], vcc
	s_cbranch_execz .LBB6_1946
; %bb.1945:                             ;   in Loop: Header=BB6_1921 Depth=3
	ds_read_b64 v[10:11], v0 offset:872
	s_waitcnt lgkmcnt(0)
	v_lshl_add_u64 v[10:11], v[10:11], 0, 1
	ds_write_b64 v0, v[10:11] offset:872
.LBB6_1946:                             ;   in Loop: Header=BB6_1921 Depth=3
	s_or_b64 exec, exec, s[22:23]
	v_mov_b64_e32 v[112:113], v[8:9]
.LBB6_1947:                             ;   in Loop: Header=BB6_1921 Depth=3
	s_or_b64 exec, exec, s[88:89]
	s_xor_b64 s[22:23], s[28:29], -1
	s_and_b64 s[22:23], exec, s[22:23]
	s_or_b64 s[26:27], s[22:23], s[26:27]
	s_and_saveexec_b64 s[22:23], s[4:5]
	s_cbranch_execz .LBB6_1966
; %bb.1948:                             ;   in Loop: Header=BB6_1921 Depth=3
	s_and_saveexec_b64 s[28:29], s[44:45]
	s_xor_b64 s[28:29], exec, s[28:29]
	s_cbranch_execz .LBB6_1963
; %bb.1949:                             ;   in Loop: Header=BB6_1921 Depth=3
	s_and_saveexec_b64 s[88:89], s[12:13]
	s_cbranch_execz .LBB6_1962
; %bb.1950:                             ;   in Loop: Header=BB6_1921 Depth=3
	s_mov_b64 s[92:93], exec
	v_mbcnt_lo_u32_b32 v2, s92, 0
	v_mbcnt_hi_u32_b32 v2, s93, v2
	v_cmp_eq_u32_e32 vcc, 0, v2
	s_waitcnt lgkmcnt(0)
	s_and_saveexec_b64 s[90:91], vcc
	s_cbranch_execz .LBB6_1952
; %bb.1951:                             ;   in Loop: Header=BB6_1921 Depth=3
	s_bcnt1_i32_b64 s9, s[92:93]
	v_mov_b32_e32 v2, s9
	ds_add_u64 v0, v[2:3]
	s_trap 2
.LBB6_1952:                             ;   in Loop: Header=BB6_1921 Depth=3
	s_or_b64 exec, exec, s[90:91]
	s_trap 2
	ds_read_b64 v[8:9], v0
	s_waitcnt lgkmcnt(0)
	v_lshl_add_u64 v[38:39], v[38:39], 0, v[52:53]
	v_cmp_lt_u64_e32 vcc, v[8:9], v[38:39]
	s_and_saveexec_b64 s[90:91], vcc
	s_cbranch_execz .LBB6_1961
; %bb.1953:                             ;   in Loop: Header=BB6_1921 Depth=3
	s_mov_b32 s9, 0
	s_mov_b64 s[92:93], 0
                                        ; implicit-def: $sgpr94_sgpr95
                                        ; implicit-def: $sgpr30_sgpr31
	s_branch .LBB6_1955
.LBB6_1954:                             ;   in Loop: Header=BB6_1955 Depth=4
	s_or_b64 exec, exec, s[36:37]
	s_and_b64 vcc, exec, vcc
	s_or_b64 s[92:93], vcc, s[92:93]
	s_andn2_b64 s[94:95], s[94:95], exec
	s_and_b64 vcc, s[30:31], exec
	s_or_b64 s[94:95], s[94:95], vcc
	s_andn2_b64 exec, exec, s[92:93]
	s_cbranch_execz .LBB6_1959
.LBB6_1955:                             ;   Parent Loop BB6_47 Depth=1
                                        ;     Parent Loop BB6_1669 Depth=2
                                        ;       Parent Loop BB6_1921 Depth=3
                                        ; =>      This Inner Loop Header: Depth=4
	s_add_i32 s9, s9, 1
	s_cmpk_lg_i32 s9, 0x2710
	s_cselect_b64 s[34:35], -1, 0
	s_and_b64 vcc, exec, s[34:35]
	s_cbranch_vccz .LBB6_1957
; %bb.1956:                             ;   in Loop: Header=BB6_1955 Depth=4
	s_mov_b64 vcc, -1
	s_or_b64 s[30:31], s[30:31], exec
	s_and_saveexec_b64 s[36:37], s[34:35]
	s_cbranch_execz .LBB6_1954
	s_branch .LBB6_1958
.LBB6_1957:                             ;   in Loop: Header=BB6_1955 Depth=4
	s_trap 2
	ds_read_b64 v[8:9], v0
	s_andn2_b64 s[34:35], s[34:35], exec
	s_mov_b32 s9, 0
	s_waitcnt vmcnt(0) lgkmcnt(0)
	flat_load_dword v2, v[8:9] sc0 sc1
	s_waitcnt vmcnt(0) lgkmcnt(0)
	buffer_inv sc0 sc1
	v_cmp_eq_u32_e32 vcc, 0, v2
	s_and_b64 vcc, vcc, exec
	s_or_b64 s[34:35], s[34:35], vcc
	s_mov_b64 vcc, -1
	s_or_b64 s[30:31], s[30:31], exec
	s_and_saveexec_b64 s[36:37], s[34:35]
	s_cbranch_execz .LBB6_1954
.LBB6_1958:                             ;   in Loop: Header=BB6_1955 Depth=4
	s_sleep 1
	s_trap 2
	ds_read_b64 v[8:9], v0
	s_waitcnt lgkmcnt(0)
	s_andn2_b64 s[30:31], s[30:31], exec
	v_cmp_ge_u64_e32 vcc, v[8:9], v[38:39]
	s_orn2_b64 vcc, vcc, exec
	s_branch .LBB6_1954
.LBB6_1959:                             ;   in Loop: Header=BB6_1921 Depth=3
	s_or_b64 exec, exec, s[92:93]
	s_and_saveexec_b64 s[92:93], s[94:95]
	s_xor_b64 s[92:93], exec, s[92:93]
	s_cbranch_execz .LBB6_1961
; %bb.1960:                             ;   in Loop: Header=BB6_1921 Depth=3
	ds_write_b32 v0, v75
	s_trap 2
.LBB6_1961:                             ;   in Loop: Header=BB6_1921 Depth=3
	s_or_b64 exec, exec, s[90:91]
	;;#ASMSTART
	s_wakeup
	;;#ASMEND
.LBB6_1962:                             ;   in Loop: Header=BB6_1921 Depth=3
	s_or_b64 exec, exec, s[88:89]
.LBB6_1963:                             ;   in Loop: Header=BB6_1921 Depth=3
	s_andn2_saveexec_b64 s[28:29], s[28:29]
	s_cbranch_execz .LBB6_1965
; %bb.1964:                             ;   in Loop: Header=BB6_1921 Depth=3
	s_waitcnt lgkmcnt(0)
	s_barrier
.LBB6_1965:                             ;   in Loop: Header=BB6_1921 Depth=3
	s_or_b64 exec, exec, s[28:29]
.LBB6_1966:                             ;   in Loop: Header=BB6_1921 Depth=3
	s_or_b64 exec, exec, s[22:23]
                                        ; implicit-def: $vgpr2
	s_and_saveexec_b64 s[22:23], s[20:21]
	s_xor_b64 s[22:23], exec, s[22:23]
	s_cbranch_execz .LBB6_1970
; %bb.1967:                             ;   in Loop: Header=BB6_1921 Depth=3
	s_trap 2
	ds_read_b32 v8, v0
	v_cmp_lt_i32_e32 vcc, 0, v118
	v_and_b32_e32 v9, 16, v62
	v_and_b32_e32 v2, 16, v62
	s_waitcnt lgkmcnt(0)
	v_readfirstlane_b32 s9, v8
	s_cmp_eq_u32 s9, 0
	s_cselect_b64 s[28:29], -1, 0
	s_and_b64 s[28:29], vcc, s[28:29]
	v_cmp_ne_u32_e32 vcc, 0, v9
	s_and_b64 s[88:89], vcc, s[28:29]
	s_and_saveexec_b64 s[28:29], s[88:89]
	s_cbranch_execz .LBB6_1969
; %bb.1968:                             ;   in Loop: Header=BB6_1921 Depth=3
	v_mov_b32_e32 v2, 1
	buffer_wbl2 sc1
	s_waitcnt vmcnt(0)
	buffer_inv sc1
.LBB6_1969:                             ;   in Loop: Header=BB6_1921 Depth=3
	s_or_b64 exec, exec, s[28:29]
	s_andn2_saveexec_b64 s[22:23], s[22:23]
	s_cbranch_execz .LBB6_1989
	s_branch .LBB6_1971
.LBB6_1970:                             ;   in Loop: Header=BB6_1921 Depth=3
	s_andn2_saveexec_b64 s[22:23], s[22:23]
	s_cbranch_execz .LBB6_1989
.LBB6_1971:                             ;   in Loop: Header=BB6_1921 Depth=3
	s_and_saveexec_b64 s[28:29], s[44:45]
	s_xor_b64 s[28:29], exec, s[28:29]
	s_cbranch_execz .LBB6_1986
; %bb.1972:                             ;   in Loop: Header=BB6_1921 Depth=3
	s_and_saveexec_b64 s[88:89], s[12:13]
	s_cbranch_execz .LBB6_1985
; %bb.1973:                             ;   in Loop: Header=BB6_1921 Depth=3
	s_mov_b64 s[92:93], exec
	v_mbcnt_lo_u32_b32 v2, s92, 0
	v_mbcnt_hi_u32_b32 v2, s93, v2
	v_cmp_eq_u32_e32 vcc, 0, v2
	;;#ASMSTART
	s_waitcnt lgkmcnt(0) vmcnt(0)
	;;#ASMEND
	s_and_saveexec_b64 s[90:91], vcc
	s_cbranch_execz .LBB6_1975
; %bb.1974:                             ;   in Loop: Header=BB6_1921 Depth=3
	s_bcnt1_i32_b64 s9, s[92:93]
	v_mov_b32_e32 v2, s9
	s_waitcnt lgkmcnt(0)
	ds_add_u64 v0, v[2:3]
	s_trap 2
.LBB6_1975:                             ;   in Loop: Header=BB6_1921 Depth=3
	s_or_b64 exec, exec, s[90:91]
	s_trap 2
	ds_read_b64 v[8:9], v0
	s_waitcnt lgkmcnt(0)
	v_lshl_add_u64 v[38:39], v[38:39], 0, v[52:53]
	v_cmp_lt_u64_e32 vcc, v[8:9], v[38:39]
	s_and_saveexec_b64 s[90:91], vcc
	s_cbranch_execz .LBB6_1984
; %bb.1976:                             ;   in Loop: Header=BB6_1921 Depth=3
	s_mov_b32 s9, 0
	s_mov_b64 s[92:93], 0
                                        ; implicit-def: $sgpr94_sgpr95
                                        ; implicit-def: $sgpr30_sgpr31
	s_branch .LBB6_1978
.LBB6_1977:                             ;   in Loop: Header=BB6_1978 Depth=4
	s_or_b64 exec, exec, s[36:37]
	s_and_b64 vcc, exec, vcc
	s_or_b64 s[92:93], vcc, s[92:93]
	s_andn2_b64 s[94:95], s[94:95], exec
	s_and_b64 vcc, s[30:31], exec
	s_or_b64 s[94:95], s[94:95], vcc
	s_andn2_b64 exec, exec, s[92:93]
	s_cbranch_execz .LBB6_1982
.LBB6_1978:                             ;   Parent Loop BB6_47 Depth=1
                                        ;     Parent Loop BB6_1669 Depth=2
                                        ;       Parent Loop BB6_1921 Depth=3
                                        ; =>      This Inner Loop Header: Depth=4
	s_add_i32 s9, s9, 1
	s_cmpk_lg_i32 s9, 0x2710
	s_cselect_b64 s[34:35], -1, 0
	s_and_b64 vcc, exec, s[34:35]
	s_cbranch_vccz .LBB6_1980
; %bb.1979:                             ;   in Loop: Header=BB6_1978 Depth=4
	s_mov_b64 vcc, -1
	s_or_b64 s[30:31], s[30:31], exec
	s_and_saveexec_b64 s[36:37], s[34:35]
	s_cbranch_execz .LBB6_1977
	s_branch .LBB6_1981
.LBB6_1980:                             ;   in Loop: Header=BB6_1978 Depth=4
	s_trap 2
	ds_read_b64 v[8:9], v0
	s_andn2_b64 s[34:35], s[34:35], exec
	s_mov_b32 s9, 0
	s_waitcnt vmcnt(0) lgkmcnt(0)
	flat_load_dword v2, v[8:9] sc0 sc1
	s_waitcnt vmcnt(0) lgkmcnt(0)
	buffer_inv sc0 sc1
	v_cmp_eq_u32_e32 vcc, 0, v2
	s_and_b64 vcc, vcc, exec
	s_or_b64 s[34:35], s[34:35], vcc
	s_mov_b64 vcc, -1
	s_or_b64 s[30:31], s[30:31], exec
	s_and_saveexec_b64 s[36:37], s[34:35]
	s_cbranch_execz .LBB6_1977
.LBB6_1981:                             ;   in Loop: Header=BB6_1978 Depth=4
	s_sleep 1
	s_trap 2
	ds_read_b64 v[8:9], v0
	s_waitcnt lgkmcnt(0)
	s_andn2_b64 s[30:31], s[30:31], exec
	v_cmp_ge_u64_e32 vcc, v[8:9], v[38:39]
	s_orn2_b64 vcc, vcc, exec
	s_branch .LBB6_1977
.LBB6_1982:                             ;   in Loop: Header=BB6_1921 Depth=3
	s_or_b64 exec, exec, s[92:93]
	s_and_saveexec_b64 s[92:93], s[94:95]
	s_xor_b64 s[92:93], exec, s[92:93]
	s_cbranch_execz .LBB6_1984
; %bb.1983:                             ;   in Loop: Header=BB6_1921 Depth=3
	ds_write_b32 v0, v75
	s_trap 2
.LBB6_1984:                             ;   in Loop: Header=BB6_1921 Depth=3
	s_or_b64 exec, exec, s[90:91]
	;;#ASMSTART
	s_wakeup
	;;#ASMEND
.LBB6_1985:                             ;   in Loop: Header=BB6_1921 Depth=3
	s_or_b64 exec, exec, s[88:89]
.LBB6_1986:                             ;   in Loop: Header=BB6_1921 Depth=3
	s_andn2_saveexec_b64 s[28:29], s[28:29]
	s_cbranch_execz .LBB6_1988
; %bb.1987:                             ;   in Loop: Header=BB6_1921 Depth=3
	;;#ASMSTART
	s_waitcnt lgkmcnt(0) vmcnt(0)
	;;#ASMEND
	s_barrier
.LBB6_1988:                             ;   in Loop: Header=BB6_1921 Depth=3
	s_or_b64 exec, exec, s[28:29]
	v_and_b32_e32 v2, 16, v62
.LBB6_1989:                             ;   in Loop: Header=BB6_1921 Depth=3
	s_or_b64 exec, exec, s[22:23]
	v_cmp_ne_u32_e32 vcc, 0, v2
	s_xor_b64 s[22:23], s[6:7], -1
	s_and_b64 s[28:29], vcc, s[22:23]
	s_and_saveexec_b64 s[22:23], s[28:29]
	s_cbranch_execz .LBB6_1991
; %bb.1990:                             ;   in Loop: Header=BB6_1921 Depth=3
	flat_store_dword v[36:37], v75 sc0 sc1
.LBB6_1991:                             ;   in Loop: Header=BB6_1921 Depth=3
	s_or_b64 exec, exec, s[22:23]
	v_and_b32_e32 v2, 48, v62
	v_cmp_ne_u32_e32 vcc, 0, v2
	s_and_saveexec_b64 s[22:23], vcc
	s_cbranch_execz .LBB6_1920
; %bb.1992:                             ;   in Loop: Header=BB6_1921 Depth=3
	v_lshl_add_u64 v[112:113], v[112:113], 0, 2
	flat_store_dwordx2 v[32:33], v[112:113] sc0 sc1
	s_branch .LBB6_1920
.LBB6_1993:                             ;   in Loop: Header=BB6_1669 Depth=2
	s_or_b64 exec, exec, s[88:89]
	s_or_b64 exec, exec, s[28:29]
	v_cmp_gt_i32_e32 vcc, 2, v2
	s_and_saveexec_b64 s[24:25], vcc
	s_cbranch_execnz .LBB6_1919
.LBB6_1994:                             ;   in Loop: Header=BB6_1669 Depth=2
	s_or_b64 exec, exec, s[24:25]
	s_add_i32 s9, s8, 1
	s_cmp_eq_u32 s8, s42
	s_cbranch_scc0 .LBB6_1996
	s_branch .LBB6_1997
.LBB6_1995:                             ;   in Loop: Header=BB6_1669 Depth=2
	s_or_b64 exec, exec, s[26:27]
	s_or_b64 exec, exec, s[24:25]
	s_add_i32 s9, s8, 1
	s_cmp_eq_u32 s8, s42
	s_cbranch_scc1 .LBB6_1997
.LBB6_1996:                             ;   in Loop: Header=BB6_1669 Depth=2
	s_mov_b32 s8, s9
	s_branch .LBB6_1669
.LBB6_1997:                             ;   in Loop: Header=BB6_47 Depth=1
	v_mul_lo_u32 v2, v103, s98
	v_mul_lo_u32 v10, v102, s99
	v_mad_u64_u32 v[8:9], s[8:9], v102, s98, 0
	v_add3_u32 v9, v9, v10, v2
	v_sub_co_u32_e32 v10, vcc, v114, v8
	v_mov_b32_e32 v2, 0
	s_nop 0
	v_subb_co_u32_e32 v11, vcc, v115, v9, vcc
	v_cmp_lt_i64_e32 vcc, v[102:103], v[10:11]
	v_mov_b32_e32 v114, 0
	s_nop 0
	v_cndmask_b32_e32 v10, v10, v102, vcc
	v_max_i32_e32 v56, 0, v10
	v_add_u32_e32 v11, 31, v56
	v_ashrrev_i32_e32 v12, 31, v11
	v_lshrrev_b32_e32 v12, 27, v12
	v_add_u32_e32 v11, v11, v12
	v_ashrrev_i32_e32 v11, 5, v11
	v_lshlrev_b32_e32 v11, 4, v11
	v_cmp_lt_i32_e32 vcc, 0, v10
	v_max_i32_e32 v57, s69, v11
	s_and_b64 s[8:9], s[78:79], vcc
	s_and_saveexec_b64 s[24:25], s[8:9]
	s_cbranch_execz .LBB6_2166
; %bb.1998:                             ;   in Loop: Header=BB6_47 Depth=1
	v_lshl_add_u64 v[8:9], v[8:9], 0, v[116:117]
	s_mov_b32 s8, 1
	s_mov_b64 s[28:29], -1
	v_mov_b32_e32 v114, 0
	s_mov_b64 s[26:27], 0
	v_lshlrev_b64 v[116:117], 1, v[8:9]
	s_branch .LBB6_2000
.LBB6_1999:                             ;   in Loop: Header=BB6_2000 Depth=2
	s_or_b64 exec, exec, s[22:23]
	v_add_u32_e32 v114, v57, v114
	v_cmp_ge_i32_e32 vcc, v114, v56
	s_xor_b64 s[22:23], s[28:29], -1
	s_or_b64 s[22:23], s[22:23], vcc
	s_and_b64 s[22:23], exec, s[22:23]
	s_or_b64 s[26:27], s[22:23], s[26:27]
	s_mov_b64 s[28:29], 0
	v_mov_b32_e32 v2, s8
	s_mov_b32 s8, 2
	s_andn2_b64 exec, exec, s[26:27]
	s_cbranch_execz .LBB6_2165
.LBB6_2000:                             ;   Parent Loop BB6_47 Depth=1
                                        ; =>  This Loop Header: Depth=2
                                        ;       Child Loop BB6_2008 Depth 3
                                        ;       Child Loop BB6_2032 Depth 3
	;; [unrolled: 1-line block ×9, first 2 shown]
	s_and_saveexec_b64 s[22:23], s[0:1]
	s_cbranch_execz .LBB6_2002
; %bb.2001:                             ;   in Loop: Header=BB6_2000 Depth=2
	s_trap 2
	ds_read_b128 v[8:11], v0
	v_ashrrev_i32_e32 v115, 31, v114
	v_lshlrev_b64 v[12:13], 1, v[114:115]
	s_waitcnt lgkmcnt(0)
	v_lshl_add_u64 v[8:9], v[8:9], 0, v[116:117]
	v_lshl_add_u64 v[14:15], v[10:11], 0, v[116:117]
	;; [unrolled: 1-line block ×3, first 2 shown]
	ds_write_b64 v0, v[8:9]
	v_lshl_add_u64 v[8:9], v[14:15], 0, v[12:13]
	v_cmp_ne_u64_e32 vcc, 0, v[10:11]
	s_nop 1
	v_cndmask_b32_e32 v9, 0, v9, vcc
	v_cndmask_b32_e32 v8, 0, v8, vcc
	ds_write_b64 v0, v[8:9]
.LBB6_2002:                             ;   in Loop: Header=BB6_2000 Depth=2
	s_or_b64 exec, exec, s[22:23]
	v_and_b32_e32 v2, 4, v62
	v_cmp_ne_u32_e32 vcc, 0, v2
	s_and_saveexec_b64 s[88:89], vcc
	s_cbranch_execz .LBB6_2024
; %bb.2003:                             ;   in Loop: Header=BB6_2000 Depth=2
	v_lshl_add_u64 v[8:9], v[112:113], 0, 2
	s_waitcnt vmcnt(0) lgkmcnt(0)
	v_cmp_lt_u64_e32 vcc, v[48:49], v[8:9]
	s_and_saveexec_b64 s[90:91], vcc
	s_cbranch_execz .LBB6_2015
; %bb.2004:                             ;   in Loop: Header=BB6_2000 Depth=2
	v_and_b32_e32 v2, 64, v62
	s_mov_b32 s9, 0
	v_cmp_eq_u32_e32 vcc, 0, v2
	s_mov_b64 s[92:93], 0
                                        ; implicit-def: $sgpr94_sgpr95
                                        ; implicit-def: $sgpr30_sgpr31
                                        ; implicit-def: $sgpr34_sgpr35
	s_branch .LBB6_2008
.LBB6_2005:                             ;   in Loop: Header=BB6_2008 Depth=3
	s_waitcnt vmcnt(0) lgkmcnt(0)
	v_cmp_ge_u64_e64 s[22:23], v[48:49], v[8:9]
	s_or_b64 s[48:49], s[48:49], exec
	s_orn2_b64 s[38:39], s[22:23], exec
.LBB6_2006:                             ;   in Loop: Header=BB6_2008 Depth=3
	s_or_b64 exec, exec, s[52:53]
	s_andn2_b64 s[22:23], s[34:35], exec
	s_and_b64 s[34:35], s[48:49], exec
	s_or_b64 s[34:35], s[22:23], s[34:35]
	s_andn2_b64 s[22:23], s[30:31], exec
	s_and_b64 s[30:31], s[38:39], exec
	s_or_b64 s[30:31], s[22:23], s[30:31]
.LBB6_2007:                             ;   in Loop: Header=BB6_2008 Depth=3
	s_or_b64 exec, exec, s[36:37]
	s_and_b64 s[22:23], exec, s[30:31]
	s_or_b64 s[92:93], s[22:23], s[92:93]
	s_andn2_b64 s[22:23], s[94:95], exec
	s_and_b64 s[94:95], s[34:35], exec
	s_or_b64 s[94:95], s[22:23], s[94:95]
	s_andn2_b64 exec, exec, s[92:93]
	s_cbranch_execz .LBB6_2012
.LBB6_2008:                             ;   Parent Loop BB6_47 Depth=1
                                        ;     Parent Loop BB6_2000 Depth=2
                                        ; =>    This Inner Loop Header: Depth=3
	s_sleep 1
	s_waitcnt vmcnt(0) lgkmcnt(0)
	flat_load_dwordx2 v[48:49], v[32:33] sc0 sc1
	s_or_b64 s[34:35], s[34:35], exec
	s_or_b64 s[30:31], s[30:31], exec
                                        ; implicit-def: $vgpr2
	s_and_saveexec_b64 s[36:37], vcc
	s_cbranch_execz .LBB6_2007
; %bb.2009:                             ;   in Loop: Header=BB6_2008 Depth=3
	s_cmpk_lt_i32 s9, 0x270f
	s_cselect_b64 s[50:51], -1, 0
	s_cmpk_gt_i32 s9, 0x270e
	s_mov_b64 s[38:39], -1
	s_cbranch_scc0 .LBB6_2011
; %bb.2010:                             ;   in Loop: Header=BB6_2008 Depth=3
	s_trap 2
	ds_read_b64 v[10:11], v0
	s_andn2_b64 s[50:51], s[50:51], exec
	s_mov_b32 s9, 0
	s_mov_b64 s[48:49], 0
	s_waitcnt vmcnt(0) lgkmcnt(0)
	flat_load_dword v2, v[10:11] sc0 sc1
	s_waitcnt vmcnt(0) lgkmcnt(0)
	buffer_inv sc0 sc1
	v_cmp_eq_u32_e64 s[22:23], 0, v2
	s_and_b64 s[22:23], s[22:23], exec
	s_or_b64 s[50:51], s[50:51], s[22:23]
	s_and_saveexec_b64 s[52:53], s[50:51]
	s_cbranch_execz .LBB6_2006
	s_branch .LBB6_2005
.LBB6_2011:                             ;   in Loop: Header=BB6_2008 Depth=3
	s_add_i32 s9, s9, 1
	s_mov_b64 s[48:49], -1
                                        ; implicit-def: $vgpr2
	s_and_saveexec_b64 s[52:53], s[50:51]
	s_cbranch_execz .LBB6_2006
	s_branch .LBB6_2005
.LBB6_2012:                             ;   in Loop: Header=BB6_2000 Depth=2
	s_or_b64 exec, exec, s[92:93]
	s_xor_b64 s[22:23], s[94:95], -1
	s_and_saveexec_b64 s[92:93], s[22:23]
	s_xor_b64 s[22:23], exec, s[92:93]
	s_cbranch_execz .LBB6_2014
; %bb.2013:                             ;   in Loop: Header=BB6_2000 Depth=2
	v_or_b32_e32 v62, 64, v62
	s_waitcnt lgkmcnt(0)
	ds_write_b32 v0, v2
	s_trap 2
.LBB6_2014:                             ;   in Loop: Header=BB6_2000 Depth=2
	s_or_b64 exec, exec, s[22:23]
.LBB6_2015:                             ;   in Loop: Header=BB6_2000 Depth=2
	s_or_b64 exec, exec, s[90:91]
	v_and_b32_e32 v2, 0x100, v62
	v_cmp_ne_u32_e32 vcc, 0, v2
	v_and_b32_e32 v2, 7, v112
	s_mov_b64 s[22:23], -1
	;;#ASMSTART
	s_wakeup
	;;#ASMEND
                                        ; implicit-def: $vgpr10_vgpr11
	s_and_saveexec_b64 s[90:91], vcc
	s_cbranch_execz .LBB6_2019
; %bb.2016:                             ;   in Loop: Header=BB6_2000 Depth=2
	v_mad_u64_u32 v[12:13], s[22:23], v2, 24, v[6:7]
	flat_load_dword v10, v[12:13]
	s_waitcnt vmcnt(0) lgkmcnt(0)
	v_cmp_ne_u32_e32 vcc, 1, v10
	v_cmp_eq_u32_e64 s[22:23], 1, v10
                                        ; implicit-def: $vgpr10_vgpr11
	s_and_saveexec_b64 s[92:93], s[22:23]
	s_cbranch_execz .LBB6_2018
; %bb.2017:                             ;   in Loop: Header=BB6_2000 Depth=2
	flat_load_dword v10, v[12:13] offset:4 sc0 sc1
	s_waitcnt vmcnt(0) lgkmcnt(0)
	v_ashrrev_i32_e32 v11, 31, v10
	v_lshrrev_b64 v[10:11], 1, v[10:11]
.LBB6_2018:                             ;   in Loop: Header=BB6_2000 Depth=2
	s_or_b64 exec, exec, s[92:93]
	s_orn2_b64 s[22:23], vcc, exec
.LBB6_2019:                             ;   in Loop: Header=BB6_2000 Depth=2
	s_or_b64 exec, exec, s[90:91]
	s_and_saveexec_b64 s[90:91], s[22:23]
; %bb.2020:                             ;   in Loop: Header=BB6_2000 Depth=2
	v_mad_i64_i32 v[10:11], s[22:23], v2, v30, 0
; %bb.2021:                             ;   in Loop: Header=BB6_2000 Depth=2
	s_or_b64 exec, exec, s[90:91]
	v_and_b32_e32 v2, 0x2000, v62
	v_lshl_add_u64 v[10:11], v[10:11], 1, v[34:35]
	v_cmp_ne_u32_e32 vcc, 0, v2
	ds_write_b64 v0, v[10:11] offset:720
	s_and_saveexec_b64 s[22:23], vcc
	s_cbranch_execz .LBB6_2023
; %bb.2022:                             ;   in Loop: Header=BB6_2000 Depth=2
	ds_read_b64 v[10:11], v0 offset:872
	s_waitcnt lgkmcnt(0)
	v_lshl_add_u64 v[10:11], v[10:11], 0, 1
	ds_write_b64 v0, v[10:11] offset:872
.LBB6_2023:                             ;   in Loop: Header=BB6_2000 Depth=2
	s_or_b64 exec, exec, s[22:23]
	v_mov_b64_e32 v[112:113], v[8:9]
.LBB6_2024:                             ;   in Loop: Header=BB6_2000 Depth=2
	s_or_b64 exec, exec, s[88:89]
	s_and_saveexec_b64 s[22:23], s[4:5]
	s_cbranch_execz .LBB6_2043
; %bb.2025:                             ;   in Loop: Header=BB6_2000 Depth=2
	s_and_saveexec_b64 s[88:89], s[44:45]
	s_xor_b64 s[88:89], exec, s[88:89]
	s_cbranch_execz .LBB6_2040
; %bb.2026:                             ;   in Loop: Header=BB6_2000 Depth=2
	s_and_saveexec_b64 s[90:91], s[12:13]
	s_cbranch_execz .LBB6_2039
; %bb.2027:                             ;   in Loop: Header=BB6_2000 Depth=2
	s_mov_b64 s[94:95], exec
	v_mbcnt_lo_u32_b32 v2, s94, 0
	v_mbcnt_hi_u32_b32 v2, s95, v2
	v_cmp_eq_u32_e32 vcc, 0, v2
	s_waitcnt lgkmcnt(0)
	s_and_saveexec_b64 s[92:93], vcc
	s_cbranch_execz .LBB6_2029
; %bb.2028:                             ;   in Loop: Header=BB6_2000 Depth=2
	s_bcnt1_i32_b64 s9, s[94:95]
	v_mov_b32_e32 v2, s9
	ds_add_u64 v0, v[2:3]
	s_trap 2
.LBB6_2029:                             ;   in Loop: Header=BB6_2000 Depth=2
	s_or_b64 exec, exec, s[92:93]
	s_trap 2
	ds_read_b64 v[8:9], v0
	s_waitcnt lgkmcnt(0)
	v_lshl_add_u64 v[38:39], v[38:39], 0, v[52:53]
	v_cmp_lt_u64_e32 vcc, v[8:9], v[38:39]
	s_and_saveexec_b64 s[92:93], vcc
	s_cbranch_execz .LBB6_2038
; %bb.2030:                             ;   in Loop: Header=BB6_2000 Depth=2
	s_mov_b32 s9, 0
	s_mov_b64 s[94:95], 0
                                        ; implicit-def: $sgpr30_sgpr31
                                        ; implicit-def: $sgpr34_sgpr35
	s_branch .LBB6_2032
.LBB6_2031:                             ;   in Loop: Header=BB6_2032 Depth=3
	s_or_b64 exec, exec, s[38:39]
	s_and_b64 vcc, exec, vcc
	s_or_b64 s[94:95], vcc, s[94:95]
	s_andn2_b64 vcc, s[30:31], exec
	s_and_b64 s[30:31], s[34:35], exec
	s_or_b64 s[30:31], vcc, s[30:31]
	s_andn2_b64 exec, exec, s[94:95]
	s_cbranch_execz .LBB6_2036
.LBB6_2032:                             ;   Parent Loop BB6_47 Depth=1
                                        ;     Parent Loop BB6_2000 Depth=2
                                        ; =>    This Inner Loop Header: Depth=3
	s_add_i32 s9, s9, 1
	s_cmpk_lg_i32 s9, 0x2710
	s_cselect_b64 s[36:37], -1, 0
	s_and_b64 vcc, exec, s[36:37]
	s_cbranch_vccz .LBB6_2034
; %bb.2033:                             ;   in Loop: Header=BB6_2032 Depth=3
	s_mov_b64 vcc, -1
	s_or_b64 s[34:35], s[34:35], exec
	s_and_saveexec_b64 s[38:39], s[36:37]
	s_cbranch_execz .LBB6_2031
	s_branch .LBB6_2035
.LBB6_2034:                             ;   in Loop: Header=BB6_2032 Depth=3
	s_trap 2
	ds_read_b64 v[8:9], v0
	s_andn2_b64 s[36:37], s[36:37], exec
	s_mov_b32 s9, 0
	s_waitcnt vmcnt(0) lgkmcnt(0)
	flat_load_dword v2, v[8:9] sc0 sc1
	s_waitcnt vmcnt(0) lgkmcnt(0)
	buffer_inv sc0 sc1
	v_cmp_eq_u32_e32 vcc, 0, v2
	s_and_b64 vcc, vcc, exec
	s_or_b64 s[36:37], s[36:37], vcc
	s_mov_b64 vcc, -1
	s_or_b64 s[34:35], s[34:35], exec
	s_and_saveexec_b64 s[38:39], s[36:37]
	s_cbranch_execz .LBB6_2031
.LBB6_2035:                             ;   in Loop: Header=BB6_2032 Depth=3
	s_sleep 1
	s_trap 2
	ds_read_b64 v[8:9], v0
	s_waitcnt lgkmcnt(0)
	s_andn2_b64 s[34:35], s[34:35], exec
	v_cmp_ge_u64_e32 vcc, v[8:9], v[38:39]
	s_orn2_b64 vcc, vcc, exec
	s_branch .LBB6_2031
.LBB6_2036:                             ;   in Loop: Header=BB6_2000 Depth=2
	s_or_b64 exec, exec, s[94:95]
	s_and_saveexec_b64 s[94:95], s[30:31]
	s_xor_b64 s[94:95], exec, s[94:95]
	s_cbranch_execz .LBB6_2038
; %bb.2037:                             ;   in Loop: Header=BB6_2000 Depth=2
	ds_write_b32 v0, v75
	s_trap 2
.LBB6_2038:                             ;   in Loop: Header=BB6_2000 Depth=2
	s_or_b64 exec, exec, s[92:93]
	;;#ASMSTART
	s_wakeup
	;;#ASMEND
.LBB6_2039:                             ;   in Loop: Header=BB6_2000 Depth=2
	s_or_b64 exec, exec, s[90:91]
.LBB6_2040:                             ;   in Loop: Header=BB6_2000 Depth=2
	s_andn2_saveexec_b64 s[88:89], s[88:89]
	s_cbranch_execz .LBB6_2042
; %bb.2041:                             ;   in Loop: Header=BB6_2000 Depth=2
	s_waitcnt lgkmcnt(0)
	s_barrier
.LBB6_2042:                             ;   in Loop: Header=BB6_2000 Depth=2
	s_or_b64 exec, exec, s[88:89]
.LBB6_2043:                             ;   in Loop: Header=BB6_2000 Depth=2
	s_or_b64 exec, exec, s[22:23]
	s_trap 2
	ds_read_b32 v8, v0
	v_and_b32_e32 v2, 0x4000, v62
	v_cmp_ne_u32_e32 vcc, 0, v2
	s_xor_b64 s[22:23], s[2:3], -1
	s_and_b64 s[88:89], s[22:23], vcc
	s_and_saveexec_b64 s[22:23], s[88:89]
	s_cbranch_execz .LBB6_2062
; %bb.2044:                             ;   in Loop: Header=BB6_2000 Depth=2
	s_and_saveexec_b64 s[88:89], s[44:45]
	s_xor_b64 s[88:89], exec, s[88:89]
	s_cbranch_execz .LBB6_2059
; %bb.2045:                             ;   in Loop: Header=BB6_2000 Depth=2
	s_and_saveexec_b64 s[90:91], s[12:13]
	s_cbranch_execz .LBB6_2058
; %bb.2046:                             ;   in Loop: Header=BB6_2000 Depth=2
	s_mov_b64 s[94:95], exec
	v_mbcnt_lo_u32_b32 v2, s94, 0
	v_mbcnt_hi_u32_b32 v2, s95, v2
	v_cmp_eq_u32_e32 vcc, 0, v2
	s_waitcnt lgkmcnt(0)
	s_and_saveexec_b64 s[92:93], vcc
	s_cbranch_execz .LBB6_2048
; %bb.2047:                             ;   in Loop: Header=BB6_2000 Depth=2
	s_bcnt1_i32_b64 s9, s[94:95]
	v_mov_b32_e32 v2, s9
	ds_add_u64 v0, v[2:3]
	s_trap 2
.LBB6_2048:                             ;   in Loop: Header=BB6_2000 Depth=2
	s_or_b64 exec, exec, s[92:93]
	s_trap 2
	ds_read_b64 v[10:11], v0
	s_waitcnt lgkmcnt(0)
	v_lshl_add_u64 v[38:39], v[38:39], 0, v[52:53]
	v_cmp_lt_u64_e32 vcc, v[10:11], v[38:39]
	s_and_saveexec_b64 s[92:93], vcc
	s_cbranch_execz .LBB6_2057
; %bb.2049:                             ;   in Loop: Header=BB6_2000 Depth=2
	s_mov_b32 s9, 0
	s_mov_b64 s[94:95], 0
                                        ; implicit-def: $sgpr30_sgpr31
                                        ; implicit-def: $sgpr34_sgpr35
	s_branch .LBB6_2051
.LBB6_2050:                             ;   in Loop: Header=BB6_2051 Depth=3
	s_or_b64 exec, exec, s[38:39]
	s_and_b64 vcc, exec, vcc
	s_or_b64 s[94:95], vcc, s[94:95]
	s_andn2_b64 vcc, s[30:31], exec
	s_and_b64 s[30:31], s[34:35], exec
	s_or_b64 s[30:31], vcc, s[30:31]
	s_andn2_b64 exec, exec, s[94:95]
	s_cbranch_execz .LBB6_2055
.LBB6_2051:                             ;   Parent Loop BB6_47 Depth=1
                                        ;     Parent Loop BB6_2000 Depth=2
                                        ; =>    This Inner Loop Header: Depth=3
	s_add_i32 s9, s9, 1
	s_cmpk_lg_i32 s9, 0x2710
	s_cselect_b64 s[36:37], -1, 0
	s_and_b64 vcc, exec, s[36:37]
	s_cbranch_vccz .LBB6_2053
; %bb.2052:                             ;   in Loop: Header=BB6_2051 Depth=3
	s_mov_b64 vcc, -1
	s_or_b64 s[34:35], s[34:35], exec
	s_and_saveexec_b64 s[38:39], s[36:37]
	s_cbranch_execz .LBB6_2050
	s_branch .LBB6_2054
.LBB6_2053:                             ;   in Loop: Header=BB6_2051 Depth=3
	s_trap 2
	ds_read_b64 v[10:11], v0
	s_andn2_b64 s[36:37], s[36:37], exec
	s_mov_b32 s9, 0
	s_waitcnt vmcnt(0) lgkmcnt(0)
	flat_load_dword v2, v[10:11] sc0 sc1
	s_waitcnt vmcnt(0) lgkmcnt(0)
	buffer_inv sc0 sc1
	v_cmp_eq_u32_e32 vcc, 0, v2
	s_and_b64 vcc, vcc, exec
	s_or_b64 s[36:37], s[36:37], vcc
	s_mov_b64 vcc, -1
	s_or_b64 s[34:35], s[34:35], exec
	s_and_saveexec_b64 s[38:39], s[36:37]
	s_cbranch_execz .LBB6_2050
.LBB6_2054:                             ;   in Loop: Header=BB6_2051 Depth=3
	s_sleep 1
	s_trap 2
	ds_read_b64 v[10:11], v0
	s_waitcnt lgkmcnt(0)
	s_andn2_b64 s[34:35], s[34:35], exec
	v_cmp_ge_u64_e32 vcc, v[10:11], v[38:39]
	s_orn2_b64 vcc, vcc, exec
	s_branch .LBB6_2050
.LBB6_2055:                             ;   in Loop: Header=BB6_2000 Depth=2
	s_or_b64 exec, exec, s[94:95]
	s_and_saveexec_b64 s[94:95], s[30:31]
	s_xor_b64 s[94:95], exec, s[94:95]
	s_cbranch_execz .LBB6_2057
; %bb.2056:                             ;   in Loop: Header=BB6_2000 Depth=2
	ds_write_b32 v0, v75
	s_trap 2
.LBB6_2057:                             ;   in Loop: Header=BB6_2000 Depth=2
	s_or_b64 exec, exec, s[92:93]
	;;#ASMSTART
	s_wakeup
	;;#ASMEND
.LBB6_2058:                             ;   in Loop: Header=BB6_2000 Depth=2
	s_or_b64 exec, exec, s[90:91]
.LBB6_2059:                             ;   in Loop: Header=BB6_2000 Depth=2
	s_andn2_saveexec_b64 s[88:89], s[88:89]
	s_cbranch_execz .LBB6_2061
; %bb.2060:                             ;   in Loop: Header=BB6_2000 Depth=2
	s_waitcnt lgkmcnt(0)
	s_barrier
.LBB6_2061:                             ;   in Loop: Header=BB6_2000 Depth=2
	s_or_b64 exec, exec, s[88:89]
.LBB6_2062:                             ;   in Loop: Header=BB6_2000 Depth=2
	s_or_b64 exec, exec, s[22:23]
	s_trap 2
	ds_read_b64 v[118:119], v0
	v_sub_u32_e32 v2, v56, v114
	v_min_i32_e32 v57, v57, v2
	s_waitcnt lgkmcnt(0)
	v_cmp_eq_u64_e32 vcc, 0, v[118:119]
	s_cbranch_vccnz .LBB6_2070
; %bb.2063:                             ;   in Loop: Header=BB6_2000 Depth=2
	s_trap 2
	ds_read_b64 v[40:41], v0
	s_waitcnt lgkmcnt(0)
	v_cmp_eq_u64_e32 vcc, 0, v[40:41]
	s_cbranch_vccnz .LBB6_2070
; %bb.2064:                             ;   in Loop: Header=BB6_2000 Depth=2
	s_mov_b64 s[88:89], -1
	s_and_saveexec_b64 s[22:23], s[16:17]
	s_cbranch_execz .LBB6_2066
; %bb.2065:                             ;   in Loop: Header=BB6_2000 Depth=2
	ds_read_b32 v2, v0 offset:720
	s_waitcnt lgkmcnt(0)
	v_and_b32_e32 v2, 15, v2
	v_cmp_eq_u32_e32 vcc, 0, v2
	s_orn2_b64 s[88:89], vcc, exec
.LBB6_2066:                             ;   in Loop: Header=BB6_2000 Depth=2
	s_or_b64 exec, exec, s[22:23]
	s_and_saveexec_b64 s[22:23], s[14:15]
	s_cbranch_execz .LBB6_2068
; %bb.2067:                             ;   in Loop: Header=BB6_2000 Depth=2
	ds_read_b32 v2, v0 offset:784
	s_waitcnt lgkmcnt(0)
	v_and_b32_e32 v2, 15, v2
	v_cmp_eq_u32_e32 vcc, 0, v2
	s_and_b64 s[90:91], s[88:89], vcc
	s_andn2_b64 s[88:89], s[88:89], exec
	s_and_b64 s[90:91], s[90:91], exec
	s_or_b64 s[88:89], s[88:89], s[90:91]
.LBB6_2068:                             ;   in Loop: Header=BB6_2000 Depth=2
	s_or_b64 exec, exec, s[22:23]
	s_xor_b64 s[88:89], s[88:89], -1
	v_cndmask_b32_e64 v2, 0, 1, s[88:89]
	v_cmp_eq_u32_e64 s[22:23], 0, v8
	s_mov_b64 s[90:91], -1
	v_cmp_ne_u32_e32 vcc, 0, v2
	s_cbranch_vccz .LBB6_2075
; %bb.2069:                             ;   in Loop: Header=BB6_2000 Depth=2
	s_mov_b64 s[90:91], 0
	s_mov_b64 s[88:89], -1
	s_branch .LBB6_2076
.LBB6_2070:                             ;   in Loop: Header=BB6_2000 Depth=2
	s_mov_b64 s[22:23], 0
	s_and_saveexec_b64 s[88:89], s[4:5]
	s_cbranch_execnz .LBB6_2126
.LBB6_2071:                             ;   in Loop: Header=BB6_2000 Depth=2
	s_or_b64 exec, exec, s[88:89]
	s_and_saveexec_b64 s[88:89], s[20:21]
	s_xor_b64 s[88:89], exec, s[88:89]
	s_cbranch_execz .LBB6_2144
.LBB6_2072:                             ;   in Loop: Header=BB6_2000 Depth=2
	v_and_b32_e32 v2, 16, v62
	v_cmp_ne_u32_e32 vcc, 0, v2
	s_and_b64 s[90:91], vcc, s[22:23]
	s_and_saveexec_b64 s[22:23], s[90:91]
	s_cbranch_execz .LBB6_2074
; %bb.2073:                             ;   in Loop: Header=BB6_2000 Depth=2
	buffer_wbl2 sc1
	s_waitcnt vmcnt(0) lgkmcnt(0)
	buffer_inv sc1
.LBB6_2074:                             ;   in Loop: Header=BB6_2000 Depth=2
	s_or_b64 exec, exec, s[22:23]
	s_andn2_saveexec_b64 s[22:23], s[88:89]
	s_cbranch_execz .LBB6_2163
	s_branch .LBB6_2145
.LBB6_2075:                             ;   in Loop: Header=BB6_2000 Depth=2
	s_mov_b64 s[88:89], 0
.LBB6_2076:                             ;   in Loop: Header=BB6_2000 Depth=2
	v_cndmask_b32_e64 v2, 0, v57, s[22:23]
	v_lshlrev_b32_e32 v115, 1, v2
	s_andn2_b64 vcc, exec, s[90:91]
	v_mov_b32_e32 v14, 0
	s_cbranch_vccnz .LBB6_2084
; %bb.2077:                             ;   in Loop: Header=BB6_2000 Depth=2
	v_ashrrev_i32_e32 v8, 31, v115
	v_lshrrev_b32_e32 v8, 21, v8
	v_add_u32_e32 v8, v115, v8
	v_ashrrev_i32_e32 v58, 11, v8
	v_sub_u32_e32 v46, v58, v72
	v_lshl_add_u64 v[42:43], v[40:41], 0, v[66:67]
	v_cmp_lt_i32_e32 vcc, 0, v46
	s_mov_b64 s[90:91], 0
                                        ; implicit-def: $vgpr8_vgpr9
                                        ; implicit-def: $vgpr12_vgpr13
	s_and_saveexec_b64 s[22:23], vcc
	s_cbranch_execz .LBB6_2086
; %bb.2078:                             ;   in Loop: Header=BB6_2000 Depth=2
	v_lshl_add_u64 v[44:45], v[118:119], 0, v[66:67]
	s_mov_b64 s[94:95], 0
                                        ; implicit-def: $sgpr92_sgpr93
                                        ; implicit-def: $vgpr8_vgpr9
                                        ; implicit-def: $vgpr12_vgpr13
	s_branch .LBB6_2080
.LBB6_2079:                             ;   in Loop: Header=BB6_2080 Depth=3
	s_or_b64 exec, exec, vcc
	s_waitcnt vmcnt(0)
	global_store_dwordx4 v[42:43], v[16:19], off
	global_store_dwordx4 v[42:43], v[20:23], off offset:1024
	v_lshl_add_u64 v[44:45], v[44:45], 0, v[46:47]
	v_lshl_add_u64 v[16:17], v[42:43], 0, v[46:47]
	v_sub_u32_e32 v46, v59, v60
	v_cmp_gt_i32_e32 vcc, 1, v46
	s_or_b64 s[90:91], vcc, s[90:91]
	s_andn2_b64 s[92:93], s[92:93], exec
	s_and_b64 vcc, s[94:95], exec
	v_lshl_add_u64 v[42:43], v[16:17], 0, s[46:47]
	s_or_b64 s[92:93], s[92:93], vcc
	s_andn2_b64 exec, exec, s[90:91]
	s_cbranch_execz .LBB6_2085
.LBB6_2080:                             ;   Parent Loop BB6_47 Depth=1
                                        ;     Parent Loop BB6_2000 Depth=2
                                        ; =>    This Inner Loop Header: Depth=3
	global_load_dwordx4 v[16:19], v[44:45], off nt
	global_load_dwordx4 v[20:23], v[44:45], off offset:1024 nt
	s_and_saveexec_b64 vcc, s[94:95]
	s_cbranch_execz .LBB6_2082
; %bb.2081:                             ;   in Loop: Header=BB6_2080 Depth=3
	v_lshl_add_u64 v[60:61], v[42:43], 0, v[84:85]
	global_store_dwordx4 v[42:43], v[8:11], off
	global_store_dwordx4 v[42:43], v[12:15], off offset:1024
	v_mov_b64_e32 v[42:43], v[60:61]
.LBB6_2082:                             ;   in Loop: Header=BB6_2080 Depth=3
	s_or_b64 exec, exec, vcc
	v_sub_u32_e32 v59, v46, v52
	v_lshl_add_u64 v[44:45], v[44:45], 0, v[84:85]
	v_mov_b32_e32 v60, 0
	v_cmp_lt_i32_e64 s[94:95], 0, v59
	v_mov_b64_e32 v[46:47], 0
	s_and_saveexec_b64 vcc, s[94:95]
	s_cbranch_execz .LBB6_2079
; %bb.2083:                             ;   in Loop: Header=BB6_2080 Depth=3
	global_load_dwordx4 v[8:11], v[44:45], off nt
	global_load_dwordx4 v[12:15], v[44:45], off offset:1024 nt
	v_lshl_add_u64 v[44:45], v[44:45], 0, s[46:47]
	v_mov_b32_e32 v60, v52
	v_mov_b64_e32 v[46:47], v[68:69]
	s_branch .LBB6_2079
.LBB6_2084:                             ;   in Loop: Header=BB6_2000 Depth=2
	v_mov_b32_e32 v8, v0
	v_mov_b32_e32 v15, v63
	s_and_saveexec_b64 s[22:23], s[88:89]
	s_cbranch_execnz .LBB6_2105
	s_branch .LBB6_2125
.LBB6_2085:                             ;   in Loop: Header=BB6_2000 Depth=2
	s_or_b64 exec, exec, s[90:91]
	s_and_b64 s[90:91], s[92:93], exec
.LBB6_2086:                             ;   in Loop: Header=BB6_2000 Depth=2
	s_or_b64 exec, exec, s[22:23]
	s_and_saveexec_b64 s[22:23], s[90:91]
	s_cbranch_execz .LBB6_2088
; %bb.2087:                             ;   in Loop: Header=BB6_2000 Depth=2
	global_store_dwordx4 v[42:43], v[8:11], off
	global_store_dwordx4 v[42:43], v[12:15], off offset:1024
.LBB6_2088:                             ;   in Loop: Header=BB6_2000 Depth=2
	s_or_b64 exec, exec, s[22:23]
	v_lshlrev_b32_e32 v20, 11, v58
	v_cmp_ne_u32_e32 vcc, v115, v20
                                        ; implicit-def: $vgpr14
                                        ; implicit-def: $vgpr8
                                        ; implicit-def: $vgpr15
	s_and_saveexec_b64 s[90:91], vcc
	s_cbranch_execz .LBB6_2104
; %bb.2089:                             ;   in Loop: Header=BB6_2000 Depth=2
	v_lshlrev_b32_e32 v9, 6, v46
	v_sub_u32_e32 v9, v63, v9
	v_ashrrev_i32_e32 v10, 31, v9
	v_lshrrev_b32_e32 v10, 26, v10
	v_add_u32_e32 v10, v9, v10
	v_ashrrev_i32_e32 v11, 6, v10
	v_and_b32_e32 v10, 0xffffffc0, v10
	v_sub_u32_e32 v21, v9, v10
	v_lshlrev_b32_e32 v9, 4, v21
	v_sub_u32_e32 v8, v115, v20
	v_lshl_add_u32 v9, v11, 10, v9
	v_add_u32_e32 v10, v9, v20
	v_sub_u32_e32 v43, v8, v9
	v_ashrrev_i32_e32 v9, 31, v8
	v_lshrrev_b32_e32 v9, 22, v9
	v_add_u32_e32 v9, v8, v9
	v_and_b32_e32 v22, 0xfffffc00, v9
	v_sub_u32_e32 v42, v8, v22
	v_ashrrev_i32_e32 v12, 10, v9
	v_cmp_lt_i32_e32 vcc, 15, v42
	s_mov_b64 s[94:95], 0
	s_nop 0
	v_addc_co_u32_e64 v8, s[22:23], 0, v12, vcc
	v_sub_u32_e32 v23, v8, v11
	v_ashrrev_i32_e32 v11, 31, v10
	v_lshl_add_u64 v[16:17], v[10:11], 0, v[40:41]
	v_cmp_lt_i32_e64 s[22:23], 15, v43
                                        ; implicit-def: $vgpr8_vgpr9
	s_and_saveexec_b64 s[92:93], s[22:23]
	s_cbranch_execz .LBB6_2099
; %bb.2090:                             ;   in Loop: Header=BB6_2000 Depth=2
	v_lshl_add_u64 v[18:19], v[10:11], 0, v[118:119]
	s_mov_b64 s[34:35], 0
                                        ; implicit-def: $sgpr30_sgpr31
                                        ; implicit-def: $vgpr8_vgpr9
	s_branch .LBB6_2092
.LBB6_2091:                             ;   in Loop: Header=BB6_2092 Depth=3
	s_or_b64 exec, exec, s[22:23]
	v_cmp_gt_i32_e64 s[22:23], 16, v43
	s_or_b64 s[94:95], s[22:23], s[94:95]
	s_andn2_b64 s[22:23], s[30:31], exec
	s_and_b64 s[30:31], s[34:35], exec
	s_or_b64 s[30:31], s[22:23], s[30:31]
	s_andn2_b64 exec, exec, s[94:95]
	s_cbranch_execz .LBB6_2098
.LBB6_2092:                             ;   Parent Loop BB6_47 Depth=1
                                        ;     Parent Loop BB6_2000 Depth=2
                                        ; =>    This Inner Loop Header: Depth=3
	global_load_dwordx4 v[12:15], v[18:19], off nt
	s_and_saveexec_b64 s[22:23], s[34:35]
	s_cbranch_execz .LBB6_2094
; %bb.2093:                             ;   in Loop: Header=BB6_2092 Depth=3
	v_lshl_add_u64 v[44:45], v[16:17], 0, v[96:97]
	global_store_dwordx4 v[16:17], v[8:11], off
	v_mov_b64_e32 v[16:17], v[44:45]
.LBB6_2094:                             ;   in Loop: Header=BB6_2092 Depth=3
	s_or_b64 exec, exec, s[22:23]
	v_sub_u32_e32 v43, v43, v73
	v_lshl_add_u64 v[18:19], v[18:19], 0, v[96:97]
	v_cmp_lt_i32_e64 s[34:35], 15, v43
	s_and_saveexec_b64 s[22:23], s[34:35]
	s_cbranch_execz .LBB6_2096
; %bb.2095:                             ;   in Loop: Header=BB6_2092 Depth=3
	global_load_dwordx4 v[8:11], v[18:19], off nt
	v_lshl_add_u64 v[18:19], v[18:19], 0, s[56:57]
.LBB6_2096:                             ;   in Loop: Header=BB6_2092 Depth=3
	s_or_b64 exec, exec, s[22:23]
	v_sub_u32_e32 v23, v23, v52
	s_waitcnt vmcnt(0)
	global_store_dwordx4 v[16:17], v[12:15], off
	v_lshl_add_u64 v[16:17], v[16:17], 0, s[56:57]
	s_and_saveexec_b64 s[22:23], s[34:35]
	s_cbranch_execz .LBB6_2091
; %bb.2097:                             ;   in Loop: Header=BB6_2092 Depth=3
	v_sub_u32_e32 v23, v23, v52
	v_sub_u32_e32 v43, v43, v73
	v_lshl_add_u64 v[18:19], v[18:19], 0, v[80:81]
	v_lshl_add_u64 v[16:17], v[16:17], 0, v[80:81]
	s_branch .LBB6_2091
.LBB6_2098:                             ;   in Loop: Header=BB6_2000 Depth=2
	s_or_b64 exec, exec, s[94:95]
	s_and_b64 s[94:95], s[30:31], exec
.LBB6_2099:                             ;   in Loop: Header=BB6_2000 Depth=2
	s_or_b64 exec, exec, s[92:93]
	s_and_saveexec_b64 s[22:23], s[94:95]
	s_cbranch_execz .LBB6_2101
; %bb.2100:                             ;   in Loop: Header=BB6_2000 Depth=2
	global_store_dwordx4 v[16:17], v[8:11], off
.LBB6_2101:                             ;   in Loop: Header=BB6_2000 Depth=2
	s_or_b64 exec, exec, s[22:23]
	s_nop 0
	v_and_b32_e32 v9, 14, v115
	v_cndmask_b32_e32 v115, v42, v9, vcc
	v_cmp_ne_u32_e64 s[22:23], 0, v115
	s_mov_b64 s[94:95], s[88:89]
                                        ; implicit-def: $vgpr14
                                        ; implicit-def: $vgpr8
                                        ; implicit-def: $vgpr15
	s_and_saveexec_b64 s[92:93], s[22:23]
	s_cbranch_execz .LBB6_2103
; %bb.2102:                             ;   in Loop: Header=BB6_2000 Depth=2
	v_sub_u32_e32 v8, v42, v9
	v_cndmask_b32_e32 v8, 0, v8, vcc
	v_cmp_lt_i32_e32 vcc, 0, v23
	v_add3_u32 v14, v22, v20, v8
	s_or_b64 s[94:95], s[88:89], exec
	v_cndmask_b32_e32 v8, 0, v52, vcc
	v_sub_u32_e32 v8, v8, v23
	v_lshl_add_u32 v8, v8, 6, v21
	v_ashrrev_i32_e32 v9, 31, v8
	v_lshrrev_b32_e32 v9, 26, v9
	v_add_u32_e32 v9, v8, v9
	v_and_b32_e32 v9, 0xffffffc0, v9
	v_sub_u32_e32 v15, v8, v9
.LBB6_2103:                             ;   in Loop: Header=BB6_2000 Depth=2
	s_or_b64 exec, exec, s[92:93]
	s_andn2_b64 s[22:23], s[88:89], exec
	s_and_b64 s[88:89], s[94:95], exec
	s_or_b64 s[88:89], s[22:23], s[88:89]
.LBB6_2104:                             ;   in Loop: Header=BB6_2000 Depth=2
	s_or_b64 exec, exec, s[90:91]
	s_and_saveexec_b64 s[22:23], s[88:89]
	s_cbranch_execz .LBB6_2125
.LBB6_2105:                             ;   in Loop: Header=BB6_2000 Depth=2
	v_ashrrev_i32_e32 v9, 31, v8
	v_lshrrev_b32_e32 v9, 26, v9
	v_add_u32_e32 v8, v8, v9
	v_ashrrev_i32_e32 v8, 6, v8
	v_lshlrev_b32_e32 v9, 9, v8
	v_lshlrev_b32_e32 v10, 1, v15
	v_add3_u32 v10, v14, v10, v9
	v_ashrrev_i32_e32 v9, 31, v115
	v_lshrrev_b32_e32 v9, 23, v9
	v_add_u32_e32 v9, v115, v9
	v_ashrrev_i32_e32 v16, 9, v9
	v_sub_u32_e32 v12, v16, v8
	v_ashrrev_i32_e32 v11, 31, v10
	v_lshl_add_u64 v[8:9], v[40:41], 0, v[10:11]
	v_cmp_lt_i32_e32 vcc, 0, v12
	s_mov_b64 s[90:91], 0
                                        ; implicit-def: $vgpr17
                                        ; implicit-def: $vgpr18
                                        ; implicit-def: $vgpr19
                                        ; implicit-def: $vgpr20
	s_and_saveexec_b64 s[88:89], vcc
	s_cbranch_execz .LBB6_2113
; %bb.2106:                             ;   in Loop: Header=BB6_2000 Depth=2
	v_lshl_add_u64 v[10:11], v[10:11], 0, v[118:119]
	s_mov_b64 s[94:95], 0
                                        ; implicit-def: $sgpr92_sgpr93
                                        ; implicit-def: $vgpr17
                                        ; implicit-def: $vgpr18
                                        ; implicit-def: $vgpr19
                                        ; implicit-def: $vgpr20
	s_branch .LBB6_2108
.LBB6_2107:                             ;   in Loop: Header=BB6_2108 Depth=3
	s_or_b64 exec, exec, vcc
	s_waitcnt vmcnt(0) lgkmcnt(0)
	flat_store_short v[8:9], v21 nt
	flat_store_short v[8:9], v22 offset:128 nt
	flat_store_short v[8:9], v23 offset:256 nt
	;; [unrolled: 1-line block ×3, first 2 shown]
	v_lshl_add_u64 v[8:9], v[8:9], 0, v[12:13]
	v_lshl_add_u64 v[10:11], v[10:11], 0, v[12:13]
	v_sub_u32_e32 v12, v43, v44
	v_cmp_gt_i32_e32 vcc, 1, v12
	s_or_b64 s[90:91], vcc, s[90:91]
	s_andn2_b64 s[92:93], s[92:93], exec
	s_and_b64 vcc, s[94:95], exec
	v_lshl_add_u64 v[8:9], v[8:9], 0, s[58:59]
	s_or_b64 s[92:93], s[92:93], vcc
	s_andn2_b64 exec, exec, s[90:91]
	s_cbranch_execz .LBB6_2112
.LBB6_2108:                             ;   Parent Loop BB6_47 Depth=1
                                        ;     Parent Loop BB6_2000 Depth=2
                                        ; =>    This Inner Loop Header: Depth=3
	flat_load_ushort v21, v[10:11] nt
	flat_load_ushort v22, v[10:11] offset:128 nt
	flat_load_ushort v23, v[10:11] offset:256 nt
	;; [unrolled: 1-line block ×3, first 2 shown]
	s_and_saveexec_b64 vcc, s[94:95]
	s_cbranch_execz .LBB6_2110
; %bb.2109:                             ;   in Loop: Header=BB6_2108 Depth=3
	flat_store_short v[8:9], v17 nt
	flat_store_short v[8:9], v18 offset:128 nt
	flat_store_short v[8:9], v19 offset:256 nt
	;; [unrolled: 1-line block ×3, first 2 shown]
	v_lshl_add_u64 v[8:9], v[8:9], 0, v[86:87]
.LBB6_2110:                             ;   in Loop: Header=BB6_2108 Depth=3
	s_or_b64 exec, exec, vcc
	v_sub_u32_e32 v43, v12, v52
	v_lshl_add_u64 v[10:11], v[10:11], 0, v[86:87]
	v_mov_b32_e32 v44, 0
	v_cmp_lt_i32_e64 s[94:95], 0, v43
	v_mov_b64_e32 v[12:13], 0
	s_and_saveexec_b64 vcc, s[94:95]
	s_cbranch_execz .LBB6_2107
; %bb.2111:                             ;   in Loop: Header=BB6_2108 Depth=3
	flat_load_ushort v17, v[10:11] nt
	flat_load_ushort v18, v[10:11] offset:128 nt
	flat_load_ushort v19, v[10:11] offset:256 nt
	;; [unrolled: 1-line block ×3, first 2 shown]
	v_lshl_add_u64 v[10:11], v[10:11], 0, s[58:59]
	v_mov_b32_e32 v44, v52
	v_mov_b64_e32 v[12:13], v[70:71]
	s_branch .LBB6_2107
.LBB6_2112:                             ;   in Loop: Header=BB6_2000 Depth=2
	s_or_b64 exec, exec, s[90:91]
	s_and_b64 s[90:91], s[92:93], exec
.LBB6_2113:                             ;   in Loop: Header=BB6_2000 Depth=2
	s_or_b64 exec, exec, s[88:89]
	s_and_saveexec_b64 s[88:89], s[90:91]
	s_cbranch_execz .LBB6_2115
; %bb.2114:                             ;   in Loop: Header=BB6_2000 Depth=2
	flat_store_short v[8:9], v17 nt
	flat_store_short v[8:9], v18 offset:128 nt
	flat_store_short v[8:9], v19 offset:256 nt
	flat_store_short v[8:9], v20 offset:384 nt
.LBB6_2115:                             ;   in Loop: Header=BB6_2000 Depth=2
	s_or_b64 exec, exec, s[88:89]
	v_lshlrev_b32_e32 v8, 9, v16
	v_cmp_ne_u32_e32 vcc, v115, v8
	s_and_b64 exec, exec, vcc
	s_cbranch_execz .LBB6_2125
; %bb.2116:                             ;   in Loop: Header=BB6_2000 Depth=2
	v_lshlrev_b32_e32 v9, 6, v12
	v_sub_u32_e32 v9, v15, v9
	v_ashrrev_i32_e32 v10, 31, v9
	v_lshrrev_b32_e32 v10, 26, v10
	v_add_u32_e32 v10, v9, v10
	v_and_b32_e32 v11, 0x7fffffc0, v10
	v_sub_u32_e32 v9, v9, v11
	v_lshlrev_b32_e32 v10, 1, v10
	v_and_b32_e32 v10, 0xffffff80, v10
	v_lshlrev_b32_e32 v9, 1, v9
	v_add3_u32 v8, v10, v9, v8
	v_sub_u32_e32 v12, v115, v8
	v_cmp_lt_i32_e32 vcc, 1, v12
	s_and_b64 exec, exec, vcc
	s_cbranch_execz .LBB6_2125
; %bb.2117:                             ;   in Loop: Header=BB6_2000 Depth=2
	v_add_u32_e32 v10, v8, v14
	v_ashrrev_i32_e32 v11, 31, v10
	v_lshl_add_u64 v[8:9], v[40:41], 0, v[10:11]
	v_lshl_add_u64 v[10:11], v[10:11], 0, v[118:119]
	s_mov_b64 s[92:93], 0
	s_mov_b64 s[88:89], 0
                                        ; implicit-def: $sgpr90_sgpr91
                                        ; implicit-def: $vgpr14
	s_branch .LBB6_2119
.LBB6_2118:                             ;   in Loop: Header=BB6_2119 Depth=3
	s_or_b64 exec, exec, s[94:95]
	s_waitcnt vmcnt(0) lgkmcnt(0)
	flat_store_short v[8:9], v15 nt
	v_lshl_add_u64 v[8:9], v[8:9], 0, v[12:13]
	v_lshl_add_u64 v[10:11], v[10:11], 0, v[12:13]
	v_sub_u32_e32 v12, v16, v17
	v_cmp_gt_i32_e32 vcc, 2, v12
	s_or_b64 s[88:89], vcc, s[88:89]
	s_andn2_b64 s[90:91], s[90:91], exec
	s_and_b64 s[94:95], s[92:93], exec
	v_lshl_add_u64 v[8:9], v[8:9], 0, s[60:61]
	s_or_b64 s[90:91], s[90:91], s[94:95]
	s_andn2_b64 exec, exec, s[88:89]
	s_cbranch_execz .LBB6_2123
.LBB6_2119:                             ;   Parent Loop BB6_47 Depth=1
                                        ;     Parent Loop BB6_2000 Depth=2
                                        ; =>    This Inner Loop Header: Depth=3
	flat_load_ushort v15, v[10:11] nt
	s_and_saveexec_b64 s[94:95], s[92:93]
	s_cbranch_execz .LBB6_2121
; %bb.2120:                             ;   in Loop: Header=BB6_2119 Depth=3
	v_lshl_add_u64 v[16:17], v[8:9], 0, v[98:99]
	flat_store_short v[8:9], v14 nt
	v_mov_b64_e32 v[8:9], v[16:17]
.LBB6_2121:                             ;   in Loop: Header=BB6_2119 Depth=3
	s_or_b64 exec, exec, s[94:95]
	v_sub_u32_e32 v16, v12, v74
	v_lshl_add_u64 v[10:11], v[10:11], 0, v[98:99]
	v_cmp_lt_i32_e64 s[92:93], 1, v16
	v_mov_b64_e32 v[12:13], 0
	v_mov_b32_e32 v17, 0
	s_and_saveexec_b64 s[94:95], s[92:93]
	s_cbranch_execz .LBB6_2118
; %bb.2122:                             ;   in Loop: Header=BB6_2119 Depth=3
	flat_load_ushort v14, v[10:11] nt
	v_lshl_add_u64 v[10:11], v[10:11], 0, s[60:61]
	v_mov_b32_e32 v17, v74
	v_mov_b64_e32 v[12:13], v[82:83]
	s_branch .LBB6_2118
.LBB6_2123:                             ;   in Loop: Header=BB6_2000 Depth=2
	s_or_b64 exec, exec, s[88:89]
	s_and_b64 exec, exec, s[90:91]
	s_cbranch_execz .LBB6_2125
; %bb.2124:                             ;   in Loop: Header=BB6_2000 Depth=2
	flat_store_short v[8:9], v14 nt
.LBB6_2125:                             ;   in Loop: Header=BB6_2000 Depth=2
	s_or_b64 exec, exec, s[22:23]
	v_cmp_lt_i32_e64 s[22:23], 0, v2
	s_and_saveexec_b64 s[88:89], s[4:5]
	s_cbranch_execz .LBB6_2071
.LBB6_2126:                             ;   in Loop: Header=BB6_2000 Depth=2
	s_and_saveexec_b64 s[90:91], s[44:45]
	s_xor_b64 s[90:91], exec, s[90:91]
	s_cbranch_execz .LBB6_2141
; %bb.2127:                             ;   in Loop: Header=BB6_2000 Depth=2
	s_and_saveexec_b64 s[92:93], s[12:13]
	s_cbranch_execz .LBB6_2140
; %bb.2128:                             ;   in Loop: Header=BB6_2000 Depth=2
	s_mov_b64 s[30:31], exec
	v_mbcnt_lo_u32_b32 v2, s30, 0
	v_mbcnt_hi_u32_b32 v2, s31, v2
	v_cmp_eq_u32_e32 vcc, 0, v2
	s_waitcnt lgkmcnt(0)
	s_and_saveexec_b64 s[94:95], vcc
	s_cbranch_execz .LBB6_2130
; %bb.2129:                             ;   in Loop: Header=BB6_2000 Depth=2
	s_bcnt1_i32_b64 s9, s[30:31]
	v_mov_b32_e32 v2, s9
	ds_add_u64 v0, v[2:3]
	s_trap 2
.LBB6_2130:                             ;   in Loop: Header=BB6_2000 Depth=2
	s_or_b64 exec, exec, s[94:95]
	s_trap 2
	ds_read_b64 v[8:9], v0
	s_waitcnt lgkmcnt(0)
	v_lshl_add_u64 v[38:39], v[38:39], 0, v[52:53]
	v_cmp_lt_u64_e32 vcc, v[8:9], v[38:39]
	s_and_saveexec_b64 s[94:95], vcc
	s_cbranch_execz .LBB6_2139
; %bb.2131:                             ;   in Loop: Header=BB6_2000 Depth=2
	s_mov_b32 s9, 0
	s_mov_b64 s[30:31], 0
                                        ; implicit-def: $sgpr34_sgpr35
                                        ; implicit-def: $sgpr36_sgpr37
	s_branch .LBB6_2133
.LBB6_2132:                             ;   in Loop: Header=BB6_2133 Depth=3
	s_or_b64 exec, exec, s[48:49]
	s_and_b64 vcc, exec, vcc
	s_or_b64 s[30:31], vcc, s[30:31]
	s_andn2_b64 vcc, s[34:35], exec
	s_and_b64 s[34:35], s[36:37], exec
	s_or_b64 s[34:35], vcc, s[34:35]
	s_andn2_b64 exec, exec, s[30:31]
	s_cbranch_execz .LBB6_2137
.LBB6_2133:                             ;   Parent Loop BB6_47 Depth=1
                                        ;     Parent Loop BB6_2000 Depth=2
                                        ; =>    This Inner Loop Header: Depth=3
	s_add_i32 s9, s9, 1
	s_cmpk_lg_i32 s9, 0x2710
	s_cselect_b64 s[38:39], -1, 0
	s_and_b64 vcc, exec, s[38:39]
	s_cbranch_vccz .LBB6_2135
; %bb.2134:                             ;   in Loop: Header=BB6_2133 Depth=3
	s_mov_b64 vcc, -1
	s_or_b64 s[36:37], s[36:37], exec
	s_and_saveexec_b64 s[48:49], s[38:39]
	s_cbranch_execz .LBB6_2132
	s_branch .LBB6_2136
.LBB6_2135:                             ;   in Loop: Header=BB6_2133 Depth=3
	s_trap 2
	ds_read_b64 v[8:9], v0
	s_andn2_b64 s[38:39], s[38:39], exec
	s_mov_b32 s9, 0
	s_waitcnt vmcnt(0) lgkmcnt(0)
	flat_load_dword v2, v[8:9] sc0 sc1
	s_waitcnt vmcnt(0) lgkmcnt(0)
	buffer_inv sc0 sc1
	v_cmp_eq_u32_e32 vcc, 0, v2
	s_and_b64 vcc, vcc, exec
	s_or_b64 s[38:39], s[38:39], vcc
	s_mov_b64 vcc, -1
	s_or_b64 s[36:37], s[36:37], exec
	s_and_saveexec_b64 s[48:49], s[38:39]
	s_cbranch_execz .LBB6_2132
.LBB6_2136:                             ;   in Loop: Header=BB6_2133 Depth=3
	s_sleep 1
	s_trap 2
	ds_read_b64 v[8:9], v0
	s_waitcnt lgkmcnt(0)
	s_andn2_b64 s[36:37], s[36:37], exec
	v_cmp_ge_u64_e32 vcc, v[8:9], v[38:39]
	s_orn2_b64 vcc, vcc, exec
	s_branch .LBB6_2132
.LBB6_2137:                             ;   in Loop: Header=BB6_2000 Depth=2
	s_or_b64 exec, exec, s[30:31]
	s_and_saveexec_b64 vcc, s[34:35]
	s_xor_b64 vcc, exec, vcc
	s_cbranch_execz .LBB6_2139
; %bb.2138:                             ;   in Loop: Header=BB6_2000 Depth=2
	ds_write_b32 v0, v75
	s_trap 2
.LBB6_2139:                             ;   in Loop: Header=BB6_2000 Depth=2
	s_or_b64 exec, exec, s[94:95]
	;;#ASMSTART
	s_wakeup
	;;#ASMEND
.LBB6_2140:                             ;   in Loop: Header=BB6_2000 Depth=2
	s_or_b64 exec, exec, s[92:93]
.LBB6_2141:                             ;   in Loop: Header=BB6_2000 Depth=2
	s_andn2_saveexec_b64 s[90:91], s[90:91]
	s_cbranch_execz .LBB6_2143
; %bb.2142:                             ;   in Loop: Header=BB6_2000 Depth=2
	s_waitcnt lgkmcnt(0)
	s_barrier
.LBB6_2143:                             ;   in Loop: Header=BB6_2000 Depth=2
	s_or_b64 exec, exec, s[90:91]
	s_or_b64 exec, exec, s[88:89]
	s_and_saveexec_b64 s[88:89], s[20:21]
	s_xor_b64 s[88:89], exec, s[88:89]
	s_cbranch_execnz .LBB6_2072
.LBB6_2144:                             ;   in Loop: Header=BB6_2000 Depth=2
	s_andn2_saveexec_b64 s[22:23], s[88:89]
	s_cbranch_execz .LBB6_2163
.LBB6_2145:                             ;   in Loop: Header=BB6_2000 Depth=2
	s_and_saveexec_b64 s[88:89], s[44:45]
	s_xor_b64 s[88:89], exec, s[88:89]
	s_cbranch_execz .LBB6_2160
; %bb.2146:                             ;   in Loop: Header=BB6_2000 Depth=2
	s_and_saveexec_b64 s[90:91], s[12:13]
	s_cbranch_execz .LBB6_2159
; %bb.2147:                             ;   in Loop: Header=BB6_2000 Depth=2
	s_mov_b64 s[94:95], exec
	v_mbcnt_lo_u32_b32 v2, s94, 0
	v_mbcnt_hi_u32_b32 v2, s95, v2
	v_cmp_eq_u32_e32 vcc, 0, v2
	;;#ASMSTART
	s_waitcnt lgkmcnt(0) vmcnt(0)
	;;#ASMEND
	s_and_saveexec_b64 s[92:93], vcc
	s_cbranch_execz .LBB6_2149
; %bb.2148:                             ;   in Loop: Header=BB6_2000 Depth=2
	s_bcnt1_i32_b64 s9, s[94:95]
	v_mov_b32_e32 v2, s9
	s_waitcnt lgkmcnt(0)
	ds_add_u64 v0, v[2:3]
	s_trap 2
.LBB6_2149:                             ;   in Loop: Header=BB6_2000 Depth=2
	s_or_b64 exec, exec, s[92:93]
	s_trap 2
	ds_read_b64 v[8:9], v0
	s_waitcnt lgkmcnt(0)
	v_lshl_add_u64 v[38:39], v[38:39], 0, v[52:53]
	v_cmp_lt_u64_e32 vcc, v[8:9], v[38:39]
	s_and_saveexec_b64 s[92:93], vcc
	s_cbranch_execz .LBB6_2158
; %bb.2150:                             ;   in Loop: Header=BB6_2000 Depth=2
	s_mov_b32 s9, 0
	s_mov_b64 s[94:95], 0
                                        ; implicit-def: $sgpr30_sgpr31
                                        ; implicit-def: $sgpr34_sgpr35
	s_branch .LBB6_2152
.LBB6_2151:                             ;   in Loop: Header=BB6_2152 Depth=3
	s_or_b64 exec, exec, s[38:39]
	s_and_b64 vcc, exec, vcc
	s_or_b64 s[94:95], vcc, s[94:95]
	s_andn2_b64 vcc, s[30:31], exec
	s_and_b64 s[30:31], s[34:35], exec
	s_or_b64 s[30:31], vcc, s[30:31]
	s_andn2_b64 exec, exec, s[94:95]
	s_cbranch_execz .LBB6_2156
.LBB6_2152:                             ;   Parent Loop BB6_47 Depth=1
                                        ;     Parent Loop BB6_2000 Depth=2
                                        ; =>    This Inner Loop Header: Depth=3
	s_add_i32 s9, s9, 1
	s_cmpk_lg_i32 s9, 0x2710
	s_cselect_b64 s[36:37], -1, 0
	s_and_b64 vcc, exec, s[36:37]
	s_cbranch_vccz .LBB6_2154
; %bb.2153:                             ;   in Loop: Header=BB6_2152 Depth=3
	s_mov_b64 vcc, -1
	s_or_b64 s[34:35], s[34:35], exec
	s_and_saveexec_b64 s[38:39], s[36:37]
	s_cbranch_execz .LBB6_2151
	s_branch .LBB6_2155
.LBB6_2154:                             ;   in Loop: Header=BB6_2152 Depth=3
	s_trap 2
	ds_read_b64 v[8:9], v0
	s_andn2_b64 s[36:37], s[36:37], exec
	s_mov_b32 s9, 0
	s_waitcnt vmcnt(0) lgkmcnt(0)
	flat_load_dword v2, v[8:9] sc0 sc1
	s_waitcnt vmcnt(0) lgkmcnt(0)
	buffer_inv sc0 sc1
	v_cmp_eq_u32_e32 vcc, 0, v2
	s_and_b64 vcc, vcc, exec
	s_or_b64 s[36:37], s[36:37], vcc
	s_mov_b64 vcc, -1
	s_or_b64 s[34:35], s[34:35], exec
	s_and_saveexec_b64 s[38:39], s[36:37]
	s_cbranch_execz .LBB6_2151
.LBB6_2155:                             ;   in Loop: Header=BB6_2152 Depth=3
	s_sleep 1
	s_trap 2
	ds_read_b64 v[8:9], v0
	s_waitcnt lgkmcnt(0)
	s_andn2_b64 s[34:35], s[34:35], exec
	v_cmp_ge_u64_e32 vcc, v[8:9], v[38:39]
	s_orn2_b64 vcc, vcc, exec
	s_branch .LBB6_2151
.LBB6_2156:                             ;   in Loop: Header=BB6_2000 Depth=2
	s_or_b64 exec, exec, s[94:95]
	s_and_saveexec_b64 s[94:95], s[30:31]
	s_xor_b64 s[94:95], exec, s[94:95]
	s_cbranch_execz .LBB6_2158
; %bb.2157:                             ;   in Loop: Header=BB6_2000 Depth=2
	ds_write_b32 v0, v75
	s_trap 2
.LBB6_2158:                             ;   in Loop: Header=BB6_2000 Depth=2
	s_or_b64 exec, exec, s[92:93]
	;;#ASMSTART
	s_wakeup
	;;#ASMEND
.LBB6_2159:                             ;   in Loop: Header=BB6_2000 Depth=2
	s_or_b64 exec, exec, s[90:91]
.LBB6_2160:                             ;   in Loop: Header=BB6_2000 Depth=2
	s_andn2_saveexec_b64 s[88:89], s[88:89]
	s_cbranch_execz .LBB6_2162
; %bb.2161:                             ;   in Loop: Header=BB6_2000 Depth=2
	;;#ASMSTART
	s_waitcnt lgkmcnt(0) vmcnt(0)
	;;#ASMEND
	s_barrier
.LBB6_2162:                             ;   in Loop: Header=BB6_2000 Depth=2
	s_or_b64 exec, exec, s[88:89]
.LBB6_2163:                             ;   in Loop: Header=BB6_2000 Depth=2
	s_or_b64 exec, exec, s[22:23]
	v_and_b32_e32 v2, 32, v62
	v_cmp_ne_u32_e32 vcc, 0, v2
	s_and_saveexec_b64 s[22:23], vcc
	s_cbranch_execz .LBB6_1999
; %bb.2164:                             ;   in Loop: Header=BB6_2000 Depth=2
	v_lshl_add_u64 v[112:113], v[112:113], 0, 2
	flat_store_dwordx2 v[32:33], v[112:113] sc0 sc1
	s_branch .LBB6_1999
.LBB6_2165:                             ;   in Loop: Header=BB6_47 Depth=1
	s_or_b64 exec, exec, s[26:27]
.LBB6_2166:                             ;   in Loop: Header=BB6_47 Depth=1
	s_or_b64 exec, exec, s[24:25]
	v_cmp_gt_i32_e32 vcc, 2, v2
	s_and_saveexec_b64 s[24:25], vcc
	s_cbranch_execz .LBB6_46
; %bb.2167:                             ;   in Loop: Header=BB6_47 Depth=1
	v_cmp_eq_u32_e64 s[28:29], 0, v2
	s_mov_b64 s[26:27], 0
	s_branch .LBB6_2169
.LBB6_2168:                             ;   in Loop: Header=BB6_2169 Depth=2
	s_or_b64 exec, exec, s[22:23]
	v_add_u32_e32 v114, v57, v114
	s_mov_b64 s[28:29], 0
	s_andn2_b64 exec, exec, s[26:27]
	s_cbranch_execz .LBB6_45
.LBB6_2169:                             ;   Parent Loop BB6_47 Depth=1
                                        ; =>  This Loop Header: Depth=2
                                        ;       Child Loop BB6_2175 Depth 3
                                        ;       Child Loop BB6_2199 Depth 3
	;; [unrolled: 1-line block ×3, first 2 shown]
	v_and_b32_e32 v2, 4, v62
	v_cmp_ne_u32_e32 vcc, 0, v2
	s_and_saveexec_b64 s[88:89], vcc
	s_cbranch_execz .LBB6_2191
; %bb.2170:                             ;   in Loop: Header=BB6_2169 Depth=2
	v_lshl_add_u64 v[8:9], v[112:113], 0, 2
	s_waitcnt vmcnt(0) lgkmcnt(0)
	v_cmp_lt_u64_e32 vcc, v[48:49], v[8:9]
	s_and_saveexec_b64 s[90:91], vcc
	s_cbranch_execz .LBB6_2182
; %bb.2171:                             ;   in Loop: Header=BB6_2169 Depth=2
	v_and_b32_e32 v2, 64, v62
	s_mov_b32 s8, 0
	v_cmp_eq_u32_e32 vcc, 0, v2
	s_mov_b64 s[92:93], 0
                                        ; implicit-def: $sgpr94_sgpr95
                                        ; implicit-def: $sgpr30_sgpr31
                                        ; implicit-def: $sgpr34_sgpr35
	s_branch .LBB6_2175
.LBB6_2172:                             ;   in Loop: Header=BB6_2175 Depth=3
	s_waitcnt vmcnt(0) lgkmcnt(0)
	v_cmp_ge_u64_e64 s[22:23], v[48:49], v[8:9]
	s_or_b64 s[48:49], s[48:49], exec
	s_orn2_b64 s[38:39], s[22:23], exec
.LBB6_2173:                             ;   in Loop: Header=BB6_2175 Depth=3
	s_or_b64 exec, exec, s[52:53]
	s_andn2_b64 s[22:23], s[34:35], exec
	s_and_b64 s[34:35], s[48:49], exec
	s_or_b64 s[34:35], s[22:23], s[34:35]
	s_andn2_b64 s[22:23], s[30:31], exec
	s_and_b64 s[30:31], s[38:39], exec
	s_or_b64 s[30:31], s[22:23], s[30:31]
.LBB6_2174:                             ;   in Loop: Header=BB6_2175 Depth=3
	s_or_b64 exec, exec, s[36:37]
	s_and_b64 s[22:23], exec, s[30:31]
	s_or_b64 s[92:93], s[22:23], s[92:93]
	s_andn2_b64 s[22:23], s[94:95], exec
	s_and_b64 s[94:95], s[34:35], exec
	s_or_b64 s[94:95], s[22:23], s[94:95]
	s_andn2_b64 exec, exec, s[92:93]
	s_cbranch_execz .LBB6_2179
.LBB6_2175:                             ;   Parent Loop BB6_47 Depth=1
                                        ;     Parent Loop BB6_2169 Depth=2
                                        ; =>    This Inner Loop Header: Depth=3
	s_sleep 1
	s_waitcnt vmcnt(0) lgkmcnt(0)
	flat_load_dwordx2 v[48:49], v[32:33] sc0 sc1
	s_or_b64 s[34:35], s[34:35], exec
	s_or_b64 s[30:31], s[30:31], exec
                                        ; implicit-def: $vgpr2
	s_and_saveexec_b64 s[36:37], vcc
	s_cbranch_execz .LBB6_2174
; %bb.2176:                             ;   in Loop: Header=BB6_2175 Depth=3
	s_cmpk_lt_i32 s8, 0x270f
	s_cselect_b64 s[50:51], -1, 0
	s_cmpk_gt_i32 s8, 0x270e
	s_mov_b64 s[38:39], -1
	s_cbranch_scc0 .LBB6_2178
; %bb.2177:                             ;   in Loop: Header=BB6_2175 Depth=3
	s_trap 2
	ds_read_b64 v[10:11], v0
	s_andn2_b64 s[50:51], s[50:51], exec
	s_mov_b32 s8, 0
	s_mov_b64 s[48:49], 0
	s_waitcnt vmcnt(0) lgkmcnt(0)
	flat_load_dword v2, v[10:11] sc0 sc1
	s_waitcnt vmcnt(0) lgkmcnt(0)
	buffer_inv sc0 sc1
	v_cmp_eq_u32_e64 s[22:23], 0, v2
	s_and_b64 s[22:23], s[22:23], exec
	s_or_b64 s[50:51], s[50:51], s[22:23]
	s_and_saveexec_b64 s[52:53], s[50:51]
	s_cbranch_execz .LBB6_2173
	s_branch .LBB6_2172
.LBB6_2178:                             ;   in Loop: Header=BB6_2175 Depth=3
	s_add_i32 s8, s8, 1
	s_mov_b64 s[48:49], -1
                                        ; implicit-def: $vgpr2
	s_and_saveexec_b64 s[52:53], s[50:51]
	s_cbranch_execz .LBB6_2173
	s_branch .LBB6_2172
.LBB6_2179:                             ;   in Loop: Header=BB6_2169 Depth=2
	s_or_b64 exec, exec, s[92:93]
	s_xor_b64 s[8:9], s[94:95], -1
	s_and_saveexec_b64 s[22:23], s[8:9]
	s_xor_b64 s[22:23], exec, s[22:23]
	s_cbranch_execz .LBB6_2181
; %bb.2180:                             ;   in Loop: Header=BB6_2169 Depth=2
	v_or_b32_e32 v62, 64, v62
	s_waitcnt lgkmcnt(0)
	ds_write_b32 v0, v2
	s_trap 2
.LBB6_2181:                             ;   in Loop: Header=BB6_2169 Depth=2
	s_or_b64 exec, exec, s[22:23]
.LBB6_2182:                             ;   in Loop: Header=BB6_2169 Depth=2
	s_or_b64 exec, exec, s[90:91]
	v_and_b32_e32 v2, 0x100, v62
	v_cmp_ne_u32_e32 vcc, 0, v2
	v_and_b32_e32 v2, 7, v112
	s_mov_b64 s[22:23], -1
	;;#ASMSTART
	s_wakeup
	;;#ASMEND
                                        ; implicit-def: $vgpr10_vgpr11
	s_and_saveexec_b64 s[90:91], vcc
	s_cbranch_execz .LBB6_2186
; %bb.2183:                             ;   in Loop: Header=BB6_2169 Depth=2
	v_mad_u64_u32 v[12:13], s[8:9], v2, 24, v[6:7]
	flat_load_dword v10, v[12:13]
	s_waitcnt vmcnt(0) lgkmcnt(0)
	v_cmp_ne_u32_e32 vcc, 1, v10
	v_cmp_eq_u32_e64 s[22:23], 1, v10
                                        ; implicit-def: $vgpr10_vgpr11
	s_and_saveexec_b64 s[92:93], s[22:23]
	s_cbranch_execz .LBB6_2185
; %bb.2184:                             ;   in Loop: Header=BB6_2169 Depth=2
	flat_load_dword v10, v[12:13] offset:4 sc0 sc1
	s_waitcnt vmcnt(0) lgkmcnt(0)
	v_ashrrev_i32_e32 v11, 31, v10
	v_lshrrev_b64 v[10:11], 1, v[10:11]
.LBB6_2185:                             ;   in Loop: Header=BB6_2169 Depth=2
	s_or_b64 exec, exec, s[92:93]
	s_orn2_b64 s[22:23], vcc, exec
.LBB6_2186:                             ;   in Loop: Header=BB6_2169 Depth=2
	s_or_b64 exec, exec, s[90:91]
	s_and_saveexec_b64 s[90:91], s[22:23]
; %bb.2187:                             ;   in Loop: Header=BB6_2169 Depth=2
	v_mad_i64_i32 v[10:11], s[8:9], v2, v30, 0
; %bb.2188:                             ;   in Loop: Header=BB6_2169 Depth=2
	s_or_b64 exec, exec, s[90:91]
	v_and_b32_e32 v2, 0x2000, v62
	v_lshl_add_u64 v[10:11], v[10:11], 1, v[34:35]
	v_cmp_ne_u32_e32 vcc, 0, v2
	ds_write_b64 v0, v[10:11] offset:720
	s_and_saveexec_b64 s[22:23], vcc
	s_cbranch_execz .LBB6_2190
; %bb.2189:                             ;   in Loop: Header=BB6_2169 Depth=2
	ds_read_b64 v[10:11], v0 offset:872
	s_waitcnt lgkmcnt(0)
	v_lshl_add_u64 v[10:11], v[10:11], 0, 1
	ds_write_b64 v0, v[10:11] offset:872
.LBB6_2190:                             ;   in Loop: Header=BB6_2169 Depth=2
	s_or_b64 exec, exec, s[22:23]
	v_mov_b64_e32 v[112:113], v[8:9]
.LBB6_2191:                             ;   in Loop: Header=BB6_2169 Depth=2
	s_or_b64 exec, exec, s[88:89]
	s_xor_b64 s[8:9], s[28:29], -1
	s_and_b64 s[8:9], exec, s[8:9]
	s_or_b64 s[26:27], s[8:9], s[26:27]
	s_and_saveexec_b64 s[22:23], s[4:5]
	s_cbranch_execz .LBB6_2210
; %bb.2192:                             ;   in Loop: Header=BB6_2169 Depth=2
	s_and_saveexec_b64 s[8:9], s[44:45]
	s_xor_b64 s[28:29], exec, s[8:9]
	s_cbranch_execz .LBB6_2207
; %bb.2193:                             ;   in Loop: Header=BB6_2169 Depth=2
	s_and_saveexec_b64 s[88:89], s[12:13]
	s_cbranch_execz .LBB6_2206
; %bb.2194:                             ;   in Loop: Header=BB6_2169 Depth=2
	s_mov_b64 s[92:93], exec
	v_mbcnt_lo_u32_b32 v2, s92, 0
	v_mbcnt_hi_u32_b32 v2, s93, v2
	v_cmp_eq_u32_e32 vcc, 0, v2
	s_waitcnt lgkmcnt(0)
	s_and_saveexec_b64 s[90:91], vcc
	s_cbranch_execz .LBB6_2196
; %bb.2195:                             ;   in Loop: Header=BB6_2169 Depth=2
	s_bcnt1_i32_b64 s8, s[92:93]
	v_mov_b32_e32 v2, s8
	ds_add_u64 v0, v[2:3]
	s_trap 2
.LBB6_2196:                             ;   in Loop: Header=BB6_2169 Depth=2
	s_or_b64 exec, exec, s[90:91]
	s_trap 2
	ds_read_b64 v[8:9], v0
	s_waitcnt lgkmcnt(0)
	v_lshl_add_u64 v[38:39], v[38:39], 0, v[52:53]
	v_cmp_lt_u64_e32 vcc, v[8:9], v[38:39]
	s_and_saveexec_b64 s[90:91], vcc
	s_cbranch_execz .LBB6_2205
; %bb.2197:                             ;   in Loop: Header=BB6_2169 Depth=2
	s_mov_b32 s8, 0
	s_mov_b64 s[92:93], 0
                                        ; implicit-def: $sgpr94_sgpr95
                                        ; implicit-def: $sgpr30_sgpr31
	s_branch .LBB6_2199
.LBB6_2198:                             ;   in Loop: Header=BB6_2199 Depth=3
	s_or_b64 exec, exec, s[36:37]
	s_and_b64 vcc, exec, vcc
	s_or_b64 s[92:93], vcc, s[92:93]
	s_andn2_b64 s[94:95], s[94:95], exec
	s_and_b64 vcc, s[30:31], exec
	s_or_b64 s[94:95], s[94:95], vcc
	s_andn2_b64 exec, exec, s[92:93]
	s_cbranch_execz .LBB6_2203
.LBB6_2199:                             ;   Parent Loop BB6_47 Depth=1
                                        ;     Parent Loop BB6_2169 Depth=2
                                        ; =>    This Inner Loop Header: Depth=3
	s_add_i32 s8, s8, 1
	s_cmpk_lg_i32 s8, 0x2710
	s_cselect_b64 s[34:35], -1, 0
	s_and_b64 vcc, exec, s[34:35]
	s_cbranch_vccz .LBB6_2201
; %bb.2200:                             ;   in Loop: Header=BB6_2199 Depth=3
	s_mov_b64 vcc, -1
	s_or_b64 s[30:31], s[30:31], exec
	s_and_saveexec_b64 s[36:37], s[34:35]
	s_cbranch_execz .LBB6_2198
	s_branch .LBB6_2202
.LBB6_2201:                             ;   in Loop: Header=BB6_2199 Depth=3
	s_trap 2
	ds_read_b64 v[8:9], v0
	s_andn2_b64 s[34:35], s[34:35], exec
	s_mov_b32 s8, 0
	s_waitcnt vmcnt(0) lgkmcnt(0)
	flat_load_dword v2, v[8:9] sc0 sc1
	s_waitcnt vmcnt(0) lgkmcnt(0)
	buffer_inv sc0 sc1
	v_cmp_eq_u32_e32 vcc, 0, v2
	s_and_b64 vcc, vcc, exec
	s_or_b64 s[34:35], s[34:35], vcc
	s_mov_b64 vcc, -1
	s_or_b64 s[30:31], s[30:31], exec
	s_and_saveexec_b64 s[36:37], s[34:35]
	s_cbranch_execz .LBB6_2198
.LBB6_2202:                             ;   in Loop: Header=BB6_2199 Depth=3
	s_sleep 1
	s_trap 2
	ds_read_b64 v[8:9], v0
	s_waitcnt lgkmcnt(0)
	s_andn2_b64 s[30:31], s[30:31], exec
	v_cmp_ge_u64_e32 vcc, v[8:9], v[38:39]
	s_orn2_b64 vcc, vcc, exec
	s_branch .LBB6_2198
.LBB6_2203:                             ;   in Loop: Header=BB6_2169 Depth=2
	s_or_b64 exec, exec, s[92:93]
	s_and_saveexec_b64 s[8:9], s[94:95]
	s_xor_b64 s[8:9], exec, s[8:9]
	s_cbranch_execz .LBB6_2205
; %bb.2204:                             ;   in Loop: Header=BB6_2169 Depth=2
	ds_write_b32 v0, v75
	s_trap 2
.LBB6_2205:                             ;   in Loop: Header=BB6_2169 Depth=2
	s_or_b64 exec, exec, s[90:91]
	;;#ASMSTART
	s_wakeup
	;;#ASMEND
.LBB6_2206:                             ;   in Loop: Header=BB6_2169 Depth=2
	s_or_b64 exec, exec, s[88:89]
.LBB6_2207:                             ;   in Loop: Header=BB6_2169 Depth=2
	s_andn2_saveexec_b64 s[28:29], s[28:29]
	s_cbranch_execz .LBB6_2209
; %bb.2208:                             ;   in Loop: Header=BB6_2169 Depth=2
	s_waitcnt lgkmcnt(0)
	s_barrier
.LBB6_2209:                             ;   in Loop: Header=BB6_2169 Depth=2
	s_or_b64 exec, exec, s[28:29]
.LBB6_2210:                             ;   in Loop: Header=BB6_2169 Depth=2
	s_or_b64 exec, exec, s[22:23]
	v_sub_u32_e32 v2, v56, v114
	v_min_i32_e32 v57, v57, v2
	s_and_saveexec_b64 s[8:9], s[20:21]
	s_xor_b64 s[22:23], exec, s[8:9]
	s_cbranch_execz .LBB6_2214
; %bb.2211:                             ;   in Loop: Header=BB6_2169 Depth=2
	s_trap 2
	ds_read_b32 v2, v0
	v_cmp_lt_i32_e32 vcc, 0, v57
	v_and_b32_e32 v8, 16, v62
	s_waitcnt lgkmcnt(0)
	v_readfirstlane_b32 s8, v2
	s_cmp_eq_u32 s8, 0
	s_cselect_b64 s[8:9], -1, 0
	s_and_b64 s[8:9], vcc, s[8:9]
	v_cmp_ne_u32_e32 vcc, 0, v8
	s_and_b64 s[8:9], vcc, s[8:9]
	s_and_saveexec_b64 s[28:29], s[8:9]
	s_cbranch_execz .LBB6_2213
; %bb.2212:                             ;   in Loop: Header=BB6_2169 Depth=2
	buffer_wbl2 sc1
	s_waitcnt vmcnt(0)
	buffer_inv sc1
.LBB6_2213:                             ;   in Loop: Header=BB6_2169 Depth=2
	s_or_b64 exec, exec, s[28:29]
.LBB6_2214:                             ;   in Loop: Header=BB6_2169 Depth=2
	s_andn2_saveexec_b64 s[22:23], s[22:23]
	s_cbranch_execz .LBB6_2233
; %bb.2215:                             ;   in Loop: Header=BB6_2169 Depth=2
	s_and_saveexec_b64 s[8:9], s[44:45]
	s_xor_b64 s[28:29], exec, s[8:9]
	s_cbranch_execz .LBB6_2230
; %bb.2216:                             ;   in Loop: Header=BB6_2169 Depth=2
	s_and_saveexec_b64 s[88:89], s[12:13]
	s_cbranch_execz .LBB6_2229
; %bb.2217:                             ;   in Loop: Header=BB6_2169 Depth=2
	s_mov_b64 s[92:93], exec
	v_mbcnt_lo_u32_b32 v2, s92, 0
	v_mbcnt_hi_u32_b32 v2, s93, v2
	v_cmp_eq_u32_e32 vcc, 0, v2
	;;#ASMSTART
	s_waitcnt lgkmcnt(0) vmcnt(0)
	;;#ASMEND
	s_and_saveexec_b64 s[90:91], vcc
	s_cbranch_execz .LBB6_2219
; %bb.2218:                             ;   in Loop: Header=BB6_2169 Depth=2
	s_bcnt1_i32_b64 s8, s[92:93]
	v_mov_b32_e32 v2, s8
	s_waitcnt lgkmcnt(0)
	ds_add_u64 v0, v[2:3]
	s_trap 2
.LBB6_2219:                             ;   in Loop: Header=BB6_2169 Depth=2
	s_or_b64 exec, exec, s[90:91]
	s_trap 2
	ds_read_b64 v[8:9], v0
	s_waitcnt lgkmcnt(0)
	v_lshl_add_u64 v[38:39], v[38:39], 0, v[52:53]
	v_cmp_lt_u64_e32 vcc, v[8:9], v[38:39]
	s_and_saveexec_b64 s[90:91], vcc
	s_cbranch_execz .LBB6_2228
; %bb.2220:                             ;   in Loop: Header=BB6_2169 Depth=2
	s_mov_b32 s8, 0
	s_mov_b64 s[92:93], 0
                                        ; implicit-def: $sgpr94_sgpr95
                                        ; implicit-def: $sgpr30_sgpr31
	s_branch .LBB6_2222
.LBB6_2221:                             ;   in Loop: Header=BB6_2222 Depth=3
	s_or_b64 exec, exec, s[36:37]
	s_and_b64 vcc, exec, vcc
	s_or_b64 s[92:93], vcc, s[92:93]
	s_andn2_b64 s[94:95], s[94:95], exec
	s_and_b64 vcc, s[30:31], exec
	s_or_b64 s[94:95], s[94:95], vcc
	s_andn2_b64 exec, exec, s[92:93]
	s_cbranch_execz .LBB6_2226
.LBB6_2222:                             ;   Parent Loop BB6_47 Depth=1
                                        ;     Parent Loop BB6_2169 Depth=2
                                        ; =>    This Inner Loop Header: Depth=3
	s_add_i32 s8, s8, 1
	s_cmpk_lg_i32 s8, 0x2710
	s_cselect_b64 s[34:35], -1, 0
	s_and_b64 vcc, exec, s[34:35]
	s_cbranch_vccz .LBB6_2224
; %bb.2223:                             ;   in Loop: Header=BB6_2222 Depth=3
	s_mov_b64 vcc, -1
	s_or_b64 s[30:31], s[30:31], exec
	s_and_saveexec_b64 s[36:37], s[34:35]
	s_cbranch_execz .LBB6_2221
	s_branch .LBB6_2225
.LBB6_2224:                             ;   in Loop: Header=BB6_2222 Depth=3
	s_trap 2
	ds_read_b64 v[8:9], v0
	s_andn2_b64 s[34:35], s[34:35], exec
	s_mov_b32 s8, 0
	s_waitcnt vmcnt(0) lgkmcnt(0)
	flat_load_dword v2, v[8:9] sc0 sc1
	s_waitcnt vmcnt(0) lgkmcnt(0)
	buffer_inv sc0 sc1
	v_cmp_eq_u32_e32 vcc, 0, v2
	s_and_b64 vcc, vcc, exec
	s_or_b64 s[34:35], s[34:35], vcc
	s_mov_b64 vcc, -1
	s_or_b64 s[30:31], s[30:31], exec
	s_and_saveexec_b64 s[36:37], s[34:35]
	s_cbranch_execz .LBB6_2221
.LBB6_2225:                             ;   in Loop: Header=BB6_2222 Depth=3
	s_sleep 1
	s_trap 2
	ds_read_b64 v[8:9], v0
	s_waitcnt lgkmcnt(0)
	s_andn2_b64 s[30:31], s[30:31], exec
	v_cmp_ge_u64_e32 vcc, v[8:9], v[38:39]
	s_orn2_b64 vcc, vcc, exec
	s_branch .LBB6_2221
.LBB6_2226:                             ;   in Loop: Header=BB6_2169 Depth=2
	s_or_b64 exec, exec, s[92:93]
	s_and_saveexec_b64 s[8:9], s[94:95]
	s_xor_b64 s[8:9], exec, s[8:9]
	s_cbranch_execz .LBB6_2228
; %bb.2227:                             ;   in Loop: Header=BB6_2169 Depth=2
	ds_write_b32 v0, v75
	s_trap 2
.LBB6_2228:                             ;   in Loop: Header=BB6_2169 Depth=2
	s_or_b64 exec, exec, s[90:91]
	;;#ASMSTART
	s_wakeup
	;;#ASMEND
.LBB6_2229:                             ;   in Loop: Header=BB6_2169 Depth=2
	s_or_b64 exec, exec, s[88:89]
.LBB6_2230:                             ;   in Loop: Header=BB6_2169 Depth=2
	s_andn2_saveexec_b64 s[28:29], s[28:29]
	s_cbranch_execz .LBB6_2232
; %bb.2231:                             ;   in Loop: Header=BB6_2169 Depth=2
	;;#ASMSTART
	s_waitcnt lgkmcnt(0) vmcnt(0)
	;;#ASMEND
	s_barrier
.LBB6_2232:                             ;   in Loop: Header=BB6_2169 Depth=2
	s_or_b64 exec, exec, s[28:29]
.LBB6_2233:                             ;   in Loop: Header=BB6_2169 Depth=2
	s_or_b64 exec, exec, s[22:23]
	v_and_b32_e32 v2, 32, v62
	v_cmp_ne_u32_e32 vcc, 0, v2
	s_and_saveexec_b64 s[22:23], vcc
	s_cbranch_execz .LBB6_2168
; %bb.2234:                             ;   in Loop: Header=BB6_2169 Depth=2
	v_lshl_add_u64 v[112:113], v[112:113], 0, 2
	flat_store_dwordx2 v[32:33], v[112:113] sc0 sc1
	s_branch .LBB6_2168
.LBB6_2235:
	s_or_b64 exec, exec, s[62:63]
	v_readlane_b32 s24, v120, 4
	v_readlane_b32 s25, v120, 5
.LBB6_2236:
	v_readlane_b32 s0, v120, 2
	v_readlane_b32 s1, v120, 3
	s_or_b64 exec, exec, s[0:1]
	v_and_b32_e32 v0, 0x800, v62
	v_cmp_eq_u32_e32 vcc, 0, v0
	s_and_saveexec_b64 s[2:3], vcc
	s_cbranch_execz .LBB6_2269
; %bb.2237:
	v_and_b32_e32 v0, 48, v62
	v_cmp_ne_u32_e32 vcc, 0, v0
	s_and_saveexec_b64 s[0:1], vcc
	s_cbranch_execz .LBB6_2239
; %bb.2238:
	flat_store_dwordx2 v[28:29], v[112:113] offset:104
.LBB6_2239:
	s_or_b64 exec, exec, s[0:1]
	s_movk_i32 s0, 0x88
	v_and_b32_e32 v0, 0x88, v62
	v_cmp_eq_u32_e32 vcc, s0, v0
	s_and_saveexec_b64 s[4:5], vcc
	s_cbranch_execz .LBB6_2249
; %bb.2240:
	v_add_u32_e32 v0, 6, v112
	v_and_b32_e32 v0, 7, v0
	v_mad_u64_u32 v[2:3], s[0:1], v0, 24, v[6:7]
	flat_load_dwordx2 v[4:5], v[2:3] offset:8 sc0 sc1
	s_waitcnt vmcnt(0)
	v_and_b32_e32 v0, 64, v62
	v_cmp_eq_u32_e64 s[0:1], 0, v0
	s_mov_b32 s8, 0
	s_waitcnt lgkmcnt(0)
	v_cmp_ne_u64_e32 vcc, -1, v[4:5]
	s_and_b64 s[0:1], vcc, s[0:1]
	s_and_b64 exec, exec, s[0:1]
	s_cbranch_execz .LBB6_2249
; %bb.2241:
	s_mov_b64 s[0:1], 0
                                        ; implicit-def: $sgpr6_sgpr7
                                        ; implicit-def: $sgpr10_sgpr11
	s_branch .LBB6_2244
.LBB6_2242:                             ;   in Loop: Header=BB6_2244 Depth=1
	flat_load_dwordx2 v[4:5], v[2:3] offset:8 sc0 sc1
	s_waitcnt vmcnt(0)
	s_andn2_b64 s[10:11], s[10:11], exec
	s_waitcnt lgkmcnt(0)
	v_cmp_eq_u64_e32 vcc, -1, v[4:5]
	s_orn2_b64 s[14:15], vcc, exec
.LBB6_2243:                             ;   in Loop: Header=BB6_2244 Depth=1
	s_or_b64 exec, exec, s[16:17]
	s_and_b64 s[12:13], exec, s[14:15]
	s_or_b64 s[0:1], s[12:13], s[0:1]
	s_andn2_b64 s[6:7], s[6:7], exec
	s_and_b64 s[12:13], s[10:11], exec
	s_or_b64 s[6:7], s[6:7], s[12:13]
	s_andn2_b64 exec, exec, s[0:1]
	s_cbranch_execz .LBB6_2247
.LBB6_2244:                             ; =>This Inner Loop Header: Depth=1
	s_cmpk_lt_i32 s8, 0x270f
	s_cselect_b64 s[12:13], -1, 0
	s_and_b64 vcc, exec, s[12:13]
	s_cbranch_vccnz .LBB6_2246
; %bb.2245:                             ;   in Loop: Header=BB6_2244 Depth=1
	s_trap 2
	ds_read_b64 v[4:5], v0
	s_andn2_b64 s[12:13], s[12:13], exec
	s_mov_b32 s8, 0
	s_waitcnt lgkmcnt(0)
	flat_load_dword v0, v[4:5] sc0 sc1
	s_waitcnt vmcnt(0) lgkmcnt(0)
	buffer_inv sc0 sc1
	v_cmp_eq_u32_e32 vcc, 0, v0
	s_and_b64 s[14:15], vcc, exec
	s_or_b64 s[12:13], s[12:13], s[14:15]
	s_mov_b64 s[14:15], -1
	s_or_b64 s[10:11], s[10:11], exec
	s_and_saveexec_b64 s[16:17], s[12:13]
	s_cbranch_execz .LBB6_2243
	s_branch .LBB6_2242
.LBB6_2246:                             ;   in Loop: Header=BB6_2244 Depth=1
	s_add_i32 s8, s8, 1
                                        ; implicit-def: $vgpr0
	s_mov_b64 s[14:15], -1
	s_or_b64 s[10:11], s[10:11], exec
	s_and_saveexec_b64 s[16:17], s[12:13]
	s_cbranch_execz .LBB6_2243
	s_branch .LBB6_2242
.LBB6_2247:
	s_or_b64 exec, exec, s[0:1]
	s_and_saveexec_b64 s[0:1], s[6:7]
	s_xor_b64 s[0:1], exec, s[0:1]
	s_cbranch_execz .LBB6_2249
; %bb.2248:
	ds_write_b32 v0, v0
	s_trap 2
.LBB6_2249:
	s_or_b64 exec, exec, s[4:5]
	v_and_b32_e32 v0, 0x2000, v62
	v_cmp_ne_u32_e32 vcc, 0, v0
	s_and_saveexec_b64 s[0:1], vcc
	s_cbranch_execz .LBB6_2251
; %bb.2250:
	s_trap 2
	ds_read_b64 v[2:3], v0
	s_waitcnt lgkmcnt(0)
	flat_store_dwordx2 v[26:27], v[2:3] offset:16
.LBB6_2251:
	s_or_b64 exec, exec, s[0:1]
	v_cmp_ne_u32_e32 vcc, 64, v1
	s_and_b64 exec, exec, vcc
	s_cbranch_execz .LBB6_2269
; %bb.2252:
	v_cmp_ne_u32_sdwa s[0:1], v1, v50 src0_sel:DWORD src1_sel:WORD_0
	s_and_saveexec_b64 s[4:5], s[0:1]
	s_xor_b64 s[0:1], exec, s[4:5]
	s_cbranch_execz .LBB6_2267
; %bb.2253:
	v_and_b32_e32 v0, 63, v31
	v_cmp_eq_u32_e32 vcc, 0, v0
	s_and_saveexec_b64 s[4:5], vcc
	s_cbranch_execz .LBB6_2266
; %bb.2254:
	s_mov_b64 s[10:11], exec
	v_mbcnt_lo_u32_b32 v0, s10, 0
	v_mbcnt_hi_u32_b32 v0, s11, v0
	v_cmp_eq_u32_e32 vcc, 0, v0
	s_waitcnt lgkmcnt(0)
	s_and_saveexec_b64 s[6:7], vcc
	s_cbranch_execz .LBB6_2256
; %bb.2255:
	s_bcnt1_i32_b64 s8, s[10:11]
	v_mov_b32_e32 v2, s8
	v_mov_b32_e32 v3, 0
	ds_add_u64 v0, v[2:3]
	s_trap 2
.LBB6_2256:
	s_or_b64 exec, exec, s[6:7]
	s_trap 2
	ds_read_b64 v[2:3], v0
	s_waitcnt lgkmcnt(0)
	v_lshrrev_b32_e32 v0, 6, v1
	v_mov_b32_e32 v1, 0
	v_lshl_add_u64 v[0:1], v[38:39], 0, v[0:1]
	v_cmp_lt_u64_e32 vcc, v[2:3], v[0:1]
	s_and_saveexec_b64 s[6:7], vcc
	s_cbranch_execz .LBB6_2265
; %bb.2257:
	s_mov_b32 s8, 0
	s_mov_b64 s[10:11], 0
                                        ; implicit-def: $sgpr12_sgpr13
                                        ; implicit-def: $sgpr14_sgpr15
	s_branch .LBB6_2259
.LBB6_2258:                             ;   in Loop: Header=BB6_2259 Depth=1
	s_or_b64 exec, exec, s[18:19]
	s_and_b64 s[16:17], exec, s[20:21]
	s_or_b64 s[10:11], s[16:17], s[10:11]
	s_andn2_b64 s[12:13], s[12:13], exec
	s_and_b64 s[16:17], s[14:15], exec
	s_or_b64 s[12:13], s[12:13], s[16:17]
	s_andn2_b64 exec, exec, s[10:11]
	s_cbranch_execz .LBB6_2263
.LBB6_2259:                             ; =>This Inner Loop Header: Depth=1
	s_add_i32 s8, s8, 1
	s_cmpk_lg_i32 s8, 0x2710
	s_cselect_b64 s[16:17], -1, 0
	s_and_b64 vcc, exec, s[16:17]
	s_cbranch_vccz .LBB6_2261
; %bb.2260:                             ;   in Loop: Header=BB6_2259 Depth=1
	s_mov_b64 s[20:21], -1
	s_or_b64 s[14:15], s[14:15], exec
	s_and_saveexec_b64 s[18:19], s[16:17]
	s_cbranch_execz .LBB6_2258
	s_branch .LBB6_2262
.LBB6_2261:                             ;   in Loop: Header=BB6_2259 Depth=1
	s_trap 2
	ds_read_b64 v[2:3], v0
	s_andn2_b64 s[16:17], s[16:17], exec
	s_mov_b32 s8, 0
	s_waitcnt vmcnt(0) lgkmcnt(0)
	flat_load_dword v2, v[2:3] sc0 sc1
	s_waitcnt vmcnt(0) lgkmcnt(0)
	buffer_inv sc0 sc1
	v_cmp_eq_u32_e32 vcc, 0, v2
	s_and_b64 s[18:19], vcc, exec
	s_or_b64 s[16:17], s[16:17], s[18:19]
	s_mov_b64 s[20:21], -1
	s_or_b64 s[14:15], s[14:15], exec
	s_and_saveexec_b64 s[18:19], s[16:17]
	s_cbranch_execz .LBB6_2258
.LBB6_2262:                             ;   in Loop: Header=BB6_2259 Depth=1
	s_sleep 1
	s_trap 2
	ds_read_b64 v[2:3], v0
	s_waitcnt lgkmcnt(0)
	s_andn2_b64 s[14:15], s[14:15], exec
	v_cmp_ge_u64_e32 vcc, v[2:3], v[0:1]
	s_orn2_b64 s[20:21], vcc, exec
	s_branch .LBB6_2258
.LBB6_2263:
	s_or_b64 exec, exec, s[10:11]
	s_and_saveexec_b64 s[8:9], s[12:13]
	s_xor_b64 s[8:9], exec, s[8:9]
	s_cbranch_execz .LBB6_2265
; %bb.2264:
	v_mov_b32_e32 v0, 1
	ds_write_b32 v0, v0
	s_trap 2
.LBB6_2265:
	s_or_b64 exec, exec, s[6:7]
	;;#ASMSTART
	s_wakeup
	;;#ASMEND
.LBB6_2266:
	s_or_b64 exec, exec, s[4:5]
.LBB6_2267:
	s_andn2_saveexec_b64 s[0:1], s[0:1]
	s_cbranch_execz .LBB6_2269
; %bb.2268:
	s_waitcnt lgkmcnt(0)
	s_barrier
.LBB6_2269:
	s_or_b64 exec, exec, s[2:3]
.LBB6_2270:
	v_readlane_b32 s0, v120, 0
	v_readlane_b32 s1, v120, 1
	s_andn2_saveexec_b64 s[22:23], s[0:1]
	s_cbranch_execz .LBB6_2272
; %bb.2271:
	s_getpc_b64 s[0:1]
	s_add_u32 s0, s0, __PRETTY_FUNCTION__._ZN10PrimitivesI12hip_bfloat1610FuncMinMaxIS0_E12FanSymmetricILi1EELi0E11ProtoSimpleILi2ELi2ELi0ELi1ELi0ELi0EELi0ELb0ELi0ELi1ELi0EEC2EiiPKiS9_PKvPvmhhhP15ncclDevWorkCollP14ncclDevWorkP2pii@rel32@lo+4
	s_addc_u32 s1, s1, __PRETTY_FUNCTION__._ZN10PrimitivesI12hip_bfloat1610FuncMinMaxIS0_E12FanSymmetricILi1EELi0E11ProtoSimpleILi2ELi2ELi0ELi1ELi0ELi0EELi0ELb0ELi0ELi1ELi0EEC2EiiPKiS9_PKvPvmhhhP15ncclDevWorkCollP14ncclDevWorkP2pii@rel32@hi+12
	s_getpc_b64 s[2:3]
	s_add_u32 s2, s2, __assert_fail@rel32@lo+4
	s_addc_u32 s3, s3, __assert_fail@rel32@hi+12
	s_mov_b64 s[8:9], s[24:25]
	v_mov_b32_e32 v0, s0
	v_mov_b32_e32 v1, s1
	s_swappc_b64 s[30:31], s[2:3]
	; divergent unreachable
.LBB6_2272:
	s_or_b64 exec, exec, s[22:23]
	scratch_load_dword v110, off, s33       ; 4-byte Folded Reload
	scratch_load_dword v109, off, s33 offset:4 ; 4-byte Folded Reload
	scratch_load_dword v108, off, s33 offset:8 ; 4-byte Folded Reload
	;; [unrolled: 1-line block ×34, first 2 shown]
	s_waitcnt lgkmcnt(0)
	scratch_load_dword v43, off, s33 offset:140 ; 4-byte Folded Reload
	scratch_load_dword v42, off, s33 offset:144 ; 4-byte Folded Reload
	;; [unrolled: 1-line block ×4, first 2 shown]
	v_readlane_b32 s30, v111, 34
	v_readlane_b32 s31, v111, 35
	;; [unrolled: 1-line block ×36, first 2 shown]
	s_mov_b32 s32, s33
	v_readlane_b32 s0, v111, 36
	s_or_saveexec_b64 s[2:3], -1
	scratch_load_dword v111, off, s33 offset:224 ; 4-byte Folded Reload
	scratch_load_dword v120, off, s33 offset:228 ; 4-byte Folded Reload
	s_mov_b64 exec, s[2:3]
	s_mov_b32 s33, s0
	s_waitcnt vmcnt(0)
	s_setpc_b64 s[30:31]
.Lfunc_end6:
	.size	_ZN12_GLOBAL__N_17runRingI12hip_bfloat1610FuncMinMaxIS1_E11ProtoSimpleILi2ELi2ELi0ELi1ELi0ELi0EELi0ELi0ELi1ELi1EEEviiP15ncclDevWorkColl, .Lfunc_end6-_ZN12_GLOBAL__N_17runRingI12hip_bfloat1610FuncMinMaxIS1_E11ProtoSimpleILi2ELi2ELi0ELi1ELi0ELi0EELi0ELi0ELi1ELi1EEEviiP15ncclDevWorkColl
                                        ; -- End function
	.set .L_ZN12_GLOBAL__N_17runRingI12hip_bfloat1610FuncMinMaxIS1_E11ProtoSimpleILi2ELi2ELi0ELi1ELi0ELi0EELi0ELi0ELi1ELi1EEEviiP15ncclDevWorkColl.num_vgpr, max(121, .L__assert_fail.num_vgpr)
	.set .L_ZN12_GLOBAL__N_17runRingI12hip_bfloat1610FuncMinMaxIS1_E11ProtoSimpleILi2ELi2ELi0ELi1ELi0ELi0EELi0ELi0ELi1ELi1EEEviiP15ncclDevWorkColl.num_agpr, max(0, .L__assert_fail.num_agpr)
	.set .L_ZN12_GLOBAL__N_17runRingI12hip_bfloat1610FuncMinMaxIS1_E11ProtoSimpleILi2ELi2ELi0ELi1ELi0ELi0EELi0ELi0ELi1ELi1EEEviiP15ncclDevWorkColl.numbered_sgpr, max(100, .L__assert_fail.numbered_sgpr)
	.set .L_ZN12_GLOBAL__N_17runRingI12hip_bfloat1610FuncMinMaxIS1_E11ProtoSimpleILi2ELi2ELi0ELi1ELi0ELi0EELi0ELi0ELi1ELi1EEEviiP15ncclDevWorkColl.num_named_barrier, max(0, .L__assert_fail.num_named_barrier)
	.set .L_ZN12_GLOBAL__N_17runRingI12hip_bfloat1610FuncMinMaxIS1_E11ProtoSimpleILi2ELi2ELi0ELi1ELi0ELi0EELi0ELi0ELi1ELi1EEEviiP15ncclDevWorkColl.private_seg_size, 240+max(.L__assert_fail.private_seg_size)
	.set .L_ZN12_GLOBAL__N_17runRingI12hip_bfloat1610FuncMinMaxIS1_E11ProtoSimpleILi2ELi2ELi0ELi1ELi0ELi0EELi0ELi0ELi1ELi1EEEviiP15ncclDevWorkColl.uses_vcc, or(1, .L__assert_fail.uses_vcc)
	.set .L_ZN12_GLOBAL__N_17runRingI12hip_bfloat1610FuncMinMaxIS1_E11ProtoSimpleILi2ELi2ELi0ELi1ELi0ELi0EELi0ELi0ELi1ELi1EEEviiP15ncclDevWorkColl.uses_flat_scratch, or(0, .L__assert_fail.uses_flat_scratch)
	.set .L_ZN12_GLOBAL__N_17runRingI12hip_bfloat1610FuncMinMaxIS1_E11ProtoSimpleILi2ELi2ELi0ELi1ELi0ELi0EELi0ELi0ELi1ELi1EEEviiP15ncclDevWorkColl.has_dyn_sized_stack, or(0, .L__assert_fail.has_dyn_sized_stack)
	.set .L_ZN12_GLOBAL__N_17runRingI12hip_bfloat1610FuncMinMaxIS1_E11ProtoSimpleILi2ELi2ELi0ELi1ELi0ELi0EELi0ELi0ELi1ELi1EEEviiP15ncclDevWorkColl.has_recursion, or(1, .L__assert_fail.has_recursion)
	.set .L_ZN12_GLOBAL__N_17runRingI12hip_bfloat1610FuncMinMaxIS1_E11ProtoSimpleILi2ELi2ELi0ELi1ELi0ELi0EELi0ELi0ELi1ELi1EEEviiP15ncclDevWorkColl.has_indirect_call, or(0, .L__assert_fail.has_indirect_call)
	.section	.AMDGPU.csdata,"",@progbits
; Function info:
; codeLenInByte = 66852
; TotalNumSgprs: 106
; NumVgprs: 121
; NumAgprs: 0
; TotalNumVgprs: 121
; ScratchSize: 304
; MemoryBound: 1
	.text
	.p2align	2                               ; -- Begin function _Z51ncclDevFunc_AllReduce_RING_SIMPLE_MinMax_bf16_0_1_1v
	.type	_Z51ncclDevFunc_AllReduce_RING_SIMPLE_MinMax_bf16_0_1_1v,@function
_Z51ncclDevFunc_AllReduce_RING_SIMPLE_MinMax_bf16_0_1_1v: ; @_Z51ncclDevFunc_AllReduce_RING_SIMPLE_MinMax_bf16_0_1_1v
; %bb.0:
	s_waitcnt vmcnt(0) expcnt(0) lgkmcnt(0)
	s_mov_b32 s0, s33
	s_mov_b32 s33, s32
	s_or_saveexec_b64 s[2:3], -1
	scratch_store_dword off, v44, s33 offset:32 ; 4-byte Folded Spill
	scratch_store_dword off, v45, s33 offset:36 ; 4-byte Folded Spill
	s_mov_b64 exec, s[2:3]
	v_writelane_b32 v44, s0, 36
	s_add_i32 s32, s32, 48
	scratch_store_dword off, v40, s33 offset:28 ; 4-byte Folded Spill
	scratch_store_dword off, v41, s33 offset:24 ; 4-byte Folded Spill
	;; [unrolled: 1-line block ×7, first 2 shown]
	scratch_store_dword off, v120, s33      ; 4-byte Folded Spill
	v_writelane_b32 v44, s34, 0
	v_writelane_b32 v44, s35, 1
	;; [unrolled: 1-line block ×35, first 2 shown]
	s_nop 1
	v_writelane_b32 v44, s31, 35
	s_trap 2
	ds_read_b32 v0, v0
	v_mov_b32_e32 v40, v31
                                        ; implicit-def: $vgpr45 : SGPR spill to VGPR lane
	v_and_b32_e32 v41, 0x3ff, v40
	v_writelane_b32 v45, s12, 0
	v_writelane_b32 v45, s8, 1
	s_waitcnt lgkmcnt(0)
	v_cmp_lt_i32_e32 vcc, v41, v0
	v_writelane_b32 v45, s9, 2
	s_and_saveexec_b64 s[0:1], vcc
	s_cbranch_execz .LBB7_5
; %bb.1:
	v_readlane_b32 s4, v45, 1
	v_readlane_b32 s5, v45, 2
	s_load_dword s2, s[4:5], 0x0
	v_readlane_b32 s3, v45, 0
	v_mov_b32_e32 v1, 0
	s_mov_b32 s6, 0
	v_mov_b32_e32 v4, v41
	s_waitcnt lgkmcnt(0)
	s_cmp_lt_u32 s3, s2
	s_cselect_b32 s2, 12, 18
	s_add_u32 s2, s4, s2
	s_addc_u32 s3, s5, 0
	global_load_ushort v1, v1, s[2:3]
	s_trap 2
	ds_read_b32 v3, v0
	s_mov_b64 s[2:3], 0
                                        ; implicit-def: $vgpr2
	s_waitcnt vmcnt(0) lgkmcnt(0)
	v_mul_lo_u32 v3, v3, v1
	s_branch .LBB7_3
.LBB7_2:                                ;   in Loop: Header=BB7_3 Depth=1
	s_or_b64 exec, exec, s[4:5]
	v_add_u32_e32 v4, v4, v1
	v_cmp_ge_i32_e32 vcc, v4, v0
	s_or_b64 s[2:3], vcc, s[2:3]
	v_add_u32_e32 v2, v2, v3
	s_andn2_b64 exec, exec, s[2:3]
	s_cbranch_execz .LBB7_5
.LBB7_3:                                ; =>This Inner Loop Header: Depth=1
	ds_read_b32 v5, v2
	s_waitcnt lgkmcnt(0)
	v_and_b32_e32 v5, 0x1000000, v5
	v_cmp_ne_u32_e32 vcc, 0, v5
	s_and_saveexec_b64 s[4:5], vcc
	s_cbranch_execz .LBB7_2
; %bb.4:                                ;   in Loop: Header=BB7_3 Depth=1
	ds_read_b64 v[6:7], v2 offset:104
	s_waitcnt lgkmcnt(0)
	flat_load_ushort v5, v[6:7]
	v_mov_b32_e32 v7, s6
	s_waitcnt vmcnt(0) lgkmcnt(0)
	v_and_b32_e32 v6, 0xffff, v5
	ds_write_b64 v2, v[6:7] offset:104
	s_branch .LBB7_2
.LBB7_5:
	s_or_b64 exec, exec, s[0:1]
	s_waitcnt lgkmcnt(0)
	s_barrier
	s_trap 2
	ds_read_b32 v0, v0
	s_waitcnt lgkmcnt(0)
	v_cmp_gt_i32_e32 vcc, 1, v0
	s_cbranch_vccnz .LBB7_16
; %bb.6:
	s_mov_b32 s2, 0
	v_mov_b32_e32 v43, 6
	s_branch .LBB7_8
.LBB7_7:                                ;   in Loop: Header=BB7_8 Depth=1
	s_or_b64 exec, exec, s[4:5]
	s_trap 2
	ds_read_b32 v0, v0
	s_add_i32 s2, s2, 1
	s_waitcnt lgkmcnt(0)
	v_cmp_lt_i32_e32 vcc, s2, v0
	s_cbranch_vccz .LBB7_16
.LBB7_8:                                ; =>This Inner Loop Header: Depth=1
	s_trap 2
	ds_read_b32 v0, v0
	s_cmp_eq_u32 s2, 0
	s_cbranch_scc1 .LBB7_11
; %bb.9:                                ;   in Loop: Header=BB7_8 Depth=1
	s_trap 2
	s_waitcnt lgkmcnt(0)
	ds_read_b32 v1, v0
	s_waitcnt lgkmcnt(0)
	v_xor_b32_e32 v1, v1, v0
	v_and_b32_e32 v1, 0xff0000, v1
	v_cmp_eq_u32_e32 vcc, 0, v1
	s_cbranch_vccnz .LBB7_11
; %bb.10:                               ;   in Loop: Header=BB7_8 Depth=1
	s_barrier
	ds_read_b32 v0, v0
.LBB7_11:                               ;   in Loop: Header=BB7_8 Depth=1
	s_waitcnt lgkmcnt(0)
	v_lshlrev_b32_sdwa v42, v43, v0 dst_sel:DWORD dst_unused:UNUSED_PAD src0_sel:DWORD src1_sel:BYTE_2
	v_cmp_lt_u32_e32 vcc, v41, v42
	s_and_saveexec_b64 s[4:5], vcc
	s_cbranch_execz .LBB7_7
; %bb.12:                               ;   in Loop: Header=BB7_8 Depth=1
	v_cmp_lt_i32_e32 vcc, -1, v0
	v_writelane_b32 v45, s2, 3
	s_mov_b64 s[6:7], src_shared_base
	s_mov_b64 s[0:1], -1
	v_writelane_b32 v45, s4, 4
	s_nop 1
	v_writelane_b32 v45, s5, 5
	s_cbranch_vccnz .LBB7_14
; %bb.13:                               ;   in Loop: Header=BB7_8 Depth=1
	v_readlane_b32 s8, v45, 1
	s_getpc_b64 s[0:1]
	s_add_u32 s0, s0, _ZN12_GLOBAL__N_17runRingI12hip_bfloat1610FuncMinMaxIS1_E11ProtoSimpleILi1ELi4ELi0ELi1ELi0ELi0EELi0ELi0ELi1ELi1EEEviiP15ncclDevWorkColl@rel32@lo+4
	s_addc_u32 s1, s1, _ZN12_GLOBAL__N_17runRingI12hip_bfloat1610FuncMinMaxIS1_E11ProtoSimpleILi1ELi4ELi0ELi1ELi0ELi0EELi0ELi0ELi1ELi1EEEviiP15ncclDevWorkColl@rel32@hi+12
	v_readlane_b32 s9, v45, 2
	v_readlane_b32 s12, v45, 0
	v_mov_b32_e32 v31, v40
	v_mov_b32_e32 v0, v41
	v_mov_b32_e32 v1, v42
	v_mov_b32_e32 v3, s7
	v_writelane_b32 v45, s6, 6
	s_nop 1
	v_writelane_b32 v45, s7, 7
	s_swappc_b64 s[30:31], s[0:1]
	v_readlane_b32 s6, v45, 6
	v_readlane_b32 s4, v45, 4
	;; [unrolled: 1-line block ×5, first 2 shown]
	s_mov_b64 s[0:1], 0
.LBB7_14:                               ;   in Loop: Header=BB7_8 Depth=1
	s_andn2_b64 vcc, exec, s[0:1]
	s_cbranch_vccnz .LBB7_7
; %bb.15:                               ;   in Loop: Header=BB7_8 Depth=1
	v_readlane_b32 s8, v45, 1
	s_getpc_b64 s[0:1]
	s_add_u32 s0, s0, _ZN12_GLOBAL__N_17runRingI12hip_bfloat1610FuncMinMaxIS1_E11ProtoSimpleILi2ELi2ELi0ELi1ELi0ELi0EELi0ELi0ELi1ELi1EEEviiP15ncclDevWorkColl@rel32@lo+4
	s_addc_u32 s1, s1, _ZN12_GLOBAL__N_17runRingI12hip_bfloat1610FuncMinMaxIS1_E11ProtoSimpleILi2ELi2ELi0ELi1ELi0ELi0EELi0ELi0ELi1ELi1EEEviiP15ncclDevWorkColl@rel32@hi+12
	v_readlane_b32 s9, v45, 2
	v_readlane_b32 s12, v45, 0
	v_mov_b32_e32 v31, v40
	v_mov_b32_e32 v0, v41
	;; [unrolled: 1-line block ×4, first 2 shown]
	s_swappc_b64 s[30:31], s[0:1]
	v_readlane_b32 s4, v45, 4
	v_readlane_b32 s5, v45, 5
	;; [unrolled: 1-line block ×3, first 2 shown]
	s_branch .LBB7_7
.LBB7_16:
	scratch_load_dword v120, off, s33       ; 4-byte Folded Reload
	scratch_load_dword v111, off, s33 offset:4 ; 4-byte Folded Reload
	scratch_load_dword v109, off, s33 offset:8 ; 4-byte Folded Reload
	;; [unrolled: 1-line block ×7, first 2 shown]
	v_readlane_b32 s30, v44, 34
	v_readlane_b32 s31, v44, 35
	v_readlane_b32 s99, v44, 33
	v_readlane_b32 s98, v44, 32
	v_readlane_b32 s97, v44, 31
	v_readlane_b32 s96, v44, 30
	v_readlane_b32 s87, v44, 29
	v_readlane_b32 s86, v44, 28
	v_readlane_b32 s85, v44, 27
	v_readlane_b32 s84, v44, 26
	v_readlane_b32 s83, v44, 25
	v_readlane_b32 s82, v44, 24
	v_readlane_b32 s81, v44, 23
	v_readlane_b32 s80, v44, 22
	v_readlane_b32 s71, v44, 21
	v_readlane_b32 s70, v44, 20
	v_readlane_b32 s69, v44, 19
	v_readlane_b32 s68, v44, 18
	v_readlane_b32 s67, v44, 17
	v_readlane_b32 s66, v44, 16
	v_readlane_b32 s65, v44, 15
	v_readlane_b32 s64, v44, 14
	v_readlane_b32 s55, v44, 13
	v_readlane_b32 s54, v44, 12
	v_readlane_b32 s53, v44, 11
	v_readlane_b32 s52, v44, 10
	v_readlane_b32 s51, v44, 9
	v_readlane_b32 s50, v44, 8
	v_readlane_b32 s49, v44, 7
	v_readlane_b32 s48, v44, 6
	v_readlane_b32 s39, v44, 5
	v_readlane_b32 s38, v44, 4
	v_readlane_b32 s37, v44, 3
	v_readlane_b32 s36, v44, 2
	v_readlane_b32 s35, v44, 1
	v_readlane_b32 s34, v44, 0
	s_mov_b32 s32, s33
	v_readlane_b32 s0, v44, 36
	s_or_saveexec_b64 s[2:3], -1
	scratch_load_dword v44, off, s33 offset:32 ; 4-byte Folded Reload
	scratch_load_dword v45, off, s33 offset:36 ; 4-byte Folded Reload
	s_mov_b64 exec, s[2:3]
	s_mov_b32 s33, s0
	s_waitcnt vmcnt(0)
	s_setpc_b64 s[30:31]
.Lfunc_end7:
	.size	_Z51ncclDevFunc_AllReduce_RING_SIMPLE_MinMax_bf16_0_1_1v, .Lfunc_end7-_Z51ncclDevFunc_AllReduce_RING_SIMPLE_MinMax_bf16_0_1_1v
                                        ; -- End function
	.set .L_Z51ncclDevFunc_AllReduce_RING_SIMPLE_MinMax_bf16_0_1_1v.num_vgpr, max(121, .L_ZN12_GLOBAL__N_17runRingI12hip_bfloat1610FuncMinMaxIS1_E11ProtoSimpleILi1ELi4ELi0ELi1ELi0ELi0EELi0ELi0ELi1ELi1EEEviiP15ncclDevWorkColl.num_vgpr, .L_ZN12_GLOBAL__N_17runRingI12hip_bfloat1610FuncMinMaxIS1_E11ProtoSimpleILi2ELi2ELi0ELi1ELi0ELi0EELi0ELi0ELi1ELi1EEEviiP15ncclDevWorkColl.num_vgpr)
	.set .L_Z51ncclDevFunc_AllReduce_RING_SIMPLE_MinMax_bf16_0_1_1v.num_agpr, max(0, .L_ZN12_GLOBAL__N_17runRingI12hip_bfloat1610FuncMinMaxIS1_E11ProtoSimpleILi1ELi4ELi0ELi1ELi0ELi0EELi0ELi0ELi1ELi1EEEviiP15ncclDevWorkColl.num_agpr, .L_ZN12_GLOBAL__N_17runRingI12hip_bfloat1610FuncMinMaxIS1_E11ProtoSimpleILi2ELi2ELi0ELi1ELi0ELi0EELi0ELi0ELi1ELi1EEEviiP15ncclDevWorkColl.num_agpr)
	.set .L_Z51ncclDevFunc_AllReduce_RING_SIMPLE_MinMax_bf16_0_1_1v.numbered_sgpr, max(100, .L_ZN12_GLOBAL__N_17runRingI12hip_bfloat1610FuncMinMaxIS1_E11ProtoSimpleILi1ELi4ELi0ELi1ELi0ELi0EELi0ELi0ELi1ELi1EEEviiP15ncclDevWorkColl.numbered_sgpr, .L_ZN12_GLOBAL__N_17runRingI12hip_bfloat1610FuncMinMaxIS1_E11ProtoSimpleILi2ELi2ELi0ELi1ELi0ELi0EELi0ELi0ELi1ELi1EEEviiP15ncclDevWorkColl.numbered_sgpr)
	.set .L_Z51ncclDevFunc_AllReduce_RING_SIMPLE_MinMax_bf16_0_1_1v.num_named_barrier, max(0, .L_ZN12_GLOBAL__N_17runRingI12hip_bfloat1610FuncMinMaxIS1_E11ProtoSimpleILi1ELi4ELi0ELi1ELi0ELi0EELi0ELi0ELi1ELi1EEEviiP15ncclDevWorkColl.num_named_barrier, .L_ZN12_GLOBAL__N_17runRingI12hip_bfloat1610FuncMinMaxIS1_E11ProtoSimpleILi2ELi2ELi0ELi1ELi0ELi0EELi0ELi0ELi1ELi1EEEviiP15ncclDevWorkColl.num_named_barrier)
	.set .L_Z51ncclDevFunc_AllReduce_RING_SIMPLE_MinMax_bf16_0_1_1v.private_seg_size, 48+max(.L_ZN12_GLOBAL__N_17runRingI12hip_bfloat1610FuncMinMaxIS1_E11ProtoSimpleILi1ELi4ELi0ELi1ELi0ELi0EELi0ELi0ELi1ELi1EEEviiP15ncclDevWorkColl.private_seg_size, .L_ZN12_GLOBAL__N_17runRingI12hip_bfloat1610FuncMinMaxIS1_E11ProtoSimpleILi2ELi2ELi0ELi1ELi0ELi0EELi0ELi0ELi1ELi1EEEviiP15ncclDevWorkColl.private_seg_size)
	.set .L_Z51ncclDevFunc_AllReduce_RING_SIMPLE_MinMax_bf16_0_1_1v.uses_vcc, or(1, .L_ZN12_GLOBAL__N_17runRingI12hip_bfloat1610FuncMinMaxIS1_E11ProtoSimpleILi1ELi4ELi0ELi1ELi0ELi0EELi0ELi0ELi1ELi1EEEviiP15ncclDevWorkColl.uses_vcc, .L_ZN12_GLOBAL__N_17runRingI12hip_bfloat1610FuncMinMaxIS1_E11ProtoSimpleILi2ELi2ELi0ELi1ELi0ELi0EELi0ELi0ELi1ELi1EEEviiP15ncclDevWorkColl.uses_vcc)
	.set .L_Z51ncclDevFunc_AllReduce_RING_SIMPLE_MinMax_bf16_0_1_1v.uses_flat_scratch, or(0, .L_ZN12_GLOBAL__N_17runRingI12hip_bfloat1610FuncMinMaxIS1_E11ProtoSimpleILi1ELi4ELi0ELi1ELi0ELi0EELi0ELi0ELi1ELi1EEEviiP15ncclDevWorkColl.uses_flat_scratch, .L_ZN12_GLOBAL__N_17runRingI12hip_bfloat1610FuncMinMaxIS1_E11ProtoSimpleILi2ELi2ELi0ELi1ELi0ELi0EELi0ELi0ELi1ELi1EEEviiP15ncclDevWorkColl.uses_flat_scratch)
	.set .L_Z51ncclDevFunc_AllReduce_RING_SIMPLE_MinMax_bf16_0_1_1v.has_dyn_sized_stack, or(0, .L_ZN12_GLOBAL__N_17runRingI12hip_bfloat1610FuncMinMaxIS1_E11ProtoSimpleILi1ELi4ELi0ELi1ELi0ELi0EELi0ELi0ELi1ELi1EEEviiP15ncclDevWorkColl.has_dyn_sized_stack, .L_ZN12_GLOBAL__N_17runRingI12hip_bfloat1610FuncMinMaxIS1_E11ProtoSimpleILi2ELi2ELi0ELi1ELi0ELi0EELi0ELi0ELi1ELi1EEEviiP15ncclDevWorkColl.has_dyn_sized_stack)
	.set .L_Z51ncclDevFunc_AllReduce_RING_SIMPLE_MinMax_bf16_0_1_1v.has_recursion, or(1, .L_ZN12_GLOBAL__N_17runRingI12hip_bfloat1610FuncMinMaxIS1_E11ProtoSimpleILi1ELi4ELi0ELi1ELi0ELi0EELi0ELi0ELi1ELi1EEEviiP15ncclDevWorkColl.has_recursion, .L_ZN12_GLOBAL__N_17runRingI12hip_bfloat1610FuncMinMaxIS1_E11ProtoSimpleILi2ELi2ELi0ELi1ELi0ELi0EELi0ELi0ELi1ELi1EEEviiP15ncclDevWorkColl.has_recursion)
	.set .L_Z51ncclDevFunc_AllReduce_RING_SIMPLE_MinMax_bf16_0_1_1v.has_indirect_call, or(0, .L_ZN12_GLOBAL__N_17runRingI12hip_bfloat1610FuncMinMaxIS1_E11ProtoSimpleILi1ELi4ELi0ELi1ELi0ELi0EELi0ELi0ELi1ELi1EEEviiP15ncclDevWorkColl.has_indirect_call, .L_ZN12_GLOBAL__N_17runRingI12hip_bfloat1610FuncMinMaxIS1_E11ProtoSimpleILi2ELi2ELi0ELi1ELi0ELi0EELi0ELi0ELi1ELi1EEEviiP15ncclDevWorkColl.has_indirect_call)
	.section	.AMDGPU.csdata,"",@progbits
; Function info:
; codeLenInByte = 1528
; TotalNumSgprs: 106
; NumVgprs: 121
; NumAgprs: 0
; TotalNumVgprs: 121
; ScratchSize: 352
; MemoryBound: 0
	.text
	.p2align	2                               ; -- Begin function _ZN12_GLOBAL__N_17runRingI12hip_bfloat1610FuncMinMaxIS1_E11ProtoSimpleILi1ELi4ELi1ELi1ELi0ELi0EELi0ELi1ELi1ELi0EEEviiP15ncclDevWorkColl
	.type	_ZN12_GLOBAL__N_17runRingI12hip_bfloat1610FuncMinMaxIS1_E11ProtoSimpleILi1ELi4ELi1ELi1ELi0ELi0EELi0ELi1ELi1ELi0EEEviiP15ncclDevWorkColl,@function
_ZN12_GLOBAL__N_17runRingI12hip_bfloat1610FuncMinMaxIS1_E11ProtoSimpleILi1ELi4ELi1ELi1ELi0ELi0EELi0ELi1ELi1ELi0EEEviiP15ncclDevWorkColl: ; @_ZN12_GLOBAL__N_17runRingI12hip_bfloat1610FuncMinMaxIS1_E11ProtoSimpleILi1ELi4ELi1ELi1ELi0ELi0EELi0ELi1ELi1ELi0EEEviiP15ncclDevWorkColl
; %bb.0:
	s_waitcnt vmcnt(0) expcnt(0) lgkmcnt(0)
	s_mov_b32 s0, s33
	s_mov_b32 s33, s32
	s_or_saveexec_b64 s[2:3], -1
	scratch_store_dword off, v127, s33 offset:188 ; 4-byte Folded Spill
	s_mov_b64 exec, s[2:3]
	v_writelane_b32 v127, s0, 32
	s_addk_i32 s32, 0xd0
	scratch_store_dword off, v40, s33 offset:184 ; 4-byte Folded Spill
	scratch_store_dword off, v41, s33 offset:180 ; 4-byte Folded Spill
	;; [unrolled: 1-line block ×46, first 2 shown]
	scratch_store_dword off, v126, s33      ; 4-byte Folded Spill
	v_writelane_b32 v127, s34, 0
	v_writelane_b32 v127, s35, 1
	;; [unrolled: 1-line block ×31, first 2 shown]
	s_nop 1
	v_writelane_b32 v127, s31, 31
	s_trap 2
	flat_load_dword v9, v[2:3]
	ds_read_b32 v6, v0
                                        ; implicit-def: $vgpr14_vgpr15
                                        ; implicit-def: $vgpr24_vgpr25
                                        ; implicit-def: $vgpr4_vgpr5
	s_waitcnt lgkmcnt(0)
	v_readfirstlane_b32 s64, v6
	s_waitcnt vmcnt(0)
	v_cmp_ne_u32_sdwa s[0:1], v6, v9 src0_sel:DWORD src1_sel:BYTE_0
	s_and_saveexec_b64 s[2:3], s[0:1]
	s_xor_b64 s[0:1], exec, s[2:3]
	s_cbranch_execz .LBB8_6
; %bb.1:
	v_not_b32_sdwa v8, v9 dst_sel:DWORD dst_unused:UNUSED_PAD src0_sel:BYTE_0
	v_cmp_ne_u32_sdwa s[2:3], v6, v9 src0_sel:DWORD src1_sel:BYTE_1
                                        ; implicit-def: $vgpr14_vgpr15
                                        ; implicit-def: $vgpr24_vgpr25
                                        ; implicit-def: $vgpr4_vgpr5
	s_and_saveexec_b64 s[4:5], s[2:3]
	s_xor_b64 s[2:3], exec, s[4:5]
	s_cbranch_execz .LBB8_3
; %bb.2:
	flat_load_dwordx4 v[10:13], v[2:3] offset:72
	flat_load_dwordx2 v[4:5], v[2:3] offset:96
	v_add_u32_e32 v6, v6, v8
	v_ashrrev_i32_e32 v7, 31, v6
                                        ; implicit-def: $vgpr9
                                        ; implicit-def: $vgpr8
	s_waitcnt vmcnt(0) lgkmcnt(0)
	v_mul_lo_u32 v7, v12, v7
	v_mad_u64_u32 v[24:25], s[4:5], v12, v6, v[10:11]
	v_mul_lo_u32 v6, v13, v6
	v_lshrrev_b64 v[14:15], 13, v[4:5]
	v_add3_u32 v25, v6, v25, v7
	v_mov_b64_e32 v[4:5], v[12:13]
.LBB8_3:
	s_andn2_saveexec_b64 s[2:3], s[2:3]
	s_cbranch_execz .LBB8_5
; %bb.4:
	flat_load_dwordx4 v[10:13], v[2:3] offset:72
	flat_load_dwordx4 v[4:7], v[2:3] offset:88
	s_waitcnt vmcnt(0) lgkmcnt(0)
	v_add_u32_sdwa v6, v9, v8 dst_sel:DWORD dst_unused:UNUSED_PAD src0_sel:BYTE_1 src1_sel:DWORD
	v_ashrrev_i32_e32 v8, 31, v6
	v_mul_lo_u32 v8, v12, v8
	v_mad_u64_u32 v[24:25], s[4:5], v12, v6, v[10:11]
	v_mul_lo_u32 v6, v13, v6
	v_add3_u32 v25, v6, v25, v8
	v_lshrrev_b32_e32 v14, 2, v7
.LBB8_5:
	s_or_b64 exec, exec, s[2:3]
.LBB8_6:
	s_andn2_saveexec_b64 s[0:1], s[0:1]
	s_cbranch_execz .LBB8_8
; %bb.7:
	flat_load_dwordx2 v[6:7], v[2:3] offset:96
	flat_load_dwordx2 v[4:5], v[2:3] offset:72
	v_mov_b64_e32 v[24:25], 0
	s_waitcnt vmcnt(0) lgkmcnt(0)
	v_lshlrev_b64 v[14:15], 8, v[6:7]
.LBB8_8:
	s_or_b64 exec, exec, s[0:1]
	s_trap 2
	ds_read_b64 v[6:7], v0
	s_waitcnt lgkmcnt(0)
	v_cmp_ne_u32_e32 vcc, -1, v6
	s_nop 1
	v_cndmask_b32_e64 v15, 0, 1, vcc
	v_cmp_ne_u32_e32 vcc, -1, v7
	s_nop 1
	v_addc_co_u32_e64 v8, s[0:1], 0, v15, vcc
	v_lshlrev_b32_e32 v6, 1, v8
	v_cmp_le_u32_e64 s[0:1], v6, v1
	s_and_saveexec_b64 s[2:3], s[0:1]
	s_xor_b64 s[72:73], exec, s[2:3]
	s_cbranch_execz .LBB8_1684
; %bb.9:
	flat_load_dwordx4 v[10:13], v[2:3] offset:16
	flat_load_dwordx2 v[16:17], v[2:3] offset:104
	flat_load_ushort v7, v[2:3] offset:8
	flat_load_dword v6, v[2:3] offset:4
	s_trap 2
	s_load_dword s0, s[8:9], 0x0
	v_mov_b32_e32 v9, 0
	v_mov_b32_e32 v63, 4
	s_waitcnt lgkmcnt(0)
	s_cmp_lt_u32 s12, s0
	s_cselect_b32 s0, 12, 18
	s_add_u32 s0, s8, s0
	s_addc_u32 s1, s9, 0
	global_load_ushort v62, v9, s[0:1]
	ds_read_b32 v9, v0
	v_cmp_ge_u32_e64 s[0:1], v0, v15
	s_waitcnt lgkmcnt(0)
	v_readfirstlane_b32 s22, v9
	s_and_saveexec_b64 s[2:3], s[0:1]
	s_cbranch_execz .LBB8_19
; %bb.10:
	v_cmp_ge_u32_e64 s[0:1], v0, v8
                                        ; implicit-def: $vgpr63
	s_and_saveexec_b64 s[4:5], s[0:1]
	s_xor_b64 s[0:1], exec, s[4:5]
	s_cbranch_execz .LBB8_16
; %bb.11:
	v_cndmask_b32_e64 v9, 0, 1, vcc
	v_sub_u32_e32 v9, v1, v9
	v_cmp_ge_u32_e32 vcc, v0, v9
	s_and_saveexec_b64 s[4:5], vcc
	s_xor_b64 s[4:5], exec, s[4:5]
; %bb.12:
                                        ; implicit-def: $vgpr8
; %bb.13:
	s_or_saveexec_b64 s[4:5], s[4:5]
	v_mov_b32_e32 v63, 16
	s_xor_b64 exec, exec, s[4:5]
; %bb.14:
	v_sub_u32_e32 v8, v1, v8
	v_cmp_lt_i32_e32 vcc, v0, v8
	s_nop 1
	v_cndmask_b32_e64 v63, 32, 0, vcc
; %bb.15:
	s_or_b64 exec, exec, s[4:5]
.LBB8_16:
	s_andn2_saveexec_b64 s[0:1], s[0:1]
; %bb.17:
	v_mov_b32_e32 v63, 8
; %bb.18:
	s_or_b64 exec, exec, s[0:1]
.LBB8_19:
	s_or_b64 exec, exec, s[2:3]
	v_and_b32_e32 v8, 36, v63
	v_cmp_ne_u32_e32 vcc, 0, v8
	v_mov_b32_e32 v8, -1
	s_and_saveexec_b64 s[0:1], vcc
	s_cbranch_execz .LBB8_21
; %bb.20:
	s_trap 2
	ds_read_b32 v8, v0
.LBB8_21:
	s_or_b64 exec, exec, s[0:1]
	v_and_b32_e32 v9, 24, v63
	v_cmp_ne_u32_e64 s[0:1], 0, v9
	s_and_saveexec_b64 s[2:3], s[0:1]
	s_cbranch_execz .LBB8_23
; %bb.22:
	s_trap 2
	s_waitcnt lgkmcnt(0)
	ds_read_b32 v8, v0
.LBB8_23:
	s_or_b64 exec, exec, s[2:3]
	s_waitcnt vmcnt(0)
	v_lshrrev_b64 v[6:7], 31, v[6:7]
	v_and_b32_e32 v20, 3, v6
	v_mov_b64_e32 v[28:29], 0
	s_waitcnt lgkmcnt(0)
	v_ashrrev_i32_e32 v9, 31, v8
	v_mov_b64_e32 v[6:7], 0
                                        ; implicit-def: $vgpr26_vgpr27
                                        ; implicit-def: $vgpr30
                                        ; implicit-def: $vgpr112_vgpr113
                                        ; implicit-def: $vgpr34_vgpr35
                                        ; implicit-def: $vgpr48_vgpr49
                                        ; implicit-def: $vgpr32_vgpr33
	s_and_saveexec_b64 s[0:1], vcc
	s_cbranch_execz .LBB8_33
; %bb.24:
	s_trap 2
	ds_read_b64 v[6:7], v0
	v_and_b32_e32 v18, 0xffff, v20
	s_movk_i32 s2, 0xa8
                                        ; implicit-def: $vgpr26_vgpr27
	s_waitcnt lgkmcnt(0)
	v_lshl_add_u64 v[6:7], v[8:9], 3, v[6:7]
	flat_load_dwordx2 v[6:7], v[6:7]
	s_waitcnt vmcnt(0) lgkmcnt(0)
	v_mad_u64_u32 v[18:19], s[2:3], v18, s2, v[6:7]
	flat_load_dword v6, v[18:19] offset:640
	s_waitcnt vmcnt(0) lgkmcnt(0)
	v_cmp_eq_u32_e32 vcc, 1, v6
	s_and_saveexec_b64 s[2:3], vcc
	s_cbranch_execz .LBB8_26
; %bb.25:
	flat_load_dwordx2 v[26:27], v[18:19] offset:648
	v_or_b32_e32 v63, 0x2000, v63
	s_waitcnt vmcnt(0) lgkmcnt(0)
	flat_load_dwordx2 v[6:7], v[26:27]
	s_trap 2
	s_waitcnt vmcnt(0) lgkmcnt(0)
	ds_write_b64 v0, v[6:7]
	flat_load_dwordx2 v[6:7], v[26:27] offset:8
	s_waitcnt vmcnt(0) lgkmcnt(0)
	ds_write_b64 v0, v[6:7]
	flat_load_dwordx2 v[6:7], v[26:27] offset:16
	s_waitcnt vmcnt(0) lgkmcnt(0)
	ds_write_b64 v0, v[6:7]
.LBB8_26:
	s_or_b64 exec, exec, s[2:3]
	flat_load_dwordx2 v[6:7], v[18:19] offset:608
	v_and_b32_e32 v21, 32, v63
	v_cmp_ne_u32_e32 vcc, 0, v21
                                        ; implicit-def: $vgpr32_vgpr33
	s_waitcnt vmcnt(0) lgkmcnt(0)
	v_lshl_add_u64 v[112:113], v[6:7], 0, 3
	v_and_b32_e32 v112, -4, v112
	s_and_saveexec_b64 s[2:3], vcc
	s_cbranch_execz .LBB8_28
; %bb.27:
	flat_load_dwordx2 v[32:33], v[18:19] offset:560
	s_waitcnt vmcnt(0) lgkmcnt(0)
	flat_store_dwordx2 v[32:33], v[112:113] sc0 sc1
.LBB8_28:
	s_or_b64 exec, exec, s[2:3]
	s_mov_b64 s[2:3], 0x1f8
	v_and_b32_e32 v6, 4, v63
	v_lshl_add_u64 v[28:29], v[18:19], 0, s[2:3]
	v_cmp_ne_u32_e32 vcc, 0, v6
	v_mov_b64_e32 v[6:7], 0
                                        ; implicit-def: $vgpr30
                                        ; implicit-def: $vgpr34_vgpr35
                                        ; implicit-def: $vgpr48_vgpr49
	s_and_saveexec_b64 s[2:3], vcc
	s_cbranch_execz .LBB8_32
; %bb.29:
	v_and_b32_e32 v6, 0x800, v63
	v_cmp_eq_u32_e32 vcc, 0, v6
	s_and_saveexec_b64 s[4:5], vcc
	s_cbranch_execz .LBB8_31
; %bb.30:
	s_trap 2
	ds_write_b64 v0, v[28:29]
.LBB8_31:
	s_or_b64 exec, exec, s[4:5]
	flat_load_dwordx2 v[32:33], v[18:19] offset:552
	s_waitcnt vmcnt(0) lgkmcnt(0)
	flat_load_dwordx2 v[48:49], v[32:33] sc0 sc1
	flat_load_dword v21, v[18:19] offset:576
	flat_load_dwordx2 v[6:7], v[18:19] offset:600
	flat_load_dwordx2 v[34:35], v[18:19] offset:520
	v_or_b32_e32 v18, 0x100, v63
	s_waitcnt vmcnt(0) lgkmcnt(0)
	v_ashrrev_i32_e32 v30, 1, v21
	v_cmp_eq_u64_e32 vcc, 0, v[6:7]
	s_nop 1
	v_cndmask_b32_e32 v63, v18, v63, vcc
.LBB8_32:
	s_or_b64 exec, exec, s[2:3]
.LBB8_33:
	s_or_b64 exec, exec, s[0:1]
	v_and_b32_e32 v18, 24, v63
	v_cmp_ne_u32_e32 vcc, 0, v18
                                        ; implicit-def: $vgpr36_vgpr37
	s_and_saveexec_b64 s[0:1], vcc
	s_cbranch_execz .LBB8_41
; %bb.34:
	s_trap 2
	ds_read_b64 v[6:7], v0
	s_movk_i32 s2, 0xa8
	v_or_b32_e32 v18, 0x100, v63
                                        ; implicit-def: $vgpr36_vgpr37
	s_waitcnt lgkmcnt(0)
	v_lshl_add_u64 v[6:7], v[8:9], 3, v[6:7]
	flat_load_dwordx2 v[6:7], v[6:7]
	v_and_b32_e32 v8, 0xffff, v20
	s_waitcnt vmcnt(0) lgkmcnt(0)
	v_mad_u64_u32 v[28:29], s[2:3], v8, s2, v[6:7]
	flat_load_dwordx4 v[6:9], v[28:29] offset:96
	s_waitcnt vmcnt(0) lgkmcnt(0)
	v_cmp_eq_u64_e32 vcc, 0, v[6:7]
	s_nop 1
	v_cndmask_b32_e32 v63, v18, v63, vcc
	v_and_b32_e32 v18, 16, v63
	v_cmp_ne_u32_e32 vcc, 0, v18
	s_and_saveexec_b64 s[2:3], vcc
	s_cbranch_execz .LBB8_36
; %bb.35:
	flat_load_dwordx2 v[32:33], v[28:29] offset:48
	flat_load_dwordx2 v[36:37], v[28:29] offset:120
	;; [unrolled: 1-line block ×3, first 2 shown]
.LBB8_36:
	s_or_b64 exec, exec, s[2:3]
	v_lshl_add_u64 v[112:113], v[8:9], 0, 3
	v_and_b32_e32 v8, 8, v63
	v_and_b32_e32 v112, -4, v112
	v_cmp_ne_u32_e32 vcc, 0, v8
	s_and_saveexec_b64 s[2:3], vcc
	s_cbranch_execz .LBB8_40
; %bb.37:
	v_and_b32_e32 v8, 0x800, v63
	v_cmp_eq_u32_e32 vcc, 0, v8
	s_and_saveexec_b64 s[4:5], vcc
	s_cbranch_execz .LBB8_39
; %bb.38:
	s_trap 2
	ds_write_b64 v0, v[28:29]
.LBB8_39:
	s_or_b64 exec, exec, s[4:5]
	s_waitcnt vmcnt(0) lgkmcnt(0)
	flat_load_dwordx2 v[32:33], v[28:29] offset:56
	s_waitcnt vmcnt(0) lgkmcnt(0)
	flat_load_dwordx2 v[48:49], v[32:33] sc0 sc1
	flat_load_dword v8, v[28:29] offset:72
	flat_load_dwordx2 v[34:35], v[28:29] offset:16
	s_waitcnt vmcnt(0) lgkmcnt(0)
	v_ashrrev_i32_e32 v30, 1, v8
.LBB8_40:
	s_or_b64 exec, exec, s[2:3]
.LBB8_41:
	s_or_b64 exec, exec, s[0:1]
	v_cmp_eq_u32_e64 s[0:1], 0, v0
	s_and_saveexec_b64 s[2:3], s[0:1]
	s_cbranch_execz .LBB8_43
; %bb.42:
	flat_load_dwordx2 v[8:9], v[2:3] offset:32
	ds_write2_b64 v0, v[12:13], v[10:11] offset1:1
	s_trap 2
	s_waitcnt vmcnt(0) lgkmcnt(0)
	ds_write_b64 v0, v[8:9]
	ds_write_b64 v0, v[16:17]
.LBB8_43:
	s_or_b64 exec, exec, s[2:3]
	v_mov_b64_e32 v[38:39], 0
	v_cmp_lt_i64_e32 vcc, 0, v[4:5]
	s_trap 2
	s_and_saveexec_b64 s[74:75], vcc
	s_cbranch_execz .LBB8_1650
; %bb.44:
	flat_load_dword v8, v[2:3] offset:4
	s_ashr_i32 s16, s22, 31
	s_lshr_b32 s23, s16, 29
	s_add_i32 s22, s22, s23
	s_ashr_i32 s65, s64, 31
	s_ashr_i32 s23, s22, 4
	s_add_u32 s30, s64, -1
	s_addc_u32 s31, s65, -1
	s_add_i32 s80, s64, s64
	s_not_b32 s24, s64
	s_cmp_gt_i32 s64, 0
	s_cselect_b32 s24, s24, -1
	s_ashr_i32 s22, s22, 31
	s_lshr_b32 s22, s22, 29
	s_add_i32 s81, s24, s80
	s_add_i32 s23, s23, s22
	s_ashr_i32 s82, s81, 31
	s_ashr_i32 s83, s23, 3
	s_cmp_gt_i32 s64, 2
	v_lshrrev_b32_e32 v52, 6, v1
	v_lshlrev_b32_e32 v10, 1, v1
	s_cselect_b64 s[34:35], -1, 0
	s_add_i32 s24, s64, 1
	v_and_b32_e32 v2, 0x1fffff00, v14
	v_lshlrev_b32_e32 v80, 10, v52
	v_and_b32_e32 v84, 0x7f80, v10
	v_and_b32_e32 v9, 63, v31
	v_lshrrev_b32_e32 v73, 6, v0
	v_mad_i64_i32 v[66:67], s[14:15], v2, s64, 0
	v_add_u32_e32 v86, 0xfffffc00, v80
	v_add_u32_e32 v96, 0xffffff80, v84
	v_mov_b32_e32 v3, 0
	v_and_b32_e32 v72, 63, v0
	s_mov_b64 s[90:91], 0x400
	s_mov_b64 s[92:93], 0x80
	v_cmp_eq_u32_e64 s[14:15], 0, v9
	v_lshlrev_b32_e32 v9, 11, v73
	v_ashrrev_i32_e32 v87, 31, v86
	v_ashrrev_i32_e32 v97, 31, v96
	s_mov_b32 s77, 0
	v_cmp_ge_u32_e64 s[2:3], v0, v1
	v_ashrrev_i32_e32 v51, 31, v30
	v_cmp_eq_u32_e64 s[4:5], 64, v1
	v_cmp_ne_u32_e64 s[6:7], 64, v1
	v_cmp_ne_u32_sdwa s[78:79], v1, v62 src0_sel:DWORD src1_sel:WORD_0
	s_mov_b64 s[88:89], 0
	s_waitcnt vmcnt(0) lgkmcnt(0)
	v_cmp_eq_u64_e64 s[10:11], 0, v[36:37]
	v_cmp_ne_u64_e64 s[12:13], 0, v[36:37]
	v_lshlrev_b32_e32 v54, 4, v0
	s_movk_i32 s66, 0xff80
	v_mov_b64_e32 v[64:65], 0
	v_mov_b64_e32 v[38:39], 0
	v_mov_b32_e32 v74, 1
	s_movk_i32 s67, 0x108
	s_mov_b32 s68, 0x7f800000
	s_movk_i32 s69, 0x7fff
	s_mov_b32 s70, 0xffff0000
	s_mov_b64 s[94:95], 0x180
	s_movk_i32 s71, 0xfe80
	v_mov_b32_e32 v53, v3
	v_cmp_eq_u32_e64 s[16:17], 0, v72
	v_cmp_lt_u32_e64 s[18:19], v72, v15
	v_mov_b32_e32 v69, v3
	v_lshlrev_b32_e32 v70, 11, v52
	v_mov_b32_e32 v71, v3
	v_mov_b32_e32 v81, v3
	v_lshlrev_b32_e32 v82, 9, v52
	v_mov_b32_e32 v83, v3
	v_mov_b32_e32 v85, v3
	v_cmp_le_u32_e64 s[20:21], v72, v15
	v_mov_b32_e32 v55, v3
	v_lshl_or_b32 v68, v72, 4, v9
	v_lshl_add_u64 v[98:99], v[86:87], 0, s[90:91]
	v_lshl_add_u64 v[100:101], v[96:97], 0, s[92:93]
	v_mov_b32_e32 v104, v3
	v_mov_b32_e32 v105, v3
	;; [unrolled: 1-line block ×5, first 2 shown]
	v_and_b32_e32 v8, 1, v8
	v_cmp_eq_u32_e64 s[22:23], 1, v8
	s_xor_b64 s[36:37], s[22:23], -1
	s_cmp_ge_i32 s24, s64
	s_cselect_b32 s25, s64, 0
	s_sub_i32 s85, s24, s25
	s_add_i32 s84, s64, -2
	s_ashr_i32 s86, s85, 31
	v_mov_b32_e32 v78, 0x88
	v_mov_b64_e32 v[102:103], v[2:3]
	s_trap 2
	s_branch .LBB8_47
.LBB8_45:                               ;   in Loop: Header=BB8_47 Depth=1
	s_or_b64 exec, exec, s[24:25]
.LBB8_46:                               ;   in Loop: Header=BB8_47 Depth=1
	s_or_b64 exec, exec, s[26:27]
	v_lshl_add_u64 v[64:65], v[64:65], 0, v[66:67]
	v_cmp_ge_i64_e32 vcc, v[64:65], v[4:5]
	s_or_b64 s[88:89], vcc, s[88:89]
	s_andn2_b64 exec, exec, s[88:89]
	s_cbranch_execz .LBB8_1649
.LBB8_47:                               ; =>This Loop Header: Depth=1
                                        ;     Child Loop BB8_62 Depth 2
                                        ;     Child Loop BB8_86 Depth 2
	;; [unrolled: 1-line block ×13, first 2 shown]
                                        ;       Child Loop BB8_274 Depth 3
                                        ;       Child Loop BB8_302 Depth 3
	;; [unrolled: 1-line block ×12, first 2 shown]
                                        ;     Child Loop BB8_577 Depth 2
                                        ;     Child Loop BB8_612 Depth 2
	;; [unrolled: 1-line block ×8, first 2 shown]
                                        ;       Child Loop BB8_740 Depth 3
                                        ;     Child Loop BB8_746 Depth 2
                                        ;       Child Loop BB8_779 Depth 3
                                        ;     Child Loop BB8_787 Depth 2
                                        ;     Child Loop BB8_835 Depth 2
                                        ;       Child Loop BB8_840 Depth 3
                                        ;     Child Loop BB8_976 Depth 2
                                        ;     Child Loop BB8_999 Depth 2
	;; [unrolled: 1-line block ×6, first 2 shown]
                                        ;       Child Loop BB8_1030 Depth 3
                                        ;       Child Loop BB8_1065 Depth 3
	;; [unrolled: 1-line block ×8, first 2 shown]
                                        ;         Child Loop BB8_1161 Depth 4
                                        ;       Child Loop BB8_1167 Depth 3
                                        ;         Child Loop BB8_1168 Depth 4
                                        ;       Child Loop BB8_1176 Depth 3
                                        ;       Child Loop BB8_1208 Depth 3
                                        ;         Child Loop BB8_1209 Depth 4
                                        ;       Child Loop BB8_1325 Depth 3
                                        ;       Child Loop BB8_1348 Depth 3
	;; [unrolled: 1-line block ×5, first 2 shown]
                                        ;     Child Loop BB8_1375 Depth 2
                                        ;     Child Loop BB8_1399 Depth 2
	;; [unrolled: 1-line block ×12, first 2 shown]
	v_sub_co_u32_e32 v114, vcc, v4, v64
	s_nop 1
	v_subb_co_u32_e32 v115, vcc, v5, v65, vcc
	v_cmp_lt_i64_e32 vcc, v[114:115], v[66:67]
	s_and_saveexec_b64 s[26:27], vcc
	s_cbranch_execz .LBB8_53
; %bb.48:                               ;   in Loop: Header=BB8_47 Depth=1
	v_lshl_add_u64 v[8:9], s[30:31], 0, v[114:115]
	v_or_b32_e32 v11, s65, v9
	v_mov_b32_e32 v10, v3
	v_cmp_ne_u64_e32 vcc, 0, v[10:11]
                                        ; implicit-def: $vgpr10_vgpr11
	s_and_saveexec_b64 s[24:25], vcc
	s_xor_b64 s[28:29], exec, s[24:25]
	s_cbranch_execz .LBB8_50
; %bb.49:                               ;   in Loop: Header=BB8_47 Depth=1
	s_ashr_i32 s40, s65, 31
	s_add_u32 s24, s64, s40
	s_mov_b32 s41, s40
	s_addc_u32 s25, s65, s40
	s_xor_b64 s[42:43], s[24:25], s[40:41]
	v_cvt_f32_u32_e32 v2, s42
	v_cvt_f32_u32_e32 v10, s43
	s_sub_u32 s41, 0, s42
	s_subb_u32 s44, 0, s43
	v_fmac_f32_e32 v2, 0x4f800000, v10
	v_rcp_f32_e32 v2, v2
	s_nop 0
	v_mul_f32_e32 v2, 0x5f7ffffc, v2
	v_mul_f32_e32 v10, 0x2f800000, v2
	v_trunc_f32_e32 v10, v10
	v_fmac_f32_e32 v2, 0xcf800000, v10
	v_cvt_u32_f32_e32 v10, v10
	v_cvt_u32_f32_e32 v2, v2
	v_readfirstlane_b32 s45, v10
	v_readfirstlane_b32 s24, v2
	s_mul_i32 s25, s41, s45
	s_mul_hi_u32 s47, s41, s24
	s_mul_i32 s46, s44, s24
	s_add_i32 s25, s47, s25
	s_add_i32 s25, s25, s46
	s_mul_i32 s56, s41, s24
	s_mul_i32 s47, s24, s25
	s_mul_hi_u32 s57, s24, s56
	s_mul_hi_u32 s46, s24, s25
	s_add_u32 s47, s57, s47
	s_addc_u32 s46, 0, s46
	s_mul_hi_u32 s58, s45, s56
	s_mul_i32 s56, s45, s56
	s_add_u32 s47, s47, s56
	s_mul_hi_u32 s57, s45, s25
	s_addc_u32 s46, s46, s58
	s_addc_u32 s47, s57, 0
	s_mul_i32 s25, s45, s25
	s_add_u32 s25, s46, s25
	s_addc_u32 s46, 0, s47
	s_add_u32 s47, s24, s25
	s_cselect_b64 s[24:25], -1, 0
	s_cmp_lg_u64 s[24:25], 0
	s_addc_u32 s45, s45, s46
	s_mul_i32 s24, s41, s45
	s_mul_hi_u32 s25, s41, s47
	s_add_i32 s24, s25, s24
	s_mul_i32 s44, s44, s47
	s_add_i32 s24, s24, s44
	s_mul_i32 s41, s41, s47
	s_mul_hi_u32 s44, s45, s41
	s_mul_i32 s46, s45, s41
	s_mul_i32 s57, s47, s24
	s_mul_hi_u32 s41, s47, s41
	s_mul_hi_u32 s56, s47, s24
	s_add_u32 s41, s41, s57
	s_addc_u32 s56, 0, s56
	s_add_u32 s41, s41, s46
	s_mul_hi_u32 s25, s45, s24
	s_addc_u32 s41, s56, s44
	s_addc_u32 s25, s25, 0
	s_mul_i32 s24, s45, s24
	s_add_u32 s24, s41, s24
	s_addc_u32 s41, 0, s25
	s_add_u32 s44, s47, s24
	v_ashrrev_i32_e32 v10, 31, v9
	s_cselect_b64 s[24:25], -1, 0
	v_mov_b32_e32 v11, v10
	s_cmp_lg_u64 s[24:25], 0
	v_lshl_add_u64 v[8:9], v[8:9], 0, v[10:11]
	s_addc_u32 s41, s45, s41
	v_xor_b32_e32 v16, v8, v10
	v_xor_b32_e32 v11, v9, v10
	v_mad_u64_u32 v[8:9], s[24:25], v16, s41, 0
	v_mul_hi_u32 v2, v16, s44
	v_lshl_add_u64 v[8:9], v[2:3], 0, v[8:9]
	v_mad_u64_u32 v[14:15], s[24:25], v11, s44, 0
	v_add_co_u32_e32 v2, vcc, v8, v14
	v_mad_u64_u32 v[12:13], s[24:25], v11, s41, 0
	s_nop 0
	v_addc_co_u32_e32 v2, vcc, v9, v15, vcc
	s_nop 1
	v_addc_co_u32_e32 v13, vcc, 0, v13, vcc
	v_lshl_add_u64 v[8:9], v[2:3], 0, v[12:13]
	v_mul_lo_u32 v2, s43, v8
	v_mul_lo_u32 v14, s42, v9
	v_mad_u64_u32 v[12:13], s[24:25], s42, v8, 0
	v_add3_u32 v2, v13, v14, v2
	v_sub_u32_e32 v13, v11, v2
	v_mov_b32_e32 v14, s43
	v_sub_co_u32_e32 v16, vcc, v16, v12
	s_nop 1
	v_subb_co_u32_e64 v12, s[24:25], v13, v14, vcc
	v_subrev_co_u32_e64 v13, s[24:25], s42, v16
	v_subb_co_u32_e32 v2, vcc, v11, v2, vcc
	s_nop 0
	v_subbrev_co_u32_e64 v12, s[24:25], 0, v12, s[24:25]
	v_cmp_le_u32_e64 s[24:25], s43, v12
	v_cmp_le_u32_e32 vcc, s43, v2
	s_nop 0
	v_cndmask_b32_e64 v14, 0, -1, s[24:25]
	v_cmp_le_u32_e64 s[24:25], s42, v13
	v_cndmask_b32_e64 v11, 0, -1, vcc
	v_cmp_le_u32_e32 vcc, s42, v16
	v_cndmask_b32_e64 v13, 0, -1, s[24:25]
	v_cmp_eq_u32_e64 s[24:25], s43, v12
	s_nop 1
	v_cndmask_b32_e64 v17, v14, v13, s[24:25]
	v_lshl_add_u64 v[12:13], v[8:9], 0, 2
	v_lshl_add_u64 v[14:15], v[8:9], 0, 1
	v_cmp_ne_u32_e64 s[24:25], 0, v17
	s_nop 1
	v_cndmask_b32_e64 v13, v15, v13, s[24:25]
	v_cndmask_b32_e64 v15, 0, -1, vcc
	v_cmp_eq_u32_e32 vcc, s43, v2
	s_nop 1
	v_cndmask_b32_e32 v2, v11, v15, vcc
	v_cmp_ne_u32_e32 vcc, 0, v2
	s_nop 1
	v_cndmask_b32_e32 v2, v9, v13, vcc
	v_cndmask_b32_e64 v9, v14, v12, s[24:25]
	v_cndmask_b32_e32 v8, v8, v9, vcc
	v_xor_b32_e32 v9, s40, v10
	v_xor_b32_e32 v8, v8, v9
	;; [unrolled: 1-line block ×3, first 2 shown]
	v_sub_co_u32_e32 v10, vcc, v8, v9
	s_nop 1
	v_subb_co_u32_e32 v11, vcc, v2, v9, vcc
                                        ; implicit-def: $vgpr8_vgpr9
.LBB8_50:                               ;   in Loop: Header=BB8_47 Depth=1
	s_andn2_saveexec_b64 s[24:25], s[28:29]
	s_cbranch_execz .LBB8_52
; %bb.51:                               ;   in Loop: Header=BB8_47 Depth=1
	v_cvt_f32_u32_e32 v2, s64
	s_sub_i32 s28, 0, s64
	v_rcp_iflag_f32_e32 v2, v2
	s_nop 0
	v_mul_f32_e32 v2, 0x4f7ffffe, v2
	v_cvt_u32_f32_e32 v2, v2
	v_mul_lo_u32 v9, s28, v2
	v_mul_hi_u32 v9, v2, v9
	v_add_u32_e32 v2, v2, v9
	v_mul_hi_u32 v2, v8, v2
	v_mul_lo_u32 v9, v2, s64
	v_sub_u32_e32 v8, v8, v9
	v_add_u32_e32 v10, 1, v2
	v_subrev_u32_e32 v9, s64, v8
	v_cmp_le_u32_e32 vcc, s64, v8
	s_nop 1
	v_cndmask_b32_e32 v8, v8, v9, vcc
	v_cndmask_b32_e32 v2, v2, v10, vcc
	v_add_u32_e32 v9, 1, v2
	v_cmp_le_u32_e32 vcc, s64, v8
	s_nop 1
	v_cndmask_b32_e32 v2, v2, v9, vcc
	v_mov_b64_e32 v[10:11], v[2:3]
.LBB8_52:                               ;   in Loop: Header=BB8_47 Depth=1
	s_or_b64 exec, exec, s[24:25]
	v_lshl_add_u64 v[102:103], v[10:11], 0, 7
	v_and_b32_e32 v102, -8, v102
.LBB8_53:                               ;   in Loop: Header=BB8_47 Depth=1
	s_or_b64 exec, exec, s[26:27]
	v_mul_lo_u32 v2, v103, s81
	v_mul_lo_u32 v8, v102, s82
	v_mad_u64_u32 v[10:11], s[24:25], v102, s81, 0
	v_add3_u32 v11, v11, v8, v2
	v_sub_co_u32_e32 v8, vcc, v114, v10
	v_lshl_add_u64 v[116:117], v[64:65], 0, v[24:25]
	s_nop 0
	v_subb_co_u32_e32 v9, vcc, v115, v11, vcc
	v_cmp_lt_i64_e32 vcc, v[102:103], v[8:9]
	v_mov_b32_e32 v2, 0
	s_nop 0
	v_cndmask_b32_e32 v9, v8, v102, vcc
	v_max_i32_e32 v20, 0, v9
	v_add_u32_e32 v8, 15, v20
	v_ashrrev_i32_e32 v12, 31, v8
	v_lshrrev_b32_e32 v12, 28, v12
	v_add_u32_e32 v8, v8, v12
	v_cmp_gt_i32_e32 vcc, 1, v9
	v_and_b32_e32 v8, -16, v8
	s_or_b64 s[26:27], s[2:3], vcc
	v_max_i32_e32 v8, s83, v8
	s_xor_b64 s[24:25], s[26:27], -1
	s_and_saveexec_b64 s[28:29], s[24:25]
	s_cbranch_execz .LBB8_191
; %bb.54:                               ;   in Loop: Header=BB8_47 Depth=1
	s_and_saveexec_b64 s[24:25], s[0:1]
	s_cbranch_execz .LBB8_56
; %bb.55:                               ;   in Loop: Header=BB8_47 Depth=1
	s_trap 2
	ds_read_b64 v[12:13], v0
	s_waitcnt lgkmcnt(0)
	v_lshl_add_u64 v[12:13], v[116:117], 1, v[12:13]
	v_lshl_add_u64 v[10:11], v[10:11], 1, v[12:13]
	ds_write_b64 v0, v[10:11]
	ds_write_b64 v0, v[104:105]
.LBB8_56:                               ;   in Loop: Header=BB8_47 Depth=1
	s_or_b64 exec, exec, s[24:25]
	v_and_b32_e32 v2, 8, v63
	v_min_i32_e32 v8, v8, v20
	v_cmp_ne_u32_e32 vcc, 0, v2
	s_and_saveexec_b64 s[40:41], vcc
	s_cbranch_execz .LBB8_78
; %bb.57:                               ;   in Loop: Header=BB8_47 Depth=1
	s_waitcnt vmcnt(0) lgkmcnt(0)
	v_lshl_add_u64 v[12:13], v[48:49], 0, 8
	v_lshl_add_u64 v[10:11], v[112:113], 0, 4
	v_cmp_lt_u64_e32 vcc, v[12:13], v[10:11]
	s_and_saveexec_b64 s[42:43], vcc
	s_cbranch_execz .LBB8_69
; %bb.58:                               ;   in Loop: Header=BB8_47 Depth=1
	v_and_b32_e32 v2, 64, v63
	s_mov_b32 s76, 0
	v_cmp_eq_u32_e32 vcc, 0, v2
	s_mov_b64 s[44:45], 0
                                        ; implicit-def: $sgpr46_sgpr47
                                        ; implicit-def: $sgpr56_sgpr57
                                        ; implicit-def: $sgpr58_sgpr59
	s_branch .LBB8_62
.LBB8_59:                               ;   in Loop: Header=BB8_62 Depth=2
	s_waitcnt vmcnt(0) lgkmcnt(0)
	v_lshl_add_u64 v[12:13], v[48:49], 0, 8
	v_cmp_ge_u64_e64 s[24:25], v[12:13], v[10:11]
	s_or_b64 s[38:39], s[38:39], exec
	s_orn2_b64 s[62:63], s[24:25], exec
.LBB8_60:                               ;   in Loop: Header=BB8_62 Depth=2
	s_or_b64 exec, exec, s[50:51]
	s_andn2_b64 s[24:25], s[58:59], exec
	s_and_b64 s[58:59], s[38:39], exec
	s_or_b64 s[58:59], s[24:25], s[58:59]
	s_andn2_b64 s[24:25], s[56:57], exec
	s_and_b64 s[56:57], s[62:63], exec
	s_or_b64 s[56:57], s[24:25], s[56:57]
.LBB8_61:                               ;   in Loop: Header=BB8_62 Depth=2
	s_or_b64 exec, exec, s[60:61]
	s_and_b64 s[24:25], exec, s[56:57]
	s_or_b64 s[44:45], s[24:25], s[44:45]
	s_andn2_b64 s[24:25], s[46:47], exec
	s_and_b64 s[46:47], s[58:59], exec
	s_or_b64 s[46:47], s[24:25], s[46:47]
	s_andn2_b64 exec, exec, s[44:45]
	s_cbranch_execz .LBB8_66
.LBB8_62:                               ;   Parent Loop BB8_47 Depth=1
                                        ; =>  This Inner Loop Header: Depth=2
	s_sleep 1
	s_waitcnt vmcnt(0) lgkmcnt(0)
	flat_load_dwordx2 v[48:49], v[32:33] sc0 sc1
	s_or_b64 s[58:59], s[58:59], exec
	s_or_b64 s[56:57], s[56:57], exec
                                        ; implicit-def: $vgpr2
	s_and_saveexec_b64 s[60:61], vcc
	s_cbranch_execz .LBB8_61
; %bb.63:                               ;   in Loop: Header=BB8_62 Depth=2
	s_cmpk_lt_i32 s76, 0x270f
	s_cselect_b64 s[48:49], -1, 0
	s_cmpk_gt_i32 s76, 0x270e
	s_mov_b64 s[62:63], -1
	s_cbranch_scc0 .LBB8_65
; %bb.64:                               ;   in Loop: Header=BB8_62 Depth=2
	s_trap 2
	ds_read_b64 v[12:13], v0
	s_andn2_b64 s[48:49], s[48:49], exec
	s_mov_b32 s76, 0
	s_mov_b64 s[38:39], 0
	s_waitcnt vmcnt(0) lgkmcnt(0)
	flat_load_dword v2, v[12:13] sc0 sc1
	s_waitcnt vmcnt(0) lgkmcnt(0)
	buffer_inv sc0 sc1
	v_cmp_eq_u32_e64 s[24:25], 0, v2
	s_and_b64 s[24:25], s[24:25], exec
	s_or_b64 s[48:49], s[48:49], s[24:25]
	s_and_saveexec_b64 s[50:51], s[48:49]
	s_cbranch_execz .LBB8_60
	s_branch .LBB8_59
.LBB8_65:                               ;   in Loop: Header=BB8_62 Depth=2
	s_add_i32 s76, s76, 1
	s_mov_b64 s[38:39], -1
                                        ; implicit-def: $vgpr2
	s_and_saveexec_b64 s[50:51], s[48:49]
	s_cbranch_execz .LBB8_60
	s_branch .LBB8_59
.LBB8_66:                               ;   in Loop: Header=BB8_47 Depth=1
	s_or_b64 exec, exec, s[44:45]
	s_xor_b64 s[24:25], s[46:47], -1
	s_and_saveexec_b64 s[44:45], s[24:25]
	s_xor_b64 s[24:25], exec, s[44:45]
	s_cbranch_execz .LBB8_68
; %bb.67:                               ;   in Loop: Header=BB8_47 Depth=1
	v_or_b32_e32 v63, 64, v63
	s_waitcnt lgkmcnt(0)
	ds_write_b32 v0, v2
	s_trap 2
.LBB8_68:                               ;   in Loop: Header=BB8_47 Depth=1
	s_or_b64 exec, exec, s[24:25]
.LBB8_69:                               ;   in Loop: Header=BB8_47 Depth=1
	s_or_b64 exec, exec, s[42:43]
	v_and_b32_e32 v2, 0x100, v63
	v_cmp_ne_u32_e32 vcc, 0, v2
	v_and_b32_e32 v2, 7, v112
	s_mov_b64 s[24:25], -1
	;;#ASMSTART
	s_wakeup
	;;#ASMEND
                                        ; implicit-def: $vgpr12_vgpr13
	s_and_saveexec_b64 s[42:43], vcc
	s_cbranch_execz .LBB8_73
; %bb.70:                               ;   in Loop: Header=BB8_47 Depth=1
	v_mad_u64_u32 v[14:15], s[24:25], v2, 24, v[6:7]
	flat_load_dword v16, v[14:15]
	v_ashrrev_i32_e32 v9, 31, v8
	v_lshlrev_b64 v[12:13], 1, v[8:9]
	flat_store_dwordx2 v[14:15], v[12:13] offset:8
                                        ; implicit-def: $vgpr12_vgpr13
	s_waitcnt vmcnt(0) lgkmcnt(0)
	v_cmp_ne_u32_e32 vcc, 1, v16
	v_cmp_eq_u32_e64 s[24:25], 1, v16
	s_and_saveexec_b64 s[44:45], s[24:25]
	s_cbranch_execz .LBB8_72
; %bb.71:                               ;   in Loop: Header=BB8_47 Depth=1
	flat_load_dword v12, v[14:15] offset:4 sc0 sc1
	s_waitcnt vmcnt(0) lgkmcnt(0)
	v_ashrrev_i32_e32 v13, 31, v12
	v_lshrrev_b64 v[12:13], 1, v[12:13]
.LBB8_72:                               ;   in Loop: Header=BB8_47 Depth=1
	s_or_b64 exec, exec, s[44:45]
	s_orn2_b64 s[24:25], vcc, exec
.LBB8_73:                               ;   in Loop: Header=BB8_47 Depth=1
	s_or_b64 exec, exec, s[42:43]
	s_and_saveexec_b64 s[42:43], s[24:25]
; %bb.74:                               ;   in Loop: Header=BB8_47 Depth=1
	v_mad_i64_i32 v[12:13], s[24:25], v2, v30, 0
; %bb.75:                               ;   in Loop: Header=BB8_47 Depth=1
	s_or_b64 exec, exec, s[42:43]
	v_and_b32_e32 v2, 0x2000, v63
	v_lshl_add_u64 v[12:13], v[12:13], 1, v[34:35]
	v_cmp_ne_u32_e32 vcc, 0, v2
	ds_write_b64 v0, v[12:13] offset:784
	s_and_saveexec_b64 s[24:25], vcc
	s_cbranch_execz .LBB8_77
; %bb.76:                               ;   in Loop: Header=BB8_47 Depth=1
	ds_read_b64 v[12:13], v0 offset:872
	s_waitcnt lgkmcnt(0)
	v_lshl_add_u64 v[12:13], v[12:13], 0, 1
	ds_write_b64 v0, v[12:13] offset:872
.LBB8_77:                               ;   in Loop: Header=BB8_47 Depth=1
	s_or_b64 exec, exec, s[24:25]
	v_mov_b64_e32 v[112:113], v[10:11]
.LBB8_78:                               ;   in Loop: Header=BB8_47 Depth=1
	s_or_b64 exec, exec, s[40:41]
	s_and_saveexec_b64 s[24:25], s[6:7]
	s_cbranch_execz .LBB8_97
; %bb.79:                               ;   in Loop: Header=BB8_47 Depth=1
	s_and_saveexec_b64 s[40:41], s[78:79]
	s_xor_b64 s[40:41], exec, s[40:41]
	s_cbranch_execz .LBB8_94
; %bb.80:                               ;   in Loop: Header=BB8_47 Depth=1
	s_and_saveexec_b64 s[42:43], s[14:15]
	s_cbranch_execz .LBB8_93
; %bb.81:                               ;   in Loop: Header=BB8_47 Depth=1
	s_mov_b64 s[46:47], exec
	v_mbcnt_lo_u32_b32 v2, s46, 0
	v_mbcnt_hi_u32_b32 v2, s47, v2
	v_cmp_eq_u32_e32 vcc, 0, v2
	s_waitcnt lgkmcnt(0)
	s_and_saveexec_b64 s[44:45], vcc
	s_cbranch_execz .LBB8_83
; %bb.82:                               ;   in Loop: Header=BB8_47 Depth=1
	s_bcnt1_i32_b64 s46, s[46:47]
	v_mov_b32_e32 v2, s46
	ds_add_u64 v0, v[2:3]
	s_trap 2
.LBB8_83:                               ;   in Loop: Header=BB8_47 Depth=1
	s_or_b64 exec, exec, s[44:45]
	s_trap 2
	ds_read_b64 v[10:11], v0
	s_waitcnt lgkmcnt(0)
	v_lshl_add_u64 v[38:39], v[38:39], 0, v[52:53]
	v_cmp_lt_u64_e32 vcc, v[10:11], v[38:39]
	s_and_saveexec_b64 s[44:45], vcc
	s_cbranch_execz .LBB8_92
; %bb.84:                               ;   in Loop: Header=BB8_47 Depth=1
	s_mov_b32 s76, 0
	s_mov_b64 s[46:47], 0
                                        ; implicit-def: $sgpr56_sgpr57
                                        ; implicit-def: $sgpr58_sgpr59
	s_branch .LBB8_86
.LBB8_85:                               ;   in Loop: Header=BB8_86 Depth=2
	s_or_b64 exec, exec, s[62:63]
	s_and_b64 s[60:61], exec, vcc
	s_or_b64 s[46:47], s[60:61], s[46:47]
	s_andn2_b64 s[56:57], s[56:57], exec
	s_and_b64 s[60:61], s[58:59], exec
	s_or_b64 s[56:57], s[56:57], s[60:61]
	s_andn2_b64 exec, exec, s[46:47]
	s_cbranch_execz .LBB8_90
.LBB8_86:                               ;   Parent Loop BB8_47 Depth=1
                                        ; =>  This Inner Loop Header: Depth=2
	s_add_i32 s76, s76, 1
	s_cmpk_lg_i32 s76, 0x2710
	s_cselect_b64 s[60:61], -1, 0
	s_and_b64 vcc, exec, s[60:61]
	s_cbranch_vccz .LBB8_88
; %bb.87:                               ;   in Loop: Header=BB8_86 Depth=2
	s_mov_b64 vcc, -1
	s_or_b64 s[58:59], s[58:59], exec
	s_and_saveexec_b64 s[62:63], s[60:61]
	s_cbranch_execz .LBB8_85
	s_branch .LBB8_89
.LBB8_88:                               ;   in Loop: Header=BB8_86 Depth=2
	s_trap 2
	ds_read_b64 v[10:11], v0
	s_andn2_b64 s[60:61], s[60:61], exec
	s_mov_b32 s76, 0
	s_waitcnt vmcnt(0) lgkmcnt(0)
	flat_load_dword v2, v[10:11] sc0 sc1
	s_waitcnt vmcnt(0) lgkmcnt(0)
	buffer_inv sc0 sc1
	v_cmp_eq_u32_e32 vcc, 0, v2
	s_and_b64 s[62:63], vcc, exec
	s_or_b64 s[60:61], s[60:61], s[62:63]
	s_mov_b64 vcc, -1
	s_or_b64 s[58:59], s[58:59], exec
	s_and_saveexec_b64 s[62:63], s[60:61]
	s_cbranch_execz .LBB8_85
.LBB8_89:                               ;   in Loop: Header=BB8_86 Depth=2
	s_sleep 1
	s_trap 2
	ds_read_b64 v[10:11], v0
	s_waitcnt lgkmcnt(0)
	s_andn2_b64 s[58:59], s[58:59], exec
	v_cmp_ge_u64_e32 vcc, v[10:11], v[38:39]
	s_orn2_b64 vcc, vcc, exec
	s_branch .LBB8_85
.LBB8_90:                               ;   in Loop: Header=BB8_47 Depth=1
	s_or_b64 exec, exec, s[46:47]
	s_and_saveexec_b64 s[46:47], s[56:57]
	s_xor_b64 s[46:47], exec, s[46:47]
	s_cbranch_execz .LBB8_92
; %bb.91:                               ;   in Loop: Header=BB8_47 Depth=1
	ds_write_b32 v0, v74
	s_trap 2
.LBB8_92:                               ;   in Loop: Header=BB8_47 Depth=1
	s_or_b64 exec, exec, s[44:45]
	;;#ASMSTART
	s_wakeup
	;;#ASMEND
.LBB8_93:                               ;   in Loop: Header=BB8_47 Depth=1
	s_or_b64 exec, exec, s[42:43]
.LBB8_94:                               ;   in Loop: Header=BB8_47 Depth=1
	s_andn2_saveexec_b64 s[40:41], s[40:41]
	s_cbranch_execz .LBB8_96
; %bb.95:                               ;   in Loop: Header=BB8_47 Depth=1
	s_waitcnt lgkmcnt(0)
	s_barrier
.LBB8_96:                               ;   in Loop: Header=BB8_47 Depth=1
	s_or_b64 exec, exec, s[40:41]
.LBB8_97:                               ;   in Loop: Header=BB8_47 Depth=1
	s_or_b64 exec, exec, s[24:25]
	s_trap 2
	ds_read_b32 v9, v0
	v_and_b32_e32 v2, 0x4000, v63
	v_cmp_ne_u32_e32 vcc, 0, v2
	s_xor_b64 s[24:25], s[4:5], -1
	s_and_b64 s[40:41], s[24:25], vcc
	s_and_saveexec_b64 s[24:25], s[40:41]
	s_cbranch_execz .LBB8_116
; %bb.98:                               ;   in Loop: Header=BB8_47 Depth=1
	s_and_saveexec_b64 s[40:41], s[78:79]
	s_xor_b64 s[40:41], exec, s[40:41]
	s_cbranch_execz .LBB8_113
; %bb.99:                               ;   in Loop: Header=BB8_47 Depth=1
	s_and_saveexec_b64 s[42:43], s[14:15]
	s_cbranch_execz .LBB8_112
; %bb.100:                              ;   in Loop: Header=BB8_47 Depth=1
	s_mov_b64 s[46:47], exec
	v_mbcnt_lo_u32_b32 v2, s46, 0
	v_mbcnt_hi_u32_b32 v2, s47, v2
	v_cmp_eq_u32_e32 vcc, 0, v2
	s_waitcnt lgkmcnt(0)
	s_and_saveexec_b64 s[44:45], vcc
	s_cbranch_execz .LBB8_102
; %bb.101:                              ;   in Loop: Header=BB8_47 Depth=1
	s_bcnt1_i32_b64 s46, s[46:47]
	v_mov_b32_e32 v2, s46
	ds_add_u64 v0, v[2:3]
	s_trap 2
.LBB8_102:                              ;   in Loop: Header=BB8_47 Depth=1
	s_or_b64 exec, exec, s[44:45]
	s_trap 2
	ds_read_b64 v[10:11], v0
	s_waitcnt lgkmcnt(0)
	v_lshl_add_u64 v[38:39], v[38:39], 0, v[52:53]
	v_cmp_lt_u64_e32 vcc, v[10:11], v[38:39]
	s_and_saveexec_b64 s[44:45], vcc
	s_cbranch_execz .LBB8_111
; %bb.103:                              ;   in Loop: Header=BB8_47 Depth=1
	s_mov_b32 s76, 0
	s_mov_b64 s[46:47], 0
                                        ; implicit-def: $sgpr56_sgpr57
                                        ; implicit-def: $sgpr58_sgpr59
	s_branch .LBB8_105
.LBB8_104:                              ;   in Loop: Header=BB8_105 Depth=2
	s_or_b64 exec, exec, s[62:63]
	s_and_b64 s[60:61], exec, vcc
	s_or_b64 s[46:47], s[60:61], s[46:47]
	s_andn2_b64 s[56:57], s[56:57], exec
	s_and_b64 s[60:61], s[58:59], exec
	s_or_b64 s[56:57], s[56:57], s[60:61]
	s_andn2_b64 exec, exec, s[46:47]
	s_cbranch_execz .LBB8_109
.LBB8_105:                              ;   Parent Loop BB8_47 Depth=1
                                        ; =>  This Inner Loop Header: Depth=2
	s_add_i32 s76, s76, 1
	s_cmpk_lg_i32 s76, 0x2710
	s_cselect_b64 s[60:61], -1, 0
	s_and_b64 vcc, exec, s[60:61]
	s_cbranch_vccz .LBB8_107
; %bb.106:                              ;   in Loop: Header=BB8_105 Depth=2
	s_mov_b64 vcc, -1
	s_or_b64 s[58:59], s[58:59], exec
	s_and_saveexec_b64 s[62:63], s[60:61]
	s_cbranch_execz .LBB8_104
	s_branch .LBB8_108
.LBB8_107:                              ;   in Loop: Header=BB8_105 Depth=2
	s_trap 2
	ds_read_b64 v[10:11], v0
	s_andn2_b64 s[60:61], s[60:61], exec
	s_mov_b32 s76, 0
	s_waitcnt vmcnt(0) lgkmcnt(0)
	flat_load_dword v2, v[10:11] sc0 sc1
	s_waitcnt vmcnt(0) lgkmcnt(0)
	buffer_inv sc0 sc1
	v_cmp_eq_u32_e32 vcc, 0, v2
	s_and_b64 s[62:63], vcc, exec
	s_or_b64 s[60:61], s[60:61], s[62:63]
	s_mov_b64 vcc, -1
	s_or_b64 s[58:59], s[58:59], exec
	s_and_saveexec_b64 s[62:63], s[60:61]
	s_cbranch_execz .LBB8_104
.LBB8_108:                              ;   in Loop: Header=BB8_105 Depth=2
	s_sleep 1
	s_trap 2
	ds_read_b64 v[10:11], v0
	s_waitcnt lgkmcnt(0)
	s_andn2_b64 s[58:59], s[58:59], exec
	v_cmp_ge_u64_e32 vcc, v[10:11], v[38:39]
	s_orn2_b64 vcc, vcc, exec
	s_branch .LBB8_104
.LBB8_109:                              ;   in Loop: Header=BB8_47 Depth=1
	s_or_b64 exec, exec, s[46:47]
	s_and_saveexec_b64 s[46:47], s[56:57]
	s_xor_b64 s[46:47], exec, s[46:47]
	s_cbranch_execz .LBB8_111
; %bb.110:                              ;   in Loop: Header=BB8_47 Depth=1
	ds_write_b32 v0, v74
	s_trap 2
.LBB8_111:                              ;   in Loop: Header=BB8_47 Depth=1
	s_or_b64 exec, exec, s[44:45]
	;;#ASMSTART
	s_wakeup
	;;#ASMEND
.LBB8_112:                              ;   in Loop: Header=BB8_47 Depth=1
	s_or_b64 exec, exec, s[42:43]
.LBB8_113:                              ;   in Loop: Header=BB8_47 Depth=1
	s_andn2_saveexec_b64 s[40:41], s[40:41]
	s_cbranch_execz .LBB8_115
; %bb.114:                              ;   in Loop: Header=BB8_47 Depth=1
	s_waitcnt lgkmcnt(0)
	s_barrier
.LBB8_115:                              ;   in Loop: Header=BB8_47 Depth=1
	s_or_b64 exec, exec, s[40:41]
.LBB8_116:                              ;   in Loop: Header=BB8_47 Depth=1
	s_or_b64 exec, exec, s[24:25]
	s_trap 2
	ds_read_b64 v[10:11], v0
	s_waitcnt lgkmcnt(0)
	v_cmp_eq_u64_e32 vcc, 0, v[10:11]
	s_cbranch_vccnz .LBB8_124
; %bb.117:                              ;   in Loop: Header=BB8_47 Depth=1
	s_trap 2
	ds_read_b64 v[12:13], v0
	s_waitcnt lgkmcnt(0)
	v_cmp_eq_u64_e32 vcc, 0, v[12:13]
	s_cbranch_vccnz .LBB8_124
; %bb.118:                              ;   in Loop: Header=BB8_47 Depth=1
	s_mov_b64 s[24:25], -1
	s_and_saveexec_b64 s[40:41], s[16:17]
	s_cbranch_execz .LBB8_120
; %bb.119:                              ;   in Loop: Header=BB8_47 Depth=1
	ds_read_b32 v2, v0 offset:720
	s_waitcnt lgkmcnt(0)
	v_and_b32_e32 v2, 15, v2
	v_cmp_eq_u32_e32 vcc, 0, v2
	s_orn2_b64 s[24:25], vcc, exec
.LBB8_120:                              ;   in Loop: Header=BB8_47 Depth=1
	s_or_b64 exec, exec, s[40:41]
	s_and_saveexec_b64 s[40:41], s[18:19]
	s_cbranch_execz .LBB8_122
; %bb.121:                              ;   in Loop: Header=BB8_47 Depth=1
	ds_read_b32 v2, v0 offset:784
	s_waitcnt lgkmcnt(0)
	v_and_b32_e32 v2, 15, v2
	v_cmp_eq_u32_e32 vcc, 0, v2
	s_and_b64 s[42:43], s[24:25], vcc
	s_andn2_b64 s[24:25], s[24:25], exec
	s_and_b64 s[42:43], s[42:43], exec
	s_or_b64 s[24:25], s[24:25], s[42:43]
.LBB8_122:                              ;   in Loop: Header=BB8_47 Depth=1
	s_or_b64 exec, exec, s[40:41]
	v_cmp_eq_u32_e32 vcc, 0, v9
	s_xor_b64 s[24:25], s[24:25], -1
	v_cndmask_b32_e64 v14, 0, 1, s[24:25]
	v_cndmask_b32_e32 v2, 0, v8, vcc
	v_lshlrev_b32_e32 v9, 1, v2
	s_mov_b64 s[42:43], -1
	v_cmp_ne_u32_e32 vcc, 0, v14
	v_mov_b32_e32 v21, 0
	s_cbranch_vccz .LBB8_125
; %bb.123:                              ;   in Loop: Header=BB8_47 Depth=1
	v_mov_b32_e32 v22, v0
	s_and_saveexec_b64 s[24:25], s[42:43]
	s_cbranch_execnz .LBB8_136
	s_branch .LBB8_144
.LBB8_124:                              ;   in Loop: Header=BB8_47 Depth=1
	s_mov_b64 s[24:25], 0
	s_and_saveexec_b64 s[40:41], s[6:7]
	s_cbranch_execnz .LBB8_145
	s_branch .LBB8_163
.LBB8_125:                              ;   in Loop: Header=BB8_47 Depth=1
	v_ashrrev_i32_e32 v14, 31, v9
	v_lshrrev_b32_e32 v14, 21, v14
	v_add_u32_e32 v14, v9, v14
	v_ashrrev_i32_e32 v16, 11, v14
	v_sub_u32_e32 v17, v16, v73
	v_cmp_lt_i32_e32 vcc, 0, v17
	s_and_saveexec_b64 s[24:25], vcc
	s_cbranch_execz .LBB8_129
; %bb.126:                              ;   in Loop: Header=BB8_47 Depth=1
	s_mov_b64 s[40:41], 0
	v_mov_b64_e32 v[14:15], v[68:69]
.LBB8_127:                              ;   Parent Loop BB8_47 Depth=1
                                        ; =>  This Inner Loop Header: Depth=2
	v_lshl_add_u64 v[18:19], v[10:11], 0, v[14:15]
	global_load_dwordx4 v[40:43], v[18:19], off nt
	global_load_dwordx4 v[44:47], v[18:19], off offset:1024 nt
	v_sub_u32_e32 v17, v17, v52
	v_cmp_gt_i32_e32 vcc, 1, v17
	v_lshl_add_u64 v[18:19], v[12:13], 0, v[14:15]
	v_lshl_add_u64 v[14:15], v[14:15], 0, v[70:71]
	s_or_b64 s[40:41], vcc, s[40:41]
	s_waitcnt vmcnt(0)
	global_store_dwordx4 v[18:19], v[40:43], off
	global_store_dwordx4 v[18:19], v[44:47], off offset:1024
	s_andn2_b64 exec, exec, s[40:41]
	s_cbranch_execnz .LBB8_127
; %bb.128:                              ;   in Loop: Header=BB8_47 Depth=1
	s_or_b64 exec, exec, s[40:41]
.LBB8_129:                              ;   in Loop: Header=BB8_47 Depth=1
	s_or_b64 exec, exec, s[24:25]
	v_lshlrev_b32_e32 v16, 11, v16
	v_cmp_ne_u32_e32 vcc, v9, v16
	s_mov_b64 s[42:43], 0
	v_mov_b32_e32 v21, 0
                                        ; implicit-def: $vgpr22
	s_and_saveexec_b64 s[40:41], vcc
	s_cbranch_execz .LBB8_135
; %bb.130:                              ;   in Loop: Header=BB8_47 Depth=1
	v_lshlrev_b32_e32 v14, 6, v17
	v_sub_u32_e32 v14, v72, v14
	v_sub_u32_e32 v15, v9, v16
	v_ashrrev_i32_e32 v17, 31, v14
	v_lshrrev_b32_e32 v17, 26, v17
	v_ashrrev_i32_e32 v18, 31, v15
	v_add_u32_e32 v17, v14, v17
	v_lshrrev_b32_e32 v18, 22, v18
	v_ashrrev_i32_e32 v22, 6, v17
	v_and_b32_e32 v17, 0xffffffc0, v17
	v_add_u32_e32 v18, v15, v18
	v_sub_u32_e32 v17, v14, v17
	v_ashrrev_i32_e32 v23, 10, v18
	v_and_b32_e32 v18, 0xfffffc00, v18
	v_lshlrev_b32_e32 v14, 4, v17
	v_sub_u32_e32 v19, v15, v18
	v_lshl_add_u32 v14, v22, 10, v14
	v_cmp_lt_i32_e32 vcc, 15, v19
	v_sub_u32_e32 v21, v15, v14
	s_nop 0
	v_addc_co_u32_e64 v15, s[24:25], 0, v23, vcc
	v_sub_u32_e32 v22, v15, v22
	v_cmp_lt_i32_e64 s[24:25], 15, v21
	s_and_saveexec_b64 s[42:43], s[24:25]
	s_cbranch_execz .LBB8_134
; %bb.131:                              ;   in Loop: Header=BB8_47 Depth=1
	v_add_u32_e32 v14, v14, v16
	v_ashrrev_i32_e32 v15, 31, v14
	s_mov_b64 s[44:45], 0
.LBB8_132:                              ;   Parent Loop BB8_47 Depth=1
                                        ; =>  This Inner Loop Header: Depth=2
	v_lshl_add_u64 v[118:119], v[10:11], 0, v[14:15]
	global_load_dwordx4 v[40:43], v[118:119], off nt
	v_sub_u32_e32 v21, v21, v80
	v_cmp_gt_i32_e64 s[24:25], 16, v21
	v_lshl_add_u64 v[118:119], v[12:13], 0, v[14:15]
	v_sub_u32_e32 v22, v22, v52
	v_lshl_add_u64 v[14:15], v[14:15], 0, v[80:81]
	s_or_b64 s[44:45], s[24:25], s[44:45]
	s_waitcnt vmcnt(0)
	global_store_dwordx4 v[118:119], v[40:43], off
	s_andn2_b64 exec, exec, s[44:45]
	s_cbranch_execnz .LBB8_132
; %bb.133:                              ;   in Loop: Header=BB8_47 Depth=1
	s_or_b64 exec, exec, s[44:45]
.LBB8_134:                              ;   in Loop: Header=BB8_47 Depth=1
	s_or_b64 exec, exec, s[42:43]
	v_and_b32_e32 v9, 14, v9
	v_sub_u32_e32 v14, v19, v9
	v_cndmask_b32_e32 v14, 0, v14, vcc
	v_cndmask_b32_e32 v9, v19, v9, vcc
	v_cmp_lt_i32_e32 vcc, 0, v22
	v_add3_u32 v21, v18, v16, v14
	s_nop 0
	v_cndmask_b32_e32 v14, 0, v52, vcc
	v_sub_u32_e32 v14, v14, v22
	v_cmp_ne_u32_e32 vcc, 0, v9
	v_lshl_add_u32 v22, v14, 6, v17
	s_and_b64 s[42:43], vcc, exec
.LBB8_135:                              ;   in Loop: Header=BB8_47 Depth=1
	s_or_b64 exec, exec, s[40:41]
	s_and_saveexec_b64 s[24:25], s[42:43]
	s_cbranch_execz .LBB8_144
.LBB8_136:                              ;   in Loop: Header=BB8_47 Depth=1
	v_ashrrev_i32_e32 v14, 31, v22
	v_ashrrev_i32_e32 v15, 31, v9
	v_lshrrev_b32_e32 v14, 26, v14
	v_lshrrev_b32_e32 v15, 23, v15
	v_add_u32_e32 v14, v22, v14
	v_add_u32_e32 v15, v9, v15
	v_ashrrev_i32_e32 v23, 6, v14
	v_ashrrev_i32_e32 v118, 9, v15
	v_sub_u32_e32 v50, v118, v23
	v_cmp_lt_i32_e32 vcc, 0, v50
	s_and_saveexec_b64 s[40:41], vcc
	s_cbranch_execz .LBB8_140
; %bb.137:                              ;   in Loop: Header=BB8_47 Depth=1
	v_and_b32_e32 v14, 0x7fffffc0, v14
	v_sub_u32_e32 v14, v22, v14
	v_lshlrev_b32_e32 v14, 1, v14
	v_lshlrev_b32_e32 v15, 9, v23
	v_add3_u32 v14, v14, v21, v15
	v_ashrrev_i32_e32 v15, 31, v14
	s_mov_b64 s[42:43], 0
	v_mov_b64_e32 v[16:17], v[12:13]
	v_mov_b64_e32 v[18:19], v[10:11]
.LBB8_138:                              ;   Parent Loop BB8_47 Depth=1
                                        ; =>  This Inner Loop Header: Depth=2
	v_lshl_add_u64 v[40:41], v[14:15], 0, v[18:19]
	flat_load_ushort v119, v[40:41] nt
	flat_load_ushort v42, v[40:41] offset:128 nt
	flat_load_ushort v43, v[40:41] offset:256 nt
	flat_load_ushort v44, v[40:41] offset:384 nt
	v_sub_u32_e32 v50, v50, v52
	v_cmp_gt_i32_e32 vcc, 1, v50
	v_lshl_add_u64 v[40:41], v[14:15], 0, v[16:17]
	v_lshl_add_u64 v[18:19], v[18:19], 0, v[82:83]
	;; [unrolled: 1-line block ×3, first 2 shown]
	s_or_b64 s[42:43], vcc, s[42:43]
	s_waitcnt vmcnt(0) lgkmcnt(0)
	flat_store_short v[40:41], v119 nt
	flat_store_short v[40:41], v42 offset:128 nt
	flat_store_short v[40:41], v43 offset:256 nt
	;; [unrolled: 1-line block ×3, first 2 shown]
	s_andn2_b64 exec, exec, s[42:43]
	s_cbranch_execnz .LBB8_138
; %bb.139:                              ;   in Loop: Header=BB8_47 Depth=1
	s_or_b64 exec, exec, s[42:43]
.LBB8_140:                              ;   in Loop: Header=BB8_47 Depth=1
	s_or_b64 exec, exec, s[40:41]
	v_lshlrev_b32_e32 v14, 9, v118
	v_cmp_ne_u32_e32 vcc, v9, v14
	s_and_b64 exec, exec, vcc
	s_cbranch_execz .LBB8_144
; %bb.141:                              ;   in Loop: Header=BB8_47 Depth=1
	v_lshlrev_b32_e32 v15, 6, v23
	v_sub_u32_e32 v15, v22, v15
	v_lshlrev_b32_e32 v16, 6, v50
	v_sub_u32_e32 v15, v15, v16
	v_ashrrev_i32_e32 v16, 31, v15
	v_lshrrev_b32_e32 v16, 26, v16
	v_add_u32_e32 v16, v15, v16
	v_and_b32_e32 v17, 0x7fffffc0, v16
	v_sub_u32_e32 v15, v15, v17
	v_lshlrev_b32_e32 v16, 1, v16
	v_and_b32_e32 v16, 0xffffff80, v16
	v_lshlrev_b32_e32 v15, 1, v15
	v_add3_u32 v14, v16, v15, v14
	v_sub_u32_e32 v9, v9, v14
	v_cmp_lt_i32_e32 vcc, 1, v9
	s_and_b64 exec, exec, vcc
	s_cbranch_execz .LBB8_144
; %bb.142:                              ;   in Loop: Header=BB8_47 Depth=1
	v_add_u32_e32 v14, v14, v21
	v_ashrrev_i32_e32 v15, 31, v14
	s_mov_b64 s[40:41], 0
.LBB8_143:                              ;   Parent Loop BB8_47 Depth=1
                                        ; =>  This Inner Loop Header: Depth=2
	v_lshl_add_u64 v[16:17], v[10:11], 0, v[14:15]
	flat_load_ushort v18, v[16:17] nt
	v_sub_u32_e32 v9, v9, v84
	v_cmp_gt_i32_e32 vcc, 2, v9
	v_lshl_add_u64 v[16:17], v[12:13], 0, v[14:15]
	v_lshl_add_u64 v[14:15], v[14:15], 0, v[84:85]
	s_or_b64 s[40:41], vcc, s[40:41]
	s_waitcnt vmcnt(0) lgkmcnt(0)
	flat_store_short v[16:17], v18 nt
	s_andn2_b64 exec, exec, s[40:41]
	s_cbranch_execnz .LBB8_143
.LBB8_144:                              ;   in Loop: Header=BB8_47 Depth=1
	s_or_b64 exec, exec, s[24:25]
	v_cmp_lt_i32_e64 s[24:25], 0, v2
	s_and_saveexec_b64 s[40:41], s[6:7]
	s_cbranch_execz .LBB8_163
.LBB8_145:                              ;   in Loop: Header=BB8_47 Depth=1
	s_and_saveexec_b64 s[42:43], s[78:79]
	s_xor_b64 s[42:43], exec, s[42:43]
	s_cbranch_execz .LBB8_160
; %bb.146:                              ;   in Loop: Header=BB8_47 Depth=1
	s_and_saveexec_b64 s[44:45], s[14:15]
	s_cbranch_execz .LBB8_159
; %bb.147:                              ;   in Loop: Header=BB8_47 Depth=1
	s_mov_b64 s[56:57], exec
	v_mbcnt_lo_u32_b32 v2, s56, 0
	v_mbcnt_hi_u32_b32 v2, s57, v2
	v_cmp_eq_u32_e32 vcc, 0, v2
	s_waitcnt lgkmcnt(0)
	s_and_saveexec_b64 s[46:47], vcc
	s_cbranch_execz .LBB8_149
; %bb.148:                              ;   in Loop: Header=BB8_47 Depth=1
	s_bcnt1_i32_b64 s56, s[56:57]
	v_mov_b32_e32 v2, s56
	ds_add_u64 v0, v[2:3]
	s_trap 2
.LBB8_149:                              ;   in Loop: Header=BB8_47 Depth=1
	s_or_b64 exec, exec, s[46:47]
	s_trap 2
	ds_read_b64 v[10:11], v0
	s_waitcnt lgkmcnt(0)
	v_lshl_add_u64 v[38:39], v[38:39], 0, v[52:53]
	v_cmp_lt_u64_e32 vcc, v[10:11], v[38:39]
	s_and_saveexec_b64 s[46:47], vcc
	s_cbranch_execz .LBB8_158
; %bb.150:                              ;   in Loop: Header=BB8_47 Depth=1
	s_mov_b32 s76, 0
	s_mov_b64 s[56:57], 0
                                        ; implicit-def: $sgpr58_sgpr59
                                        ; implicit-def: $sgpr60_sgpr61
	s_branch .LBB8_152
.LBB8_151:                              ;   in Loop: Header=BB8_152 Depth=2
	s_or_b64 exec, exec, s[38:39]
	s_and_b64 s[62:63], exec, vcc
	s_or_b64 s[56:57], s[62:63], s[56:57]
	s_andn2_b64 s[58:59], s[58:59], exec
	s_and_b64 s[62:63], s[60:61], exec
	s_or_b64 s[58:59], s[58:59], s[62:63]
	s_andn2_b64 exec, exec, s[56:57]
	s_cbranch_execz .LBB8_156
.LBB8_152:                              ;   Parent Loop BB8_47 Depth=1
                                        ; =>  This Inner Loop Header: Depth=2
	s_add_i32 s76, s76, 1
	s_cmpk_lg_i32 s76, 0x2710
	s_cselect_b64 s[62:63], -1, 0
	s_and_b64 vcc, exec, s[62:63]
	s_cbranch_vccz .LBB8_154
; %bb.153:                              ;   in Loop: Header=BB8_152 Depth=2
	s_mov_b64 vcc, -1
	s_or_b64 s[60:61], s[60:61], exec
	s_and_saveexec_b64 s[38:39], s[62:63]
	s_cbranch_execz .LBB8_151
	s_branch .LBB8_155
.LBB8_154:                              ;   in Loop: Header=BB8_152 Depth=2
	s_trap 2
	ds_read_b64 v[10:11], v0
	s_andn2_b64 s[62:63], s[62:63], exec
	s_mov_b32 s76, 0
	s_waitcnt vmcnt(0) lgkmcnt(0)
	flat_load_dword v2, v[10:11] sc0 sc1
	s_waitcnt vmcnt(0) lgkmcnt(0)
	buffer_inv sc0 sc1
	v_cmp_eq_u32_e32 vcc, 0, v2
	s_and_b64 vcc, vcc, exec
	s_or_b64 s[62:63], s[62:63], vcc
	s_mov_b64 vcc, -1
	s_or_b64 s[60:61], s[60:61], exec
	s_and_saveexec_b64 s[38:39], s[62:63]
	s_cbranch_execz .LBB8_151
.LBB8_155:                              ;   in Loop: Header=BB8_152 Depth=2
	s_sleep 1
	s_trap 2
	ds_read_b64 v[10:11], v0
	s_waitcnt lgkmcnt(0)
	s_andn2_b64 s[60:61], s[60:61], exec
	v_cmp_ge_u64_e32 vcc, v[10:11], v[38:39]
	s_orn2_b64 vcc, vcc, exec
	s_branch .LBB8_151
.LBB8_156:                              ;   in Loop: Header=BB8_47 Depth=1
	s_or_b64 exec, exec, s[56:57]
	s_and_saveexec_b64 s[56:57], s[58:59]
	s_xor_b64 s[56:57], exec, s[56:57]
	s_cbranch_execz .LBB8_158
; %bb.157:                              ;   in Loop: Header=BB8_47 Depth=1
	ds_write_b32 v0, v74
	s_trap 2
.LBB8_158:                              ;   in Loop: Header=BB8_47 Depth=1
	s_or_b64 exec, exec, s[46:47]
	;;#ASMSTART
	s_wakeup
	;;#ASMEND
.LBB8_159:                              ;   in Loop: Header=BB8_47 Depth=1
	s_or_b64 exec, exec, s[44:45]
.LBB8_160:                              ;   in Loop: Header=BB8_47 Depth=1
	s_andn2_saveexec_b64 s[42:43], s[42:43]
	s_cbranch_execz .LBB8_162
; %bb.161:                              ;   in Loop: Header=BB8_47 Depth=1
	s_waitcnt lgkmcnt(0)
	s_barrier
.LBB8_162:                              ;   in Loop: Header=BB8_47 Depth=1
	s_or_b64 exec, exec, s[42:43]
.LBB8_163:                              ;   in Loop: Header=BB8_47 Depth=1
	s_or_b64 exec, exec, s[40:41]
	v_and_b32_e32 v9, 16, v63
	s_and_saveexec_b64 s[40:41], s[22:23]
	s_xor_b64 s[40:41], exec, s[40:41]
	s_cbranch_execz .LBB8_168
; %bb.164:                              ;   in Loop: Header=BB8_47 Depth=1
	v_and_b32_e32 v2, 16, v63
	v_cmp_ne_u32_e32 vcc, 0, v2
	v_and_b32_e32 v9, 16, v63
	s_and_b64 s[42:43], vcc, s[24:25]
	s_and_saveexec_b64 s[24:25], s[42:43]
	s_cbranch_execz .LBB8_166
; %bb.165:                              ;   in Loop: Header=BB8_47 Depth=1
	v_mov_b32_e32 v9, 1
	buffer_wbl2 sc1
	s_waitcnt vmcnt(0) lgkmcnt(0)
	buffer_inv sc1
.LBB8_166:                              ;   in Loop: Header=BB8_47 Depth=1
	s_or_b64 exec, exec, s[24:25]
	s_andn2_saveexec_b64 s[24:25], s[40:41]
	s_cbranch_execnz .LBB8_169
.LBB8_167:                              ;   in Loop: Header=BB8_47 Depth=1
	s_or_b64 exec, exec, s[24:25]
	v_cmp_ne_u32_e32 vcc, 0, v9
	s_and_saveexec_b64 s[24:25], vcc
	s_cbranch_execnz .LBB8_187
	s_branch .LBB8_190
.LBB8_168:                              ;   in Loop: Header=BB8_47 Depth=1
	s_andn2_saveexec_b64 s[24:25], s[40:41]
	s_cbranch_execz .LBB8_167
.LBB8_169:                              ;   in Loop: Header=BB8_47 Depth=1
	s_and_saveexec_b64 s[40:41], s[78:79]
	s_xor_b64 s[40:41], exec, s[40:41]
	s_cbranch_execz .LBB8_184
; %bb.170:                              ;   in Loop: Header=BB8_47 Depth=1
	s_and_saveexec_b64 s[42:43], s[14:15]
	s_cbranch_execz .LBB8_183
; %bb.171:                              ;   in Loop: Header=BB8_47 Depth=1
	s_mov_b64 s[46:47], exec
	v_mbcnt_lo_u32_b32 v2, s46, 0
	v_mbcnt_hi_u32_b32 v2, s47, v2
	v_cmp_eq_u32_e32 vcc, 0, v2
	;;#ASMSTART
	s_waitcnt lgkmcnt(0) vmcnt(0)
	;;#ASMEND
	s_and_saveexec_b64 s[44:45], vcc
	s_cbranch_execz .LBB8_173
; %bb.172:                              ;   in Loop: Header=BB8_47 Depth=1
	s_bcnt1_i32_b64 s46, s[46:47]
	v_mov_b32_e32 v2, s46
	s_waitcnt lgkmcnt(0)
	ds_add_u64 v0, v[2:3]
	s_trap 2
.LBB8_173:                              ;   in Loop: Header=BB8_47 Depth=1
	s_or_b64 exec, exec, s[44:45]
	s_trap 2
	ds_read_b64 v[10:11], v0
	s_waitcnt lgkmcnt(0)
	v_lshl_add_u64 v[38:39], v[38:39], 0, v[52:53]
	v_cmp_lt_u64_e32 vcc, v[10:11], v[38:39]
	s_and_saveexec_b64 s[44:45], vcc
	s_cbranch_execz .LBB8_182
; %bb.174:                              ;   in Loop: Header=BB8_47 Depth=1
	s_mov_b32 s76, 0
	s_mov_b64 s[46:47], 0
                                        ; implicit-def: $sgpr56_sgpr57
                                        ; implicit-def: $sgpr58_sgpr59
	s_branch .LBB8_176
.LBB8_175:                              ;   in Loop: Header=BB8_176 Depth=2
	s_or_b64 exec, exec, s[62:63]
	s_and_b64 s[60:61], exec, vcc
	s_or_b64 s[46:47], s[60:61], s[46:47]
	s_andn2_b64 s[56:57], s[56:57], exec
	s_and_b64 s[60:61], s[58:59], exec
	s_or_b64 s[56:57], s[56:57], s[60:61]
	s_andn2_b64 exec, exec, s[46:47]
	s_cbranch_execz .LBB8_180
.LBB8_176:                              ;   Parent Loop BB8_47 Depth=1
                                        ; =>  This Inner Loop Header: Depth=2
	s_add_i32 s76, s76, 1
	s_cmpk_lg_i32 s76, 0x2710
	s_cselect_b64 s[60:61], -1, 0
	s_and_b64 vcc, exec, s[60:61]
	s_cbranch_vccz .LBB8_178
; %bb.177:                              ;   in Loop: Header=BB8_176 Depth=2
	s_mov_b64 vcc, -1
	s_or_b64 s[58:59], s[58:59], exec
	s_and_saveexec_b64 s[62:63], s[60:61]
	s_cbranch_execz .LBB8_175
	s_branch .LBB8_179
.LBB8_178:                              ;   in Loop: Header=BB8_176 Depth=2
	s_trap 2
	ds_read_b64 v[10:11], v0
	s_andn2_b64 s[60:61], s[60:61], exec
	s_mov_b32 s76, 0
	s_waitcnt vmcnt(0) lgkmcnt(0)
	flat_load_dword v2, v[10:11] sc0 sc1
	s_waitcnt vmcnt(0) lgkmcnt(0)
	buffer_inv sc0 sc1
	v_cmp_eq_u32_e32 vcc, 0, v2
	s_and_b64 s[62:63], vcc, exec
	s_or_b64 s[60:61], s[60:61], s[62:63]
	s_mov_b64 vcc, -1
	s_or_b64 s[58:59], s[58:59], exec
	s_and_saveexec_b64 s[62:63], s[60:61]
	s_cbranch_execz .LBB8_175
.LBB8_179:                              ;   in Loop: Header=BB8_176 Depth=2
	s_sleep 1
	s_trap 2
	ds_read_b64 v[10:11], v0
	s_waitcnt lgkmcnt(0)
	s_andn2_b64 s[58:59], s[58:59], exec
	v_cmp_ge_u64_e32 vcc, v[10:11], v[38:39]
	s_orn2_b64 vcc, vcc, exec
	s_branch .LBB8_175
.LBB8_180:                              ;   in Loop: Header=BB8_47 Depth=1
	s_or_b64 exec, exec, s[46:47]
	s_and_saveexec_b64 s[46:47], s[56:57]
	s_xor_b64 s[46:47], exec, s[46:47]
	s_cbranch_execz .LBB8_182
; %bb.181:                              ;   in Loop: Header=BB8_47 Depth=1
	ds_write_b32 v0, v74
	s_trap 2
.LBB8_182:                              ;   in Loop: Header=BB8_47 Depth=1
	s_or_b64 exec, exec, s[44:45]
	;;#ASMSTART
	s_wakeup
	;;#ASMEND
.LBB8_183:                              ;   in Loop: Header=BB8_47 Depth=1
	s_or_b64 exec, exec, s[42:43]
.LBB8_184:                              ;   in Loop: Header=BB8_47 Depth=1
	s_andn2_saveexec_b64 s[40:41], s[40:41]
	s_cbranch_execz .LBB8_186
; %bb.185:                              ;   in Loop: Header=BB8_47 Depth=1
	;;#ASMSTART
	s_waitcnt lgkmcnt(0) vmcnt(0)
	;;#ASMEND
	s_barrier
.LBB8_186:                              ;   in Loop: Header=BB8_47 Depth=1
	s_or_b64 exec, exec, s[40:41]
	s_or_b64 exec, exec, s[24:25]
	v_cmp_ne_u32_e32 vcc, 0, v9
	s_and_saveexec_b64 s[24:25], vcc
	s_cbranch_execz .LBB8_190
.LBB8_187:                              ;   in Loop: Header=BB8_47 Depth=1
	s_and_saveexec_b64 s[40:41], s[12:13]
	s_cbranch_execz .LBB8_189
; %bb.188:                              ;   in Loop: Header=BB8_47 Depth=1
	flat_store_dword v[36:37], v74 sc0 sc1
.LBB8_189:                              ;   in Loop: Header=BB8_47 Depth=1
	s_or_b64 exec, exec, s[40:41]
	v_lshl_add_u64 v[112:113], v[112:113], 0, 4
	flat_store_dwordx2 v[32:33], v[112:113] sc0 sc1
.LBB8_190:                              ;   in Loop: Header=BB8_47 Depth=1
	s_or_b64 exec, exec, s[24:25]
	v_mov_b32_e32 v2, v8
.LBB8_191:                              ;   in Loop: Header=BB8_47 Depth=1
	s_or_b64 exec, exec, s[28:29]
	s_and_saveexec_b64 s[28:29], s[26:27]
	s_cbranch_execz .LBB8_261
; %bb.192:                              ;   in Loop: Header=BB8_47 Depth=1
	v_sub_u32_e32 v2, v20, v2
	v_min_i32_e32 v8, v8, v2
	v_and_b32_e32 v2, 8, v63
	v_cmp_ne_u32_e32 vcc, 0, v2
	s_and_saveexec_b64 s[26:27], vcc
	s_cbranch_execz .LBB8_214
; %bb.193:                              ;   in Loop: Header=BB8_47 Depth=1
	s_waitcnt vmcnt(0) lgkmcnt(0)
	v_lshl_add_u64 v[12:13], v[48:49], 0, 8
	v_lshl_add_u64 v[10:11], v[112:113], 0, 4
	v_cmp_lt_u64_e32 vcc, v[12:13], v[10:11]
	s_and_saveexec_b64 s[40:41], vcc
	s_cbranch_execz .LBB8_205
; %bb.194:                              ;   in Loop: Header=BB8_47 Depth=1
	v_and_b32_e32 v2, 64, v63
	s_mov_b32 s76, 0
	v_cmp_eq_u32_e32 vcc, 0, v2
	s_mov_b64 s[42:43], 0
                                        ; implicit-def: $sgpr44_sgpr45
                                        ; implicit-def: $sgpr46_sgpr47
                                        ; implicit-def: $sgpr56_sgpr57
	s_branch .LBB8_198
.LBB8_195:                              ;   in Loop: Header=BB8_198 Depth=2
	s_waitcnt vmcnt(0) lgkmcnt(0)
	v_lshl_add_u64 v[12:13], v[48:49], 0, 8
	v_cmp_ge_u64_e64 s[24:25], v[12:13], v[10:11]
	s_or_b64 s[62:63], s[62:63], exec
	s_orn2_b64 s[60:61], s[24:25], exec
.LBB8_196:                              ;   in Loop: Header=BB8_198 Depth=2
	s_or_b64 exec, exec, s[48:49]
	s_andn2_b64 s[24:25], s[56:57], exec
	s_and_b64 s[56:57], s[62:63], exec
	s_or_b64 s[56:57], s[24:25], s[56:57]
	s_andn2_b64 s[24:25], s[46:47], exec
	s_and_b64 s[46:47], s[60:61], exec
	s_or_b64 s[46:47], s[24:25], s[46:47]
.LBB8_197:                              ;   in Loop: Header=BB8_198 Depth=2
	s_or_b64 exec, exec, s[58:59]
	s_and_b64 s[24:25], exec, s[46:47]
	s_or_b64 s[42:43], s[24:25], s[42:43]
	s_andn2_b64 s[24:25], s[44:45], exec
	s_and_b64 s[44:45], s[56:57], exec
	s_or_b64 s[44:45], s[24:25], s[44:45]
	s_andn2_b64 exec, exec, s[42:43]
	s_cbranch_execz .LBB8_202
.LBB8_198:                              ;   Parent Loop BB8_47 Depth=1
                                        ; =>  This Inner Loop Header: Depth=2
	s_sleep 1
	s_waitcnt vmcnt(0) lgkmcnt(0)
	flat_load_dwordx2 v[48:49], v[32:33] sc0 sc1
	s_or_b64 s[56:57], s[56:57], exec
	s_or_b64 s[46:47], s[46:47], exec
                                        ; implicit-def: $vgpr2
	s_and_saveexec_b64 s[58:59], vcc
	s_cbranch_execz .LBB8_197
; %bb.199:                              ;   in Loop: Header=BB8_198 Depth=2
	s_cmpk_lt_i32 s76, 0x270f
	s_cselect_b64 s[38:39], -1, 0
	s_cmpk_gt_i32 s76, 0x270e
	s_mov_b64 s[60:61], -1
	s_cbranch_scc0 .LBB8_201
; %bb.200:                              ;   in Loop: Header=BB8_198 Depth=2
	s_trap 2
	ds_read_b64 v[12:13], v0
	s_andn2_b64 s[38:39], s[38:39], exec
	s_mov_b32 s76, 0
	s_mov_b64 s[62:63], 0
	s_waitcnt vmcnt(0) lgkmcnt(0)
	flat_load_dword v2, v[12:13] sc0 sc1
	s_waitcnt vmcnt(0) lgkmcnt(0)
	buffer_inv sc0 sc1
	v_cmp_eq_u32_e64 s[24:25], 0, v2
	s_and_b64 s[24:25], s[24:25], exec
	s_or_b64 s[38:39], s[38:39], s[24:25]
	s_and_saveexec_b64 s[48:49], s[38:39]
	s_cbranch_execz .LBB8_196
	s_branch .LBB8_195
.LBB8_201:                              ;   in Loop: Header=BB8_198 Depth=2
	s_add_i32 s76, s76, 1
	s_mov_b64 s[62:63], -1
                                        ; implicit-def: $vgpr2
	s_and_saveexec_b64 s[48:49], s[38:39]
	s_cbranch_execz .LBB8_196
	s_branch .LBB8_195
.LBB8_202:                              ;   in Loop: Header=BB8_47 Depth=1
	s_or_b64 exec, exec, s[42:43]
	s_xor_b64 s[24:25], s[44:45], -1
	s_and_saveexec_b64 s[42:43], s[24:25]
	s_xor_b64 s[24:25], exec, s[42:43]
	s_cbranch_execz .LBB8_204
; %bb.203:                              ;   in Loop: Header=BB8_47 Depth=1
	v_or_b32_e32 v63, 64, v63
	s_waitcnt lgkmcnt(0)
	ds_write_b32 v0, v2
	s_trap 2
.LBB8_204:                              ;   in Loop: Header=BB8_47 Depth=1
	s_or_b64 exec, exec, s[24:25]
.LBB8_205:                              ;   in Loop: Header=BB8_47 Depth=1
	s_or_b64 exec, exec, s[40:41]
	v_and_b32_e32 v2, 0x100, v63
	v_cmp_ne_u32_e32 vcc, 0, v2
	v_and_b32_e32 v2, 7, v112
	s_mov_b64 s[24:25], -1
	;;#ASMSTART
	s_wakeup
	;;#ASMEND
                                        ; implicit-def: $vgpr12_vgpr13
	s_and_saveexec_b64 s[40:41], vcc
	s_cbranch_execz .LBB8_209
; %bb.206:                              ;   in Loop: Header=BB8_47 Depth=1
	v_mad_u64_u32 v[14:15], s[24:25], v2, 24, v[6:7]
	flat_load_dword v16, v[14:15]
	v_ashrrev_i32_e32 v9, 31, v8
	v_lshlrev_b64 v[12:13], 1, v[8:9]
	flat_store_dwordx2 v[14:15], v[12:13] offset:8
                                        ; implicit-def: $vgpr12_vgpr13
	s_waitcnt vmcnt(0) lgkmcnt(0)
	v_cmp_ne_u32_e32 vcc, 1, v16
	v_cmp_eq_u32_e64 s[24:25], 1, v16
	s_and_saveexec_b64 s[42:43], s[24:25]
	s_cbranch_execz .LBB8_208
; %bb.207:                              ;   in Loop: Header=BB8_47 Depth=1
	flat_load_dword v12, v[14:15] offset:4 sc0 sc1
	s_waitcnt vmcnt(0) lgkmcnt(0)
	v_ashrrev_i32_e32 v13, 31, v12
	v_lshrrev_b64 v[12:13], 1, v[12:13]
.LBB8_208:                              ;   in Loop: Header=BB8_47 Depth=1
	s_or_b64 exec, exec, s[42:43]
	s_orn2_b64 s[24:25], vcc, exec
.LBB8_209:                              ;   in Loop: Header=BB8_47 Depth=1
	s_or_b64 exec, exec, s[40:41]
	s_and_saveexec_b64 s[40:41], s[24:25]
; %bb.210:                              ;   in Loop: Header=BB8_47 Depth=1
	v_mad_i64_i32 v[12:13], s[24:25], v2, v30, 0
; %bb.211:                              ;   in Loop: Header=BB8_47 Depth=1
	s_or_b64 exec, exec, s[40:41]
	v_and_b32_e32 v2, 0x2000, v63
	v_lshl_add_u64 v[12:13], v[12:13], 1, v[34:35]
	v_cmp_ne_u32_e32 vcc, 0, v2
	ds_write_b64 v0, v[12:13] offset:784
	s_and_saveexec_b64 s[24:25], vcc
	s_cbranch_execz .LBB8_213
; %bb.212:                              ;   in Loop: Header=BB8_47 Depth=1
	ds_read_b64 v[12:13], v0 offset:872
	s_waitcnt lgkmcnt(0)
	v_lshl_add_u64 v[12:13], v[12:13], 0, 1
	ds_write_b64 v0, v[12:13] offset:872
.LBB8_213:                              ;   in Loop: Header=BB8_47 Depth=1
	s_or_b64 exec, exec, s[24:25]
	v_mov_b64_e32 v[112:113], v[10:11]
.LBB8_214:                              ;   in Loop: Header=BB8_47 Depth=1
	s_or_b64 exec, exec, s[26:27]
	s_and_saveexec_b64 s[24:25], s[6:7]
	s_cbranch_execz .LBB8_233
; %bb.215:                              ;   in Loop: Header=BB8_47 Depth=1
	s_and_saveexec_b64 s[26:27], s[78:79]
	s_xor_b64 s[26:27], exec, s[26:27]
	s_cbranch_execz .LBB8_230
; %bb.216:                              ;   in Loop: Header=BB8_47 Depth=1
	s_and_saveexec_b64 s[40:41], s[14:15]
	s_cbranch_execz .LBB8_229
; %bb.217:                              ;   in Loop: Header=BB8_47 Depth=1
	s_mov_b64 s[44:45], exec
	v_mbcnt_lo_u32_b32 v2, s44, 0
	v_mbcnt_hi_u32_b32 v2, s45, v2
	v_cmp_eq_u32_e32 vcc, 0, v2
	s_waitcnt lgkmcnt(0)
	s_and_saveexec_b64 s[42:43], vcc
	s_cbranch_execz .LBB8_219
; %bb.218:                              ;   in Loop: Header=BB8_47 Depth=1
	s_bcnt1_i32_b64 s44, s[44:45]
	v_mov_b32_e32 v2, s44
	ds_add_u64 v0, v[2:3]
	s_trap 2
.LBB8_219:                              ;   in Loop: Header=BB8_47 Depth=1
	s_or_b64 exec, exec, s[42:43]
	s_trap 2
	ds_read_b64 v[10:11], v0
	s_waitcnt lgkmcnt(0)
	v_lshl_add_u64 v[38:39], v[38:39], 0, v[52:53]
	v_cmp_lt_u64_e32 vcc, v[10:11], v[38:39]
	s_and_saveexec_b64 s[42:43], vcc
	s_cbranch_execz .LBB8_228
; %bb.220:                              ;   in Loop: Header=BB8_47 Depth=1
	s_mov_b32 s76, 0
	s_mov_b64 s[44:45], 0
                                        ; implicit-def: $sgpr46_sgpr47
                                        ; implicit-def: $sgpr56_sgpr57
	s_branch .LBB8_222
.LBB8_221:                              ;   in Loop: Header=BB8_222 Depth=2
	s_or_b64 exec, exec, s[60:61]
	s_and_b64 s[58:59], exec, s[62:63]
	s_or_b64 s[44:45], s[58:59], s[44:45]
	s_andn2_b64 s[46:47], s[46:47], exec
	s_and_b64 s[58:59], s[56:57], exec
	s_or_b64 s[46:47], s[46:47], s[58:59]
	s_andn2_b64 exec, exec, s[44:45]
	s_cbranch_execz .LBB8_226
.LBB8_222:                              ;   Parent Loop BB8_47 Depth=1
                                        ; =>  This Inner Loop Header: Depth=2
	s_add_i32 s76, s76, 1
	s_cmpk_lg_i32 s76, 0x2710
	s_cselect_b64 s[58:59], -1, 0
	s_and_b64 vcc, exec, s[58:59]
	s_cbranch_vccz .LBB8_224
; %bb.223:                              ;   in Loop: Header=BB8_222 Depth=2
	s_mov_b64 s[62:63], -1
	s_or_b64 s[56:57], s[56:57], exec
	s_and_saveexec_b64 s[60:61], s[58:59]
	s_cbranch_execz .LBB8_221
	s_branch .LBB8_225
.LBB8_224:                              ;   in Loop: Header=BB8_222 Depth=2
	s_trap 2
	ds_read_b64 v[10:11], v0
	s_andn2_b64 s[58:59], s[58:59], exec
	s_mov_b32 s76, 0
	s_waitcnt vmcnt(0) lgkmcnt(0)
	flat_load_dword v2, v[10:11] sc0 sc1
	s_waitcnt vmcnt(0) lgkmcnt(0)
	buffer_inv sc0 sc1
	v_cmp_eq_u32_e32 vcc, 0, v2
	s_and_b64 s[60:61], vcc, exec
	s_or_b64 s[58:59], s[58:59], s[60:61]
	s_mov_b64 s[62:63], -1
	s_or_b64 s[56:57], s[56:57], exec
	s_and_saveexec_b64 s[60:61], s[58:59]
	s_cbranch_execz .LBB8_221
.LBB8_225:                              ;   in Loop: Header=BB8_222 Depth=2
	s_sleep 1
	s_trap 2
	ds_read_b64 v[10:11], v0
	s_waitcnt lgkmcnt(0)
	s_andn2_b64 s[56:57], s[56:57], exec
	v_cmp_ge_u64_e32 vcc, v[10:11], v[38:39]
	s_orn2_b64 s[62:63], vcc, exec
	s_branch .LBB8_221
.LBB8_226:                              ;   in Loop: Header=BB8_47 Depth=1
	s_or_b64 exec, exec, s[44:45]
	s_and_saveexec_b64 s[44:45], s[46:47]
	s_xor_b64 s[44:45], exec, s[44:45]
	s_cbranch_execz .LBB8_228
; %bb.227:                              ;   in Loop: Header=BB8_47 Depth=1
	ds_write_b32 v0, v74
	s_trap 2
.LBB8_228:                              ;   in Loop: Header=BB8_47 Depth=1
	s_or_b64 exec, exec, s[42:43]
	;;#ASMSTART
	s_wakeup
	;;#ASMEND
.LBB8_229:                              ;   in Loop: Header=BB8_47 Depth=1
	s_or_b64 exec, exec, s[40:41]
.LBB8_230:                              ;   in Loop: Header=BB8_47 Depth=1
	s_andn2_saveexec_b64 s[26:27], s[26:27]
	s_cbranch_execz .LBB8_232
; %bb.231:                              ;   in Loop: Header=BB8_47 Depth=1
	s_waitcnt lgkmcnt(0)
	s_barrier
.LBB8_232:                              ;   in Loop: Header=BB8_47 Depth=1
	s_or_b64 exec, exec, s[26:27]
.LBB8_233:                              ;   in Loop: Header=BB8_47 Depth=1
	s_or_b64 exec, exec, s[24:25]
	v_and_b32_e32 v9, 16, v63
	s_and_saveexec_b64 s[24:25], s[22:23]
	s_xor_b64 s[24:25], exec, s[24:25]
	s_cbranch_execz .LBB8_238
; %bb.234:                              ;   in Loop: Header=BB8_47 Depth=1
	s_trap 2
	ds_read_b32 v2, v0
	v_cmp_lt_i32_e32 vcc, 0, v8
	v_and_b32_e32 v8, 16, v63
	v_and_b32_e32 v9, 16, v63
	s_waitcnt lgkmcnt(0)
	v_readfirstlane_b32 s26, v2
	s_cmp_eq_u32 s26, 0
	s_cselect_b64 s[26:27], -1, 0
	s_and_b64 s[26:27], vcc, s[26:27]
	v_cmp_ne_u32_e32 vcc, 0, v8
	s_and_b64 s[40:41], vcc, s[26:27]
	s_and_saveexec_b64 s[26:27], s[40:41]
	s_cbranch_execz .LBB8_236
; %bb.235:                              ;   in Loop: Header=BB8_47 Depth=1
	v_mov_b32_e32 v9, 1
	buffer_wbl2 sc1
	s_waitcnt vmcnt(0)
	buffer_inv sc1
.LBB8_236:                              ;   in Loop: Header=BB8_47 Depth=1
	s_or_b64 exec, exec, s[26:27]
	s_andn2_saveexec_b64 s[24:25], s[24:25]
	s_cbranch_execnz .LBB8_239
.LBB8_237:                              ;   in Loop: Header=BB8_47 Depth=1
	s_or_b64 exec, exec, s[24:25]
	v_cmp_ne_u32_e32 vcc, 0, v9
	s_and_saveexec_b64 s[24:25], vcc
	s_cbranch_execnz .LBB8_257
	s_branch .LBB8_260
.LBB8_238:                              ;   in Loop: Header=BB8_47 Depth=1
	s_andn2_saveexec_b64 s[24:25], s[24:25]
	s_cbranch_execz .LBB8_237
.LBB8_239:                              ;   in Loop: Header=BB8_47 Depth=1
	s_and_saveexec_b64 s[26:27], s[78:79]
	s_xor_b64 s[26:27], exec, s[26:27]
	s_cbranch_execz .LBB8_254
; %bb.240:                              ;   in Loop: Header=BB8_47 Depth=1
	s_and_saveexec_b64 s[40:41], s[14:15]
	s_cbranch_execz .LBB8_253
; %bb.241:                              ;   in Loop: Header=BB8_47 Depth=1
	s_mov_b64 s[44:45], exec
	v_mbcnt_lo_u32_b32 v2, s44, 0
	v_mbcnt_hi_u32_b32 v2, s45, v2
	v_cmp_eq_u32_e32 vcc, 0, v2
	;;#ASMSTART
	s_waitcnt lgkmcnt(0) vmcnt(0)
	;;#ASMEND
	s_and_saveexec_b64 s[42:43], vcc
	s_cbranch_execz .LBB8_243
; %bb.242:                              ;   in Loop: Header=BB8_47 Depth=1
	s_bcnt1_i32_b64 s44, s[44:45]
	v_mov_b32_e32 v2, s44
	s_waitcnt lgkmcnt(0)
	ds_add_u64 v0, v[2:3]
	s_trap 2
.LBB8_243:                              ;   in Loop: Header=BB8_47 Depth=1
	s_or_b64 exec, exec, s[42:43]
	s_trap 2
	ds_read_b64 v[10:11], v0
	s_waitcnt lgkmcnt(0)
	v_lshl_add_u64 v[38:39], v[38:39], 0, v[52:53]
	v_cmp_lt_u64_e32 vcc, v[10:11], v[38:39]
	s_and_saveexec_b64 s[42:43], vcc
	s_cbranch_execz .LBB8_252
; %bb.244:                              ;   in Loop: Header=BB8_47 Depth=1
	s_mov_b32 s76, 0
	s_mov_b64 s[44:45], 0
                                        ; implicit-def: $sgpr46_sgpr47
                                        ; implicit-def: $sgpr56_sgpr57
	s_branch .LBB8_246
.LBB8_245:                              ;   in Loop: Header=BB8_246 Depth=2
	s_or_b64 exec, exec, s[60:61]
	s_and_b64 s[58:59], exec, s[62:63]
	s_or_b64 s[44:45], s[58:59], s[44:45]
	s_andn2_b64 s[46:47], s[46:47], exec
	s_and_b64 s[58:59], s[56:57], exec
	s_or_b64 s[46:47], s[46:47], s[58:59]
	s_andn2_b64 exec, exec, s[44:45]
	s_cbranch_execz .LBB8_250
.LBB8_246:                              ;   Parent Loop BB8_47 Depth=1
                                        ; =>  This Inner Loop Header: Depth=2
	s_add_i32 s76, s76, 1
	s_cmpk_lg_i32 s76, 0x2710
	s_cselect_b64 s[58:59], -1, 0
	s_and_b64 vcc, exec, s[58:59]
	s_cbranch_vccz .LBB8_248
; %bb.247:                              ;   in Loop: Header=BB8_246 Depth=2
	s_mov_b64 s[62:63], -1
	s_or_b64 s[56:57], s[56:57], exec
	s_and_saveexec_b64 s[60:61], s[58:59]
	s_cbranch_execz .LBB8_245
	s_branch .LBB8_249
.LBB8_248:                              ;   in Loop: Header=BB8_246 Depth=2
	s_trap 2
	ds_read_b64 v[10:11], v0
	s_andn2_b64 s[58:59], s[58:59], exec
	s_mov_b32 s76, 0
	s_waitcnt vmcnt(0) lgkmcnt(0)
	flat_load_dword v2, v[10:11] sc0 sc1
	s_waitcnt vmcnt(0) lgkmcnt(0)
	buffer_inv sc0 sc1
	v_cmp_eq_u32_e32 vcc, 0, v2
	s_and_b64 s[60:61], vcc, exec
	s_or_b64 s[58:59], s[58:59], s[60:61]
	s_mov_b64 s[62:63], -1
	s_or_b64 s[56:57], s[56:57], exec
	s_and_saveexec_b64 s[60:61], s[58:59]
	s_cbranch_execz .LBB8_245
.LBB8_249:                              ;   in Loop: Header=BB8_246 Depth=2
	s_sleep 1
	s_trap 2
	ds_read_b64 v[10:11], v0
	s_waitcnt lgkmcnt(0)
	s_andn2_b64 s[56:57], s[56:57], exec
	v_cmp_ge_u64_e32 vcc, v[10:11], v[38:39]
	s_orn2_b64 s[62:63], vcc, exec
	s_branch .LBB8_245
.LBB8_250:                              ;   in Loop: Header=BB8_47 Depth=1
	s_or_b64 exec, exec, s[44:45]
	s_and_saveexec_b64 s[44:45], s[46:47]
	s_xor_b64 s[44:45], exec, s[44:45]
	s_cbranch_execz .LBB8_252
; %bb.251:                              ;   in Loop: Header=BB8_47 Depth=1
	ds_write_b32 v0, v74
	s_trap 2
.LBB8_252:                              ;   in Loop: Header=BB8_47 Depth=1
	s_or_b64 exec, exec, s[42:43]
	;;#ASMSTART
	s_wakeup
	;;#ASMEND
.LBB8_253:                              ;   in Loop: Header=BB8_47 Depth=1
	s_or_b64 exec, exec, s[40:41]
.LBB8_254:                              ;   in Loop: Header=BB8_47 Depth=1
	s_andn2_saveexec_b64 s[26:27], s[26:27]
	s_cbranch_execz .LBB8_256
; %bb.255:                              ;   in Loop: Header=BB8_47 Depth=1
	;;#ASMSTART
	s_waitcnt lgkmcnt(0) vmcnt(0)
	;;#ASMEND
	s_barrier
.LBB8_256:                              ;   in Loop: Header=BB8_47 Depth=1
	s_or_b64 exec, exec, s[26:27]
	s_or_b64 exec, exec, s[24:25]
	v_cmp_ne_u32_e32 vcc, 0, v9
	s_and_saveexec_b64 s[24:25], vcc
	s_cbranch_execz .LBB8_260
.LBB8_257:                              ;   in Loop: Header=BB8_47 Depth=1
	s_and_saveexec_b64 s[26:27], s[12:13]
	s_cbranch_execz .LBB8_259
; %bb.258:                              ;   in Loop: Header=BB8_47 Depth=1
	flat_store_dword v[36:37], v74 sc0 sc1
.LBB8_259:                              ;   in Loop: Header=BB8_47 Depth=1
	s_or_b64 exec, exec, s[26:27]
	v_lshl_add_u64 v[112:113], v[112:113], 0, 4
	flat_store_dwordx2 v[32:33], v[112:113] sc0 sc1
.LBB8_260:                              ;   in Loop: Header=BB8_47 Depth=1
	s_or_b64 exec, exec, s[24:25]
.LBB8_261:                              ;   in Loop: Header=BB8_47 Depth=1
	s_or_b64 exec, exec, s[28:29]
	v_cndmask_b32_e64 v2, 0, 1, s[34:35]
	v_cmp_ne_u32_e64 s[24:25], 1, v2
	s_andn2_b64 vcc, exec, s[34:35]
	s_cbranch_vccnz .LBB8_564
; %bb.262:                              ;   in Loop: Header=BB8_47 Depth=1
	s_mov_b32 s54, 2
	s_branch .LBB8_265
.LBB8_263:                              ;   in Loop: Header=BB8_265 Depth=2
	s_or_b64 exec, exec, s[26:27]
.LBB8_264:                              ;   in Loop: Header=BB8_265 Depth=2
	s_or_b64 exec, exec, s[28:29]
	s_add_i32 s54, s54, 1
	s_cmp_eq_u32 s54, s64
	s_cbranch_scc1 .LBB8_564
.LBB8_265:                              ;   Parent Loop BB8_47 Depth=1
                                        ; =>  This Loop Header: Depth=2
                                        ;       Child Loop BB8_274 Depth 3
                                        ;       Child Loop BB8_302 Depth 3
	;; [unrolled: 1-line block ×12, first 2 shown]
	s_sub_i32 s26, s80, s54
	s_cmp_ge_i32 s26, s64
	s_cselect_b32 s27, s64, 0
	s_sub_i32 s26, s26, s27
	s_ashr_i32 s27, s26, 31
	v_mul_lo_u32 v2, v102, s27
	v_mul_lo_u32 v10, v103, s26
	v_mad_u64_u32 v[8:9], s[26:27], v102, s26, 0
	v_add3_u32 v9, v9, v2, v10
	v_sub_co_u32_e32 v10, vcc, v114, v8
	s_nop 1
	v_subb_co_u32_e32 v11, vcc, v115, v9, vcc
	v_cmp_lt_i64_e32 vcc, v[102:103], v[10:11]
	s_nop 1
	v_cndmask_b32_e32 v2, v10, v102, vcc
	v_max_i32_e32 v50, 0, v2
	v_add_u32_e32 v10, 15, v50
	v_ashrrev_i32_e32 v11, 31, v10
	v_lshrrev_b32_e32 v11, 28, v11
	v_add_u32_e32 v10, v10, v11
	v_cmp_gt_i32_e32 vcc, 1, v2
	v_and_b32_e32 v10, -16, v10
	s_or_b64 s[40:41], s[2:3], vcc
	v_max_i32_e32 v16, s83, v10
	s_xor_b64 s[26:27], s[40:41], -1
	v_mov_b32_e32 v2, 0
	s_and_saveexec_b64 s[42:43], s[26:27]
	s_cbranch_execz .LBB8_491
; %bb.266:                              ;   in Loop: Header=BB8_265 Depth=2
	s_and_saveexec_b64 s[26:27], s[0:1]
	s_cbranch_execz .LBB8_268
; %bb.267:                              ;   in Loop: Header=BB8_265 Depth=2
	s_trap 2
	ds_read_b64 v[10:11], v0
	s_waitcnt lgkmcnt(0)
	v_lshl_add_u64 v[10:11], v[116:117], 1, v[10:11]
	v_lshl_add_u64 v[8:9], v[8:9], 1, v[10:11]
	ds_write_b64 v0, v[8:9]
	ds_write_b64 v0, v[104:105]
.LBB8_268:                              ;   in Loop: Header=BB8_265 Depth=2
	s_or_b64 exec, exec, s[26:27]
	v_and_b32_e32 v2, 12, v63
	v_min_i32_e32 v16, v16, v50
	v_cmp_ne_u32_e32 vcc, 0, v2
	s_and_saveexec_b64 s[28:29], vcc
	s_cbranch_execz .LBB8_294
; %bb.269:                              ;   in Loop: Header=BB8_265 Depth=2
	v_and_b32_e32 v2, 8, v63
	s_waitcnt vmcnt(0) lgkmcnt(0)
	v_lshl_add_u64 v[10:11], v[48:49], 0, v[2:3]
	v_lshl_add_u64 v[8:9], v[112:113], 0, 4
	v_cmp_lt_u64_e32 vcc, v[10:11], v[8:9]
	s_and_saveexec_b64 s[44:45], vcc
	s_cbranch_execz .LBB8_281
; %bb.270:                              ;   in Loop: Header=BB8_265 Depth=2
	v_and_b32_e32 v10, 64, v63
	s_mov_b32 s76, 0
	v_cmp_eq_u32_e32 vcc, 0, v10
	s_mov_b64 s[46:47], 0
                                        ; implicit-def: $sgpr56_sgpr57
                                        ; implicit-def: $sgpr58_sgpr59
                                        ; implicit-def: $sgpr60_sgpr61
	s_branch .LBB8_274
.LBB8_271:                              ;   in Loop: Header=BB8_274 Depth=3
	s_waitcnt vmcnt(0) lgkmcnt(0)
	v_lshl_add_u64 v[12:13], v[48:49], 0, v[2:3]
	v_cmp_ge_u64_e64 s[26:27], v[12:13], v[8:9]
	s_or_b64 s[48:49], s[48:49], exec
	s_orn2_b64 s[38:39], s[26:27], exec
.LBB8_272:                              ;   in Loop: Header=BB8_274 Depth=3
	s_or_b64 exec, exec, s[52:53]
	s_andn2_b64 s[26:27], s[60:61], exec
	s_and_b64 s[60:61], s[48:49], exec
	s_or_b64 s[60:61], s[26:27], s[60:61]
	s_andn2_b64 s[26:27], s[58:59], exec
	s_and_b64 s[58:59], s[38:39], exec
	s_or_b64 s[58:59], s[26:27], s[58:59]
.LBB8_273:                              ;   in Loop: Header=BB8_274 Depth=3
	s_or_b64 exec, exec, s[62:63]
	s_and_b64 s[26:27], exec, s[58:59]
	s_or_b64 s[46:47], s[26:27], s[46:47]
	s_andn2_b64 s[26:27], s[56:57], exec
	s_and_b64 s[56:57], s[60:61], exec
	s_or_b64 s[56:57], s[26:27], s[56:57]
	s_andn2_b64 exec, exec, s[46:47]
	s_cbranch_execz .LBB8_278
.LBB8_274:                              ;   Parent Loop BB8_47 Depth=1
                                        ;     Parent Loop BB8_265 Depth=2
                                        ; =>    This Inner Loop Header: Depth=3
	s_sleep 1
	s_waitcnt vmcnt(0) lgkmcnt(0)
	flat_load_dwordx2 v[48:49], v[32:33] sc0 sc1
	s_or_b64 s[60:61], s[60:61], exec
	s_or_b64 s[58:59], s[58:59], exec
                                        ; implicit-def: $vgpr10
	s_and_saveexec_b64 s[62:63], vcc
	s_cbranch_execz .LBB8_273
; %bb.275:                              ;   in Loop: Header=BB8_274 Depth=3
	s_cmpk_lt_i32 s76, 0x270f
	s_cselect_b64 s[50:51], -1, 0
	s_cmpk_gt_i32 s76, 0x270e
	s_mov_b64 s[38:39], -1
	s_cbranch_scc0 .LBB8_277
; %bb.276:                              ;   in Loop: Header=BB8_274 Depth=3
	s_trap 2
	ds_read_b64 v[10:11], v0
	s_andn2_b64 s[50:51], s[50:51], exec
	s_mov_b32 s76, 0
	s_mov_b64 s[48:49], 0
	s_waitcnt vmcnt(0) lgkmcnt(0)
	flat_load_dword v10, v[10:11] sc0 sc1
	s_waitcnt vmcnt(0) lgkmcnt(0)
	buffer_inv sc0 sc1
	v_cmp_eq_u32_e64 s[26:27], 0, v10
	s_and_b64 s[26:27], s[26:27], exec
	s_or_b64 s[50:51], s[50:51], s[26:27]
	s_and_saveexec_b64 s[52:53], s[50:51]
	s_cbranch_execz .LBB8_272
	s_branch .LBB8_271
.LBB8_277:                              ;   in Loop: Header=BB8_274 Depth=3
	s_add_i32 s76, s76, 1
	s_mov_b64 s[48:49], -1
                                        ; implicit-def: $vgpr10
	s_and_saveexec_b64 s[52:53], s[50:51]
	s_cbranch_execz .LBB8_272
	s_branch .LBB8_271
.LBB8_278:                              ;   in Loop: Header=BB8_265 Depth=2
	s_or_b64 exec, exec, s[46:47]
	s_xor_b64 s[26:27], s[56:57], -1
	s_and_saveexec_b64 s[46:47], s[26:27]
	s_xor_b64 s[26:27], exec, s[46:47]
	s_cbranch_execz .LBB8_280
; %bb.279:                              ;   in Loop: Header=BB8_265 Depth=2
	v_or_b32_e32 v63, 64, v63
	s_waitcnt lgkmcnt(0)
	ds_write_b32 v0, v10
	s_trap 2
.LBB8_280:                              ;   in Loop: Header=BB8_265 Depth=2
	s_or_b64 exec, exec, s[26:27]
.LBB8_281:                              ;   in Loop: Header=BB8_265 Depth=2
	s_or_b64 exec, exec, s[44:45]
	v_and_b32_e32 v10, 0x108, v63
	v_cmp_ne_u32_e32 vcc, s67, v10
	;;#ASMSTART
	s_wakeup
	;;#ASMEND
                                        ; implicit-def: $vgpr10_vgpr11
	s_and_saveexec_b64 s[26:27], vcc
	s_xor_b64 s[26:27], exec, s[26:27]
; %bb.282:                              ;   in Loop: Header=BB8_265 Depth=2
	v_and_b32_e32 v10, 7, v112
	v_mov_b32_e32 v11, v3
                                        ; implicit-def: $vgpr112_vgpr113
; %bb.283:                              ;   in Loop: Header=BB8_265 Depth=2
	s_andn2_saveexec_b64 s[26:27], s[26:27]
	s_cbranch_execz .LBB8_285
; %bb.284:                              ;   in Loop: Header=BB8_265 Depth=2
	v_and_b32_e32 v10, 7, v112
	v_ashrrev_i32_e32 v17, 31, v16
	v_mov_b32_e32 v11, v3
	v_mad_u64_u32 v[12:13], s[44:45], v10, 24, v[6:7]
	v_lshlrev_b64 v[14:15], 1, v[16:17]
	flat_store_dwordx2 v[12:13], v[14:15] offset:8
.LBB8_285:                              ;   in Loop: Header=BB8_265 Depth=2
	s_or_b64 exec, exec, s[26:27]
	v_and_b32_e32 v12, 0x100, v63
	v_cmp_ne_u32_e32 vcc, 0, v12
	s_mov_b64 s[26:27], -1
                                        ; implicit-def: $vgpr12_vgpr13
	s_and_saveexec_b64 s[44:45], vcc
	s_cbranch_execz .LBB8_289
; %bb.286:                              ;   in Loop: Header=BB8_265 Depth=2
	v_mad_u64_u32 v[14:15], s[26:27], v10, 24, v[6:7]
	v_mov_b32_e32 v12, v15
	v_mad_u64_u32 v[12:13], s[26:27], v11, 24, v[12:13]
	v_mov_b32_e32 v15, v12
	flat_load_dword v12, v[14:15]
	s_waitcnt vmcnt(0) lgkmcnt(0)
	v_cmp_ne_u32_e32 vcc, 1, v12
	v_cmp_eq_u32_e64 s[26:27], 1, v12
                                        ; implicit-def: $vgpr12_vgpr13
	s_and_saveexec_b64 s[46:47], s[26:27]
	s_cbranch_execz .LBB8_288
; %bb.287:                              ;   in Loop: Header=BB8_265 Depth=2
	flat_load_dword v12, v[14:15] offset:4 sc0 sc1
	s_waitcnt vmcnt(0) lgkmcnt(0)
	v_ashrrev_i32_e32 v13, 31, v12
	v_lshrrev_b64 v[12:13], 1, v[12:13]
.LBB8_288:                              ;   in Loop: Header=BB8_265 Depth=2
	s_or_b64 exec, exec, s[46:47]
	s_orn2_b64 s[26:27], vcc, exec
.LBB8_289:                              ;   in Loop: Header=BB8_265 Depth=2
	s_or_b64 exec, exec, s[44:45]
	s_and_saveexec_b64 s[44:45], s[26:27]
; %bb.290:                              ;   in Loop: Header=BB8_265 Depth=2
	v_mul_lo_u32 v11, v11, v30
	v_mul_lo_u32 v14, v10, v51
	v_mad_u64_u32 v[12:13], s[26:27], v10, v30, 0
	v_add3_u32 v13, v13, v14, v11
; %bb.291:                              ;   in Loop: Header=BB8_265 Depth=2
	s_or_b64 exec, exec, s[44:45]
	v_cmp_eq_u32_e32 vcc, 0, v2
	v_lshl_add_u64 v[10:11], v[12:13], 1, v[34:35]
	s_nop 0
	v_cndmask_b32_e32 v2, v75, v76, vcc
	v_add_u32_e32 v2, v0, v2
	ds_write_b64 v2, v[10:11] offset:584
	v_and_b32_e32 v2, 0x2000, v63
	v_cmp_ne_u32_e32 vcc, 0, v2
	s_and_saveexec_b64 s[26:27], vcc
	s_cbranch_execz .LBB8_293
; %bb.292:                              ;   in Loop: Header=BB8_265 Depth=2
	ds_read_b64 v[10:11], v0 offset:872
	s_waitcnt lgkmcnt(0)
	v_lshl_add_u64 v[10:11], v[10:11], 0, 1
	ds_write_b64 v0, v[10:11] offset:872
.LBB8_293:                              ;   in Loop: Header=BB8_265 Depth=2
	s_or_b64 exec, exec, s[26:27]
	v_mov_b64_e32 v[112:113], v[8:9]
.LBB8_294:                              ;   in Loop: Header=BB8_265 Depth=2
	s_or_b64 exec, exec, s[28:29]
	s_and_saveexec_b64 s[26:27], s[6:7]
	s_cbranch_execz .LBB8_313
; %bb.295:                              ;   in Loop: Header=BB8_265 Depth=2
	s_and_saveexec_b64 s[28:29], s[78:79]
	s_xor_b64 s[28:29], exec, s[28:29]
	s_cbranch_execz .LBB8_310
; %bb.296:                              ;   in Loop: Header=BB8_265 Depth=2
	s_and_saveexec_b64 s[44:45], s[14:15]
	s_cbranch_execz .LBB8_309
; %bb.297:                              ;   in Loop: Header=BB8_265 Depth=2
	s_mov_b64 s[56:57], exec
	v_mbcnt_lo_u32_b32 v2, s56, 0
	v_mbcnt_hi_u32_b32 v2, s57, v2
	v_cmp_eq_u32_e32 vcc, 0, v2
	s_waitcnt lgkmcnt(0)
	s_and_saveexec_b64 s[46:47], vcc
	s_cbranch_execz .LBB8_299
; %bb.298:                              ;   in Loop: Header=BB8_265 Depth=2
	s_bcnt1_i32_b64 s56, s[56:57]
	v_mov_b32_e32 v2, s56
	ds_add_u64 v0, v[2:3]
	s_trap 2
.LBB8_299:                              ;   in Loop: Header=BB8_265 Depth=2
	s_or_b64 exec, exec, s[46:47]
	s_trap 2
	ds_read_b64 v[8:9], v0
	s_waitcnt lgkmcnt(0)
	v_lshl_add_u64 v[38:39], v[38:39], 0, v[52:53]
	v_cmp_lt_u64_e32 vcc, v[8:9], v[38:39]
	s_and_saveexec_b64 s[46:47], vcc
	s_cbranch_execz .LBB8_308
; %bb.300:                              ;   in Loop: Header=BB8_265 Depth=2
	s_mov_b32 s76, 0
	s_mov_b64 s[56:57], 0
                                        ; implicit-def: $sgpr58_sgpr59
                                        ; implicit-def: $sgpr60_sgpr61
	s_branch .LBB8_302
.LBB8_301:                              ;   in Loop: Header=BB8_302 Depth=3
	s_or_b64 exec, exec, s[38:39]
	s_and_b64 s[62:63], exec, vcc
	s_or_b64 s[56:57], s[62:63], s[56:57]
	s_andn2_b64 s[58:59], s[58:59], exec
	s_and_b64 s[62:63], s[60:61], exec
	s_or_b64 s[58:59], s[58:59], s[62:63]
	s_andn2_b64 exec, exec, s[56:57]
	s_cbranch_execz .LBB8_306
.LBB8_302:                              ;   Parent Loop BB8_47 Depth=1
                                        ;     Parent Loop BB8_265 Depth=2
                                        ; =>    This Inner Loop Header: Depth=3
	s_add_i32 s76, s76, 1
	s_cmpk_lg_i32 s76, 0x2710
	s_cselect_b64 s[62:63], -1, 0
	s_and_b64 vcc, exec, s[62:63]
	s_cbranch_vccz .LBB8_304
; %bb.303:                              ;   in Loop: Header=BB8_302 Depth=3
	s_mov_b64 vcc, -1
	s_or_b64 s[60:61], s[60:61], exec
	s_and_saveexec_b64 s[38:39], s[62:63]
	s_cbranch_execz .LBB8_301
	s_branch .LBB8_305
.LBB8_304:                              ;   in Loop: Header=BB8_302 Depth=3
	s_trap 2
	ds_read_b64 v[8:9], v0
	s_andn2_b64 s[62:63], s[62:63], exec
	s_mov_b32 s76, 0
	s_waitcnt vmcnt(0) lgkmcnt(0)
	flat_load_dword v2, v[8:9] sc0 sc1
	s_waitcnt vmcnt(0) lgkmcnt(0)
	buffer_inv sc0 sc1
	v_cmp_eq_u32_e32 vcc, 0, v2
	s_and_b64 vcc, vcc, exec
	s_or_b64 s[62:63], s[62:63], vcc
	s_mov_b64 vcc, -1
	s_or_b64 s[60:61], s[60:61], exec
	s_and_saveexec_b64 s[38:39], s[62:63]
	s_cbranch_execz .LBB8_301
.LBB8_305:                              ;   in Loop: Header=BB8_302 Depth=3
	s_sleep 1
	s_trap 2
	ds_read_b64 v[8:9], v0
	s_waitcnt lgkmcnt(0)
	s_andn2_b64 s[60:61], s[60:61], exec
	v_cmp_ge_u64_e32 vcc, v[8:9], v[38:39]
	s_orn2_b64 vcc, vcc, exec
	s_branch .LBB8_301
.LBB8_306:                              ;   in Loop: Header=BB8_265 Depth=2
	s_or_b64 exec, exec, s[56:57]
	s_and_saveexec_b64 s[56:57], s[58:59]
	s_xor_b64 s[56:57], exec, s[56:57]
	s_cbranch_execz .LBB8_308
; %bb.307:                              ;   in Loop: Header=BB8_265 Depth=2
	ds_write_b32 v0, v74
	s_trap 2
.LBB8_308:                              ;   in Loop: Header=BB8_265 Depth=2
	s_or_b64 exec, exec, s[46:47]
	;;#ASMSTART
	s_wakeup
	;;#ASMEND
.LBB8_309:                              ;   in Loop: Header=BB8_265 Depth=2
	s_or_b64 exec, exec, s[44:45]
.LBB8_310:                              ;   in Loop: Header=BB8_265 Depth=2
	s_andn2_saveexec_b64 s[28:29], s[28:29]
	s_cbranch_execz .LBB8_312
; %bb.311:                              ;   in Loop: Header=BB8_265 Depth=2
	s_waitcnt lgkmcnt(0)
	s_barrier
.LBB8_312:                              ;   in Loop: Header=BB8_265 Depth=2
	s_or_b64 exec, exec, s[28:29]
.LBB8_313:                              ;   in Loop: Header=BB8_265 Depth=2
	s_or_b64 exec, exec, s[26:27]
	s_trap 2
	ds_read_b32 v8, v0
	v_and_b32_e32 v2, 0x4000, v63
	v_cmp_ne_u32_e32 vcc, 0, v2
	s_xor_b64 s[26:27], s[4:5], -1
	s_and_b64 s[28:29], s[26:27], vcc
	s_and_saveexec_b64 s[26:27], s[28:29]
	s_cbranch_execz .LBB8_332
; %bb.314:                              ;   in Loop: Header=BB8_265 Depth=2
	s_and_saveexec_b64 s[28:29], s[78:79]
	s_xor_b64 s[28:29], exec, s[28:29]
	s_cbranch_execz .LBB8_329
; %bb.315:                              ;   in Loop: Header=BB8_265 Depth=2
	s_and_saveexec_b64 s[44:45], s[14:15]
	s_cbranch_execz .LBB8_328
; %bb.316:                              ;   in Loop: Header=BB8_265 Depth=2
	s_mov_b64 s[56:57], exec
	v_mbcnt_lo_u32_b32 v2, s56, 0
	v_mbcnt_hi_u32_b32 v2, s57, v2
	v_cmp_eq_u32_e32 vcc, 0, v2
	s_waitcnt lgkmcnt(0)
	s_and_saveexec_b64 s[46:47], vcc
	s_cbranch_execz .LBB8_318
; %bb.317:                              ;   in Loop: Header=BB8_265 Depth=2
	s_bcnt1_i32_b64 s56, s[56:57]
	v_mov_b32_e32 v2, s56
	ds_add_u64 v0, v[2:3]
	s_trap 2
.LBB8_318:                              ;   in Loop: Header=BB8_265 Depth=2
	s_or_b64 exec, exec, s[46:47]
	s_trap 2
	ds_read_b64 v[10:11], v0
	s_waitcnt lgkmcnt(0)
	v_lshl_add_u64 v[38:39], v[38:39], 0, v[52:53]
	v_cmp_lt_u64_e32 vcc, v[10:11], v[38:39]
	s_and_saveexec_b64 s[46:47], vcc
	s_cbranch_execz .LBB8_327
; %bb.319:                              ;   in Loop: Header=BB8_265 Depth=2
	s_mov_b32 s76, 0
	s_mov_b64 s[56:57], 0
                                        ; implicit-def: $sgpr58_sgpr59
                                        ; implicit-def: $sgpr60_sgpr61
	s_branch .LBB8_321
.LBB8_320:                              ;   in Loop: Header=BB8_321 Depth=3
	s_or_b64 exec, exec, s[38:39]
	s_and_b64 s[62:63], exec, vcc
	s_or_b64 s[56:57], s[62:63], s[56:57]
	s_andn2_b64 s[58:59], s[58:59], exec
	s_and_b64 s[62:63], s[60:61], exec
	s_or_b64 s[58:59], s[58:59], s[62:63]
	s_andn2_b64 exec, exec, s[56:57]
	s_cbranch_execz .LBB8_325
.LBB8_321:                              ;   Parent Loop BB8_47 Depth=1
                                        ;     Parent Loop BB8_265 Depth=2
                                        ; =>    This Inner Loop Header: Depth=3
	s_add_i32 s76, s76, 1
	s_cmpk_lg_i32 s76, 0x2710
	s_cselect_b64 s[62:63], -1, 0
	s_and_b64 vcc, exec, s[62:63]
	s_cbranch_vccz .LBB8_323
; %bb.322:                              ;   in Loop: Header=BB8_321 Depth=3
	s_mov_b64 vcc, -1
	s_or_b64 s[60:61], s[60:61], exec
	s_and_saveexec_b64 s[38:39], s[62:63]
	s_cbranch_execz .LBB8_320
	s_branch .LBB8_324
.LBB8_323:                              ;   in Loop: Header=BB8_321 Depth=3
	s_trap 2
	ds_read_b64 v[10:11], v0
	s_andn2_b64 s[62:63], s[62:63], exec
	s_mov_b32 s76, 0
	s_waitcnt vmcnt(0) lgkmcnt(0)
	flat_load_dword v2, v[10:11] sc0 sc1
	s_waitcnt vmcnt(0) lgkmcnt(0)
	buffer_inv sc0 sc1
	v_cmp_eq_u32_e32 vcc, 0, v2
	s_and_b64 vcc, vcc, exec
	s_or_b64 s[62:63], s[62:63], vcc
	s_mov_b64 vcc, -1
	s_or_b64 s[60:61], s[60:61], exec
	s_and_saveexec_b64 s[38:39], s[62:63]
	s_cbranch_execz .LBB8_320
.LBB8_324:                              ;   in Loop: Header=BB8_321 Depth=3
	s_sleep 1
	s_trap 2
	ds_read_b64 v[10:11], v0
	s_waitcnt lgkmcnt(0)
	s_andn2_b64 s[60:61], s[60:61], exec
	v_cmp_ge_u64_e32 vcc, v[10:11], v[38:39]
	s_orn2_b64 vcc, vcc, exec
	s_branch .LBB8_320
.LBB8_325:                              ;   in Loop: Header=BB8_265 Depth=2
	s_or_b64 exec, exec, s[56:57]
	s_and_saveexec_b64 s[56:57], s[58:59]
	s_xor_b64 s[56:57], exec, s[56:57]
	s_cbranch_execz .LBB8_327
; %bb.326:                              ;   in Loop: Header=BB8_265 Depth=2
	ds_write_b32 v0, v74
	s_trap 2
.LBB8_327:                              ;   in Loop: Header=BB8_265 Depth=2
	s_or_b64 exec, exec, s[46:47]
	;;#ASMSTART
	s_wakeup
	;;#ASMEND
.LBB8_328:                              ;   in Loop: Header=BB8_265 Depth=2
	s_or_b64 exec, exec, s[44:45]
.LBB8_329:                              ;   in Loop: Header=BB8_265 Depth=2
	s_andn2_saveexec_b64 s[28:29], s[28:29]
	s_cbranch_execz .LBB8_331
; %bb.330:                              ;   in Loop: Header=BB8_265 Depth=2
	s_waitcnt lgkmcnt(0)
	s_barrier
.LBB8_331:                              ;   in Loop: Header=BB8_265 Depth=2
	s_or_b64 exec, exec, s[28:29]
.LBB8_332:                              ;   in Loop: Header=BB8_265 Depth=2
	s_or_b64 exec, exec, s[26:27]
	s_trap 2
	ds_read_b64 v[18:19], v0
	s_waitcnt lgkmcnt(0)
	v_cmp_eq_u64_e32 vcc, 0, v[18:19]
	s_cbranch_vccnz .LBB8_340
; %bb.333:                              ;   in Loop: Header=BB8_265 Depth=2
	s_trap 2
	ds_read_b64 v[20:21], v0
	s_waitcnt lgkmcnt(0)
	v_cmp_eq_u64_e32 vcc, 0, v[20:21]
	s_cbranch_vccnz .LBB8_340
; %bb.334:                              ;   in Loop: Header=BB8_265 Depth=2
	s_trap 2
	ds_read_b64 v[10:11], v0
	s_mov_b64 s[26:27], -1
	s_waitcnt lgkmcnt(0)
	v_readfirstlane_b32 s60, v10
	s_and_saveexec_b64 s[28:29], s[20:21]
	s_cbranch_execz .LBB8_336
; %bb.335:                              ;   in Loop: Header=BB8_265 Depth=2
	ds_read_b32 v2, v0 offset:720
	s_waitcnt lgkmcnt(0)
	v_and_b32_e32 v2, 15, v2
	v_cmp_eq_u32_e32 vcc, 0, v2
	s_orn2_b64 s[26:27], vcc, exec
.LBB8_336:                              ;   in Loop: Header=BB8_265 Depth=2
	s_or_b64 exec, exec, s[28:29]
	s_and_saveexec_b64 s[28:29], s[18:19]
	s_cbranch_execz .LBB8_338
; %bb.337:                              ;   in Loop: Header=BB8_265 Depth=2
	ds_read_b32 v2, v0 offset:784
	s_waitcnt lgkmcnt(0)
	v_and_b32_e32 v2, 15, v2
	v_cmp_eq_u32_e32 vcc, 0, v2
	s_and_b64 s[44:45], s[26:27], vcc
	s_andn2_b64 s[26:27], s[26:27], exec
	s_and_b64 s[44:45], s[44:45], exec
	s_or_b64 s[26:27], s[26:27], s[44:45]
.LBB8_338:                              ;   in Loop: Header=BB8_265 Depth=2
	s_or_b64 exec, exec, s[28:29]
	v_cmp_eq_u32_e32 vcc, 0, v8
	s_xor_b64 s[26:27], s[26:27], -1
	v_cndmask_b32_e64 v8, 0, 1, s[26:27]
	v_cndmask_b32_e32 v2, 0, v16, vcc
	v_lshlrev_b32_e32 v17, 1, v2
	s_mov_b64 s[46:47], -1
	v_cmp_ne_u32_e32 vcc, 0, v8
	v_mov_b32_e32 v14, 0
	s_cbranch_vccz .LBB8_341
; %bb.339:                              ;   in Loop: Header=BB8_265 Depth=2
	v_mov_b32_e32 v15, v0
	s_and_saveexec_b64 s[28:29], s[46:47]
	s_cbranch_execnz .LBB8_416
	s_branch .LBB8_444
.LBB8_340:                              ;   in Loop: Header=BB8_265 Depth=2
	s_mov_b64 s[26:27], 0
	s_and_saveexec_b64 s[28:29], s[6:7]
	s_cbranch_execnz .LBB8_445
	s_branch .LBB8_463
.LBB8_341:                              ;   in Loop: Header=BB8_265 Depth=2
	v_ashrrev_i32_e32 v8, 31, v17
	v_lshrrev_b32_e32 v8, 22, v8
	v_add_u32_e32 v8, v17, v8
	v_and_b32_e32 v43, 0xfffffc00, v8
	v_ashrrev_i32_e32 v9, 10, v8
	v_sub_u32_e32 v45, v17, v43
	v_sub_u32_e32 v8, v9, v73
	v_cmp_lt_i32_e32 vcc, 15, v45
	v_sub_u32_e32 v42, v17, v54
	s_nop 0
	v_addc_co_u32_e64 v44, s[26:27], 0, v8, vcc
	v_cmp_lt_i32_e64 s[26:27], 15, v42
	s_and_saveexec_b64 s[44:45], s[26:27]
	s_cbranch_execz .LBB8_377
; %bb.342:                              ;   in Loop: Header=BB8_265 Depth=2
	s_trap 2
	ds_read_b64 v[8:9], v0
	s_and_b32 s76, s60, 1
	s_cmp_eq_u64 s[76:77], 0
	v_lshl_add_u64 v[22:23], v[18:19], 0, v[54:55]
	v_lshl_add_u64 v[118:119], v[20:21], 0, v[54:55]
	s_waitcnt lgkmcnt(0)
	v_lshl_add_u64 v[40:41], v[8:9], 0, v[54:55]
	s_mov_b64 s[46:47], 0
	s_cselect_b64 s[26:27], -1, 0
	s_branch .LBB8_344
.LBB8_343:                              ;   in Loop: Header=BB8_344 Depth=3
	s_or_b64 exec, exec, s[56:57]
	v_lshrrev_b32_e32 v12, 16, v12
	v_and_or_b32 v9, v9, s70, v12
	v_lshrrev_b32_e32 v12, 16, v46
	v_and_or_b32 v8, v8, s70, v12
	;; [unrolled: 2-line block ×3, first 2 shown]
	v_lshrrev_b32_e32 v12, 16, v14
	v_sub_u32_e32 v42, v42, v80
	v_and_or_b32 v11, v11, s70, v12
	v_cmp_gt_i32_e64 s[28:29], 16, v42
	global_store_dwordx4 v[118:119], v[8:11], off
	v_lshl_add_u64 v[22:23], v[22:23], 0, v[80:81]
	v_lshl_add_u64 v[40:41], v[40:41], 0, v[80:81]
	;; [unrolled: 1-line block ×3, first 2 shown]
	s_or_b64 s[46:47], s[28:29], s[46:47]
	v_sub_u32_e32 v44, v44, v52
	s_andn2_b64 exec, exec, s[46:47]
	s_cbranch_execz .LBB8_376
.LBB8_344:                              ;   Parent Loop BB8_47 Depth=1
                                        ;     Parent Loop BB8_265 Depth=2
                                        ; =>    This Inner Loop Header: Depth=3
	global_load_dwordx4 v[8:11], v[40:41], off nt
	global_load_dwordx4 v[12:15], v[22:23], off nt
	s_waitcnt vmcnt(0)
	v_lshlrev_b32_e32 v46, 16, v8
	v_lshlrev_b32_e32 v47, 16, v12
	v_max_f32_e32 v46, v46, v46
	v_max_f32_e32 v47, v47, v47
	v_min_f32_e32 v56, v47, v46
	v_max_f32_e32 v46, v47, v46
	v_cndmask_b32_e64 v47, v46, v56, s[26:27]
	v_and_b32_e32 v46, 0x7f800000, v47
	v_cmp_ne_u32_e64 s[28:29], s68, v46
                                        ; implicit-def: $vgpr46
	s_and_saveexec_b64 s[56:57], s[28:29]
	s_xor_b64 s[28:29], exec, s[56:57]
; %bb.345:                              ;   in Loop: Header=BB8_344 Depth=3
	v_bfe_u32 v46, v47, 16, 1
	v_add3_u32 v46, v47, v46, s69
                                        ; implicit-def: $vgpr47
; %bb.346:                              ;   in Loop: Header=BB8_344 Depth=3
	s_andn2_saveexec_b64 s[56:57], s[28:29]
; %bb.347:                              ;   in Loop: Header=BB8_344 Depth=3
	v_or_b32_e32 v46, 0x10000, v47
	v_cmp_eq_u32_sdwa s[28:29], v47, v3 src0_sel:WORD_0 src1_sel:DWORD
	s_nop 1
	v_cndmask_b32_e64 v46, v46, v47, s[28:29]
; %bb.348:                              ;   in Loop: Header=BB8_344 Depth=3
	s_or_b64 exec, exec, s[56:57]
	v_and_b32_e32 v8, 0xffff0000, v8
	v_and_b32_e32 v12, 0xffff0000, v12
	v_max_f32_e32 v8, v8, v8
	v_max_f32_e32 v12, v12, v12
	v_min_f32_e32 v47, v12, v8
	v_max_f32_e32 v8, v12, v8
	v_cndmask_b32_e64 v12, v8, v47, s[26:27]
	v_and_b32_e32 v8, 0x7f800000, v12
	v_cmp_ne_u32_e64 s[28:29], s68, v8
                                        ; implicit-def: $vgpr8
	s_and_saveexec_b64 s[56:57], s[28:29]
	s_xor_b64 s[28:29], exec, s[56:57]
; %bb.349:                              ;   in Loop: Header=BB8_344 Depth=3
	v_bfe_u32 v8, v12, 16, 1
	v_add3_u32 v8, v12, v8, s69
                                        ; implicit-def: $vgpr12
; %bb.350:                              ;   in Loop: Header=BB8_344 Depth=3
	s_andn2_saveexec_b64 s[56:57], s[28:29]
; %bb.351:                              ;   in Loop: Header=BB8_344 Depth=3
	v_or_b32_e32 v8, 0x10000, v12
	v_cmp_eq_u32_sdwa s[28:29], v12, v3 src0_sel:WORD_0 src1_sel:DWORD
	s_nop 1
	v_cndmask_b32_e64 v8, v8, v12, s[28:29]
; %bb.352:                              ;   in Loop: Header=BB8_344 Depth=3
	s_or_b64 exec, exec, s[56:57]
	v_lshlrev_b32_e32 v12, 16, v9
	v_lshlrev_b32_e32 v47, 16, v13
	v_max_f32_e32 v12, v12, v12
	v_max_f32_e32 v47, v47, v47
	v_min_f32_e32 v56, v47, v12
	v_max_f32_e32 v12, v47, v12
	v_cndmask_b32_e64 v47, v12, v56, s[26:27]
	v_and_b32_e32 v12, 0x7f800000, v47
	v_cmp_ne_u32_e64 s[28:29], s68, v12
                                        ; implicit-def: $vgpr12
	s_and_saveexec_b64 s[56:57], s[28:29]
	s_xor_b64 s[28:29], exec, s[56:57]
; %bb.353:                              ;   in Loop: Header=BB8_344 Depth=3
	v_bfe_u32 v12, v47, 16, 1
	v_add3_u32 v12, v47, v12, s69
                                        ; implicit-def: $vgpr47
; %bb.354:                              ;   in Loop: Header=BB8_344 Depth=3
	s_andn2_saveexec_b64 s[56:57], s[28:29]
; %bb.355:                              ;   in Loop: Header=BB8_344 Depth=3
	v_or_b32_e32 v12, 0x10000, v47
	v_cmp_eq_u32_sdwa s[28:29], v47, v3 src0_sel:WORD_0 src1_sel:DWORD
	s_nop 1
	v_cndmask_b32_e64 v12, v12, v47, s[28:29]
; %bb.356:                              ;   in Loop: Header=BB8_344 Depth=3
	s_or_b64 exec, exec, s[56:57]
	v_and_b32_e32 v13, 0xffff0000, v13
	v_and_b32_e32 v9, 0xffff0000, v9
	v_max_f32_e32 v9, v9, v9
	v_max_f32_e32 v13, v13, v13
	v_min_f32_e32 v47, v13, v9
	v_max_f32_e32 v9, v13, v9
	v_cndmask_b32_e64 v13, v9, v47, s[26:27]
	v_and_b32_e32 v9, 0x7f800000, v13
	v_cmp_ne_u32_e64 s[28:29], s68, v9
                                        ; implicit-def: $vgpr9
	s_and_saveexec_b64 s[56:57], s[28:29]
	s_xor_b64 s[28:29], exec, s[56:57]
; %bb.357:                              ;   in Loop: Header=BB8_344 Depth=3
	v_bfe_u32 v9, v13, 16, 1
	v_add3_u32 v9, v13, v9, s69
                                        ; implicit-def: $vgpr13
; %bb.358:                              ;   in Loop: Header=BB8_344 Depth=3
	s_andn2_saveexec_b64 s[56:57], s[28:29]
; %bb.359:                              ;   in Loop: Header=BB8_344 Depth=3
	v_or_b32_e32 v9, 0x10000, v13
	v_cmp_eq_u32_sdwa s[28:29], v13, v3 src0_sel:WORD_0 src1_sel:DWORD
	s_nop 1
	v_cndmask_b32_e64 v9, v9, v13, s[28:29]
; %bb.360:                              ;   in Loop: Header=BB8_344 Depth=3
	s_or_b64 exec, exec, s[56:57]
	v_lshlrev_b32_e32 v13, 16, v10
	v_lshlrev_b32_e32 v47, 16, v14
	v_max_f32_e32 v13, v13, v13
	v_max_f32_e32 v47, v47, v47
	v_min_f32_e32 v56, v47, v13
	v_max_f32_e32 v13, v47, v13
	v_cndmask_b32_e64 v47, v13, v56, s[26:27]
	v_and_b32_e32 v13, 0x7f800000, v47
	v_cmp_ne_u32_e64 s[28:29], s68, v13
                                        ; implicit-def: $vgpr13
	s_and_saveexec_b64 s[56:57], s[28:29]
	s_xor_b64 s[28:29], exec, s[56:57]
; %bb.361:                              ;   in Loop: Header=BB8_344 Depth=3
	v_bfe_u32 v13, v47, 16, 1
	v_add3_u32 v13, v47, v13, s69
                                        ; implicit-def: $vgpr47
; %bb.362:                              ;   in Loop: Header=BB8_344 Depth=3
	s_andn2_saveexec_b64 s[56:57], s[28:29]
; %bb.363:                              ;   in Loop: Header=BB8_344 Depth=3
	v_or_b32_e32 v13, 0x10000, v47
	v_cmp_eq_u32_sdwa s[28:29], v47, v3 src0_sel:WORD_0 src1_sel:DWORD
	s_nop 1
	v_cndmask_b32_e64 v13, v13, v47, s[28:29]
; %bb.364:                              ;   in Loop: Header=BB8_344 Depth=3
	s_or_b64 exec, exec, s[56:57]
	v_and_b32_e32 v14, 0xffff0000, v14
	v_and_b32_e32 v10, 0xffff0000, v10
	v_max_f32_e32 v10, v10, v10
	v_max_f32_e32 v14, v14, v14
	v_min_f32_e32 v47, v14, v10
	v_max_f32_e32 v10, v14, v10
	v_cndmask_b32_e64 v14, v10, v47, s[26:27]
	v_and_b32_e32 v10, 0x7f800000, v14
	v_cmp_ne_u32_e64 s[28:29], s68, v10
                                        ; implicit-def: $vgpr10
	s_and_saveexec_b64 s[56:57], s[28:29]
	s_xor_b64 s[28:29], exec, s[56:57]
; %bb.365:                              ;   in Loop: Header=BB8_344 Depth=3
	v_bfe_u32 v10, v14, 16, 1
	v_add3_u32 v10, v14, v10, s69
                                        ; implicit-def: $vgpr14
; %bb.366:                              ;   in Loop: Header=BB8_344 Depth=3
	s_andn2_saveexec_b64 s[56:57], s[28:29]
; %bb.367:                              ;   in Loop: Header=BB8_344 Depth=3
	v_or_b32_e32 v10, 0x10000, v14
	v_cmp_eq_u32_sdwa s[28:29], v14, v3 src0_sel:WORD_0 src1_sel:DWORD
	s_nop 1
	v_cndmask_b32_e64 v10, v10, v14, s[28:29]
; %bb.368:                              ;   in Loop: Header=BB8_344 Depth=3
	s_or_b64 exec, exec, s[56:57]
	v_lshlrev_b32_e32 v14, 16, v11
	v_lshlrev_b32_e32 v47, 16, v15
	v_max_f32_e32 v14, v14, v14
	v_max_f32_e32 v47, v47, v47
	v_min_f32_e32 v56, v47, v14
	v_max_f32_e32 v14, v47, v14
	v_cndmask_b32_e64 v47, v14, v56, s[26:27]
	v_and_b32_e32 v14, 0x7f800000, v47
	v_cmp_ne_u32_e64 s[28:29], s68, v14
                                        ; implicit-def: $vgpr14
	s_and_saveexec_b64 s[56:57], s[28:29]
	s_xor_b64 s[28:29], exec, s[56:57]
; %bb.369:                              ;   in Loop: Header=BB8_344 Depth=3
	v_bfe_u32 v14, v47, 16, 1
	v_add3_u32 v14, v47, v14, s69
                                        ; implicit-def: $vgpr47
; %bb.370:                              ;   in Loop: Header=BB8_344 Depth=3
	s_andn2_saveexec_b64 s[56:57], s[28:29]
; %bb.371:                              ;   in Loop: Header=BB8_344 Depth=3
	v_or_b32_e32 v14, 0x10000, v47
	v_cmp_eq_u32_sdwa s[28:29], v47, v3 src0_sel:WORD_0 src1_sel:DWORD
	s_nop 1
	v_cndmask_b32_e64 v14, v14, v47, s[28:29]
; %bb.372:                              ;   in Loop: Header=BB8_344 Depth=3
	s_or_b64 exec, exec, s[56:57]
	v_and_b32_e32 v15, 0xffff0000, v15
	v_and_b32_e32 v11, 0xffff0000, v11
	v_max_f32_e32 v11, v11, v11
	v_max_f32_e32 v15, v15, v15
	v_min_f32_e32 v47, v15, v11
	v_max_f32_e32 v11, v15, v11
	v_cndmask_b32_e64 v15, v11, v47, s[26:27]
	v_and_b32_e32 v11, 0x7f800000, v15
	v_cmp_ne_u32_e64 s[28:29], s68, v11
                                        ; implicit-def: $vgpr11
	s_and_saveexec_b64 s[56:57], s[28:29]
	s_xor_b64 s[28:29], exec, s[56:57]
; %bb.373:                              ;   in Loop: Header=BB8_344 Depth=3
	v_bfe_u32 v11, v15, 16, 1
	v_add3_u32 v11, v15, v11, s69
                                        ; implicit-def: $vgpr15
; %bb.374:                              ;   in Loop: Header=BB8_344 Depth=3
	s_andn2_saveexec_b64 s[56:57], s[28:29]
	s_cbranch_execz .LBB8_343
; %bb.375:                              ;   in Loop: Header=BB8_344 Depth=3
	v_or_b32_e32 v11, 0x10000, v15
	v_cmp_eq_u32_sdwa s[28:29], v15, v3 src0_sel:WORD_0 src1_sel:DWORD
	s_nop 1
	v_cndmask_b32_e64 v11, v11, v15, s[28:29]
	s_branch .LBB8_343
.LBB8_376:                              ;   in Loop: Header=BB8_265 Depth=2
	s_or_b64 exec, exec, s[46:47]
.LBB8_377:                              ;   in Loop: Header=BB8_265 Depth=2
	s_or_b64 exec, exec, s[44:45]
	v_and_b32_e32 v8, 14, v17
	v_cndmask_b32_e32 v42, v45, v8, vcc
	v_mov_b32_e32 v14, 0
	v_cmp_ne_u32_e64 s[26:27], 0, v42
	s_mov_b64 s[46:47], 0
                                        ; implicit-def: $vgpr17
                                        ; implicit-def: $vgpr15
	s_and_saveexec_b64 s[44:45], s[26:27]
	s_cbranch_execz .LBB8_415
; %bb.378:                              ;   in Loop: Header=BB8_265 Depth=2
	v_sub_u32_e32 v8, v45, v8
	v_cndmask_b32_e32 v8, 0, v8, vcc
	v_cmp_lt_i32_e32 vcc, 0, v44
	v_add_u32_e32 v17, v8, v43
	s_nop 0
	v_cndmask_b32_e32 v8, 0, v52, vcc
	v_sub_u32_e32 v8, v8, v44
	v_lshl_or_b32 v8, v8, 6, v72
	v_ashrrev_i32_e32 v9, 31, v8
	v_lshrrev_b32_e32 v9, 26, v9
	v_add_u32_e32 v9, v8, v9
	v_ashrrev_i32_e32 v10, 6, v9
	v_and_b32_e32 v9, 0xffffffc0, v9
	v_sub_u32_e32 v43, v8, v9
	v_ashrrev_i32_e32 v9, 31, v42
	v_lshrrev_b32_e32 v9, 22, v9
	v_add_u32_e32 v9, v42, v9
	v_and_b32_e32 v44, 0xfffffc00, v9
	v_lshlrev_b32_e32 v8, 4, v43
	v_sub_u32_e32 v45, v42, v44
	v_lshl_add_u32 v8, v10, 10, v8
	v_ashrrev_i32_e32 v11, 10, v9
	v_cmp_lt_i32_e32 vcc, 15, v45
	v_sub_u32_e32 v47, v42, v8
	s_nop 0
	v_addc_co_u32_e64 v9, s[26:27], 0, v11, vcc
	v_sub_u32_e32 v46, v9, v10
	v_cmp_lt_i32_e64 s[26:27], 15, v47
	s_and_saveexec_b64 s[46:47], s[26:27]
	s_cbranch_execz .LBB8_414
; %bb.379:                              ;   in Loop: Header=BB8_265 Depth=2
	s_trap 2
	ds_read_b64 v[10:11], v0
	v_add_u32_e32 v8, v8, v17
	s_and_b32 s76, s60, 1
	v_ashrrev_i32_e32 v9, 31, v8
	s_cmp_eq_u64 s[76:77], 0
	v_lshl_add_u64 v[22:23], v[8:9], 0, v[18:19]
	s_waitcnt lgkmcnt(0)
	v_lshl_add_u64 v[118:119], v[10:11], 0, v[8:9]
	v_lshl_add_u64 v[40:41], v[8:9], 0, v[20:21]
	s_mov_b64 s[56:57], 0
	s_cselect_b64 s[26:27], -1, 0
	s_branch .LBB8_381
.LBB8_380:                              ;   in Loop: Header=BB8_381 Depth=3
	s_or_b64 exec, exec, s[58:59]
	v_lshrrev_b32_e32 v12, 16, v12
	v_and_or_b32 v9, v9, s70, v12
	v_lshrrev_b32_e32 v12, 16, v56
	v_and_or_b32 v8, v8, s70, v12
	;; [unrolled: 2-line block ×3, first 2 shown]
	v_lshrrev_b32_e32 v12, 16, v14
	v_sub_u32_e32 v47, v47, v80
	v_and_or_b32 v11, v11, s70, v12
	v_cmp_gt_i32_e64 s[28:29], 16, v47
	global_store_dwordx4 v[40:41], v[8:11], off
	v_lshl_add_u64 v[22:23], v[22:23], 0, v[80:81]
	v_lshl_add_u64 v[118:119], v[118:119], 0, v[80:81]
	;; [unrolled: 1-line block ×3, first 2 shown]
	s_or_b64 s[56:57], s[28:29], s[56:57]
	v_sub_u32_e32 v46, v46, v52
	s_andn2_b64 exec, exec, s[56:57]
	s_cbranch_execz .LBB8_413
.LBB8_381:                              ;   Parent Loop BB8_47 Depth=1
                                        ;     Parent Loop BB8_265 Depth=2
                                        ; =>    This Inner Loop Header: Depth=3
	global_load_dwordx4 v[8:11], v[118:119], off nt
	global_load_dwordx4 v[12:15], v[22:23], off nt
	s_waitcnt vmcnt(0)
	v_lshlrev_b32_e32 v56, 16, v8
	v_lshlrev_b32_e32 v57, 16, v12
	v_max_f32_e32 v56, v56, v56
	v_max_f32_e32 v57, v57, v57
	v_min_f32_e32 v58, v57, v56
	v_max_f32_e32 v56, v57, v56
	v_cndmask_b32_e64 v57, v56, v58, s[26:27]
	v_and_b32_e32 v56, 0x7f800000, v57
	v_cmp_ne_u32_e64 s[28:29], s68, v56
                                        ; implicit-def: $vgpr56
	s_and_saveexec_b64 s[58:59], s[28:29]
	s_xor_b64 s[28:29], exec, s[58:59]
; %bb.382:                              ;   in Loop: Header=BB8_381 Depth=3
	v_bfe_u32 v56, v57, 16, 1
	v_add3_u32 v56, v57, v56, s69
                                        ; implicit-def: $vgpr57
; %bb.383:                              ;   in Loop: Header=BB8_381 Depth=3
	s_andn2_saveexec_b64 s[58:59], s[28:29]
; %bb.384:                              ;   in Loop: Header=BB8_381 Depth=3
	v_or_b32_e32 v56, 0x10000, v57
	v_cmp_eq_u32_sdwa s[28:29], v57, v3 src0_sel:WORD_0 src1_sel:DWORD
	s_nop 1
	v_cndmask_b32_e64 v56, v56, v57, s[28:29]
; %bb.385:                              ;   in Loop: Header=BB8_381 Depth=3
	s_or_b64 exec, exec, s[58:59]
	v_and_b32_e32 v8, 0xffff0000, v8
	v_and_b32_e32 v12, 0xffff0000, v12
	v_max_f32_e32 v8, v8, v8
	v_max_f32_e32 v12, v12, v12
	v_min_f32_e32 v57, v12, v8
	v_max_f32_e32 v8, v12, v8
	v_cndmask_b32_e64 v12, v8, v57, s[26:27]
	v_and_b32_e32 v8, 0x7f800000, v12
	v_cmp_ne_u32_e64 s[28:29], s68, v8
                                        ; implicit-def: $vgpr8
	s_and_saveexec_b64 s[58:59], s[28:29]
	s_xor_b64 s[28:29], exec, s[58:59]
; %bb.386:                              ;   in Loop: Header=BB8_381 Depth=3
	v_bfe_u32 v8, v12, 16, 1
	v_add3_u32 v8, v12, v8, s69
                                        ; implicit-def: $vgpr12
; %bb.387:                              ;   in Loop: Header=BB8_381 Depth=3
	s_andn2_saveexec_b64 s[58:59], s[28:29]
; %bb.388:                              ;   in Loop: Header=BB8_381 Depth=3
	v_or_b32_e32 v8, 0x10000, v12
	v_cmp_eq_u32_sdwa s[28:29], v12, v3 src0_sel:WORD_0 src1_sel:DWORD
	s_nop 1
	v_cndmask_b32_e64 v8, v8, v12, s[28:29]
; %bb.389:                              ;   in Loop: Header=BB8_381 Depth=3
	s_or_b64 exec, exec, s[58:59]
	v_lshlrev_b32_e32 v12, 16, v9
	v_lshlrev_b32_e32 v57, 16, v13
	v_max_f32_e32 v12, v12, v12
	v_max_f32_e32 v57, v57, v57
	v_min_f32_e32 v58, v57, v12
	v_max_f32_e32 v12, v57, v12
	v_cndmask_b32_e64 v57, v12, v58, s[26:27]
	v_and_b32_e32 v12, 0x7f800000, v57
	v_cmp_ne_u32_e64 s[28:29], s68, v12
                                        ; implicit-def: $vgpr12
	s_and_saveexec_b64 s[58:59], s[28:29]
	s_xor_b64 s[28:29], exec, s[58:59]
; %bb.390:                              ;   in Loop: Header=BB8_381 Depth=3
	v_bfe_u32 v12, v57, 16, 1
	v_add3_u32 v12, v57, v12, s69
                                        ; implicit-def: $vgpr57
; %bb.391:                              ;   in Loop: Header=BB8_381 Depth=3
	s_andn2_saveexec_b64 s[58:59], s[28:29]
; %bb.392:                              ;   in Loop: Header=BB8_381 Depth=3
	v_or_b32_e32 v12, 0x10000, v57
	v_cmp_eq_u32_sdwa s[28:29], v57, v3 src0_sel:WORD_0 src1_sel:DWORD
	s_nop 1
	v_cndmask_b32_e64 v12, v12, v57, s[28:29]
; %bb.393:                              ;   in Loop: Header=BB8_381 Depth=3
	s_or_b64 exec, exec, s[58:59]
	v_and_b32_e32 v13, 0xffff0000, v13
	v_and_b32_e32 v9, 0xffff0000, v9
	v_max_f32_e32 v9, v9, v9
	v_max_f32_e32 v13, v13, v13
	v_min_f32_e32 v57, v13, v9
	v_max_f32_e32 v9, v13, v9
	v_cndmask_b32_e64 v13, v9, v57, s[26:27]
	v_and_b32_e32 v9, 0x7f800000, v13
	v_cmp_ne_u32_e64 s[28:29], s68, v9
                                        ; implicit-def: $vgpr9
	s_and_saveexec_b64 s[58:59], s[28:29]
	s_xor_b64 s[28:29], exec, s[58:59]
; %bb.394:                              ;   in Loop: Header=BB8_381 Depth=3
	v_bfe_u32 v9, v13, 16, 1
	v_add3_u32 v9, v13, v9, s69
                                        ; implicit-def: $vgpr13
; %bb.395:                              ;   in Loop: Header=BB8_381 Depth=3
	s_andn2_saveexec_b64 s[58:59], s[28:29]
; %bb.396:                              ;   in Loop: Header=BB8_381 Depth=3
	v_or_b32_e32 v9, 0x10000, v13
	v_cmp_eq_u32_sdwa s[28:29], v13, v3 src0_sel:WORD_0 src1_sel:DWORD
	s_nop 1
	v_cndmask_b32_e64 v9, v9, v13, s[28:29]
; %bb.397:                              ;   in Loop: Header=BB8_381 Depth=3
	s_or_b64 exec, exec, s[58:59]
	v_lshlrev_b32_e32 v13, 16, v10
	v_lshlrev_b32_e32 v57, 16, v14
	v_max_f32_e32 v13, v13, v13
	v_max_f32_e32 v57, v57, v57
	v_min_f32_e32 v58, v57, v13
	v_max_f32_e32 v13, v57, v13
	v_cndmask_b32_e64 v57, v13, v58, s[26:27]
	v_and_b32_e32 v13, 0x7f800000, v57
	v_cmp_ne_u32_e64 s[28:29], s68, v13
                                        ; implicit-def: $vgpr13
	s_and_saveexec_b64 s[58:59], s[28:29]
	s_xor_b64 s[28:29], exec, s[58:59]
; %bb.398:                              ;   in Loop: Header=BB8_381 Depth=3
	v_bfe_u32 v13, v57, 16, 1
	v_add3_u32 v13, v57, v13, s69
                                        ; implicit-def: $vgpr57
; %bb.399:                              ;   in Loop: Header=BB8_381 Depth=3
	s_andn2_saveexec_b64 s[58:59], s[28:29]
; %bb.400:                              ;   in Loop: Header=BB8_381 Depth=3
	v_or_b32_e32 v13, 0x10000, v57
	v_cmp_eq_u32_sdwa s[28:29], v57, v3 src0_sel:WORD_0 src1_sel:DWORD
	s_nop 1
	v_cndmask_b32_e64 v13, v13, v57, s[28:29]
; %bb.401:                              ;   in Loop: Header=BB8_381 Depth=3
	s_or_b64 exec, exec, s[58:59]
	v_and_b32_e32 v14, 0xffff0000, v14
	v_and_b32_e32 v10, 0xffff0000, v10
	v_max_f32_e32 v10, v10, v10
	v_max_f32_e32 v14, v14, v14
	v_min_f32_e32 v57, v14, v10
	v_max_f32_e32 v10, v14, v10
	v_cndmask_b32_e64 v14, v10, v57, s[26:27]
	v_and_b32_e32 v10, 0x7f800000, v14
	v_cmp_ne_u32_e64 s[28:29], s68, v10
                                        ; implicit-def: $vgpr10
	s_and_saveexec_b64 s[58:59], s[28:29]
	s_xor_b64 s[28:29], exec, s[58:59]
; %bb.402:                              ;   in Loop: Header=BB8_381 Depth=3
	v_bfe_u32 v10, v14, 16, 1
	v_add3_u32 v10, v14, v10, s69
                                        ; implicit-def: $vgpr14
; %bb.403:                              ;   in Loop: Header=BB8_381 Depth=3
	s_andn2_saveexec_b64 s[58:59], s[28:29]
; %bb.404:                              ;   in Loop: Header=BB8_381 Depth=3
	v_or_b32_e32 v10, 0x10000, v14
	v_cmp_eq_u32_sdwa s[28:29], v14, v3 src0_sel:WORD_0 src1_sel:DWORD
	s_nop 1
	v_cndmask_b32_e64 v10, v10, v14, s[28:29]
; %bb.405:                              ;   in Loop: Header=BB8_381 Depth=3
	s_or_b64 exec, exec, s[58:59]
	v_lshlrev_b32_e32 v14, 16, v11
	v_lshlrev_b32_e32 v57, 16, v15
	v_max_f32_e32 v14, v14, v14
	v_max_f32_e32 v57, v57, v57
	v_min_f32_e32 v58, v57, v14
	v_max_f32_e32 v14, v57, v14
	v_cndmask_b32_e64 v57, v14, v58, s[26:27]
	v_and_b32_e32 v14, 0x7f800000, v57
	v_cmp_ne_u32_e64 s[28:29], s68, v14
                                        ; implicit-def: $vgpr14
	s_and_saveexec_b64 s[58:59], s[28:29]
	s_xor_b64 s[28:29], exec, s[58:59]
; %bb.406:                              ;   in Loop: Header=BB8_381 Depth=3
	v_bfe_u32 v14, v57, 16, 1
	v_add3_u32 v14, v57, v14, s69
                                        ; implicit-def: $vgpr57
; %bb.407:                              ;   in Loop: Header=BB8_381 Depth=3
	s_andn2_saveexec_b64 s[58:59], s[28:29]
; %bb.408:                              ;   in Loop: Header=BB8_381 Depth=3
	v_or_b32_e32 v14, 0x10000, v57
	v_cmp_eq_u32_sdwa s[28:29], v57, v3 src0_sel:WORD_0 src1_sel:DWORD
	s_nop 1
	v_cndmask_b32_e64 v14, v14, v57, s[28:29]
; %bb.409:                              ;   in Loop: Header=BB8_381 Depth=3
	s_or_b64 exec, exec, s[58:59]
	v_and_b32_e32 v15, 0xffff0000, v15
	v_and_b32_e32 v11, 0xffff0000, v11
	v_max_f32_e32 v11, v11, v11
	v_max_f32_e32 v15, v15, v15
	v_min_f32_e32 v57, v15, v11
	v_max_f32_e32 v11, v15, v11
	v_cndmask_b32_e64 v15, v11, v57, s[26:27]
	v_and_b32_e32 v11, 0x7f800000, v15
	v_cmp_ne_u32_e64 s[28:29], s68, v11
                                        ; implicit-def: $vgpr11
	s_and_saveexec_b64 s[58:59], s[28:29]
	s_xor_b64 s[28:29], exec, s[58:59]
; %bb.410:                              ;   in Loop: Header=BB8_381 Depth=3
	v_bfe_u32 v11, v15, 16, 1
	v_add3_u32 v11, v15, v11, s69
                                        ; implicit-def: $vgpr15
; %bb.411:                              ;   in Loop: Header=BB8_381 Depth=3
	s_andn2_saveexec_b64 s[58:59], s[28:29]
	s_cbranch_execz .LBB8_380
; %bb.412:                              ;   in Loop: Header=BB8_381 Depth=3
	v_or_b32_e32 v11, 0x10000, v15
	v_cmp_eq_u32_sdwa s[28:29], v15, v3 src0_sel:WORD_0 src1_sel:DWORD
	s_nop 1
	v_cndmask_b32_e64 v11, v11, v15, s[28:29]
	s_branch .LBB8_380
.LBB8_413:                              ;   in Loop: Header=BB8_265 Depth=2
	s_or_b64 exec, exec, s[56:57]
.LBB8_414:                              ;   in Loop: Header=BB8_265 Depth=2
	s_or_b64 exec, exec, s[46:47]
	v_and_b32_e32 v8, 14, v42
	v_sub_u32_e32 v9, v45, v8
	v_cndmask_b32_e32 v9, 0, v9, vcc
	v_add3_u32 v14, v44, v17, v9
	v_cndmask_b32_e32 v17, v45, v8, vcc
	v_cmp_lt_i32_e32 vcc, 0, v46
	s_nop 1
	v_cndmask_b32_e32 v8, 0, v52, vcc
	v_sub_u32_e32 v8, v8, v46
	v_cmp_ne_u32_e32 vcc, 0, v17
	v_lshl_add_u32 v15, v8, 6, v43
	s_and_b64 s[46:47], vcc, exec
.LBB8_415:                              ;   in Loop: Header=BB8_265 Depth=2
	s_or_b64 exec, exec, s[44:45]
	s_and_saveexec_b64 s[28:29], s[46:47]
	s_cbranch_execz .LBB8_444
.LBB8_416:                              ;   in Loop: Header=BB8_265 Depth=2
	v_ashrrev_i32_e32 v8, 31, v15
	v_ashrrev_i32_e32 v9, 31, v17
	v_lshrrev_b32_e32 v8, 26, v8
	v_lshrrev_b32_e32 v9, 23, v9
	v_add_u32_e32 v8, v15, v8
	v_add_u32_e32 v9, v17, v9
	v_ashrrev_i32_e32 v22, 6, v8
	v_ashrrev_i32_e32 v118, 9, v9
	v_sub_u32_e32 v23, v118, v22
	v_cmp_lt_i32_e32 vcc, 0, v23
	s_and_saveexec_b64 s[44:45], vcc
	s_cbranch_execz .LBB8_436
; %bb.417:                              ;   in Loop: Header=BB8_265 Depth=2
	v_and_b32_e32 v8, 0x7fffffc0, v8
	s_trap 2
	ds_read_b64 v[10:11], v0
	v_sub_u32_e32 v8, v15, v8
	v_lshlrev_b32_e32 v8, 1, v8
	v_lshlrev_b32_e32 v9, 9, v22
	v_add3_u32 v12, v8, v14, v9
	s_and_b32 s76, s60, 1
	v_ashrrev_i32_e32 v13, 31, v12
	s_cmp_eq_u64 s[76:77], 0
	v_lshl_add_u64 v[8:9], v[12:13], 0, v[18:19]
	s_waitcnt lgkmcnt(0)
	v_lshl_add_u64 v[10:11], v[10:11], 0, v[12:13]
	v_lshl_add_u64 v[12:13], v[12:13], 0, v[20:21]
	s_mov_b64 s[46:47], 0
	s_cselect_b64 vcc, -1, 0
	s_branch .LBB8_419
.LBB8_418:                              ;   in Loop: Header=BB8_419 Depth=3
	s_or_b64 exec, exec, s[56:57]
	v_sub_u32_e32 v23, v23, v52
	v_cmp_gt_i32_e64 s[26:27], 1, v23
	flat_store_short_d16_hi v[12:13], v119 nt
	flat_store_short_d16_hi v[12:13], v42 offset:128 nt
	flat_store_short_d16_hi v[12:13], v43 offset:256 nt
	;; [unrolled: 1-line block ×3, first 2 shown]
	v_lshl_add_u64 v[8:9], v[8:9], 0, v[82:83]
	v_lshl_add_u64 v[10:11], v[10:11], 0, v[82:83]
	s_or_b64 s[46:47], s[26:27], s[46:47]
	v_lshl_add_u64 v[12:13], v[12:13], 0, v[82:83]
	s_andn2_b64 exec, exec, s[46:47]
	s_cbranch_execz .LBB8_435
.LBB8_419:                              ;   Parent Loop BB8_47 Depth=1
                                        ;     Parent Loop BB8_265 Depth=2
                                        ; =>    This Inner Loop Header: Depth=3
	flat_load_ushort v43, v[8:9] offset:256 nt
	flat_load_ushort v40, v[8:9] offset:384 nt
	flat_load_ushort v119, v[8:9] nt
	flat_load_ushort v44, v[10:11] offset:256 nt
	flat_load_ushort v41, v[10:11] offset:384 nt
	flat_load_ushort v46, v[10:11] nt
	flat_load_ushort v42, v[8:9] offset:128 nt
	flat_load_ushort v45, v[10:11] offset:128 nt
	s_waitcnt vmcnt(0) lgkmcnt(0)
	v_lshlrev_b32_e32 v119, 16, v119
	v_max_f32_e32 v119, v119, v119
	v_lshlrev_b32_e32 v46, 16, v46
	v_max_f32_e32 v46, v46, v46
	v_min_f32_e32 v47, v119, v46
	v_max_f32_e32 v119, v119, v46
	v_cndmask_b32_e32 v46, v119, v47, vcc
	v_and_b32_e32 v119, 0x7f800000, v46
	v_cmp_ne_u32_e64 s[26:27], s68, v119
                                        ; implicit-def: $vgpr119
	s_and_saveexec_b64 s[56:57], s[26:27]
	s_xor_b64 s[26:27], exec, s[56:57]
; %bb.420:                              ;   in Loop: Header=BB8_419 Depth=3
	v_bfe_u32 v119, v46, 16, 1
	v_add3_u32 v119, v46, v119, s69
                                        ; implicit-def: $vgpr46
; %bb.421:                              ;   in Loop: Header=BB8_419 Depth=3
	s_andn2_saveexec_b64 s[56:57], s[26:27]
; %bb.422:                              ;   in Loop: Header=BB8_419 Depth=3
	v_or_b32_e32 v119, 0x10000, v46
	v_cmp_eq_u32_sdwa s[26:27], v46, v3 src0_sel:WORD_0 src1_sel:DWORD
	s_nop 1
	v_cndmask_b32_e64 v119, v119, v46, s[26:27]
; %bb.423:                              ;   in Loop: Header=BB8_419 Depth=3
	s_or_b64 exec, exec, s[56:57]
	v_lshlrev_b32_e32 v42, 16, v42
	v_lshlrev_b32_e32 v45, 16, v45
	v_max_f32_e32 v45, v45, v45
	v_max_f32_e32 v42, v42, v42
	v_min_f32_e32 v46, v42, v45
	v_max_f32_e32 v42, v42, v45
	v_cndmask_b32_e32 v45, v42, v46, vcc
	v_and_b32_e32 v42, 0x7f800000, v45
	v_cmp_ne_u32_e64 s[26:27], s68, v42
                                        ; implicit-def: $vgpr42
	s_and_saveexec_b64 s[56:57], s[26:27]
	s_xor_b64 s[26:27], exec, s[56:57]
; %bb.424:                              ;   in Loop: Header=BB8_419 Depth=3
	v_bfe_u32 v42, v45, 16, 1
	v_add3_u32 v42, v45, v42, s69
                                        ; implicit-def: $vgpr45
; %bb.425:                              ;   in Loop: Header=BB8_419 Depth=3
	s_andn2_saveexec_b64 s[56:57], s[26:27]
; %bb.426:                              ;   in Loop: Header=BB8_419 Depth=3
	v_or_b32_e32 v42, 0x10000, v45
	v_cmp_eq_u32_sdwa s[26:27], v45, v3 src0_sel:WORD_0 src1_sel:DWORD
	s_nop 1
	v_cndmask_b32_e64 v42, v42, v45, s[26:27]
; %bb.427:                              ;   in Loop: Header=BB8_419 Depth=3
	s_or_b64 exec, exec, s[56:57]
	v_lshlrev_b32_e32 v43, 16, v43
	v_lshlrev_b32_e32 v44, 16, v44
	v_max_f32_e32 v44, v44, v44
	v_max_f32_e32 v43, v43, v43
	v_min_f32_e32 v45, v43, v44
	v_max_f32_e32 v43, v43, v44
	v_cndmask_b32_e32 v44, v43, v45, vcc
	v_and_b32_e32 v43, 0x7f800000, v44
	v_cmp_ne_u32_e64 s[26:27], s68, v43
                                        ; implicit-def: $vgpr43
	s_and_saveexec_b64 s[56:57], s[26:27]
	s_xor_b64 s[26:27], exec, s[56:57]
; %bb.428:                              ;   in Loop: Header=BB8_419 Depth=3
	v_bfe_u32 v43, v44, 16, 1
	v_add3_u32 v43, v44, v43, s69
                                        ; implicit-def: $vgpr44
; %bb.429:                              ;   in Loop: Header=BB8_419 Depth=3
	s_andn2_saveexec_b64 s[56:57], s[26:27]
; %bb.430:                              ;   in Loop: Header=BB8_419 Depth=3
	v_or_b32_e32 v43, 0x10000, v44
	v_cmp_eq_u32_sdwa s[26:27], v44, v3 src0_sel:WORD_0 src1_sel:DWORD
	s_nop 1
	v_cndmask_b32_e64 v43, v43, v44, s[26:27]
; %bb.431:                              ;   in Loop: Header=BB8_419 Depth=3
	s_or_b64 exec, exec, s[56:57]
	v_lshlrev_b32_e32 v40, 16, v40
	v_lshlrev_b32_e32 v41, 16, v41
	v_max_f32_e32 v41, v41, v41
	v_max_f32_e32 v40, v40, v40
	v_min_f32_e32 v44, v40, v41
	v_max_f32_e32 v40, v40, v41
	v_cndmask_b32_e32 v41, v40, v44, vcc
	v_and_b32_e32 v40, 0x7f800000, v41
	v_cmp_ne_u32_e64 s[26:27], s68, v40
                                        ; implicit-def: $vgpr40
	s_and_saveexec_b64 s[56:57], s[26:27]
	s_xor_b64 s[26:27], exec, s[56:57]
; %bb.432:                              ;   in Loop: Header=BB8_419 Depth=3
	v_bfe_u32 v40, v41, 16, 1
	v_add3_u32 v40, v41, v40, s69
                                        ; implicit-def: $vgpr41
; %bb.433:                              ;   in Loop: Header=BB8_419 Depth=3
	s_andn2_saveexec_b64 s[56:57], s[26:27]
	s_cbranch_execz .LBB8_418
; %bb.434:                              ;   in Loop: Header=BB8_419 Depth=3
	v_or_b32_e32 v40, 0x10000, v41
	v_cmp_eq_u32_sdwa s[26:27], v41, v3 src0_sel:WORD_0 src1_sel:DWORD
	s_nop 1
	v_cndmask_b32_e64 v40, v40, v41, s[26:27]
	s_branch .LBB8_418
.LBB8_435:                              ;   in Loop: Header=BB8_265 Depth=2
	s_or_b64 exec, exec, s[46:47]
.LBB8_436:                              ;   in Loop: Header=BB8_265 Depth=2
	s_or_b64 exec, exec, s[44:45]
	v_lshlrev_b32_e32 v8, 9, v118
	v_cmp_ne_u32_e32 vcc, v17, v8
	s_and_b64 exec, exec, vcc
	s_cbranch_execz .LBB8_444
; %bb.437:                              ;   in Loop: Header=BB8_265 Depth=2
	v_lshlrev_b32_e32 v9, 6, v22
	v_sub_u32_e32 v9, v15, v9
	v_lshlrev_b32_e32 v10, 6, v23
	v_sub_u32_e32 v9, v9, v10
	v_ashrrev_i32_e32 v10, 31, v9
	v_lshrrev_b32_e32 v10, 26, v10
	v_add_u32_e32 v10, v9, v10
	v_and_b32_e32 v11, 0x7fffffc0, v10
	v_sub_u32_e32 v9, v9, v11
	v_lshlrev_b32_e32 v10, 1, v10
	v_and_b32_e32 v10, 0xffffff80, v10
	v_lshlrev_b32_e32 v9, 1, v9
	v_add3_u32 v8, v10, v9, v8
	v_sub_u32_e32 v15, v17, v8
	v_cmp_lt_i32_e32 vcc, 1, v15
	s_and_b64 exec, exec, vcc
	s_cbranch_execz .LBB8_444
; %bb.438:                              ;   in Loop: Header=BB8_265 Depth=2
	s_trap 2
	ds_read_b64 v[10:11], v0
	v_add_u32_e32 v12, v8, v14
	s_and_b32 s76, s60, 1
	v_ashrrev_i32_e32 v13, 31, v12
	s_cmp_eq_u64 s[76:77], 0
	v_lshl_add_u64 v[8:9], v[12:13], 0, v[18:19]
	s_waitcnt lgkmcnt(0)
	v_lshl_add_u64 v[10:11], v[10:11], 0, v[12:13]
	v_lshl_add_u64 v[12:13], v[12:13], 0, v[20:21]
	s_mov_b64 s[44:45], 0
	s_cselect_b64 vcc, -1, 0
	s_branch .LBB8_440
.LBB8_439:                              ;   in Loop: Header=BB8_440 Depth=3
	s_or_b64 exec, exec, s[46:47]
	v_sub_u32_e32 v15, v15, v84
	v_cmp_gt_i32_e64 s[26:27], 2, v15
	flat_store_short_d16_hi v[12:13], v17 nt
	v_lshl_add_u64 v[8:9], v[8:9], 0, v[84:85]
	v_lshl_add_u64 v[10:11], v[10:11], 0, v[84:85]
	s_or_b64 s[44:45], s[26:27], s[44:45]
	v_lshl_add_u64 v[12:13], v[12:13], 0, v[84:85]
	s_andn2_b64 exec, exec, s[44:45]
	s_cbranch_execz .LBB8_444
.LBB8_440:                              ;   Parent Loop BB8_47 Depth=1
                                        ;     Parent Loop BB8_265 Depth=2
                                        ; =>    This Inner Loop Header: Depth=3
	flat_load_ushort v14, v[10:11] nt
	flat_load_ushort v17, v[8:9] nt
	s_waitcnt vmcnt(0) lgkmcnt(0)
	v_lshlrev_b32_e32 v14, 16, v14
	v_lshlrev_b32_e32 v17, 16, v17
	v_max_f32_e32 v14, v14, v14
	v_max_f32_e32 v17, v17, v17
	v_min_f32_e32 v18, v17, v14
	v_max_f32_e32 v14, v17, v14
	v_cndmask_b32_e32 v14, v14, v18, vcc
	v_and_b32_e32 v17, 0x7f800000, v14
	v_cmp_ne_u32_e64 s[26:27], s68, v17
                                        ; implicit-def: $vgpr17
	s_and_saveexec_b64 s[46:47], s[26:27]
	s_xor_b64 s[26:27], exec, s[46:47]
; %bb.441:                              ;   in Loop: Header=BB8_440 Depth=3
	v_bfe_u32 v17, v14, 16, 1
	v_add3_u32 v17, v14, v17, s69
                                        ; implicit-def: $vgpr14
; %bb.442:                              ;   in Loop: Header=BB8_440 Depth=3
	s_andn2_saveexec_b64 s[46:47], s[26:27]
	s_cbranch_execz .LBB8_439
; %bb.443:                              ;   in Loop: Header=BB8_440 Depth=3
	v_or_b32_e32 v17, 0x10000, v14
	v_cmp_eq_u32_sdwa s[26:27], v14, v3 src0_sel:WORD_0 src1_sel:DWORD
	s_nop 1
	v_cndmask_b32_e64 v17, v17, v14, s[26:27]
	s_branch .LBB8_439
.LBB8_444:                              ;   in Loop: Header=BB8_265 Depth=2
	s_or_b64 exec, exec, s[28:29]
	v_cmp_lt_i32_e64 s[26:27], 0, v2
	s_and_saveexec_b64 s[28:29], s[6:7]
	s_cbranch_execz .LBB8_463
.LBB8_445:                              ;   in Loop: Header=BB8_265 Depth=2
	s_and_saveexec_b64 s[44:45], s[78:79]
	s_xor_b64 s[44:45], exec, s[44:45]
	s_cbranch_execz .LBB8_460
; %bb.446:                              ;   in Loop: Header=BB8_265 Depth=2
	s_and_saveexec_b64 s[46:47], s[14:15]
	s_cbranch_execz .LBB8_459
; %bb.447:                              ;   in Loop: Header=BB8_265 Depth=2
	s_mov_b64 s[58:59], exec
	v_mbcnt_lo_u32_b32 v2, s58, 0
	v_mbcnt_hi_u32_b32 v2, s59, v2
	v_cmp_eq_u32_e32 vcc, 0, v2
	s_waitcnt lgkmcnt(0)
	s_and_saveexec_b64 s[56:57], vcc
	s_cbranch_execz .LBB8_449
; %bb.448:                              ;   in Loop: Header=BB8_265 Depth=2
	s_bcnt1_i32_b64 s58, s[58:59]
	v_mov_b32_e32 v2, s58
	ds_add_u64 v0, v[2:3]
	s_trap 2
.LBB8_449:                              ;   in Loop: Header=BB8_265 Depth=2
	s_or_b64 exec, exec, s[56:57]
	s_trap 2
	ds_read_b64 v[8:9], v0
	s_waitcnt lgkmcnt(0)
	v_lshl_add_u64 v[38:39], v[38:39], 0, v[52:53]
	v_cmp_lt_u64_e32 vcc, v[8:9], v[38:39]
	s_and_saveexec_b64 s[56:57], vcc
	s_cbranch_execz .LBB8_458
; %bb.450:                              ;   in Loop: Header=BB8_265 Depth=2
	s_mov_b32 s76, 0
	s_mov_b64 s[58:59], 0
                                        ; implicit-def: $sgpr60_sgpr61
                                        ; implicit-def: $sgpr62_sgpr63
	s_branch .LBB8_452
.LBB8_451:                              ;   in Loop: Header=BB8_452 Depth=3
	s_or_b64 exec, exec, s[48:49]
	s_and_b64 vcc, exec, vcc
	s_or_b64 s[58:59], vcc, s[58:59]
	s_andn2_b64 s[60:61], s[60:61], exec
	s_and_b64 vcc, s[62:63], exec
	s_or_b64 s[60:61], s[60:61], vcc
	s_andn2_b64 exec, exec, s[58:59]
	s_cbranch_execz .LBB8_456
.LBB8_452:                              ;   Parent Loop BB8_47 Depth=1
                                        ;     Parent Loop BB8_265 Depth=2
                                        ; =>    This Inner Loop Header: Depth=3
	s_add_i32 s76, s76, 1
	s_cmpk_lg_i32 s76, 0x2710
	s_cselect_b64 s[38:39], -1, 0
	s_and_b64 vcc, exec, s[38:39]
	s_cbranch_vccz .LBB8_454
; %bb.453:                              ;   in Loop: Header=BB8_452 Depth=3
	s_mov_b64 vcc, -1
	s_or_b64 s[62:63], s[62:63], exec
	s_and_saveexec_b64 s[48:49], s[38:39]
	s_cbranch_execz .LBB8_451
	s_branch .LBB8_455
.LBB8_454:                              ;   in Loop: Header=BB8_452 Depth=3
	s_trap 2
	ds_read_b64 v[8:9], v0
	s_andn2_b64 s[38:39], s[38:39], exec
	s_mov_b32 s76, 0
	s_waitcnt vmcnt(0) lgkmcnt(0)
	flat_load_dword v2, v[8:9] sc0 sc1
	s_waitcnt vmcnt(0) lgkmcnt(0)
	buffer_inv sc0 sc1
	v_cmp_eq_u32_e32 vcc, 0, v2
	s_and_b64 vcc, vcc, exec
	s_or_b64 s[38:39], s[38:39], vcc
	s_mov_b64 vcc, -1
	s_or_b64 s[62:63], s[62:63], exec
	s_and_saveexec_b64 s[48:49], s[38:39]
	s_cbranch_execz .LBB8_451
.LBB8_455:                              ;   in Loop: Header=BB8_452 Depth=3
	s_sleep 1
	s_trap 2
	ds_read_b64 v[8:9], v0
	s_waitcnt lgkmcnt(0)
	s_andn2_b64 s[62:63], s[62:63], exec
	v_cmp_ge_u64_e32 vcc, v[8:9], v[38:39]
	s_orn2_b64 vcc, vcc, exec
	s_branch .LBB8_451
.LBB8_456:                              ;   in Loop: Header=BB8_265 Depth=2
	s_or_b64 exec, exec, s[58:59]
	s_and_saveexec_b64 s[58:59], s[60:61]
	s_xor_b64 s[58:59], exec, s[58:59]
	s_cbranch_execz .LBB8_458
; %bb.457:                              ;   in Loop: Header=BB8_265 Depth=2
	ds_write_b32 v0, v74
	s_trap 2
.LBB8_458:                              ;   in Loop: Header=BB8_265 Depth=2
	s_or_b64 exec, exec, s[56:57]
	;;#ASMSTART
	s_wakeup
	;;#ASMEND
.LBB8_459:                              ;   in Loop: Header=BB8_265 Depth=2
	s_or_b64 exec, exec, s[46:47]
.LBB8_460:                              ;   in Loop: Header=BB8_265 Depth=2
	s_andn2_saveexec_b64 s[44:45], s[44:45]
	s_cbranch_execz .LBB8_462
; %bb.461:                              ;   in Loop: Header=BB8_265 Depth=2
	s_waitcnt lgkmcnt(0)
	s_barrier
.LBB8_462:                              ;   in Loop: Header=BB8_265 Depth=2
	s_or_b64 exec, exec, s[44:45]
.LBB8_463:                              ;   in Loop: Header=BB8_265 Depth=2
	s_or_b64 exec, exec, s[28:29]
	v_and_b32_e32 v8, 16, v63
	s_and_saveexec_b64 s[28:29], s[22:23]
	s_xor_b64 s[28:29], exec, s[28:29]
	s_cbranch_execz .LBB8_467
; %bb.464:                              ;   in Loop: Header=BB8_265 Depth=2
	v_and_b32_e32 v2, 16, v63
	v_cmp_ne_u32_e32 vcc, 0, v2
	v_and_b32_e32 v8, 16, v63
	s_and_b64 s[44:45], vcc, s[26:27]
	s_and_saveexec_b64 s[26:27], s[44:45]
	s_cbranch_execz .LBB8_466
; %bb.465:                              ;   in Loop: Header=BB8_265 Depth=2
	v_mov_b32_e32 v8, 1
	buffer_wbl2 sc1
	s_waitcnt vmcnt(0) lgkmcnt(0)
	buffer_inv sc1
.LBB8_466:                              ;   in Loop: Header=BB8_265 Depth=2
	s_or_b64 exec, exec, s[26:27]
.LBB8_467:                              ;   in Loop: Header=BB8_265 Depth=2
	s_andn2_saveexec_b64 s[26:27], s[28:29]
	s_cbranch_execz .LBB8_486
; %bb.468:                              ;   in Loop: Header=BB8_265 Depth=2
	s_and_saveexec_b64 s[28:29], s[78:79]
	s_xor_b64 s[28:29], exec, s[28:29]
	s_cbranch_execz .LBB8_483
; %bb.469:                              ;   in Loop: Header=BB8_265 Depth=2
	s_and_saveexec_b64 s[44:45], s[14:15]
	s_cbranch_execz .LBB8_482
; %bb.470:                              ;   in Loop: Header=BB8_265 Depth=2
	s_mov_b64 s[56:57], exec
	v_mbcnt_lo_u32_b32 v2, s56, 0
	v_mbcnt_hi_u32_b32 v2, s57, v2
	v_cmp_eq_u32_e32 vcc, 0, v2
	;;#ASMSTART
	s_waitcnt lgkmcnt(0) vmcnt(0)
	;;#ASMEND
	s_and_saveexec_b64 s[46:47], vcc
	s_cbranch_execz .LBB8_472
; %bb.471:                              ;   in Loop: Header=BB8_265 Depth=2
	s_bcnt1_i32_b64 s56, s[56:57]
	v_mov_b32_e32 v2, s56
	s_waitcnt lgkmcnt(0)
	ds_add_u64 v0, v[2:3]
	s_trap 2
.LBB8_472:                              ;   in Loop: Header=BB8_265 Depth=2
	s_or_b64 exec, exec, s[46:47]
	s_trap 2
	ds_read_b64 v[10:11], v0
	s_waitcnt lgkmcnt(0)
	v_lshl_add_u64 v[38:39], v[38:39], 0, v[52:53]
	v_cmp_lt_u64_e32 vcc, v[10:11], v[38:39]
	s_and_saveexec_b64 s[46:47], vcc
	s_cbranch_execz .LBB8_481
; %bb.473:                              ;   in Loop: Header=BB8_265 Depth=2
	s_mov_b32 s76, 0
	s_mov_b64 s[56:57], 0
                                        ; implicit-def: $sgpr58_sgpr59
                                        ; implicit-def: $sgpr60_sgpr61
	s_branch .LBB8_475
.LBB8_474:                              ;   in Loop: Header=BB8_475 Depth=3
	s_or_b64 exec, exec, s[38:39]
	s_and_b64 s[62:63], exec, vcc
	s_or_b64 s[56:57], s[62:63], s[56:57]
	s_andn2_b64 s[58:59], s[58:59], exec
	s_and_b64 s[62:63], s[60:61], exec
	s_or_b64 s[58:59], s[58:59], s[62:63]
	s_andn2_b64 exec, exec, s[56:57]
	s_cbranch_execz .LBB8_479
.LBB8_475:                              ;   Parent Loop BB8_47 Depth=1
                                        ;     Parent Loop BB8_265 Depth=2
                                        ; =>    This Inner Loop Header: Depth=3
	s_add_i32 s76, s76, 1
	s_cmpk_lg_i32 s76, 0x2710
	s_cselect_b64 s[62:63], -1, 0
	s_and_b64 vcc, exec, s[62:63]
	s_cbranch_vccz .LBB8_477
; %bb.476:                              ;   in Loop: Header=BB8_475 Depth=3
	s_mov_b64 vcc, -1
	s_or_b64 s[60:61], s[60:61], exec
	s_and_saveexec_b64 s[38:39], s[62:63]
	s_cbranch_execz .LBB8_474
	s_branch .LBB8_478
.LBB8_477:                              ;   in Loop: Header=BB8_475 Depth=3
	s_trap 2
	ds_read_b64 v[10:11], v0
	s_andn2_b64 s[62:63], s[62:63], exec
	s_mov_b32 s76, 0
	s_waitcnt vmcnt(0) lgkmcnt(0)
	flat_load_dword v2, v[10:11] sc0 sc1
	s_waitcnt vmcnt(0) lgkmcnt(0)
	buffer_inv sc0 sc1
	v_cmp_eq_u32_e32 vcc, 0, v2
	s_and_b64 vcc, vcc, exec
	s_or_b64 s[62:63], s[62:63], vcc
	s_mov_b64 vcc, -1
	s_or_b64 s[60:61], s[60:61], exec
	s_and_saveexec_b64 s[38:39], s[62:63]
	s_cbranch_execz .LBB8_474
.LBB8_478:                              ;   in Loop: Header=BB8_475 Depth=3
	s_sleep 1
	s_trap 2
	ds_read_b64 v[10:11], v0
	s_waitcnt lgkmcnt(0)
	s_andn2_b64 s[60:61], s[60:61], exec
	v_cmp_ge_u64_e32 vcc, v[10:11], v[38:39]
	s_orn2_b64 vcc, vcc, exec
	s_branch .LBB8_474
.LBB8_479:                              ;   in Loop: Header=BB8_265 Depth=2
	s_or_b64 exec, exec, s[56:57]
	s_and_saveexec_b64 s[56:57], s[58:59]
	s_xor_b64 s[56:57], exec, s[56:57]
	s_cbranch_execz .LBB8_481
; %bb.480:                              ;   in Loop: Header=BB8_265 Depth=2
	ds_write_b32 v0, v74
	s_trap 2
.LBB8_481:                              ;   in Loop: Header=BB8_265 Depth=2
	s_or_b64 exec, exec, s[46:47]
	;;#ASMSTART
	s_wakeup
	;;#ASMEND
.LBB8_482:                              ;   in Loop: Header=BB8_265 Depth=2
	s_or_b64 exec, exec, s[44:45]
.LBB8_483:                              ;   in Loop: Header=BB8_265 Depth=2
	s_andn2_saveexec_b64 s[28:29], s[28:29]
	s_cbranch_execz .LBB8_485
; %bb.484:                              ;   in Loop: Header=BB8_265 Depth=2
	;;#ASMSTART
	s_waitcnt lgkmcnt(0) vmcnt(0)
	;;#ASMEND
	s_barrier
.LBB8_485:                              ;   in Loop: Header=BB8_265 Depth=2
	s_or_b64 exec, exec, s[28:29]
.LBB8_486:                              ;   in Loop: Header=BB8_265 Depth=2
	s_or_b64 exec, exec, s[26:27]
	v_cmp_ne_u32_e32 vcc, 0, v8
	s_xor_b64 s[26:27], s[10:11], -1
	s_and_b64 s[28:29], vcc, s[26:27]
	s_and_saveexec_b64 s[26:27], s[28:29]
	s_cbranch_execz .LBB8_488
; %bb.487:                              ;   in Loop: Header=BB8_265 Depth=2
	flat_store_dword v[36:37], v74 sc0 sc1
.LBB8_488:                              ;   in Loop: Header=BB8_265 Depth=2
	s_or_b64 exec, exec, s[26:27]
	v_and_b32_e32 v2, 48, v63
	v_cmp_ne_u32_e32 vcc, 0, v2
	s_and_saveexec_b64 s[26:27], vcc
	s_cbranch_execz .LBB8_490
; %bb.489:                              ;   in Loop: Header=BB8_265 Depth=2
	v_lshl_add_u64 v[112:113], v[112:113], 0, 4
	flat_store_dwordx2 v[32:33], v[112:113] sc0 sc1
.LBB8_490:                              ;   in Loop: Header=BB8_265 Depth=2
	s_or_b64 exec, exec, s[26:27]
	v_mov_b32_e32 v2, v16
.LBB8_491:                              ;   in Loop: Header=BB8_265 Depth=2
	s_or_b64 exec, exec, s[42:43]
	s_and_saveexec_b64 s[28:29], s[40:41]
	s_cbranch_execz .LBB8_264
; %bb.492:                              ;   in Loop: Header=BB8_265 Depth=2
	v_sub_u32_e32 v2, v50, v2
	v_min_i32_e32 v8, v16, v2
	v_and_b32_e32 v2, 12, v63
	v_cmp_ne_u32_e32 vcc, 0, v2
	s_and_saveexec_b64 s[40:41], vcc
	s_cbranch_execz .LBB8_502
; %bb.493:                              ;   in Loop: Header=BB8_265 Depth=2
	v_and_b32_e32 v2, 8, v63
	s_waitcnt vmcnt(0) lgkmcnt(0)
	v_lshl_add_u64 v[12:13], v[48:49], 0, v[2:3]
	v_lshl_add_u64 v[10:11], v[112:113], 0, 4
	v_cmp_lt_u64_e32 vcc, v[12:13], v[10:11]
	s_and_saveexec_b64 s[42:43], vcc
	s_cbranch_execz .LBB8_518
; %bb.494:                              ;   in Loop: Header=BB8_265 Depth=2
	v_and_b32_e32 v9, 64, v63
	s_mov_b32 s76, 0
	v_cmp_eq_u32_e32 vcc, 0, v9
	s_mov_b64 s[44:45], 0
                                        ; implicit-def: $sgpr46_sgpr47
                                        ; implicit-def: $sgpr56_sgpr57
                                        ; implicit-def: $sgpr58_sgpr59
	s_branch .LBB8_498
.LBB8_495:                              ;   in Loop: Header=BB8_498 Depth=3
	s_waitcnt vmcnt(0) lgkmcnt(0)
	v_lshl_add_u64 v[12:13], v[48:49], 0, v[2:3]
	v_cmp_ge_u64_e64 s[26:27], v[12:13], v[10:11]
	s_or_b64 s[38:39], s[38:39], exec
	s_orn2_b64 s[62:63], s[26:27], exec
.LBB8_496:                              ;   in Loop: Header=BB8_498 Depth=3
	s_or_b64 exec, exec, s[50:51]
	s_andn2_b64 s[26:27], s[58:59], exec
	s_and_b64 s[58:59], s[38:39], exec
	s_or_b64 s[58:59], s[26:27], s[58:59]
	s_andn2_b64 s[26:27], s[56:57], exec
	s_and_b64 s[56:57], s[62:63], exec
	s_or_b64 s[56:57], s[26:27], s[56:57]
.LBB8_497:                              ;   in Loop: Header=BB8_498 Depth=3
	s_or_b64 exec, exec, s[60:61]
	s_and_b64 s[26:27], exec, s[56:57]
	s_or_b64 s[44:45], s[26:27], s[44:45]
	s_andn2_b64 s[26:27], s[46:47], exec
	s_and_b64 s[46:47], s[58:59], exec
	s_or_b64 s[46:47], s[26:27], s[46:47]
	s_andn2_b64 exec, exec, s[44:45]
	s_cbranch_execz .LBB8_515
.LBB8_498:                              ;   Parent Loop BB8_47 Depth=1
                                        ;     Parent Loop BB8_265 Depth=2
                                        ; =>    This Inner Loop Header: Depth=3
	s_sleep 1
	s_waitcnt vmcnt(0) lgkmcnt(0)
	flat_load_dwordx2 v[48:49], v[32:33] sc0 sc1
	s_or_b64 s[58:59], s[58:59], exec
	s_or_b64 s[56:57], s[56:57], exec
                                        ; implicit-def: $vgpr9
	s_and_saveexec_b64 s[60:61], vcc
	s_cbranch_execz .LBB8_497
; %bb.499:                              ;   in Loop: Header=BB8_498 Depth=3
	s_cmpk_lt_i32 s76, 0x270f
	s_cselect_b64 s[48:49], -1, 0
	s_cmpk_gt_i32 s76, 0x270e
	s_mov_b64 s[62:63], -1
	s_cbranch_scc0 .LBB8_501
; %bb.500:                              ;   in Loop: Header=BB8_498 Depth=3
	s_trap 2
	ds_read_b64 v[12:13], v0
	s_andn2_b64 s[48:49], s[48:49], exec
	s_mov_b32 s76, 0
	s_mov_b64 s[38:39], 0
	s_waitcnt vmcnt(0) lgkmcnt(0)
	flat_load_dword v9, v[12:13] sc0 sc1
	s_waitcnt vmcnt(0) lgkmcnt(0)
	buffer_inv sc0 sc1
	v_cmp_eq_u32_e64 s[26:27], 0, v9
	s_and_b64 s[26:27], s[26:27], exec
	s_or_b64 s[48:49], s[48:49], s[26:27]
	s_and_saveexec_b64 s[50:51], s[48:49]
	s_cbranch_execz .LBB8_496
	s_branch .LBB8_495
.LBB8_501:                              ;   in Loop: Header=BB8_498 Depth=3
	s_add_i32 s76, s76, 1
	s_mov_b64 s[38:39], -1
                                        ; implicit-def: $vgpr9
	s_and_saveexec_b64 s[50:51], s[48:49]
	s_cbranch_execz .LBB8_496
	s_branch .LBB8_495
.LBB8_502:                              ;   in Loop: Header=BB8_265 Depth=2
	s_or_b64 exec, exec, s[40:41]
	s_and_saveexec_b64 s[26:27], s[6:7]
	s_cbranch_execnz .LBB8_531
.LBB8_503:                              ;   in Loop: Header=BB8_265 Depth=2
	s_or_b64 exec, exec, s[26:27]
                                        ; implicit-def: $vgpr2
	s_and_saveexec_b64 s[26:27], s[36:37]
	s_xor_b64 s[26:27], exec, s[26:27]
	s_cbranch_execz .LBB8_556
.LBB8_504:                              ;   in Loop: Header=BB8_265 Depth=2
	s_and_saveexec_b64 s[40:41], s[78:79]
	s_xor_b64 s[40:41], exec, s[40:41]
	s_cbranch_execz .LBB8_546
; %bb.505:                              ;   in Loop: Header=BB8_265 Depth=2
	s_and_saveexec_b64 s[42:43], s[14:15]
	s_cbranch_execz .LBB8_545
; %bb.506:                              ;   in Loop: Header=BB8_265 Depth=2
	s_mov_b64 s[46:47], exec
	v_mbcnt_lo_u32_b32 v2, s46, 0
	v_mbcnt_hi_u32_b32 v2, s47, v2
	v_cmp_eq_u32_e32 vcc, 0, v2
	;;#ASMSTART
	s_waitcnt lgkmcnt(0) vmcnt(0)
	;;#ASMEND
	s_and_saveexec_b64 s[44:45], vcc
	s_cbranch_execz .LBB8_508
; %bb.507:                              ;   in Loop: Header=BB8_265 Depth=2
	s_bcnt1_i32_b64 s46, s[46:47]
	v_mov_b32_e32 v2, s46
	s_waitcnt lgkmcnt(0)
	ds_add_u64 v0, v[2:3]
	s_trap 2
.LBB8_508:                              ;   in Loop: Header=BB8_265 Depth=2
	s_or_b64 exec, exec, s[44:45]
	s_trap 2
	ds_read_b64 v[8:9], v0
	s_waitcnt lgkmcnt(0)
	v_lshl_add_u64 v[38:39], v[38:39], 0, v[52:53]
	v_cmp_lt_u64_e32 vcc, v[8:9], v[38:39]
	s_and_saveexec_b64 s[44:45], vcc
	s_cbranch_execz .LBB8_544
; %bb.509:                              ;   in Loop: Header=BB8_265 Depth=2
	s_mov_b32 s76, 0
	s_mov_b64 s[46:47], 0
                                        ; implicit-def: $sgpr56_sgpr57
                                        ; implicit-def: $sgpr58_sgpr59
	s_branch .LBB8_511
.LBB8_510:                              ;   in Loop: Header=BB8_511 Depth=3
	s_or_b64 exec, exec, s[62:63]
	s_and_b64 s[60:61], exec, vcc
	s_or_b64 s[46:47], s[60:61], s[46:47]
	s_andn2_b64 s[56:57], s[56:57], exec
	s_and_b64 s[60:61], s[58:59], exec
	s_or_b64 s[56:57], s[56:57], s[60:61]
	s_andn2_b64 exec, exec, s[46:47]
	s_cbranch_execz .LBB8_542
.LBB8_511:                              ;   Parent Loop BB8_47 Depth=1
                                        ;     Parent Loop BB8_265 Depth=2
                                        ; =>    This Inner Loop Header: Depth=3
	s_add_i32 s76, s76, 1
	s_cmpk_lg_i32 s76, 0x2710
	s_cselect_b64 s[60:61], -1, 0
	s_and_b64 vcc, exec, s[60:61]
	s_cbranch_vccz .LBB8_513
; %bb.512:                              ;   in Loop: Header=BB8_511 Depth=3
	s_mov_b64 vcc, -1
	s_or_b64 s[58:59], s[58:59], exec
	s_and_saveexec_b64 s[62:63], s[60:61]
	s_cbranch_execz .LBB8_510
	s_branch .LBB8_514
.LBB8_513:                              ;   in Loop: Header=BB8_511 Depth=3
	s_trap 2
	ds_read_b64 v[8:9], v0
	s_andn2_b64 s[60:61], s[60:61], exec
	s_mov_b32 s76, 0
	s_waitcnt vmcnt(0) lgkmcnt(0)
	flat_load_dword v2, v[8:9] sc0 sc1
	s_waitcnt vmcnt(0) lgkmcnt(0)
	buffer_inv sc0 sc1
	v_cmp_eq_u32_e32 vcc, 0, v2
	s_and_b64 s[62:63], vcc, exec
	s_or_b64 s[60:61], s[60:61], s[62:63]
	s_mov_b64 vcc, -1
	s_or_b64 s[58:59], s[58:59], exec
	s_and_saveexec_b64 s[62:63], s[60:61]
	s_cbranch_execz .LBB8_510
.LBB8_514:                              ;   in Loop: Header=BB8_511 Depth=3
	s_sleep 1
	s_trap 2
	ds_read_b64 v[8:9], v0
	s_waitcnt lgkmcnt(0)
	s_andn2_b64 s[58:59], s[58:59], exec
	v_cmp_ge_u64_e32 vcc, v[8:9], v[38:39]
	s_orn2_b64 vcc, vcc, exec
	s_branch .LBB8_510
.LBB8_515:                              ;   in Loop: Header=BB8_265 Depth=2
	s_or_b64 exec, exec, s[44:45]
	s_xor_b64 s[26:27], s[46:47], -1
	s_and_saveexec_b64 s[44:45], s[26:27]
	s_xor_b64 s[26:27], exec, s[44:45]
	s_cbranch_execz .LBB8_517
; %bb.516:                              ;   in Loop: Header=BB8_265 Depth=2
	v_or_b32_e32 v63, 64, v63
	s_waitcnt lgkmcnt(0)
	ds_write_b32 v0, v9
	s_trap 2
.LBB8_517:                              ;   in Loop: Header=BB8_265 Depth=2
	s_or_b64 exec, exec, s[26:27]
.LBB8_518:                              ;   in Loop: Header=BB8_265 Depth=2
	s_or_b64 exec, exec, s[42:43]
	v_and_b32_e32 v9, 0x108, v63
	v_cmp_ne_u32_e32 vcc, s67, v9
	;;#ASMSTART
	s_wakeup
	;;#ASMEND
                                        ; implicit-def: $vgpr12_vgpr13
	s_and_saveexec_b64 s[26:27], vcc
	s_xor_b64 s[26:27], exec, s[26:27]
; %bb.519:                              ;   in Loop: Header=BB8_265 Depth=2
	v_and_b32_e32 v12, 7, v112
	v_mov_b32_e32 v13, v3
                                        ; implicit-def: $vgpr112_vgpr113
; %bb.520:                              ;   in Loop: Header=BB8_265 Depth=2
	s_andn2_saveexec_b64 s[26:27], s[26:27]
	s_cbranch_execz .LBB8_522
; %bb.521:                              ;   in Loop: Header=BB8_265 Depth=2
	v_and_b32_e32 v12, 7, v112
	v_ashrrev_i32_e32 v9, 31, v8
	v_mov_b32_e32 v13, v3
	v_mad_u64_u32 v[14:15], s[42:43], v12, 24, v[6:7]
	v_lshlrev_b64 v[16:17], 1, v[8:9]
	flat_store_dwordx2 v[14:15], v[16:17] offset:8
.LBB8_522:                              ;   in Loop: Header=BB8_265 Depth=2
	s_or_b64 exec, exec, s[26:27]
	v_and_b32_e32 v9, 0x100, v63
	v_cmp_ne_u32_e32 vcc, 0, v9
	s_mov_b64 s[26:27], -1
                                        ; implicit-def: $vgpr14_vgpr15
	s_and_saveexec_b64 s[42:43], vcc
	s_cbranch_execz .LBB8_526
; %bb.523:                              ;   in Loop: Header=BB8_265 Depth=2
	v_mad_u64_u32 v[16:17], s[26:27], v12, 24, v[6:7]
	v_mov_b32_e32 v14, v17
	v_mad_u64_u32 v[14:15], s[26:27], v13, 24, v[14:15]
	v_mov_b32_e32 v17, v14
	flat_load_dword v9, v[16:17]
                                        ; implicit-def: $vgpr14_vgpr15
	s_waitcnt vmcnt(0) lgkmcnt(0)
	v_cmp_ne_u32_e32 vcc, 1, v9
	v_cmp_eq_u32_e64 s[26:27], 1, v9
	s_and_saveexec_b64 s[44:45], s[26:27]
	s_cbranch_execz .LBB8_525
; %bb.524:                              ;   in Loop: Header=BB8_265 Depth=2
	flat_load_dword v14, v[16:17] offset:4 sc0 sc1
	s_waitcnt vmcnt(0) lgkmcnt(0)
	v_ashrrev_i32_e32 v15, 31, v14
	v_lshrrev_b64 v[14:15], 1, v[14:15]
.LBB8_525:                              ;   in Loop: Header=BB8_265 Depth=2
	s_or_b64 exec, exec, s[44:45]
	s_orn2_b64 s[26:27], vcc, exec
.LBB8_526:                              ;   in Loop: Header=BB8_265 Depth=2
	s_or_b64 exec, exec, s[42:43]
	s_and_saveexec_b64 s[42:43], s[26:27]
; %bb.527:                              ;   in Loop: Header=BB8_265 Depth=2
	v_mul_lo_u32 v9, v13, v30
	v_mul_lo_u32 v13, v12, v51
	v_mad_u64_u32 v[14:15], s[26:27], v12, v30, 0
	v_add3_u32 v15, v15, v13, v9
; %bb.528:                              ;   in Loop: Header=BB8_265 Depth=2
	s_or_b64 exec, exec, s[42:43]
	v_cmp_eq_u32_e32 vcc, 0, v2
	v_lshl_add_u64 v[12:13], v[14:15], 1, v[34:35]
	s_nop 0
	v_cndmask_b32_e32 v2, v75, v76, vcc
	v_add_u32_e32 v2, v0, v2
	ds_write_b64 v2, v[12:13] offset:584
	v_and_b32_e32 v2, 0x2000, v63
	v_cmp_ne_u32_e32 vcc, 0, v2
	s_and_saveexec_b64 s[26:27], vcc
	s_cbranch_execz .LBB8_530
; %bb.529:                              ;   in Loop: Header=BB8_265 Depth=2
	ds_read_b64 v[12:13], v0 offset:872
	s_waitcnt lgkmcnt(0)
	v_lshl_add_u64 v[12:13], v[12:13], 0, 1
	ds_write_b64 v0, v[12:13] offset:872
.LBB8_530:                              ;   in Loop: Header=BB8_265 Depth=2
	s_or_b64 exec, exec, s[26:27]
	v_mov_b64_e32 v[112:113], v[10:11]
	s_or_b64 exec, exec, s[40:41]
	s_and_saveexec_b64 s[26:27], s[6:7]
	s_cbranch_execz .LBB8_503
.LBB8_531:                              ;   in Loop: Header=BB8_265 Depth=2
	s_and_saveexec_b64 s[40:41], s[78:79]
	s_xor_b64 s[40:41], exec, s[40:41]
	s_cbranch_execz .LBB8_553
; %bb.532:                              ;   in Loop: Header=BB8_265 Depth=2
	s_and_saveexec_b64 s[42:43], s[14:15]
	s_cbranch_execz .LBB8_552
; %bb.533:                              ;   in Loop: Header=BB8_265 Depth=2
	s_mov_b64 s[46:47], exec
	v_mbcnt_lo_u32_b32 v2, s46, 0
	v_mbcnt_hi_u32_b32 v2, s47, v2
	v_cmp_eq_u32_e32 vcc, 0, v2
	s_waitcnt lgkmcnt(0)
	s_and_saveexec_b64 s[44:45], vcc
	s_cbranch_execz .LBB8_535
; %bb.534:                              ;   in Loop: Header=BB8_265 Depth=2
	s_bcnt1_i32_b64 s46, s[46:47]
	v_mov_b32_e32 v2, s46
	ds_add_u64 v0, v[2:3]
	s_trap 2
.LBB8_535:                              ;   in Loop: Header=BB8_265 Depth=2
	s_or_b64 exec, exec, s[44:45]
	s_trap 2
	ds_read_b64 v[10:11], v0
	s_waitcnt lgkmcnt(0)
	v_lshl_add_u64 v[38:39], v[38:39], 0, v[52:53]
	v_cmp_lt_u64_e32 vcc, v[10:11], v[38:39]
	s_and_saveexec_b64 s[44:45], vcc
	s_cbranch_execz .LBB8_551
; %bb.536:                              ;   in Loop: Header=BB8_265 Depth=2
	s_mov_b32 s76, 0
	s_mov_b64 s[46:47], 0
                                        ; implicit-def: $sgpr56_sgpr57
                                        ; implicit-def: $sgpr58_sgpr59
	s_branch .LBB8_538
.LBB8_537:                              ;   in Loop: Header=BB8_538 Depth=3
	s_or_b64 exec, exec, s[62:63]
	s_and_b64 s[60:61], exec, vcc
	s_or_b64 s[46:47], s[60:61], s[46:47]
	s_andn2_b64 s[56:57], s[56:57], exec
	s_and_b64 s[60:61], s[58:59], exec
	s_or_b64 s[56:57], s[56:57], s[60:61]
	s_andn2_b64 exec, exec, s[46:47]
	s_cbranch_execz .LBB8_549
.LBB8_538:                              ;   Parent Loop BB8_47 Depth=1
                                        ;     Parent Loop BB8_265 Depth=2
                                        ; =>    This Inner Loop Header: Depth=3
	s_add_i32 s76, s76, 1
	s_cmpk_lg_i32 s76, 0x2710
	s_cselect_b64 s[60:61], -1, 0
	s_and_b64 vcc, exec, s[60:61]
	s_cbranch_vccz .LBB8_540
; %bb.539:                              ;   in Loop: Header=BB8_538 Depth=3
	s_mov_b64 vcc, -1
	s_or_b64 s[58:59], s[58:59], exec
	s_and_saveexec_b64 s[62:63], s[60:61]
	s_cbranch_execz .LBB8_537
	s_branch .LBB8_541
.LBB8_540:                              ;   in Loop: Header=BB8_538 Depth=3
	s_trap 2
	ds_read_b64 v[10:11], v0
	s_andn2_b64 s[60:61], s[60:61], exec
	s_mov_b32 s76, 0
	s_waitcnt vmcnt(0) lgkmcnt(0)
	flat_load_dword v2, v[10:11] sc0 sc1
	s_waitcnt vmcnt(0) lgkmcnt(0)
	buffer_inv sc0 sc1
	v_cmp_eq_u32_e32 vcc, 0, v2
	s_and_b64 s[62:63], vcc, exec
	s_or_b64 s[60:61], s[60:61], s[62:63]
	s_mov_b64 vcc, -1
	s_or_b64 s[58:59], s[58:59], exec
	s_and_saveexec_b64 s[62:63], s[60:61]
	s_cbranch_execz .LBB8_537
.LBB8_541:                              ;   in Loop: Header=BB8_538 Depth=3
	s_sleep 1
	s_trap 2
	ds_read_b64 v[10:11], v0
	s_waitcnt lgkmcnt(0)
	s_andn2_b64 s[58:59], s[58:59], exec
	v_cmp_ge_u64_e32 vcc, v[10:11], v[38:39]
	s_orn2_b64 vcc, vcc, exec
	s_branch .LBB8_537
.LBB8_542:                              ;   in Loop: Header=BB8_265 Depth=2
	s_or_b64 exec, exec, s[46:47]
	s_and_saveexec_b64 s[46:47], s[56:57]
	s_xor_b64 s[46:47], exec, s[46:47]
	s_cbranch_execz .LBB8_544
; %bb.543:                              ;   in Loop: Header=BB8_265 Depth=2
	ds_write_b32 v0, v74
	s_trap 2
.LBB8_544:                              ;   in Loop: Header=BB8_265 Depth=2
	s_or_b64 exec, exec, s[44:45]
	;;#ASMSTART
	s_wakeup
	;;#ASMEND
.LBB8_545:                              ;   in Loop: Header=BB8_265 Depth=2
	s_or_b64 exec, exec, s[42:43]
.LBB8_546:                              ;   in Loop: Header=BB8_265 Depth=2
	s_andn2_saveexec_b64 s[40:41], s[40:41]
	s_cbranch_execz .LBB8_548
; %bb.547:                              ;   in Loop: Header=BB8_265 Depth=2
	;;#ASMSTART
	s_waitcnt lgkmcnt(0) vmcnt(0)
	;;#ASMEND
	s_barrier
.LBB8_548:                              ;   in Loop: Header=BB8_265 Depth=2
	s_or_b64 exec, exec, s[40:41]
	v_and_b32_e32 v2, 16, v63
                                        ; implicit-def: $vgpr8
	s_andn2_saveexec_b64 s[26:27], s[26:27]
	s_cbranch_execz .LBB8_560
	s_branch .LBB8_557
.LBB8_549:                              ;   in Loop: Header=BB8_265 Depth=2
	s_or_b64 exec, exec, s[46:47]
	s_and_saveexec_b64 s[46:47], s[56:57]
	s_xor_b64 s[46:47], exec, s[46:47]
	s_cbranch_execz .LBB8_551
; %bb.550:                              ;   in Loop: Header=BB8_265 Depth=2
	ds_write_b32 v0, v74
	s_trap 2
.LBB8_551:                              ;   in Loop: Header=BB8_265 Depth=2
	s_or_b64 exec, exec, s[44:45]
	;;#ASMSTART
	s_wakeup
	;;#ASMEND
.LBB8_552:                              ;   in Loop: Header=BB8_265 Depth=2
	s_or_b64 exec, exec, s[42:43]
.LBB8_553:                              ;   in Loop: Header=BB8_265 Depth=2
	s_andn2_saveexec_b64 s[40:41], s[40:41]
	s_cbranch_execz .LBB8_555
; %bb.554:                              ;   in Loop: Header=BB8_265 Depth=2
	s_waitcnt lgkmcnt(0)
	s_barrier
.LBB8_555:                              ;   in Loop: Header=BB8_265 Depth=2
	s_or_b64 exec, exec, s[40:41]
	s_or_b64 exec, exec, s[26:27]
                                        ; implicit-def: $vgpr2
	s_and_saveexec_b64 s[26:27], s[36:37]
	s_xor_b64 s[26:27], exec, s[26:27]
	s_cbranch_execnz .LBB8_504
.LBB8_556:                              ;   in Loop: Header=BB8_265 Depth=2
	s_andn2_saveexec_b64 s[26:27], s[26:27]
	s_cbranch_execz .LBB8_560
.LBB8_557:                              ;   in Loop: Header=BB8_265 Depth=2
	s_trap 2
	ds_read_b32 v9, v0
	v_cmp_lt_i32_e32 vcc, 0, v8
	v_and_b32_e32 v8, 16, v63
	v_and_b32_e32 v2, 16, v63
	s_waitcnt lgkmcnt(0)
	v_readfirstlane_b32 s40, v9
	s_cmp_eq_u32 s40, 0
	s_cselect_b64 s[40:41], -1, 0
	s_and_b64 s[40:41], vcc, s[40:41]
	v_cmp_ne_u32_e32 vcc, 0, v8
	s_and_b64 s[42:43], vcc, s[40:41]
	s_and_saveexec_b64 s[40:41], s[42:43]
	s_cbranch_execz .LBB8_559
; %bb.558:                              ;   in Loop: Header=BB8_265 Depth=2
	v_mov_b32_e32 v2, 1
	buffer_wbl2 sc1
	s_waitcnt vmcnt(0)
	buffer_inv sc1
.LBB8_559:                              ;   in Loop: Header=BB8_265 Depth=2
	s_or_b64 exec, exec, s[40:41]
.LBB8_560:                              ;   in Loop: Header=BB8_265 Depth=2
	s_or_b64 exec, exec, s[26:27]
	v_cmp_ne_u32_e32 vcc, 0, v2
	s_xor_b64 s[26:27], s[10:11], -1
	s_and_b64 s[40:41], vcc, s[26:27]
	s_and_saveexec_b64 s[26:27], s[40:41]
	s_cbranch_execz .LBB8_562
; %bb.561:                              ;   in Loop: Header=BB8_265 Depth=2
	flat_store_dword v[36:37], v74 sc0 sc1
.LBB8_562:                              ;   in Loop: Header=BB8_265 Depth=2
	s_or_b64 exec, exec, s[26:27]
	v_and_b32_e32 v2, 48, v63
	v_cmp_ne_u32_e32 vcc, 0, v2
	s_and_saveexec_b64 s[26:27], vcc
	s_cbranch_execz .LBB8_263
; %bb.563:                              ;   in Loop: Header=BB8_265 Depth=2
	v_lshl_add_u64 v[112:113], v[112:113], 0, 4
	flat_store_dwordx2 v[32:33], v[112:113] sc0 sc1
	s_branch .LBB8_263
.LBB8_564:                              ;   in Loop: Header=BB8_47 Depth=1
	v_mul_lo_u32 v2, v103, s64
	v_mul_lo_u32 v10, v102, s65
	v_mad_u64_u32 v[8:9], s[26:27], v102, s64, 0
	v_add3_u32 v9, v9, v10, v2
	v_sub_co_u32_e32 v10, vcc, v114, v8
	v_mov_b32_e32 v2, 0
	s_nop 0
	v_subb_co_u32_e32 v11, vcc, v115, v9, vcc
	v_cmp_lt_i64_e32 vcc, v[102:103], v[10:11]
	s_nop 1
	v_cndmask_b32_e32 v10, v10, v102, vcc
	v_max_i32_e32 v50, 0, v10
	v_add_u32_e32 v11, 15, v50
	v_ashrrev_i32_e32 v12, 31, v11
	v_lshrrev_b32_e32 v12, 28, v12
	v_add_u32_e32 v11, v11, v12
	v_cmp_gt_i32_e32 vcc, 1, v10
	v_and_b32_e32 v11, -16, v11
	s_or_b64 s[38:39], s[2:3], vcc
	v_max_i32_e32 v20, s83, v11
	s_xor_b64 s[26:27], s[38:39], -1
	s_and_saveexec_b64 s[48:49], s[26:27]
	s_cbranch_execz .LBB8_570
; %bb.565:                              ;   in Loop: Header=BB8_47 Depth=1
	s_and_saveexec_b64 s[26:27], s[0:1]
	s_cbranch_execz .LBB8_567
; %bb.566:                              ;   in Loop: Header=BB8_47 Depth=1
	s_trap 2
	ds_read2_b64 v[10:13], v0 offset1:1
	ds_read_b64 v[14:15], v0
	v_lshl_add_u64 v[8:9], v[8:9], 0, v[116:117]
	v_lshlrev_b64 v[8:9], 1, v[8:9]
	s_waitcnt lgkmcnt(0)
	v_lshl_add_u64 v[10:11], v[10:11], 0, v[8:9]
	ds_write_b64 v0, v[10:11]
	v_lshl_add_u64 v[10:11], v[12:13], 0, v[8:9]
	v_lshl_add_u64 v[8:9], v[14:15], 0, v[8:9]
	v_cmp_ne_u64_e32 vcc, 0, v[14:15]
	ds_write_b64 v0, v[10:11]
	s_nop 0
	v_cndmask_b32_e32 v9, 0, v9, vcc
	v_cndmask_b32_e32 v8, 0, v8, vcc
	ds_write_b64 v0, v[8:9]
.LBB8_567:                              ;   in Loop: Header=BB8_47 Depth=1
	s_or_b64 exec, exec, s[26:27]
	v_and_b32_e32 v2, 12, v63
	v_min_i32_e32 v20, v20, v50
	v_cmp_ne_u32_e32 vcc, 0, v2
	s_and_saveexec_b64 s[28:29], vcc
	s_cbranch_execz .LBB8_604
; %bb.568:                              ;   in Loop: Header=BB8_47 Depth=1
	v_and_b32_e32 v2, 8, v63
	s_waitcnt vmcnt(0) lgkmcnt(0)
	v_lshl_add_u64 v[10:11], v[48:49], 0, v[2:3]
	v_lshl_add_u64 v[8:9], v[112:113], 0, 4
	v_cmp_lt_u64_e32 vcc, v[10:11], v[8:9]
	s_and_saveexec_b64 s[40:41], vcc
	s_cbranch_execz .LBB8_591
; %bb.569:                              ;   in Loop: Header=BB8_47 Depth=1
	v_and_b32_e32 v10, 64, v63
	s_mov_b32 s76, 0
	v_cmp_eq_u32_e32 vcc, 0, v10
	s_mov_b64 s[42:43], 0
                                        ; implicit-def: $sgpr44_sgpr45
                                        ; implicit-def: $sgpr46_sgpr47
                                        ; implicit-def: $sgpr56_sgpr57
	s_branch .LBB8_577
.LBB8_570:                              ;   in Loop: Header=BB8_47 Depth=1
	s_or_b64 exec, exec, s[48:49]
	s_and_saveexec_b64 s[28:29], s[38:39]
	s_cbranch_execz .LBB8_1015
.LBB8_571:                              ;   in Loop: Header=BB8_47 Depth=1
	v_sub_u32_e32 v2, v50, v2
	v_min_i32_e32 v8, v20, v2
	v_and_b32_e32 v2, 12, v63
	v_cmp_ne_u32_e32 vcc, 0, v2
	s_and_saveexec_b64 s[40:41], vcc
	s_cbranch_execz .LBB8_632
; %bb.572:                              ;   in Loop: Header=BB8_47 Depth=1
	v_and_b32_e32 v2, 8, v63
	s_waitcnt vmcnt(0) lgkmcnt(0)
	v_lshl_add_u64 v[12:13], v[48:49], 0, v[2:3]
	v_lshl_add_u64 v[10:11], v[112:113], 0, 4
	v_cmp_lt_u64_e32 vcc, v[12:13], v[10:11]
	s_and_saveexec_b64 s[42:43], vcc
	s_cbranch_execz .LBB8_619
; %bb.573:                              ;   in Loop: Header=BB8_47 Depth=1
	v_and_b32_e32 v9, 64, v63
	s_mov_b32 s76, 0
	v_cmp_eq_u32_e32 vcc, 0, v9
	s_mov_b64 s[44:45], 0
                                        ; implicit-def: $sgpr46_sgpr47
                                        ; implicit-def: $sgpr56_sgpr57
                                        ; implicit-def: $sgpr58_sgpr59
	s_branch .LBB8_584
.LBB8_574:                              ;   in Loop: Header=BB8_577 Depth=2
	s_waitcnt vmcnt(0) lgkmcnt(0)
	v_lshl_add_u64 v[12:13], v[48:49], 0, v[2:3]
	v_cmp_ge_u64_e64 s[26:27], v[12:13], v[8:9]
	s_or_b64 s[62:63], s[62:63], exec
	s_orn2_b64 s[60:61], s[26:27], exec
.LBB8_575:                              ;   in Loop: Header=BB8_577 Depth=2
	s_or_b64 exec, exec, s[52:53]
	s_andn2_b64 s[26:27], s[56:57], exec
	s_and_b64 s[56:57], s[62:63], exec
	s_or_b64 s[56:57], s[26:27], s[56:57]
	s_andn2_b64 s[26:27], s[46:47], exec
	s_and_b64 s[46:47], s[60:61], exec
	s_or_b64 s[46:47], s[26:27], s[46:47]
.LBB8_576:                              ;   in Loop: Header=BB8_577 Depth=2
	s_or_b64 exec, exec, s[58:59]
	s_and_b64 s[26:27], exec, s[46:47]
	s_or_b64 s[42:43], s[26:27], s[42:43]
	s_andn2_b64 s[26:27], s[44:45], exec
	s_and_b64 s[44:45], s[56:57], exec
	s_or_b64 s[44:45], s[26:27], s[44:45]
	s_andn2_b64 exec, exec, s[42:43]
	s_cbranch_execz .LBB8_588
.LBB8_577:                              ;   Parent Loop BB8_47 Depth=1
                                        ; =>  This Inner Loop Header: Depth=2
	s_sleep 1
	s_waitcnt vmcnt(0) lgkmcnt(0)
	flat_load_dwordx2 v[48:49], v[32:33] sc0 sc1
	s_or_b64 s[56:57], s[56:57], exec
	s_or_b64 s[46:47], s[46:47], exec
                                        ; implicit-def: $vgpr10
	s_and_saveexec_b64 s[58:59], vcc
	s_cbranch_execz .LBB8_576
; %bb.578:                              ;   in Loop: Header=BB8_577 Depth=2
	s_cmpk_lt_i32 s76, 0x270f
	s_cselect_b64 s[50:51], -1, 0
	s_cmpk_gt_i32 s76, 0x270e
	s_mov_b64 s[60:61], -1
	s_cbranch_scc0 .LBB8_580
; %bb.579:                              ;   in Loop: Header=BB8_577 Depth=2
	s_trap 2
	ds_read_b64 v[10:11], v0
	s_andn2_b64 s[50:51], s[50:51], exec
	s_mov_b32 s76, 0
	s_mov_b64 s[62:63], 0
	s_waitcnt vmcnt(0) lgkmcnt(0)
	flat_load_dword v10, v[10:11] sc0 sc1
	s_waitcnt vmcnt(0) lgkmcnt(0)
	buffer_inv sc0 sc1
	v_cmp_eq_u32_e64 s[26:27], 0, v10
	s_and_b64 s[26:27], s[26:27], exec
	s_or_b64 s[50:51], s[50:51], s[26:27]
	s_and_saveexec_b64 s[52:53], s[50:51]
	s_cbranch_execz .LBB8_575
	s_branch .LBB8_574
.LBB8_580:                              ;   in Loop: Header=BB8_577 Depth=2
	s_add_i32 s76, s76, 1
	s_mov_b64 s[62:63], -1
                                        ; implicit-def: $vgpr10
	s_and_saveexec_b64 s[52:53], s[50:51]
	s_cbranch_execz .LBB8_575
	s_branch .LBB8_574
.LBB8_581:                              ;   in Loop: Header=BB8_584 Depth=2
	s_waitcnt vmcnt(0) lgkmcnt(0)
	v_lshl_add_u64 v[12:13], v[48:49], 0, v[2:3]
	v_cmp_ge_u64_e64 s[26:27], v[12:13], v[10:11]
	s_or_b64 s[38:39], s[38:39], exec
	s_orn2_b64 s[62:63], s[26:27], exec
.LBB8_582:                              ;   in Loop: Header=BB8_584 Depth=2
	s_or_b64 exec, exec, s[50:51]
	s_andn2_b64 s[26:27], s[58:59], exec
	s_and_b64 s[58:59], s[38:39], exec
	s_or_b64 s[58:59], s[26:27], s[58:59]
	s_andn2_b64 s[26:27], s[56:57], exec
	s_and_b64 s[56:57], s[62:63], exec
	s_or_b64 s[56:57], s[26:27], s[56:57]
.LBB8_583:                              ;   in Loop: Header=BB8_584 Depth=2
	s_or_b64 exec, exec, s[60:61]
	s_and_b64 s[26:27], exec, s[56:57]
	s_or_b64 s[44:45], s[26:27], s[44:45]
	s_andn2_b64 s[26:27], s[46:47], exec
	s_and_b64 s[46:47], s[58:59], exec
	s_or_b64 s[46:47], s[26:27], s[46:47]
	s_andn2_b64 exec, exec, s[44:45]
	s_cbranch_execz .LBB8_616
.LBB8_584:                              ;   Parent Loop BB8_47 Depth=1
                                        ; =>  This Inner Loop Header: Depth=2
	s_sleep 1
	s_waitcnt vmcnt(0) lgkmcnt(0)
	flat_load_dwordx2 v[48:49], v[32:33] sc0 sc1
	s_or_b64 s[58:59], s[58:59], exec
	s_or_b64 s[56:57], s[56:57], exec
                                        ; implicit-def: $vgpr9
	s_and_saveexec_b64 s[60:61], vcc
	s_cbranch_execz .LBB8_583
; %bb.585:                              ;   in Loop: Header=BB8_584 Depth=2
	s_cmpk_lt_i32 s76, 0x270f
	s_cselect_b64 s[48:49], -1, 0
	s_cmpk_gt_i32 s76, 0x270e
	s_mov_b64 s[62:63], -1
	s_cbranch_scc0 .LBB8_587
; %bb.586:                              ;   in Loop: Header=BB8_584 Depth=2
	s_trap 2
	ds_read_b64 v[12:13], v0
	s_andn2_b64 s[48:49], s[48:49], exec
	s_mov_b32 s76, 0
	s_mov_b64 s[38:39], 0
	s_waitcnt vmcnt(0) lgkmcnt(0)
	flat_load_dword v9, v[12:13] sc0 sc1
	s_waitcnt vmcnt(0) lgkmcnt(0)
	buffer_inv sc0 sc1
	v_cmp_eq_u32_e64 s[26:27], 0, v9
	s_and_b64 s[26:27], s[26:27], exec
	s_or_b64 s[48:49], s[48:49], s[26:27]
	s_and_saveexec_b64 s[50:51], s[48:49]
	s_cbranch_execz .LBB8_582
	s_branch .LBB8_581
.LBB8_587:                              ;   in Loop: Header=BB8_584 Depth=2
	s_add_i32 s76, s76, 1
	s_mov_b64 s[38:39], -1
                                        ; implicit-def: $vgpr9
	s_and_saveexec_b64 s[50:51], s[48:49]
	s_cbranch_execz .LBB8_582
	s_branch .LBB8_581
.LBB8_588:                              ;   in Loop: Header=BB8_47 Depth=1
	s_or_b64 exec, exec, s[42:43]
	s_xor_b64 s[26:27], s[44:45], -1
	s_and_saveexec_b64 s[42:43], s[26:27]
	s_xor_b64 s[26:27], exec, s[42:43]
	s_cbranch_execz .LBB8_590
; %bb.589:                              ;   in Loop: Header=BB8_47 Depth=1
	v_or_b32_e32 v63, 64, v63
	s_waitcnt lgkmcnt(0)
	ds_write_b32 v0, v10
	s_trap 2
.LBB8_590:                              ;   in Loop: Header=BB8_47 Depth=1
	s_or_b64 exec, exec, s[26:27]
.LBB8_591:                              ;   in Loop: Header=BB8_47 Depth=1
	s_or_b64 exec, exec, s[40:41]
	v_and_b32_e32 v10, 0x108, v63
	v_cmp_ne_u32_e32 vcc, s67, v10
	;;#ASMSTART
	s_wakeup
	;;#ASMEND
                                        ; implicit-def: $vgpr10_vgpr11
	s_and_saveexec_b64 s[26:27], vcc
	s_xor_b64 s[26:27], exec, s[26:27]
; %bb.592:                              ;   in Loop: Header=BB8_47 Depth=1
	v_and_b32_e32 v10, 7, v112
	v_mov_b32_e32 v11, v3
                                        ; implicit-def: $vgpr112_vgpr113
; %bb.593:                              ;   in Loop: Header=BB8_47 Depth=1
	s_andn2_saveexec_b64 s[26:27], s[26:27]
	s_cbranch_execz .LBB8_595
; %bb.594:                              ;   in Loop: Header=BB8_47 Depth=1
	v_and_b32_e32 v10, 7, v112
	v_ashrrev_i32_e32 v21, 31, v20
	v_mov_b32_e32 v11, v3
	v_mad_u64_u32 v[12:13], s[40:41], v10, 24, v[6:7]
	v_lshlrev_b64 v[14:15], 1, v[20:21]
	flat_store_dwordx2 v[12:13], v[14:15] offset:8
.LBB8_595:                              ;   in Loop: Header=BB8_47 Depth=1
	s_or_b64 exec, exec, s[26:27]
	v_and_b32_e32 v12, 0x100, v63
	v_cmp_ne_u32_e32 vcc, 0, v12
	s_mov_b64 s[26:27], -1
                                        ; implicit-def: $vgpr12_vgpr13
	s_and_saveexec_b64 s[40:41], vcc
	s_cbranch_execz .LBB8_599
; %bb.596:                              ;   in Loop: Header=BB8_47 Depth=1
	v_mad_u64_u32 v[14:15], s[26:27], v10, 24, v[6:7]
	v_mov_b32_e32 v12, v15
	v_mad_u64_u32 v[12:13], s[26:27], v11, 24, v[12:13]
	v_mov_b32_e32 v15, v12
	flat_load_dword v12, v[14:15]
	s_waitcnt vmcnt(0) lgkmcnt(0)
	v_cmp_ne_u32_e32 vcc, 1, v12
	v_cmp_eq_u32_e64 s[26:27], 1, v12
                                        ; implicit-def: $vgpr12_vgpr13
	s_and_saveexec_b64 s[42:43], s[26:27]
	s_cbranch_execz .LBB8_598
; %bb.597:                              ;   in Loop: Header=BB8_47 Depth=1
	flat_load_dword v12, v[14:15] offset:4 sc0 sc1
	s_waitcnt vmcnt(0) lgkmcnt(0)
	v_ashrrev_i32_e32 v13, 31, v12
	v_lshrrev_b64 v[12:13], 1, v[12:13]
.LBB8_598:                              ;   in Loop: Header=BB8_47 Depth=1
	s_or_b64 exec, exec, s[42:43]
	s_orn2_b64 s[26:27], vcc, exec
.LBB8_599:                              ;   in Loop: Header=BB8_47 Depth=1
	s_or_b64 exec, exec, s[40:41]
	s_and_saveexec_b64 s[40:41], s[26:27]
; %bb.600:                              ;   in Loop: Header=BB8_47 Depth=1
	v_mul_lo_u32 v11, v11, v30
	v_mul_lo_u32 v14, v10, v51
	v_mad_u64_u32 v[12:13], s[26:27], v10, v30, 0
	v_add3_u32 v13, v13, v14, v11
; %bb.601:                              ;   in Loop: Header=BB8_47 Depth=1
	s_or_b64 exec, exec, s[40:41]
	v_cmp_eq_u32_e32 vcc, 0, v2
	v_lshl_add_u64 v[10:11], v[12:13], 1, v[34:35]
	s_nop 0
	v_cndmask_b32_e32 v2, v77, v76, vcc
	v_add_u32_e32 v2, v0, v2
	ds_write_b64 v2, v[10:11] offset:584
	v_and_b32_e32 v2, 0x2000, v63
	v_cmp_ne_u32_e32 vcc, 0, v2
	s_and_saveexec_b64 s[26:27], vcc
	s_cbranch_execz .LBB8_603
; %bb.602:                              ;   in Loop: Header=BB8_47 Depth=1
	ds_read_b64 v[10:11], v0 offset:872
	s_waitcnt lgkmcnt(0)
	v_lshl_add_u64 v[10:11], v[10:11], 0, 1
	ds_write_b64 v0, v[10:11] offset:872
.LBB8_603:                              ;   in Loop: Header=BB8_47 Depth=1
	s_or_b64 exec, exec, s[26:27]
	v_mov_b64_e32 v[112:113], v[8:9]
.LBB8_604:                              ;   in Loop: Header=BB8_47 Depth=1
	s_or_b64 exec, exec, s[28:29]
	s_and_saveexec_b64 s[26:27], s[6:7]
	s_cbranch_execz .LBB8_651
; %bb.605:                              ;   in Loop: Header=BB8_47 Depth=1
	s_and_saveexec_b64 s[28:29], s[78:79]
	s_xor_b64 s[28:29], exec, s[28:29]
	s_cbranch_execz .LBB8_648
; %bb.606:                              ;   in Loop: Header=BB8_47 Depth=1
	s_and_saveexec_b64 s[40:41], s[14:15]
	s_cbranch_execz .LBB8_647
; %bb.607:                              ;   in Loop: Header=BB8_47 Depth=1
	s_mov_b64 s[44:45], exec
	v_mbcnt_lo_u32_b32 v2, s44, 0
	v_mbcnt_hi_u32_b32 v2, s45, v2
	v_cmp_eq_u32_e32 vcc, 0, v2
	s_waitcnt lgkmcnt(0)
	s_and_saveexec_b64 s[42:43], vcc
	s_cbranch_execz .LBB8_609
; %bb.608:                              ;   in Loop: Header=BB8_47 Depth=1
	s_bcnt1_i32_b64 s44, s[44:45]
	v_mov_b32_e32 v2, s44
	ds_add_u64 v0, v[2:3]
	s_trap 2
.LBB8_609:                              ;   in Loop: Header=BB8_47 Depth=1
	s_or_b64 exec, exec, s[42:43]
	s_trap 2
	ds_read_b64 v[8:9], v0
	s_waitcnt lgkmcnt(0)
	v_lshl_add_u64 v[38:39], v[38:39], 0, v[52:53]
	v_cmp_lt_u64_e32 vcc, v[8:9], v[38:39]
	s_and_saveexec_b64 s[42:43], vcc
	s_cbranch_execz .LBB8_646
; %bb.610:                              ;   in Loop: Header=BB8_47 Depth=1
	s_mov_b32 s76, 0
	s_mov_b64 s[44:45], 0
                                        ; implicit-def: $sgpr46_sgpr47
                                        ; implicit-def: $sgpr56_sgpr57
	s_branch .LBB8_612
.LBB8_611:                              ;   in Loop: Header=BB8_612 Depth=2
	s_or_b64 exec, exec, s[60:61]
	s_and_b64 s[58:59], exec, s[62:63]
	s_or_b64 s[44:45], s[58:59], s[44:45]
	s_andn2_b64 s[46:47], s[46:47], exec
	s_and_b64 s[58:59], s[56:57], exec
	s_or_b64 s[46:47], s[46:47], s[58:59]
	s_andn2_b64 exec, exec, s[44:45]
	s_cbranch_execz .LBB8_644
.LBB8_612:                              ;   Parent Loop BB8_47 Depth=1
                                        ; =>  This Inner Loop Header: Depth=2
	s_add_i32 s76, s76, 1
	s_cmpk_lg_i32 s76, 0x2710
	s_cselect_b64 s[58:59], -1, 0
	s_and_b64 vcc, exec, s[58:59]
	s_cbranch_vccz .LBB8_614
; %bb.613:                              ;   in Loop: Header=BB8_612 Depth=2
	s_mov_b64 s[62:63], -1
	s_or_b64 s[56:57], s[56:57], exec
	s_and_saveexec_b64 s[60:61], s[58:59]
	s_cbranch_execz .LBB8_611
	s_branch .LBB8_615
.LBB8_614:                              ;   in Loop: Header=BB8_612 Depth=2
	s_trap 2
	ds_read_b64 v[8:9], v0
	s_andn2_b64 s[58:59], s[58:59], exec
	s_mov_b32 s76, 0
	s_waitcnt vmcnt(0) lgkmcnt(0)
	flat_load_dword v2, v[8:9] sc0 sc1
	s_waitcnt vmcnt(0) lgkmcnt(0)
	buffer_inv sc0 sc1
	v_cmp_eq_u32_e32 vcc, 0, v2
	s_and_b64 s[60:61], vcc, exec
	s_or_b64 s[58:59], s[58:59], s[60:61]
	s_mov_b64 s[62:63], -1
	s_or_b64 s[56:57], s[56:57], exec
	s_and_saveexec_b64 s[60:61], s[58:59]
	s_cbranch_execz .LBB8_611
.LBB8_615:                              ;   in Loop: Header=BB8_612 Depth=2
	s_sleep 1
	s_trap 2
	ds_read_b64 v[8:9], v0
	s_waitcnt lgkmcnt(0)
	s_andn2_b64 s[56:57], s[56:57], exec
	v_cmp_ge_u64_e32 vcc, v[8:9], v[38:39]
	s_orn2_b64 s[62:63], vcc, exec
	s_branch .LBB8_611
.LBB8_616:                              ;   in Loop: Header=BB8_47 Depth=1
	s_or_b64 exec, exec, s[44:45]
	s_xor_b64 s[26:27], s[46:47], -1
	s_and_saveexec_b64 s[44:45], s[26:27]
	s_xor_b64 s[26:27], exec, s[44:45]
	s_cbranch_execz .LBB8_618
; %bb.617:                              ;   in Loop: Header=BB8_47 Depth=1
	v_or_b32_e32 v63, 64, v63
	s_waitcnt lgkmcnt(0)
	ds_write_b32 v0, v9
	s_trap 2
.LBB8_618:                              ;   in Loop: Header=BB8_47 Depth=1
	s_or_b64 exec, exec, s[26:27]
.LBB8_619:                              ;   in Loop: Header=BB8_47 Depth=1
	s_or_b64 exec, exec, s[42:43]
	v_and_b32_e32 v9, 0x108, v63
	v_cmp_ne_u32_e32 vcc, s67, v9
	;;#ASMSTART
	s_wakeup
	;;#ASMEND
                                        ; implicit-def: $vgpr12_vgpr13
	s_and_saveexec_b64 s[26:27], vcc
	s_xor_b64 s[26:27], exec, s[26:27]
; %bb.620:                              ;   in Loop: Header=BB8_47 Depth=1
	v_and_b32_e32 v12, 7, v112
	v_mov_b32_e32 v13, v3
                                        ; implicit-def: $vgpr112_vgpr113
; %bb.621:                              ;   in Loop: Header=BB8_47 Depth=1
	s_andn2_saveexec_b64 s[26:27], s[26:27]
	s_cbranch_execz .LBB8_623
; %bb.622:                              ;   in Loop: Header=BB8_47 Depth=1
	v_and_b32_e32 v12, 7, v112
	v_ashrrev_i32_e32 v9, 31, v8
	v_mov_b32_e32 v13, v3
	v_mad_u64_u32 v[14:15], s[42:43], v12, 24, v[6:7]
	v_lshlrev_b64 v[16:17], 1, v[8:9]
	flat_store_dwordx2 v[14:15], v[16:17] offset:8
.LBB8_623:                              ;   in Loop: Header=BB8_47 Depth=1
	s_or_b64 exec, exec, s[26:27]
	v_and_b32_e32 v9, 0x100, v63
	v_cmp_ne_u32_e32 vcc, 0, v9
	s_mov_b64 s[26:27], -1
                                        ; implicit-def: $vgpr14_vgpr15
	s_and_saveexec_b64 s[42:43], vcc
	s_cbranch_execz .LBB8_627
; %bb.624:                              ;   in Loop: Header=BB8_47 Depth=1
	v_mad_u64_u32 v[16:17], s[26:27], v12, 24, v[6:7]
	v_mov_b32_e32 v14, v17
	v_mad_u64_u32 v[14:15], s[26:27], v13, 24, v[14:15]
	v_mov_b32_e32 v17, v14
	flat_load_dword v9, v[16:17]
                                        ; implicit-def: $vgpr14_vgpr15
	s_waitcnt vmcnt(0) lgkmcnt(0)
	v_cmp_ne_u32_e32 vcc, 1, v9
	v_cmp_eq_u32_e64 s[26:27], 1, v9
	s_and_saveexec_b64 s[44:45], s[26:27]
	s_cbranch_execz .LBB8_626
; %bb.625:                              ;   in Loop: Header=BB8_47 Depth=1
	flat_load_dword v14, v[16:17] offset:4 sc0 sc1
	s_waitcnt vmcnt(0) lgkmcnt(0)
	v_ashrrev_i32_e32 v15, 31, v14
	v_lshrrev_b64 v[14:15], 1, v[14:15]
.LBB8_626:                              ;   in Loop: Header=BB8_47 Depth=1
	s_or_b64 exec, exec, s[44:45]
	s_orn2_b64 s[26:27], vcc, exec
.LBB8_627:                              ;   in Loop: Header=BB8_47 Depth=1
	s_or_b64 exec, exec, s[42:43]
	s_and_saveexec_b64 s[42:43], s[26:27]
; %bb.628:                              ;   in Loop: Header=BB8_47 Depth=1
	v_mul_lo_u32 v9, v13, v30
	v_mul_lo_u32 v13, v12, v51
	v_mad_u64_u32 v[14:15], s[26:27], v12, v30, 0
	v_add3_u32 v15, v15, v13, v9
; %bb.629:                              ;   in Loop: Header=BB8_47 Depth=1
	s_or_b64 exec, exec, s[42:43]
	v_cmp_eq_u32_e32 vcc, 0, v2
	v_lshl_add_u64 v[12:13], v[14:15], 1, v[34:35]
	s_nop 0
	v_cndmask_b32_e32 v2, v77, v76, vcc
	v_add_u32_e32 v2, v0, v2
	ds_write_b64 v2, v[12:13] offset:584
	v_and_b32_e32 v2, 0x2000, v63
	v_cmp_ne_u32_e32 vcc, 0, v2
	s_and_saveexec_b64 s[26:27], vcc
	s_cbranch_execz .LBB8_631
; %bb.630:                              ;   in Loop: Header=BB8_47 Depth=1
	ds_read_b64 v[12:13], v0 offset:872
	s_waitcnt lgkmcnt(0)
	v_lshl_add_u64 v[12:13], v[12:13], 0, 1
	ds_write_b64 v0, v[12:13] offset:872
.LBB8_631:                              ;   in Loop: Header=BB8_47 Depth=1
	s_or_b64 exec, exec, s[26:27]
	v_mov_b64_e32 v[112:113], v[10:11]
.LBB8_632:                              ;   in Loop: Header=BB8_47 Depth=1
	s_or_b64 exec, exec, s[40:41]
	s_and_saveexec_b64 s[26:27], s[6:7]
	s_cbranch_execz .LBB8_670
; %bb.633:                              ;   in Loop: Header=BB8_47 Depth=1
	s_and_saveexec_b64 s[40:41], s[78:79]
	s_xor_b64 s[40:41], exec, s[40:41]
	s_cbranch_execz .LBB8_667
; %bb.634:                              ;   in Loop: Header=BB8_47 Depth=1
	s_and_saveexec_b64 s[42:43], s[14:15]
	s_cbranch_execz .LBB8_666
; %bb.635:                              ;   in Loop: Header=BB8_47 Depth=1
	s_mov_b64 s[46:47], exec
	v_mbcnt_lo_u32_b32 v2, s46, 0
	v_mbcnt_hi_u32_b32 v2, s47, v2
	v_cmp_eq_u32_e32 vcc, 0, v2
	s_waitcnt lgkmcnt(0)
	s_and_saveexec_b64 s[44:45], vcc
	s_cbranch_execz .LBB8_637
; %bb.636:                              ;   in Loop: Header=BB8_47 Depth=1
	s_bcnt1_i32_b64 s46, s[46:47]
	v_mov_b32_e32 v2, s46
	ds_add_u64 v0, v[2:3]
	s_trap 2
.LBB8_637:                              ;   in Loop: Header=BB8_47 Depth=1
	s_or_b64 exec, exec, s[44:45]
	s_trap 2
	ds_read_b64 v[10:11], v0
	s_waitcnt lgkmcnt(0)
	v_lshl_add_u64 v[38:39], v[38:39], 0, v[52:53]
	v_cmp_lt_u64_e32 vcc, v[10:11], v[38:39]
	s_and_saveexec_b64 s[44:45], vcc
	s_cbranch_execz .LBB8_665
; %bb.638:                              ;   in Loop: Header=BB8_47 Depth=1
	s_mov_b32 s76, 0
	s_mov_b64 s[46:47], 0
                                        ; implicit-def: $sgpr56_sgpr57
                                        ; implicit-def: $sgpr58_sgpr59
	s_branch .LBB8_640
.LBB8_639:                              ;   in Loop: Header=BB8_640 Depth=2
	s_or_b64 exec, exec, s[62:63]
	s_and_b64 s[60:61], exec, vcc
	s_or_b64 s[46:47], s[60:61], s[46:47]
	s_andn2_b64 s[56:57], s[56:57], exec
	s_and_b64 s[60:61], s[58:59], exec
	s_or_b64 s[56:57], s[56:57], s[60:61]
	s_andn2_b64 exec, exec, s[46:47]
	s_cbranch_execz .LBB8_663
.LBB8_640:                              ;   Parent Loop BB8_47 Depth=1
                                        ; =>  This Inner Loop Header: Depth=2
	s_add_i32 s76, s76, 1
	s_cmpk_lg_i32 s76, 0x2710
	s_cselect_b64 s[60:61], -1, 0
	s_and_b64 vcc, exec, s[60:61]
	s_cbranch_vccz .LBB8_642
; %bb.641:                              ;   in Loop: Header=BB8_640 Depth=2
	s_mov_b64 vcc, -1
	s_or_b64 s[58:59], s[58:59], exec
	s_and_saveexec_b64 s[62:63], s[60:61]
	s_cbranch_execz .LBB8_639
	s_branch .LBB8_643
.LBB8_642:                              ;   in Loop: Header=BB8_640 Depth=2
	s_trap 2
	ds_read_b64 v[10:11], v0
	s_andn2_b64 s[60:61], s[60:61], exec
	s_mov_b32 s76, 0
	s_waitcnt vmcnt(0) lgkmcnt(0)
	flat_load_dword v2, v[10:11] sc0 sc1
	s_waitcnt vmcnt(0) lgkmcnt(0)
	buffer_inv sc0 sc1
	v_cmp_eq_u32_e32 vcc, 0, v2
	s_and_b64 s[62:63], vcc, exec
	s_or_b64 s[60:61], s[60:61], s[62:63]
	s_mov_b64 vcc, -1
	s_or_b64 s[58:59], s[58:59], exec
	s_and_saveexec_b64 s[62:63], s[60:61]
	s_cbranch_execz .LBB8_639
.LBB8_643:                              ;   in Loop: Header=BB8_640 Depth=2
	s_sleep 1
	s_trap 2
	ds_read_b64 v[10:11], v0
	s_waitcnt lgkmcnt(0)
	s_andn2_b64 s[58:59], s[58:59], exec
	v_cmp_ge_u64_e32 vcc, v[10:11], v[38:39]
	s_orn2_b64 vcc, vcc, exec
	s_branch .LBB8_639
.LBB8_644:                              ;   in Loop: Header=BB8_47 Depth=1
	s_or_b64 exec, exec, s[44:45]
	s_and_saveexec_b64 s[44:45], s[46:47]
	s_xor_b64 s[44:45], exec, s[44:45]
	s_cbranch_execz .LBB8_646
; %bb.645:                              ;   in Loop: Header=BB8_47 Depth=1
	ds_write_b32 v0, v74
	s_trap 2
.LBB8_646:                              ;   in Loop: Header=BB8_47 Depth=1
	s_or_b64 exec, exec, s[42:43]
	;;#ASMSTART
	s_wakeup
	;;#ASMEND
.LBB8_647:                              ;   in Loop: Header=BB8_47 Depth=1
	s_or_b64 exec, exec, s[40:41]
.LBB8_648:                              ;   in Loop: Header=BB8_47 Depth=1
	s_andn2_saveexec_b64 s[28:29], s[28:29]
	s_cbranch_execz .LBB8_650
; %bb.649:                              ;   in Loop: Header=BB8_47 Depth=1
	s_waitcnt lgkmcnt(0)
	s_barrier
.LBB8_650:                              ;   in Loop: Header=BB8_47 Depth=1
	s_or_b64 exec, exec, s[28:29]
.LBB8_651:                              ;   in Loop: Header=BB8_47 Depth=1
	s_or_b64 exec, exec, s[26:27]
	s_trap 2
	ds_read_b32 v8, v0
	v_and_b32_e32 v2, 0x4000, v63
	v_cmp_ne_u32_e32 vcc, 0, v2
	s_xor_b64 s[26:27], s[4:5], -1
	s_and_b64 s[28:29], s[26:27], vcc
	s_and_saveexec_b64 s[26:27], s[28:29]
	s_cbranch_execz .LBB8_693
; %bb.652:                              ;   in Loop: Header=BB8_47 Depth=1
	s_and_saveexec_b64 s[28:29], s[78:79]
	s_xor_b64 s[28:29], exec, s[28:29]
	s_cbranch_execz .LBB8_690
; %bb.653:                              ;   in Loop: Header=BB8_47 Depth=1
	s_and_saveexec_b64 s[40:41], s[14:15]
	s_cbranch_execz .LBB8_689
; %bb.654:                              ;   in Loop: Header=BB8_47 Depth=1
	s_mov_b64 s[44:45], exec
	v_mbcnt_lo_u32_b32 v2, s44, 0
	v_mbcnt_hi_u32_b32 v2, s45, v2
	v_cmp_eq_u32_e32 vcc, 0, v2
	s_waitcnt lgkmcnt(0)
	s_and_saveexec_b64 s[42:43], vcc
	s_cbranch_execz .LBB8_656
; %bb.655:                              ;   in Loop: Header=BB8_47 Depth=1
	s_bcnt1_i32_b64 s44, s[44:45]
	v_mov_b32_e32 v2, s44
	ds_add_u64 v0, v[2:3]
	s_trap 2
.LBB8_656:                              ;   in Loop: Header=BB8_47 Depth=1
	s_or_b64 exec, exec, s[42:43]
	s_trap 2
	ds_read_b64 v[10:11], v0
	s_waitcnt lgkmcnt(0)
	v_lshl_add_u64 v[38:39], v[38:39], 0, v[52:53]
	v_cmp_lt_u64_e32 vcc, v[10:11], v[38:39]
	s_and_saveexec_b64 s[42:43], vcc
	s_cbranch_execz .LBB8_688
; %bb.657:                              ;   in Loop: Header=BB8_47 Depth=1
	s_mov_b32 s76, 0
	s_mov_b64 s[44:45], 0
                                        ; implicit-def: $sgpr46_sgpr47
                                        ; implicit-def: $sgpr56_sgpr57
	s_branch .LBB8_659
.LBB8_658:                              ;   in Loop: Header=BB8_659 Depth=2
	s_or_b64 exec, exec, s[60:61]
	s_and_b64 s[58:59], exec, s[62:63]
	s_or_b64 s[44:45], s[58:59], s[44:45]
	s_andn2_b64 s[46:47], s[46:47], exec
	s_and_b64 s[58:59], s[56:57], exec
	s_or_b64 s[46:47], s[46:47], s[58:59]
	s_andn2_b64 exec, exec, s[44:45]
	s_cbranch_execz .LBB8_686
.LBB8_659:                              ;   Parent Loop BB8_47 Depth=1
                                        ; =>  This Inner Loop Header: Depth=2
	s_add_i32 s76, s76, 1
	s_cmpk_lg_i32 s76, 0x2710
	s_cselect_b64 s[58:59], -1, 0
	s_and_b64 vcc, exec, s[58:59]
	s_cbranch_vccz .LBB8_661
; %bb.660:                              ;   in Loop: Header=BB8_659 Depth=2
	s_mov_b64 s[62:63], -1
	s_or_b64 s[56:57], s[56:57], exec
	s_and_saveexec_b64 s[60:61], s[58:59]
	s_cbranch_execz .LBB8_658
	s_branch .LBB8_662
.LBB8_661:                              ;   in Loop: Header=BB8_659 Depth=2
	s_trap 2
	ds_read_b64 v[10:11], v0
	s_andn2_b64 s[58:59], s[58:59], exec
	s_mov_b32 s76, 0
	s_waitcnt vmcnt(0) lgkmcnt(0)
	flat_load_dword v2, v[10:11] sc0 sc1
	s_waitcnt vmcnt(0) lgkmcnt(0)
	buffer_inv sc0 sc1
	v_cmp_eq_u32_e32 vcc, 0, v2
	s_and_b64 s[60:61], vcc, exec
	s_or_b64 s[58:59], s[58:59], s[60:61]
	s_mov_b64 s[62:63], -1
	s_or_b64 s[56:57], s[56:57], exec
	s_and_saveexec_b64 s[60:61], s[58:59]
	s_cbranch_execz .LBB8_658
.LBB8_662:                              ;   in Loop: Header=BB8_659 Depth=2
	s_sleep 1
	s_trap 2
	ds_read_b64 v[10:11], v0
	s_waitcnt lgkmcnt(0)
	s_andn2_b64 s[56:57], s[56:57], exec
	v_cmp_ge_u64_e32 vcc, v[10:11], v[38:39]
	s_orn2_b64 s[62:63], vcc, exec
	s_branch .LBB8_658
.LBB8_663:                              ;   in Loop: Header=BB8_47 Depth=1
	s_or_b64 exec, exec, s[46:47]
	s_and_saveexec_b64 s[46:47], s[56:57]
	s_xor_b64 s[46:47], exec, s[46:47]
	s_cbranch_execz .LBB8_665
; %bb.664:                              ;   in Loop: Header=BB8_47 Depth=1
	ds_write_b32 v0, v74
	s_trap 2
.LBB8_665:                              ;   in Loop: Header=BB8_47 Depth=1
	s_or_b64 exec, exec, s[44:45]
	;;#ASMSTART
	s_wakeup
	;;#ASMEND
.LBB8_666:                              ;   in Loop: Header=BB8_47 Depth=1
	s_or_b64 exec, exec, s[42:43]
.LBB8_667:                              ;   in Loop: Header=BB8_47 Depth=1
	s_andn2_saveexec_b64 s[40:41], s[40:41]
	s_cbranch_execz .LBB8_669
; %bb.668:                              ;   in Loop: Header=BB8_47 Depth=1
	s_waitcnt lgkmcnt(0)
	s_barrier
.LBB8_669:                              ;   in Loop: Header=BB8_47 Depth=1
	s_or_b64 exec, exec, s[40:41]
.LBB8_670:                              ;   in Loop: Header=BB8_47 Depth=1
	s_or_b64 exec, exec, s[26:27]
	v_and_b32_e32 v9, 16, v63
	s_and_saveexec_b64 s[26:27], s[22:23]
	s_xor_b64 s[26:27], exec, s[26:27]
	s_cbranch_execz .LBB8_674
; %bb.671:                              ;   in Loop: Header=BB8_47 Depth=1
	s_trap 2
	ds_read_b32 v2, v0
	v_cmp_lt_i32_e32 vcc, 0, v8
	v_and_b32_e32 v8, 16, v63
	v_and_b32_e32 v9, 16, v63
	s_waitcnt lgkmcnt(0)
	v_readfirstlane_b32 s40, v2
	s_cmp_eq_u32 s40, 0
	s_cselect_b64 s[40:41], -1, 0
	s_and_b64 s[40:41], vcc, s[40:41]
	v_cmp_ne_u32_e32 vcc, 0, v8
	s_and_b64 s[42:43], vcc, s[40:41]
	s_and_saveexec_b64 s[40:41], s[42:43]
	s_cbranch_execz .LBB8_673
; %bb.672:                              ;   in Loop: Header=BB8_47 Depth=1
	v_mov_b32_e32 v9, 1
	buffer_wbl2 sc1
	s_waitcnt vmcnt(0)
	buffer_inv sc1
.LBB8_673:                              ;   in Loop: Header=BB8_47 Depth=1
	s_or_b64 exec, exec, s[40:41]
.LBB8_674:                              ;   in Loop: Header=BB8_47 Depth=1
	s_andn2_saveexec_b64 s[26:27], s[26:27]
	s_cbranch_execz .LBB8_826
; %bb.675:                              ;   in Loop: Header=BB8_47 Depth=1
	s_and_saveexec_b64 s[40:41], s[78:79]
	s_xor_b64 s[40:41], exec, s[40:41]
	s_cbranch_execz .LBB8_823
; %bb.676:                              ;   in Loop: Header=BB8_47 Depth=1
	s_and_saveexec_b64 s[42:43], s[14:15]
	s_cbranch_execz .LBB8_822
; %bb.677:                              ;   in Loop: Header=BB8_47 Depth=1
	s_mov_b64 s[46:47], exec
	v_mbcnt_lo_u32_b32 v2, s46, 0
	v_mbcnt_hi_u32_b32 v2, s47, v2
	v_cmp_eq_u32_e32 vcc, 0, v2
	;;#ASMSTART
	s_waitcnt lgkmcnt(0) vmcnt(0)
	;;#ASMEND
	s_and_saveexec_b64 s[44:45], vcc
	s_cbranch_execz .LBB8_679
; %bb.678:                              ;   in Loop: Header=BB8_47 Depth=1
	s_bcnt1_i32_b64 s46, s[46:47]
	v_mov_b32_e32 v2, s46
	s_waitcnt lgkmcnt(0)
	ds_add_u64 v0, v[2:3]
	s_trap 2
.LBB8_679:                              ;   in Loop: Header=BB8_47 Depth=1
	s_or_b64 exec, exec, s[44:45]
	s_trap 2
	ds_read_b64 v[10:11], v0
	s_waitcnt lgkmcnt(0)
	v_lshl_add_u64 v[38:39], v[38:39], 0, v[52:53]
	v_cmp_lt_u64_e32 vcc, v[10:11], v[38:39]
	s_and_saveexec_b64 s[44:45], vcc
	s_cbranch_execz .LBB8_821
; %bb.680:                              ;   in Loop: Header=BB8_47 Depth=1
	s_mov_b32 s76, 0
	s_mov_b64 s[46:47], 0
                                        ; implicit-def: $sgpr56_sgpr57
                                        ; implicit-def: $sgpr58_sgpr59
	s_branch .LBB8_682
.LBB8_681:                              ;   in Loop: Header=BB8_682 Depth=2
	s_or_b64 exec, exec, s[62:63]
	s_and_b64 s[60:61], exec, vcc
	s_or_b64 s[46:47], s[60:61], s[46:47]
	s_andn2_b64 s[56:57], s[56:57], exec
	s_and_b64 s[60:61], s[58:59], exec
	s_or_b64 s[56:57], s[56:57], s[60:61]
	s_andn2_b64 exec, exec, s[46:47]
	s_cbranch_execz .LBB8_819
.LBB8_682:                              ;   Parent Loop BB8_47 Depth=1
                                        ; =>  This Inner Loop Header: Depth=2
	s_add_i32 s76, s76, 1
	s_cmpk_lg_i32 s76, 0x2710
	s_cselect_b64 s[60:61], -1, 0
	s_and_b64 vcc, exec, s[60:61]
	s_cbranch_vccz .LBB8_684
; %bb.683:                              ;   in Loop: Header=BB8_682 Depth=2
	s_mov_b64 vcc, -1
	s_or_b64 s[58:59], s[58:59], exec
	s_and_saveexec_b64 s[62:63], s[60:61]
	s_cbranch_execz .LBB8_681
	s_branch .LBB8_685
.LBB8_684:                              ;   in Loop: Header=BB8_682 Depth=2
	s_trap 2
	ds_read_b64 v[10:11], v0
	s_andn2_b64 s[60:61], s[60:61], exec
	s_mov_b32 s76, 0
	s_waitcnt vmcnt(0) lgkmcnt(0)
	flat_load_dword v2, v[10:11] sc0 sc1
	s_waitcnt vmcnt(0) lgkmcnt(0)
	buffer_inv sc0 sc1
	v_cmp_eq_u32_e32 vcc, 0, v2
	s_and_b64 s[62:63], vcc, exec
	s_or_b64 s[60:61], s[60:61], s[62:63]
	s_mov_b64 vcc, -1
	s_or_b64 s[58:59], s[58:59], exec
	s_and_saveexec_b64 s[62:63], s[60:61]
	s_cbranch_execz .LBB8_681
.LBB8_685:                              ;   in Loop: Header=BB8_682 Depth=2
	s_sleep 1
	s_trap 2
	ds_read_b64 v[10:11], v0
	s_waitcnt lgkmcnt(0)
	s_andn2_b64 s[58:59], s[58:59], exec
	v_cmp_ge_u64_e32 vcc, v[10:11], v[38:39]
	s_orn2_b64 vcc, vcc, exec
	s_branch .LBB8_681
.LBB8_686:                              ;   in Loop: Header=BB8_47 Depth=1
	s_or_b64 exec, exec, s[44:45]
	s_and_saveexec_b64 s[44:45], s[46:47]
	s_xor_b64 s[44:45], exec, s[44:45]
	s_cbranch_execz .LBB8_688
; %bb.687:                              ;   in Loop: Header=BB8_47 Depth=1
	ds_write_b32 v0, v74
	s_trap 2
.LBB8_688:                              ;   in Loop: Header=BB8_47 Depth=1
	s_or_b64 exec, exec, s[42:43]
	;;#ASMSTART
	s_wakeup
	;;#ASMEND
.LBB8_689:                              ;   in Loop: Header=BB8_47 Depth=1
	s_or_b64 exec, exec, s[40:41]
.LBB8_690:                              ;   in Loop: Header=BB8_47 Depth=1
	s_andn2_saveexec_b64 s[28:29], s[28:29]
	s_cbranch_execz .LBB8_692
; %bb.691:                              ;   in Loop: Header=BB8_47 Depth=1
	s_waitcnt lgkmcnt(0)
	s_barrier
.LBB8_692:                              ;   in Loop: Header=BB8_47 Depth=1
	s_or_b64 exec, exec, s[28:29]
.LBB8_693:                              ;   in Loop: Header=BB8_47 Depth=1
	s_or_b64 exec, exec, s[26:27]
	s_trap 2
	ds_read_b64 v[118:119], v0
	s_waitcnt lgkmcnt(0)
	v_cmp_eq_u64_e32 vcc, 0, v[118:119]
	s_cbranch_vccnz .LBB8_702
; %bb.694:                              ;   in Loop: Header=BB8_47 Depth=1
	s_trap 2
	ds_read_b64 v[22:23], v0
	s_waitcnt lgkmcnt(0)
	v_cmp_eq_u64_e32 vcc, 0, v[22:23]
	s_cbranch_vccnz .LBB8_702
; %bb.695:                              ;   in Loop: Header=BB8_47 Depth=1
	s_trap 2
	ds_read_b64 v[40:41], v0
	v_cmp_eq_u32_e32 vcc, 0, v8
	s_waitcnt lgkmcnt(0)
	v_readfirstlane_b32 s87, v40
	v_cndmask_b32_e32 v21, 0, v20, vcc
	v_cmp_ne_u64_e32 vcc, 0, v[40:41]
	s_cbranch_vccz .LBB8_703
; %bb.696:                              ;   in Loop: Header=BB8_47 Depth=1
	s_trap 2
	ds_read_b64 v[42:43], v0
	s_mov_b64 s[26:27], -1
	s_and_saveexec_b64 s[28:29], s[20:21]
	s_cbranch_execz .LBB8_698
; %bb.697:                              ;   in Loop: Header=BB8_47 Depth=1
	ds_read_b32 v2, v0 offset:720
	s_waitcnt lgkmcnt(0)
	v_and_b32_e32 v2, 15, v2
	v_cmp_eq_u32_e32 vcc, 0, v2
	s_orn2_b64 s[26:27], vcc, exec
.LBB8_698:                              ;   in Loop: Header=BB8_47 Depth=1
	s_or_b64 exec, exec, s[28:29]
	s_and_saveexec_b64 s[28:29], s[20:21]
	s_cbranch_execz .LBB8_700
; %bb.699:                              ;   in Loop: Header=BB8_47 Depth=1
	ds_read_b32 v2, v0 offset:784
	s_waitcnt lgkmcnt(0)
	v_and_b32_e32 v2, 15, v2
	v_cmp_eq_u32_e32 vcc, 0, v2
	s_and_b64 s[40:41], s[26:27], vcc
	s_andn2_b64 s[26:27], s[26:27], exec
	s_and_b64 s[40:41], s[40:41], exec
	s_or_b64 s[26:27], s[26:27], s[40:41]
.LBB8_700:                              ;   in Loop: Header=BB8_47 Depth=1
	s_or_b64 exec, exec, s[28:29]
	s_xor_b64 s[26:27], s[26:27], -1
	v_cndmask_b32_e64 v8, 0, 1, s[26:27]
	v_lshlrev_b32_e32 v79, 1, v21
	s_mov_b64 s[28:29], -1
	v_mov_b32_e32 v2, 0
	v_cmp_ne_u32_e32 vcc, 0, v8
	s_cbranch_vccz .LBB8_705
; %bb.701:                              ;   in Loop: Header=BB8_47 Depth=1
	v_mov_b32_e32 v18, v0
	s_and_saveexec_b64 s[42:43], s[28:29]
	s_cbranch_execnz .LBB8_784
	s_branch .LBB8_842
.LBB8_702:                              ;   in Loop: Header=BB8_47 Depth=1
	s_mov_b64 s[26:27], 0
	s_and_saveexec_b64 s[28:29], s[6:7]
	s_cbranch_execz .LBB8_987
	s_branch .LBB8_969
.LBB8_703:                              ;   in Loop: Header=BB8_47 Depth=1
	s_cbranch_execnz .LBB8_843
.LBB8_704:                              ;   in Loop: Header=BB8_47 Depth=1
	v_cmp_lt_i32_e64 s[26:27], 0, v21
	s_and_saveexec_b64 s[28:29], s[6:7]
	s_cbranch_execnz .LBB8_969
	s_branch .LBB8_987
.LBB8_705:                              ;   in Loop: Header=BB8_47 Depth=1
	v_ashrrev_i32_e32 v2, 31, v79
	v_lshrrev_b32_e32 v2, 22, v2
	v_add_u32_e32 v2, v79, v2
	v_and_b32_e32 v89, 0xfffffc00, v2
	v_ashrrev_i32_e32 v8, 10, v2
	v_sub_u32_e32 v91, v79, v89
	v_sub_u32_e32 v2, v8, v73
	v_cmp_lt_i32_e64 s[26:27], 15, v91
	v_sub_u32_e32 v88, v79, v54
	s_nop 0
	v_addc_co_u32_e64 v90, vcc, 0, v2, s[26:27]
	v_cmp_lt_i32_e32 vcc, 15, v88
	s_and_saveexec_b64 s[44:45], vcc
	s_cbranch_execz .LBB8_743
; %bb.706:                              ;   in Loop: Header=BB8_47 Depth=1
	s_trap 2
	ds_read_b64 v[8:9], v0
	s_and_b32 s76, s87, 1
	s_cmp_eq_u64 s[76:77], 0
	s_waitcnt lgkmcnt(0)
	v_lshl_add_u64 v[44:45], v[42:43], 0, v[54:55]
	v_lshl_add_u64 v[46:47], v[22:23], 0, v[54:55]
	;; [unrolled: 1-line block ×5, first 2 shown]
	s_mov_b64 s[46:47], 0
	s_cselect_b64 s[28:29], -1, 0
.LBB8_707:                              ;   Parent Loop BB8_47 Depth=1
                                        ; =>  This Loop Header: Depth=2
                                        ;       Child Loop BB8_740 Depth 3
	global_load_dwordx4 v[12:15], v[60:61], off nt
	global_load_dwordx4 v[16:19], v[58:59], off nt
	;; [unrolled: 1-line block ×3, first 2 shown]
	s_waitcnt vmcnt(0)
	v_lshlrev_b32_e32 v2, 16, v12
	v_lshlrev_b32_e32 v92, 16, v16
	v_max_f32_e32 v2, v2, v2
	v_max_f32_e32 v92, v92, v92
	v_min_f32_e32 v93, v92, v2
	v_max_f32_e32 v2, v92, v2
	v_cndmask_b32_e64 v2, v2, v93, s[28:29]
	v_and_b32_e32 v92, 0x7f800000, v2
	v_cmp_ne_u32_e32 vcc, s68, v92
                                        ; implicit-def: $vgpr92
	s_and_saveexec_b64 s[40:41], vcc
	s_xor_b64 s[40:41], exec, s[40:41]
; %bb.708:                              ;   in Loop: Header=BB8_707 Depth=2
	v_bfe_u32 v92, v2, 16, 1
	v_add3_u32 v92, v2, v92, s69
                                        ; implicit-def: $vgpr2
; %bb.709:                              ;   in Loop: Header=BB8_707 Depth=2
	s_andn2_saveexec_b64 s[40:41], s[40:41]
; %bb.710:                              ;   in Loop: Header=BB8_707 Depth=2
	v_or_b32_e32 v92, 0x10000, v2
	v_cmp_eq_u32_sdwa vcc, v2, v3 src0_sel:WORD_0 src1_sel:DWORD
	s_nop 1
	v_cndmask_b32_e32 v92, v92, v2, vcc
; %bb.711:                              ;   in Loop: Header=BB8_707 Depth=2
	s_or_b64 exec, exec, s[40:41]
	v_and_b32_e32 v2, 0xffff0000, v12
	v_and_b32_e32 v12, 0xffff0000, v16
	v_max_f32_e32 v2, v2, v2
	v_max_f32_e32 v12, v12, v12
	v_min_f32_e32 v16, v12, v2
	v_max_f32_e32 v2, v12, v2
	v_cndmask_b32_e64 v12, v2, v16, s[28:29]
	v_and_b32_e32 v2, 0x7f800000, v12
	v_cmp_ne_u32_e32 vcc, s68, v2
                                        ; implicit-def: $vgpr2
	s_and_saveexec_b64 s[40:41], vcc
	s_xor_b64 s[40:41], exec, s[40:41]
; %bb.712:                              ;   in Loop: Header=BB8_707 Depth=2
	v_bfe_u32 v2, v12, 16, 1
	v_add3_u32 v2, v12, v2, s69
                                        ; implicit-def: $vgpr12
; %bb.713:                              ;   in Loop: Header=BB8_707 Depth=2
	s_andn2_saveexec_b64 s[40:41], s[40:41]
; %bb.714:                              ;   in Loop: Header=BB8_707 Depth=2
	v_or_b32_e32 v2, 0x10000, v12
	v_cmp_eq_u32_sdwa vcc, v12, v3 src0_sel:WORD_0 src1_sel:DWORD
	s_nop 1
	v_cndmask_b32_e32 v2, v2, v12, vcc
; %bb.715:                              ;   in Loop: Header=BB8_707 Depth=2
	s_or_b64 exec, exec, s[40:41]
	v_lshlrev_b32_e32 v12, 16, v13
	v_lshlrev_b32_e32 v16, 16, v17
	v_max_f32_e32 v12, v12, v12
	v_max_f32_e32 v16, v16, v16
	v_min_f32_e32 v93, v16, v12
	v_max_f32_e32 v12, v16, v12
	v_cndmask_b32_e64 v12, v12, v93, s[28:29]
	v_and_b32_e32 v16, 0x7f800000, v12
	v_cmp_ne_u32_e32 vcc, s68, v16
                                        ; implicit-def: $vgpr16
	s_and_saveexec_b64 s[40:41], vcc
	s_xor_b64 s[40:41], exec, s[40:41]
; %bb.716:                              ;   in Loop: Header=BB8_707 Depth=2
	v_bfe_u32 v16, v12, 16, 1
	v_add3_u32 v16, v12, v16, s69
                                        ; implicit-def: $vgpr12
; %bb.717:                              ;   in Loop: Header=BB8_707 Depth=2
	s_andn2_saveexec_b64 s[40:41], s[40:41]
; %bb.718:                              ;   in Loop: Header=BB8_707 Depth=2
	v_or_b32_e32 v16, 0x10000, v12
	v_cmp_eq_u32_sdwa vcc, v12, v3 src0_sel:WORD_0 src1_sel:DWORD
	s_nop 1
	v_cndmask_b32_e32 v16, v16, v12, vcc
; %bb.719:                              ;   in Loop: Header=BB8_707 Depth=2
	s_or_b64 exec, exec, s[40:41]
	v_and_b32_e32 v12, 0xffff0000, v17
	v_and_b32_e32 v13, 0xffff0000, v13
	v_max_f32_e32 v13, v13, v13
	v_max_f32_e32 v12, v12, v12
	v_min_f32_e32 v17, v12, v13
	v_max_f32_e32 v12, v12, v13
	v_cndmask_b32_e64 v13, v12, v17, s[28:29]
	v_and_b32_e32 v12, 0x7f800000, v13
	v_cmp_ne_u32_e32 vcc, s68, v12
                                        ; implicit-def: $vgpr12
	s_and_saveexec_b64 s[40:41], vcc
	s_xor_b64 s[40:41], exec, s[40:41]
; %bb.720:                              ;   in Loop: Header=BB8_707 Depth=2
	v_bfe_u32 v12, v13, 16, 1
	v_add3_u32 v12, v13, v12, s69
                                        ; implicit-def: $vgpr13
; %bb.721:                              ;   in Loop: Header=BB8_707 Depth=2
	s_andn2_saveexec_b64 s[40:41], s[40:41]
; %bb.722:                              ;   in Loop: Header=BB8_707 Depth=2
	v_or_b32_e32 v12, 0x10000, v13
	v_cmp_eq_u32_sdwa vcc, v13, v3 src0_sel:WORD_0 src1_sel:DWORD
	s_nop 1
	v_cndmask_b32_e32 v12, v12, v13, vcc
; %bb.723:                              ;   in Loop: Header=BB8_707 Depth=2
	s_or_b64 exec, exec, s[40:41]
	v_lshlrev_b32_e32 v13, 16, v14
	v_lshlrev_b32_e32 v17, 16, v18
	v_max_f32_e32 v13, v13, v13
	v_max_f32_e32 v17, v17, v17
	v_min_f32_e32 v93, v17, v13
	v_max_f32_e32 v13, v17, v13
	v_cndmask_b32_e64 v13, v13, v93, s[28:29]
	v_and_b32_e32 v17, 0x7f800000, v13
	v_cmp_ne_u32_e32 vcc, s68, v17
                                        ; implicit-def: $vgpr17
	s_and_saveexec_b64 s[40:41], vcc
	s_xor_b64 s[40:41], exec, s[40:41]
; %bb.724:                              ;   in Loop: Header=BB8_707 Depth=2
	v_bfe_u32 v17, v13, 16, 1
	v_add3_u32 v17, v13, v17, s69
                                        ; implicit-def: $vgpr13
; %bb.725:                              ;   in Loop: Header=BB8_707 Depth=2
	s_andn2_saveexec_b64 s[40:41], s[40:41]
; %bb.726:                              ;   in Loop: Header=BB8_707 Depth=2
	v_or_b32_e32 v17, 0x10000, v13
	v_cmp_eq_u32_sdwa vcc, v13, v3 src0_sel:WORD_0 src1_sel:DWORD
	s_nop 1
	v_cndmask_b32_e32 v17, v17, v13, vcc
; %bb.727:                              ;   in Loop: Header=BB8_707 Depth=2
	s_or_b64 exec, exec, s[40:41]
	v_and_b32_e32 v13, 0xffff0000, v18
	v_and_b32_e32 v14, 0xffff0000, v14
	v_max_f32_e32 v14, v14, v14
	v_max_f32_e32 v13, v13, v13
	v_min_f32_e32 v18, v13, v14
	v_max_f32_e32 v13, v13, v14
	v_cndmask_b32_e64 v13, v13, v18, s[28:29]
	v_and_b32_e32 v14, 0x7f800000, v13
	v_cmp_ne_u32_e32 vcc, s68, v14
                                        ; implicit-def: $vgpr18
	s_and_saveexec_b64 s[40:41], vcc
	s_xor_b64 s[40:41], exec, s[40:41]
; %bb.728:                              ;   in Loop: Header=BB8_707 Depth=2
	v_bfe_u32 v14, v13, 16, 1
	v_add3_u32 v18, v13, v14, s69
                                        ; implicit-def: $vgpr13
; %bb.729:                              ;   in Loop: Header=BB8_707 Depth=2
	s_andn2_saveexec_b64 s[40:41], s[40:41]
; %bb.730:                              ;   in Loop: Header=BB8_707 Depth=2
	v_or_b32_e32 v14, 0x10000, v13
	v_cmp_eq_u32_sdwa vcc, v13, v3 src0_sel:WORD_0 src1_sel:DWORD
	s_nop 1
	v_cndmask_b32_e32 v18, v14, v13, vcc
; %bb.731:                              ;   in Loop: Header=BB8_707 Depth=2
	s_or_b64 exec, exec, s[40:41]
	v_lshlrev_b32_e32 v13, 16, v15
	v_lshlrev_b32_e32 v14, 16, v19
	v_max_f32_e32 v13, v13, v13
	v_max_f32_e32 v14, v14, v14
	v_min_f32_e32 v93, v14, v13
	v_max_f32_e32 v13, v14, v13
	v_cndmask_b32_e64 v13, v13, v93, s[28:29]
	v_and_b32_e32 v14, 0x7f800000, v13
	v_cmp_ne_u32_e32 vcc, s68, v14
                                        ; implicit-def: $vgpr14
	s_and_saveexec_b64 s[40:41], vcc
	s_xor_b64 s[40:41], exec, s[40:41]
; %bb.732:                              ;   in Loop: Header=BB8_707 Depth=2
	v_bfe_u32 v14, v13, 16, 1
	v_add3_u32 v14, v13, v14, s69
                                        ; implicit-def: $vgpr13
; %bb.733:                              ;   in Loop: Header=BB8_707 Depth=2
	s_andn2_saveexec_b64 s[40:41], s[40:41]
; %bb.734:                              ;   in Loop: Header=BB8_707 Depth=2
	v_or_b32_e32 v14, 0x10000, v13
	v_cmp_eq_u32_sdwa vcc, v13, v3 src0_sel:WORD_0 src1_sel:DWORD
	s_nop 1
	v_cndmask_b32_e32 v14, v14, v13, vcc
; %bb.735:                              ;   in Loop: Header=BB8_707 Depth=2
	s_or_b64 exec, exec, s[40:41]
	v_and_b32_e32 v13, 0xffff0000, v19
	v_and_b32_e32 v15, 0xffff0000, v15
	v_max_f32_e32 v15, v15, v15
	v_max_f32_e32 v13, v13, v13
	v_min_f32_e32 v19, v13, v15
	v_max_f32_e32 v13, v13, v15
	v_cndmask_b32_e64 v13, v13, v19, s[28:29]
	v_and_b32_e32 v15, 0x7f800000, v13
	v_cmp_ne_u32_e32 vcc, s68, v15
                                        ; implicit-def: $vgpr15
	s_and_saveexec_b64 s[40:41], vcc
	s_xor_b64 s[40:41], exec, s[40:41]
; %bb.736:                              ;   in Loop: Header=BB8_707 Depth=2
	v_bfe_u32 v15, v13, 16, 1
	v_add3_u32 v15, v13, v15, s69
                                        ; implicit-def: $vgpr13
; %bb.737:                              ;   in Loop: Header=BB8_707 Depth=2
	s_andn2_saveexec_b64 s[40:41], s[40:41]
; %bb.738:                              ;   in Loop: Header=BB8_707 Depth=2
	v_or_b32_e32 v15, 0x10000, v13
	v_cmp_eq_u32_sdwa vcc, v13, v3 src0_sel:WORD_0 src1_sel:DWORD
	s_nop 1
	v_cndmask_b32_e32 v15, v15, v13, vcc
; %bb.739:                              ;   in Loop: Header=BB8_707 Depth=2
	s_or_b64 exec, exec, s[40:41]
	v_and_b32_e32 v93, 0xffff0000, v2
	v_or_b32_sdwa v2, v93, v92 dst_sel:DWORD dst_unused:UNUSED_PAD src0_sel:DWORD src1_sel:WORD_1
	v_and_b32_e32 v95, 0xffff0000, v8
	v_and_b32_e32 v92, 0xffff0000, v92
	v_lshlrev_b32_e32 v8, 16, v8
	v_max_f32_e32 v92, v92, v92
	v_max_f32_e32 v8, v8, v8
	v_min_f32_e32 v106, v92, v8
	v_max_f32_e32 v8, v92, v8
	v_cndmask_b32_e64 v8, v8, v106, s[28:29]
	v_bfe_u32 v106, v8, 16, 1
	v_or_b32_e32 v107, 0x10000, v8
	v_cmp_eq_u32_sdwa vcc, v8, v3 src0_sel:WORD_0 src1_sel:DWORD
	v_max_f32_e32 v93, v93, v93
	v_max_f32_e32 v95, v95, v95
	v_and_b32_e32 v92, 0x7f800000, v8
	v_add3_u32 v106, v8, v106, s69
	v_cndmask_b32_e32 v8, v107, v8, vcc
	v_min_f32_e32 v107, v93, v95
	v_max_f32_e32 v93, v93, v95
	v_cndmask_b32_e64 v93, v93, v107, s[28:29]
	v_and_b32_e32 v19, 0xffff0000, v12
	v_bfe_u32 v107, v93, 16, 1
	v_or_b32_e32 v108, 0x10000, v93
	v_cmp_eq_u32_sdwa vcc, v93, v3 src0_sel:WORD_0 src1_sel:DWORD
	v_or_b32_sdwa v13, v19, v16 dst_sel:DWORD dst_unused:UNUSED_PAD src0_sel:DWORD src1_sel:WORD_1
	v_and_b32_e32 v95, 0x7f800000, v93
	v_add3_u32 v107, v93, v107, s69
	v_cndmask_b32_e32 v93, v108, v93, vcc
	v_and_b32_e32 v108, 0xffff0000, v9
	v_and_b32_e32 v16, 0xffff0000, v16
	v_lshlrev_b32_e32 v9, 16, v9
	v_max_f32_e32 v16, v16, v16
	v_max_f32_e32 v9, v9, v9
	v_min_f32_e32 v109, v16, v9
	v_max_f32_e32 v9, v16, v9
	v_cndmask_b32_e64 v9, v9, v109, s[28:29]
	v_bfe_u32 v109, v9, 16, 1
	v_or_b32_e32 v110, 0x10000, v9
	v_cmp_eq_u32_sdwa vcc, v9, v3 src0_sel:WORD_0 src1_sel:DWORD
	v_max_f32_e32 v19, v19, v19
	v_max_f32_e32 v108, v108, v108
	v_and_b32_e32 v16, 0x7f800000, v9
	v_add3_u32 v109, v9, v109, s69
	v_cndmask_b32_e32 v9, v110, v9, vcc
	v_min_f32_e32 v110, v19, v108
	v_max_f32_e32 v19, v19, v108
	v_cndmask_b32_e64 v19, v19, v110, s[28:29]
	v_and_b32_e32 v18, 0xffff0000, v18
	v_bfe_u32 v110, v19, 16, 1
	v_or_b32_e32 v111, 0x10000, v19
	v_cmp_eq_u32_sdwa vcc, v19, v3 src0_sel:WORD_0 src1_sel:DWORD
	v_or_b32_sdwa v12, v18, v17 dst_sel:DWORD dst_unused:UNUSED_PAD src0_sel:DWORD src1_sel:WORD_1
	v_and_b32_e32 v108, 0x7f800000, v19
	v_add3_u32 v110, v19, v110, s69
	v_cndmask_b32_e32 v19, v111, v19, vcc
	;; [unrolled: 27-line block ×3, first 2 shown]
	v_and_b32_e32 v122, 0xffff0000, v11
	v_and_b32_e32 v14, 0xffff0000, v14
	v_lshlrev_b32_e32 v11, 16, v11
	v_max_f32_e32 v14, v14, v14
	v_max_f32_e32 v11, v11, v11
	v_min_f32_e32 v123, v14, v11
	v_max_f32_e32 v11, v14, v11
	v_cndmask_b32_e64 v11, v11, v123, s[28:29]
	v_bfe_u32 v123, v11, 16, 1
	v_or_b32_e32 v124, 0x10000, v11
	v_cmp_eq_u32_sdwa vcc, v11, v3 src0_sel:WORD_0 src1_sel:DWORD
	v_max_f32_e32 v94, v94, v94
	v_max_f32_e32 v122, v122, v122
	v_and_b32_e32 v14, 0x7f800000, v11
	v_add3_u32 v123, v11, v123, s69
	v_cndmask_b32_e32 v11, v124, v11, vcc
	v_min_f32_e32 v124, v94, v122
	v_max_f32_e32 v94, v94, v122
	v_cndmask_b32_e64 v94, v94, v124, s[28:29]
	v_bfe_u32 v124, v94, 16, 1
	v_or_b32_e32 v125, 0x10000, v94
	v_cmp_eq_u32_sdwa vcc, v94, v3 src0_sel:WORD_0 src1_sel:DWORD
	v_and_b32_e32 v122, 0x7f800000, v94
	v_add3_u32 v124, v94, v124, s69
	v_cndmask_b32_e32 v94, v125, v94, vcc
	v_cmp_eq_u32_e32 vcc, s68, v92
	s_mov_b64 s[58:59], 0
	s_mov_b64 s[56:57], -1
	v_cndmask_b32_e32 v8, v106, v8, vcc
	v_cmp_eq_u32_e32 vcc, s68, v95
	v_lshrrev_b32_e32 v8, 16, v8
	s_nop 0
	v_cndmask_b32_e32 v92, v107, v93, vcc
	v_cmp_eq_u32_e32 vcc, s68, v16
	v_and_or_b32 v8, v92, s70, v8
	s_nop 0
	v_cndmask_b32_e32 v9, v109, v9, vcc
	v_cmp_eq_u32_e32 vcc, s68, v108
	v_lshrrev_b32_e32 v9, 16, v9
	s_nop 0
	v_cndmask_b32_e32 v16, v110, v19, vcc
	v_cmp_eq_u32_e32 vcc, s68, v17
	v_and_or_b32 v9, v16, s70, v9
	s_nop 0
	;; [unrolled: 8-line block ×3, first 2 shown]
	v_cndmask_b32_e32 v11, v123, v11, vcc
	v_cmp_eq_u32_e32 vcc, s68, v122
	v_lshrrev_b32_e32 v11, 16, v11
	s_nop 0
	v_cndmask_b32_e32 v14, v124, v94, vcc
	v_and_or_b32 v11, v14, s70, v11
.LBB8_740:                              ;   Parent Loop BB8_47 Depth=1
                                        ;     Parent Loop BB8_707 Depth=2
                                        ; =>    This Inner Loop Header: Depth=3
	v_cndmask_b32_e64 v14, 0, 1, s[56:57]
	s_cmp_eq_u32 s58, 1
	v_cmp_ne_u32_e32 vcc, 1, v14
	s_cselect_b64 s[40:41], -1, 0
	v_cndmask_b32_e64 v17, v13, v9, s[56:57]
	v_cndmask_b32_e64 v16, v2, v8, s[56:57]
	;; [unrolled: 1-line block ×4, first 2 shown]
	v_cndmask_b32_e32 v93, v47, v57, vcc
	v_cndmask_b32_e64 v95, v47, v57, s[40:41]
	s_cmp_eq_u32 s58, 0
	v_cndmask_b32_e32 v92, v46, v56, vcc
	v_cndmask_b32_e64 v94, v46, v56, s[40:41]
	global_store_dwordx4 v[92:93], v[16:19], off
	s_cselect_b64 vcc, -1, 0
	s_and_b64 s[42:43], exec, s[56:57]
	v_lshl_add_u64 v[16:17], v[94:95], 0, s[90:91]
	s_mov_b64 s[58:59], 1
	s_mov_b64 s[56:57], 0
	v_cndmask_b32_e64 v57, v57, v17, s[40:41]
	v_cndmask_b32_e64 v56, v56, v16, s[40:41]
	v_cndmask_b32_e32 v47, v47, v17, vcc
	v_cndmask_b32_e32 v46, v46, v16, vcc
	s_mov_b64 vcc, s[42:43]
	s_cbranch_vccnz .LBB8_740
; %bb.741:                              ;   in Loop: Header=BB8_707 Depth=2
	v_sub_u32_e32 v88, v88, v80
	v_cmp_gt_i32_e32 vcc, 16, v88
	v_lshl_add_u64 v[58:59], v[58:59], 0, v[98:99]
	v_lshl_add_u64 v[60:61], v[60:61], 0, v[98:99]
	;; [unrolled: 1-line block ×5, first 2 shown]
	s_or_b64 s[46:47], vcc, s[46:47]
	v_sub_u32_e32 v90, v90, v52
	s_andn2_b64 exec, exec, s[46:47]
	s_cbranch_execnz .LBB8_707
; %bb.742:                              ;   in Loop: Header=BB8_47 Depth=1
	s_or_b64 exec, exec, s[46:47]
.LBB8_743:                              ;   in Loop: Header=BB8_47 Depth=1
	s_or_b64 exec, exec, s[44:45]
	v_and_b32_e32 v8, 14, v79
	v_cndmask_b32_e64 v88, v91, v8, s[26:27]
	v_mov_b32_e32 v2, 0
	v_cmp_ne_u32_e32 vcc, 0, v88
	s_mov_b64 s[28:29], 0
                                        ; implicit-def: $vgpr79
                                        ; implicit-def: $vgpr18
	s_and_saveexec_b64 s[50:51], vcc
	s_cbranch_execz .LBB8_783
; %bb.744:                              ;   in Loop: Header=BB8_47 Depth=1
	v_sub_u32_e32 v2, v91, v8
	v_cndmask_b32_e64 v2, 0, v2, s[26:27]
	v_cmp_lt_i32_e32 vcc, 0, v90
	v_add_u32_e32 v79, v2, v89
	s_nop 0
	v_cndmask_b32_e32 v2, 0, v52, vcc
	v_sub_u32_e32 v2, v2, v90
	v_lshl_or_b32 v2, v2, 6, v72
	v_ashrrev_i32_e32 v8, 31, v2
	v_lshrrev_b32_e32 v8, 26, v8
	v_add_u32_e32 v8, v2, v8
	v_ashrrev_i32_e32 v9, 6, v8
	v_and_b32_e32 v8, 0xffffffc0, v8
	v_sub_u32_e32 v89, v2, v8
	v_ashrrev_i32_e32 v8, 31, v88
	v_lshrrev_b32_e32 v8, 22, v8
	v_add_u32_e32 v8, v88, v8
	v_and_b32_e32 v90, 0xfffffc00, v8
	v_lshlrev_b32_e32 v2, 4, v89
	v_sub_u32_e32 v91, v88, v90
	v_lshl_add_u32 v2, v9, 10, v2
	v_ashrrev_i32_e32 v10, 10, v8
	v_cmp_lt_i32_e64 s[26:27], 15, v91
	v_sub_u32_e32 v93, v88, v2
	s_nop 0
	v_addc_co_u32_e64 v8, vcc, 0, v10, s[26:27]
	v_sub_u32_e32 v92, v8, v9
	v_cmp_lt_i32_e32 vcc, 15, v93
	s_and_saveexec_b64 s[52:53], vcc
	s_cbranch_execz .LBB8_782
; %bb.745:                              ;   in Loop: Header=BB8_47 Depth=1
	s_trap 2
	ds_read_b64 v[10:11], v0
	v_add_u32_e32 v8, v2, v79
	s_and_b32 s76, s87, 1
	v_ashrrev_i32_e32 v9, 31, v8
	s_cmp_eq_u64 s[76:77], 0
	s_waitcnt lgkmcnt(0)
	v_lshl_add_u64 v[44:45], v[8:9], 0, v[42:43]
	v_lshl_add_u64 v[46:47], v[8:9], 0, v[22:23]
	;; [unrolled: 1-line block ×5, first 2 shown]
	s_mov_b64 s[54:55], 0
	s_cselect_b64 s[28:29], -1, 0
.LBB8_746:                              ;   Parent Loop BB8_47 Depth=1
                                        ; =>  This Loop Header: Depth=2
                                        ;       Child Loop BB8_779 Depth 3
	global_load_dwordx4 v[12:15], v[60:61], off nt
	global_load_dwordx4 v[16:19], v[58:59], off nt
	;; [unrolled: 1-line block ×3, first 2 shown]
	s_waitcnt vmcnt(0)
	v_lshlrev_b32_e32 v2, 16, v12
	v_lshlrev_b32_e32 v94, 16, v16
	v_max_f32_e32 v2, v2, v2
	v_max_f32_e32 v94, v94, v94
	v_min_f32_e32 v95, v94, v2
	v_max_f32_e32 v2, v94, v2
	v_cndmask_b32_e64 v2, v2, v95, s[28:29]
	v_and_b32_e32 v94, 0x7f800000, v2
	v_cmp_ne_u32_e32 vcc, s68, v94
                                        ; implicit-def: $vgpr94
	s_and_saveexec_b64 s[40:41], vcc
	s_xor_b64 s[40:41], exec, s[40:41]
; %bb.747:                              ;   in Loop: Header=BB8_746 Depth=2
	v_bfe_u32 v94, v2, 16, 1
	v_add3_u32 v94, v2, v94, s69
                                        ; implicit-def: $vgpr2
; %bb.748:                              ;   in Loop: Header=BB8_746 Depth=2
	s_andn2_saveexec_b64 s[40:41], s[40:41]
; %bb.749:                              ;   in Loop: Header=BB8_746 Depth=2
	v_or_b32_e32 v94, 0x10000, v2
	v_cmp_eq_u32_sdwa vcc, v2, v3 src0_sel:WORD_0 src1_sel:DWORD
	s_nop 1
	v_cndmask_b32_e32 v94, v94, v2, vcc
; %bb.750:                              ;   in Loop: Header=BB8_746 Depth=2
	s_or_b64 exec, exec, s[40:41]
	v_and_b32_e32 v2, 0xffff0000, v12
	v_and_b32_e32 v12, 0xffff0000, v16
	v_max_f32_e32 v2, v2, v2
	v_max_f32_e32 v12, v12, v12
	v_min_f32_e32 v16, v12, v2
	v_max_f32_e32 v2, v12, v2
	v_cndmask_b32_e64 v12, v2, v16, s[28:29]
	v_and_b32_e32 v2, 0x7f800000, v12
	v_cmp_ne_u32_e32 vcc, s68, v2
                                        ; implicit-def: $vgpr2
	s_and_saveexec_b64 s[40:41], vcc
	s_xor_b64 s[40:41], exec, s[40:41]
; %bb.751:                              ;   in Loop: Header=BB8_746 Depth=2
	v_bfe_u32 v2, v12, 16, 1
	v_add3_u32 v2, v12, v2, s69
                                        ; implicit-def: $vgpr12
; %bb.752:                              ;   in Loop: Header=BB8_746 Depth=2
	s_andn2_saveexec_b64 s[40:41], s[40:41]
; %bb.753:                              ;   in Loop: Header=BB8_746 Depth=2
	v_or_b32_e32 v2, 0x10000, v12
	v_cmp_eq_u32_sdwa vcc, v12, v3 src0_sel:WORD_0 src1_sel:DWORD
	s_nop 1
	v_cndmask_b32_e32 v2, v2, v12, vcc
; %bb.754:                              ;   in Loop: Header=BB8_746 Depth=2
	s_or_b64 exec, exec, s[40:41]
	v_lshlrev_b32_e32 v12, 16, v13
	v_lshlrev_b32_e32 v16, 16, v17
	v_max_f32_e32 v12, v12, v12
	v_max_f32_e32 v16, v16, v16
	v_min_f32_e32 v95, v16, v12
	v_max_f32_e32 v12, v16, v12
	v_cndmask_b32_e64 v12, v12, v95, s[28:29]
	v_and_b32_e32 v16, 0x7f800000, v12
	v_cmp_ne_u32_e32 vcc, s68, v16
                                        ; implicit-def: $vgpr16
	s_and_saveexec_b64 s[40:41], vcc
	s_xor_b64 s[40:41], exec, s[40:41]
; %bb.755:                              ;   in Loop: Header=BB8_746 Depth=2
	v_bfe_u32 v16, v12, 16, 1
	v_add3_u32 v16, v12, v16, s69
                                        ; implicit-def: $vgpr12
; %bb.756:                              ;   in Loop: Header=BB8_746 Depth=2
	s_andn2_saveexec_b64 s[40:41], s[40:41]
; %bb.757:                              ;   in Loop: Header=BB8_746 Depth=2
	v_or_b32_e32 v16, 0x10000, v12
	v_cmp_eq_u32_sdwa vcc, v12, v3 src0_sel:WORD_0 src1_sel:DWORD
	s_nop 1
	v_cndmask_b32_e32 v16, v16, v12, vcc
; %bb.758:                              ;   in Loop: Header=BB8_746 Depth=2
	s_or_b64 exec, exec, s[40:41]
	v_and_b32_e32 v12, 0xffff0000, v17
	v_and_b32_e32 v13, 0xffff0000, v13
	v_max_f32_e32 v13, v13, v13
	v_max_f32_e32 v12, v12, v12
	v_min_f32_e32 v17, v12, v13
	v_max_f32_e32 v12, v12, v13
	v_cndmask_b32_e64 v13, v12, v17, s[28:29]
	v_and_b32_e32 v12, 0x7f800000, v13
	v_cmp_ne_u32_e32 vcc, s68, v12
                                        ; implicit-def: $vgpr12
	s_and_saveexec_b64 s[40:41], vcc
	s_xor_b64 s[40:41], exec, s[40:41]
; %bb.759:                              ;   in Loop: Header=BB8_746 Depth=2
	v_bfe_u32 v12, v13, 16, 1
	v_add3_u32 v12, v13, v12, s69
                                        ; implicit-def: $vgpr13
; %bb.760:                              ;   in Loop: Header=BB8_746 Depth=2
	s_andn2_saveexec_b64 s[40:41], s[40:41]
; %bb.761:                              ;   in Loop: Header=BB8_746 Depth=2
	v_or_b32_e32 v12, 0x10000, v13
	v_cmp_eq_u32_sdwa vcc, v13, v3 src0_sel:WORD_0 src1_sel:DWORD
	s_nop 1
	v_cndmask_b32_e32 v12, v12, v13, vcc
; %bb.762:                              ;   in Loop: Header=BB8_746 Depth=2
	s_or_b64 exec, exec, s[40:41]
	v_lshlrev_b32_e32 v13, 16, v14
	v_lshlrev_b32_e32 v17, 16, v18
	v_max_f32_e32 v13, v13, v13
	v_max_f32_e32 v17, v17, v17
	v_min_f32_e32 v95, v17, v13
	v_max_f32_e32 v13, v17, v13
	v_cndmask_b32_e64 v13, v13, v95, s[28:29]
	v_and_b32_e32 v17, 0x7f800000, v13
	v_cmp_ne_u32_e32 vcc, s68, v17
                                        ; implicit-def: $vgpr17
	s_and_saveexec_b64 s[40:41], vcc
	s_xor_b64 s[40:41], exec, s[40:41]
; %bb.763:                              ;   in Loop: Header=BB8_746 Depth=2
	v_bfe_u32 v17, v13, 16, 1
	v_add3_u32 v17, v13, v17, s69
                                        ; implicit-def: $vgpr13
; %bb.764:                              ;   in Loop: Header=BB8_746 Depth=2
	s_andn2_saveexec_b64 s[40:41], s[40:41]
; %bb.765:                              ;   in Loop: Header=BB8_746 Depth=2
	v_or_b32_e32 v17, 0x10000, v13
	v_cmp_eq_u32_sdwa vcc, v13, v3 src0_sel:WORD_0 src1_sel:DWORD
	s_nop 1
	v_cndmask_b32_e32 v17, v17, v13, vcc
; %bb.766:                              ;   in Loop: Header=BB8_746 Depth=2
	s_or_b64 exec, exec, s[40:41]
	v_and_b32_e32 v13, 0xffff0000, v18
	v_and_b32_e32 v14, 0xffff0000, v14
	v_max_f32_e32 v14, v14, v14
	v_max_f32_e32 v13, v13, v13
	v_min_f32_e32 v18, v13, v14
	v_max_f32_e32 v13, v13, v14
	v_cndmask_b32_e64 v13, v13, v18, s[28:29]
	v_and_b32_e32 v14, 0x7f800000, v13
	v_cmp_ne_u32_e32 vcc, s68, v14
                                        ; implicit-def: $vgpr18
	s_and_saveexec_b64 s[40:41], vcc
	s_xor_b64 s[40:41], exec, s[40:41]
; %bb.767:                              ;   in Loop: Header=BB8_746 Depth=2
	v_bfe_u32 v14, v13, 16, 1
	v_add3_u32 v18, v13, v14, s69
                                        ; implicit-def: $vgpr13
; %bb.768:                              ;   in Loop: Header=BB8_746 Depth=2
	s_andn2_saveexec_b64 s[40:41], s[40:41]
; %bb.769:                              ;   in Loop: Header=BB8_746 Depth=2
	v_or_b32_e32 v14, 0x10000, v13
	v_cmp_eq_u32_sdwa vcc, v13, v3 src0_sel:WORD_0 src1_sel:DWORD
	s_nop 1
	v_cndmask_b32_e32 v18, v14, v13, vcc
; %bb.770:                              ;   in Loop: Header=BB8_746 Depth=2
	s_or_b64 exec, exec, s[40:41]
	v_lshlrev_b32_e32 v13, 16, v15
	v_lshlrev_b32_e32 v14, 16, v19
	v_max_f32_e32 v13, v13, v13
	v_max_f32_e32 v14, v14, v14
	v_min_f32_e32 v95, v14, v13
	v_max_f32_e32 v13, v14, v13
	v_cndmask_b32_e64 v13, v13, v95, s[28:29]
	v_and_b32_e32 v14, 0x7f800000, v13
	v_cmp_ne_u32_e32 vcc, s68, v14
                                        ; implicit-def: $vgpr14
	s_and_saveexec_b64 s[40:41], vcc
	s_xor_b64 s[40:41], exec, s[40:41]
; %bb.771:                              ;   in Loop: Header=BB8_746 Depth=2
	v_bfe_u32 v14, v13, 16, 1
	v_add3_u32 v14, v13, v14, s69
                                        ; implicit-def: $vgpr13
; %bb.772:                              ;   in Loop: Header=BB8_746 Depth=2
	s_andn2_saveexec_b64 s[40:41], s[40:41]
; %bb.773:                              ;   in Loop: Header=BB8_746 Depth=2
	v_or_b32_e32 v14, 0x10000, v13
	v_cmp_eq_u32_sdwa vcc, v13, v3 src0_sel:WORD_0 src1_sel:DWORD
	s_nop 1
	v_cndmask_b32_e32 v14, v14, v13, vcc
; %bb.774:                              ;   in Loop: Header=BB8_746 Depth=2
	s_or_b64 exec, exec, s[40:41]
	v_and_b32_e32 v13, 0xffff0000, v19
	v_and_b32_e32 v15, 0xffff0000, v15
	v_max_f32_e32 v15, v15, v15
	v_max_f32_e32 v13, v13, v13
	v_min_f32_e32 v19, v13, v15
	v_max_f32_e32 v13, v13, v15
	v_cndmask_b32_e64 v13, v13, v19, s[28:29]
	v_and_b32_e32 v15, 0x7f800000, v13
	v_cmp_ne_u32_e32 vcc, s68, v15
                                        ; implicit-def: $vgpr15
	s_and_saveexec_b64 s[40:41], vcc
	s_xor_b64 s[40:41], exec, s[40:41]
; %bb.775:                              ;   in Loop: Header=BB8_746 Depth=2
	v_bfe_u32 v15, v13, 16, 1
	v_add3_u32 v15, v13, v15, s69
                                        ; implicit-def: $vgpr13
; %bb.776:                              ;   in Loop: Header=BB8_746 Depth=2
	s_andn2_saveexec_b64 s[40:41], s[40:41]
; %bb.777:                              ;   in Loop: Header=BB8_746 Depth=2
	v_or_b32_e32 v15, 0x10000, v13
	v_cmp_eq_u32_sdwa vcc, v13, v3 src0_sel:WORD_0 src1_sel:DWORD
	s_nop 1
	v_cndmask_b32_e32 v15, v15, v13, vcc
; %bb.778:                              ;   in Loop: Header=BB8_746 Depth=2
	s_or_b64 exec, exec, s[40:41]
	v_and_b32_e32 v95, 0xffff0000, v2
	v_or_b32_sdwa v2, v95, v94 dst_sel:DWORD dst_unused:UNUSED_PAD src0_sel:DWORD src1_sel:WORD_1
	v_and_b32_e32 v107, 0xffff0000, v8
	v_and_b32_e32 v94, 0xffff0000, v94
	v_lshlrev_b32_e32 v8, 16, v8
	v_max_f32_e32 v94, v94, v94
	v_max_f32_e32 v8, v8, v8
	v_min_f32_e32 v108, v94, v8
	v_max_f32_e32 v8, v94, v8
	v_cndmask_b32_e64 v8, v8, v108, s[28:29]
	v_and_b32_e32 v94, 0x7f800000, v8
	v_cmp_eq_u32_e32 vcc, s68, v94
	v_bfe_u32 v94, v8, 16, 1
	v_cmp_eq_u32_sdwa s[40:41], v8, v3 src0_sel:WORD_0 src1_sel:DWORD
	v_or_b32_e32 v108, 0x10000, v8
	v_max_f32_e32 v95, v95, v95
	v_max_f32_e32 v107, v107, v107
	v_add3_u32 v94, v8, v94, s69
	v_cndmask_b32_e64 v8, v108, v8, s[40:41]
	v_min_f32_e32 v108, v95, v107
	v_max_f32_e32 v95, v95, v107
	v_cndmask_b32_e64 v95, v95, v108, s[28:29]
	v_and_b32_e32 v107, 0x7f800000, v95
	v_and_b32_e32 v19, 0xffff0000, v12
	v_cmp_eq_u32_e64 s[40:41], s68, v107
	v_bfe_u32 v107, v95, 16, 1
	v_cmp_eq_u32_sdwa s[42:43], v95, v3 src0_sel:WORD_0 src1_sel:DWORD
	v_or_b32_e32 v108, 0x10000, v95
	v_or_b32_sdwa v13, v19, v16 dst_sel:DWORD dst_unused:UNUSED_PAD src0_sel:DWORD src1_sel:WORD_1
	v_add3_u32 v107, v95, v107, s69
	v_cndmask_b32_e64 v95, v108, v95, s[42:43]
	v_and_b32_e32 v108, 0xffff0000, v9
	v_and_b32_e32 v16, 0xffff0000, v16
	v_lshlrev_b32_e32 v9, 16, v9
	v_max_f32_e32 v16, v16, v16
	v_max_f32_e32 v9, v9, v9
	v_min_f32_e32 v109, v16, v9
	v_max_f32_e32 v9, v16, v9
	v_cndmask_b32_e64 v9, v9, v109, s[28:29]
	v_and_b32_e32 v16, 0x7f800000, v9
	v_cmp_eq_u32_e64 s[42:43], s68, v16
	v_bfe_u32 v16, v9, 16, 1
	v_cmp_eq_u32_sdwa s[44:45], v9, v3 src0_sel:WORD_0 src1_sel:DWORD
	v_or_b32_e32 v109, 0x10000, v9
	v_max_f32_e32 v19, v19, v19
	v_max_f32_e32 v108, v108, v108
	v_add3_u32 v16, v9, v16, s69
	v_cndmask_b32_e64 v9, v109, v9, s[44:45]
	v_min_f32_e32 v109, v19, v108
	v_max_f32_e32 v19, v19, v108
	v_cndmask_b32_e64 v19, v19, v109, s[28:29]
	v_and_b32_e32 v108, 0x7f800000, v19
	v_and_b32_e32 v18, 0xffff0000, v18
	v_cmp_eq_u32_e64 s[44:45], s68, v108
	v_bfe_u32 v108, v19, 16, 1
	v_cmp_eq_u32_sdwa s[46:47], v19, v3 src0_sel:WORD_0 src1_sel:DWORD
	v_or_b32_e32 v109, 0x10000, v19
	v_or_b32_sdwa v12, v18, v17 dst_sel:DWORD dst_unused:UNUSED_PAD src0_sel:DWORD src1_sel:WORD_1
	v_add3_u32 v108, v19, v108, s69
	v_cndmask_b32_e64 v19, v109, v19, s[46:47]
	v_and_b32_e32 v109, 0xffff0000, v10
	v_and_b32_e32 v17, 0xffff0000, v17
	v_lshlrev_b32_e32 v10, 16, v10
	v_max_f32_e32 v17, v17, v17
	v_max_f32_e32 v10, v10, v10
	v_min_f32_e32 v110, v17, v10
	v_max_f32_e32 v10, v17, v10
	v_cndmask_b32_e64 v10, v10, v110, s[28:29]
	v_and_b32_e32 v17, 0x7f800000, v10
	v_cmp_eq_u32_e64 s[46:47], s68, v17
	;; [unrolled: 29-line block ×3, first 2 shown]
	v_bfe_u32 v14, v11, 16, 1
	v_cmp_eq_u32_sdwa s[60:61], v11, v3 src0_sel:WORD_0 src1_sel:DWORD
	v_or_b32_e32 v111, 0x10000, v11
	v_max_f32_e32 v106, v106, v106
	v_max_f32_e32 v110, v110, v110
	v_add3_u32 v14, v11, v14, s69
	v_cndmask_b32_e64 v11, v111, v11, s[60:61]
	v_min_f32_e32 v111, v106, v110
	v_max_f32_e32 v106, v106, v110
	v_cndmask_b32_e64 v106, v106, v111, s[28:29]
	v_and_b32_e32 v110, 0x7f800000, v106
	v_cmp_eq_u32_e64 s[60:61], s68, v110
	v_bfe_u32 v110, v106, 16, 1
	v_cmp_eq_u32_sdwa s[62:63], v106, v3 src0_sel:WORD_0 src1_sel:DWORD
	v_or_b32_e32 v111, 0x10000, v106
	v_add3_u32 v110, v106, v110, s69
	v_cndmask_b32_e64 v106, v111, v106, s[62:63]
	v_cndmask_b32_e32 v8, v94, v8, vcc
	v_cndmask_b32_e64 v9, v16, v9, s[42:43]
	v_cndmask_b32_e64 v10, v17, v10, s[46:47]
	;; [unrolled: 1-line block ×7, first 2 shown]
	v_lshrrev_b32_e32 v9, 16, v9
	v_lshrrev_b32_e32 v8, 16, v8
	;; [unrolled: 1-line block ×4, first 2 shown]
	v_and_or_b32 v9, v16, s70, v9
	v_and_or_b32 v8, v94, s70, v8
	;; [unrolled: 1-line block ×4, first 2 shown]
	s_mov_b64 s[46:47], 0
	s_mov_b64 s[44:45], -1
.LBB8_779:                              ;   Parent Loop BB8_47 Depth=1
                                        ;     Parent Loop BB8_746 Depth=2
                                        ; =>    This Inner Loop Header: Depth=3
	v_cndmask_b32_e64 v14, 0, 1, s[44:45]
	s_cmp_eq_u32 s46, 1
	v_cmp_ne_u32_e32 vcc, 1, v14
	s_cselect_b64 s[40:41], -1, 0
	v_cndmask_b32_e64 v17, v13, v9, s[44:45]
	v_cndmask_b32_e64 v16, v2, v8, s[44:45]
	;; [unrolled: 1-line block ×4, first 2 shown]
	v_cndmask_b32_e32 v95, v47, v57, vcc
	v_cndmask_b32_e64 v107, v47, v57, s[40:41]
	s_cmp_eq_u32 s46, 0
	v_cndmask_b32_e32 v94, v46, v56, vcc
	v_cndmask_b32_e64 v106, v46, v56, s[40:41]
	global_store_dwordx4 v[94:95], v[16:19], off
	s_cselect_b64 vcc, -1, 0
	s_and_b64 s[42:43], exec, s[44:45]
	v_lshl_add_u64 v[16:17], v[106:107], 0, s[90:91]
	s_mov_b64 s[46:47], 1
	s_mov_b64 s[44:45], 0
	v_cndmask_b32_e64 v57, v57, v17, s[40:41]
	v_cndmask_b32_e64 v56, v56, v16, s[40:41]
	v_cndmask_b32_e32 v47, v47, v17, vcc
	v_cndmask_b32_e32 v46, v46, v16, vcc
	s_mov_b64 vcc, s[42:43]
	s_cbranch_vccnz .LBB8_779
; %bb.780:                              ;   in Loop: Header=BB8_746 Depth=2
	v_sub_u32_e32 v93, v93, v80
	v_cmp_gt_i32_e32 vcc, 16, v93
	v_lshl_add_u64 v[58:59], v[58:59], 0, v[98:99]
	v_lshl_add_u64 v[60:61], v[60:61], 0, v[98:99]
	;; [unrolled: 1-line block ×5, first 2 shown]
	s_or_b64 s[54:55], vcc, s[54:55]
	v_sub_u32_e32 v92, v92, v52
	s_andn2_b64 exec, exec, s[54:55]
	s_cbranch_execnz .LBB8_746
; %bb.781:                              ;   in Loop: Header=BB8_47 Depth=1
	s_or_b64 exec, exec, s[54:55]
.LBB8_782:                              ;   in Loop: Header=BB8_47 Depth=1
	s_or_b64 exec, exec, s[52:53]
	v_and_b32_e32 v8, 14, v88
	v_sub_u32_e32 v2, v91, v8
	v_cndmask_b32_e64 v2, 0, v2, s[26:27]
	v_cmp_lt_i32_e32 vcc, 0, v92
	v_add3_u32 v2, v90, v79, v2
	v_cndmask_b32_e64 v79, v91, v8, s[26:27]
	v_cndmask_b32_e32 v8, 0, v52, vcc
	v_sub_u32_e32 v8, v8, v92
	v_cmp_ne_u32_e32 vcc, 0, v79
	v_lshl_add_u32 v18, v8, 6, v89
	s_and_b64 s[28:29], vcc, exec
.LBB8_783:                              ;   in Loop: Header=BB8_47 Depth=1
	s_or_b64 exec, exec, s[50:51]
	s_and_saveexec_b64 s[42:43], s[28:29]
	s_cbranch_execz .LBB8_842
.LBB8_784:                              ;   in Loop: Header=BB8_47 Depth=1
	v_ashrrev_i32_e32 v8, 31, v18
	v_ashrrev_i32_e32 v9, 31, v79
	v_lshrrev_b32_e32 v8, 26, v8
	v_lshrrev_b32_e32 v9, 23, v9
	v_add_u32_e32 v8, v18, v8
	v_add_u32_e32 v9, v79, v9
	v_ashrrev_i32_e32 v19, 6, v8
	v_ashrrev_i32_e32 v45, 9, v9
	v_sub_u32_e32 v44, v45, v19
	v_cmp_lt_i32_e32 vcc, 0, v44
	s_and_saveexec_b64 s[28:29], vcc
	s_cbranch_execz .LBB8_832
; %bb.785:                              ;   in Loop: Header=BB8_47 Depth=1
	v_and_b32_e32 v8, 0x7fffffc0, v8
	s_trap 2
	ds_read_b64 v[46:47], v0
	v_sub_u32_e32 v8, v18, v8
	v_lshlrev_b32_e32 v8, 1, v8
	v_lshlrev_b32_e32 v9, 9, v19
	v_add3_u32 v16, v8, v2, v9
	s_and_b32 s76, s87, 1
	v_ashrrev_i32_e32 v17, 31, v16
	s_cmp_eq_u64 s[76:77], 0
	s_waitcnt lgkmcnt(0)
	v_lshl_add_u64 v[8:9], v[16:17], 0, v[42:43]
	v_lshl_add_u64 v[10:11], v[16:17], 0, v[22:23]
	;; [unrolled: 1-line block ×5, first 2 shown]
	s_mov_b64 s[40:41], 0
	s_cselect_b64 vcc, -1, 0
	s_branch .LBB8_787
.LBB8_786:                              ;   in Loop: Header=BB8_787 Depth=2
	s_or_b64 exec, exec, s[44:45]
	v_sub_u32_e32 v44, v44, v52
	v_cmp_gt_i32_e64 s[26:27], 1, v44
	flat_store_short_d16_hi v[10:11], v57 offset:384 nt
	flat_store_short_d16_hi v[12:13], v46 nt
	flat_store_short_d16_hi v[12:13], v56 offset:128 nt
	flat_store_short_d16_hi v[12:13], v58 offset:256 nt
	;; [unrolled: 1-line block ×3, first 2 shown]
	v_lshl_add_u64 v[14:15], v[14:15], 0, v[82:83]
	v_lshl_add_u64 v[16:17], v[16:17], 0, v[82:83]
	;; [unrolled: 1-line block ×4, first 2 shown]
	s_or_b64 s[40:41], s[26:27], s[40:41]
	v_lshl_add_u64 v[8:9], v[8:9], 0, v[82:83]
	s_andn2_b64 exec, exec, s[40:41]
	s_cbranch_execz .LBB8_831
.LBB8_787:                              ;   Parent Loop BB8_47 Depth=1
                                        ; =>  This Inner Loop Header: Depth=2
	flat_load_ushort v58, v[14:15] offset:256 nt
	flat_load_ushort v60, v[14:15] offset:384 nt
	flat_load_ushort v46, v[14:15] nt
	flat_load_ushort v89, v[16:17] offset:256 nt
	flat_load_ushort v88, v[16:17] offset:384 nt
	flat_load_ushort v91, v[16:17] nt
	;; [unrolled: 3-line block ×3, first 2 shown]
	flat_load_ushort v59, v[8:9] offset:128 nt
	flat_load_ushort v57, v[8:9] offset:256 nt
	;; [unrolled: 1-line block ×3, first 2 shown]
	s_waitcnt vmcnt(0) lgkmcnt(0)
	v_lshlrev_b32_e32 v46, 16, v46
	v_max_f32_e32 v46, v46, v46
	v_lshlrev_b32_e32 v91, 16, v91
	v_max_f32_e32 v91, v91, v91
	v_min_f32_e32 v92, v46, v91
	v_max_f32_e32 v46, v46, v91
	v_cndmask_b32_e32 v91, v46, v92, vcc
	v_and_b32_e32 v46, 0x7f800000, v91
	v_cmp_ne_u32_e64 s[26:27], s68, v46
                                        ; implicit-def: $vgpr46
	s_and_saveexec_b64 s[44:45], s[26:27]
	s_xor_b64 s[26:27], exec, s[44:45]
; %bb.788:                              ;   in Loop: Header=BB8_787 Depth=2
	v_bfe_u32 v46, v91, 16, 1
	v_add3_u32 v46, v91, v46, s69
                                        ; implicit-def: $vgpr91
; %bb.789:                              ;   in Loop: Header=BB8_787 Depth=2
	s_andn2_saveexec_b64 s[44:45], s[26:27]
; %bb.790:                              ;   in Loop: Header=BB8_787 Depth=2
	v_or_b32_e32 v46, 0x10000, v91
	v_cmp_eq_u32_sdwa s[26:27], v91, v3 src0_sel:WORD_0 src1_sel:DWORD
	s_nop 1
	v_cndmask_b32_e64 v46, v46, v91, s[26:27]
; %bb.791:                              ;   in Loop: Header=BB8_787 Depth=2
	s_or_b64 exec, exec, s[44:45]
	v_lshlrev_b32_e32 v56, 16, v56
	v_lshlrev_b32_e32 v90, 16, v90
	v_max_f32_e32 v90, v90, v90
	v_max_f32_e32 v56, v56, v56
	v_min_f32_e32 v91, v56, v90
	v_max_f32_e32 v56, v56, v90
	v_cndmask_b32_e32 v90, v56, v91, vcc
	v_and_b32_e32 v56, 0x7f800000, v90
	v_cmp_ne_u32_e64 s[26:27], s68, v56
                                        ; implicit-def: $vgpr56
	s_and_saveexec_b64 s[44:45], s[26:27]
	s_xor_b64 s[26:27], exec, s[44:45]
; %bb.792:                              ;   in Loop: Header=BB8_787 Depth=2
	v_bfe_u32 v56, v90, 16, 1
	v_add3_u32 v56, v90, v56, s69
                                        ; implicit-def: $vgpr90
; %bb.793:                              ;   in Loop: Header=BB8_787 Depth=2
	s_andn2_saveexec_b64 s[44:45], s[26:27]
; %bb.794:                              ;   in Loop: Header=BB8_787 Depth=2
	v_or_b32_e32 v56, 0x10000, v90
	v_cmp_eq_u32_sdwa s[26:27], v90, v3 src0_sel:WORD_0 src1_sel:DWORD
	s_nop 1
	v_cndmask_b32_e64 v56, v56, v90, s[26:27]
; %bb.795:                              ;   in Loop: Header=BB8_787 Depth=2
	s_or_b64 exec, exec, s[44:45]
	v_lshlrev_b32_e32 v58, 16, v58
	v_lshlrev_b32_e32 v89, 16, v89
	v_max_f32_e32 v89, v89, v89
	v_max_f32_e32 v58, v58, v58
	v_min_f32_e32 v90, v58, v89
	v_max_f32_e32 v58, v58, v89
	v_cndmask_b32_e32 v89, v58, v90, vcc
	v_and_b32_e32 v58, 0x7f800000, v89
	v_cmp_ne_u32_e64 s[26:27], s68, v58
                                        ; implicit-def: $vgpr58
	s_and_saveexec_b64 s[44:45], s[26:27]
	s_xor_b64 s[26:27], exec, s[44:45]
; %bb.796:                              ;   in Loop: Header=BB8_787 Depth=2
	v_bfe_u32 v58, v89, 16, 1
	v_add3_u32 v58, v89, v58, s69
                                        ; implicit-def: $vgpr89
; %bb.797:                              ;   in Loop: Header=BB8_787 Depth=2
	s_andn2_saveexec_b64 s[44:45], s[26:27]
; %bb.798:                              ;   in Loop: Header=BB8_787 Depth=2
	v_or_b32_e32 v58, 0x10000, v89
	v_cmp_eq_u32_sdwa s[26:27], v89, v3 src0_sel:WORD_0 src1_sel:DWORD
	s_nop 1
	v_cndmask_b32_e64 v58, v58, v89, s[26:27]
; %bb.799:                              ;   in Loop: Header=BB8_787 Depth=2
	s_or_b64 exec, exec, s[44:45]
	v_lshlrev_b32_e32 v60, 16, v60
	v_lshlrev_b32_e32 v88, 16, v88
	v_max_f32_e32 v88, v88, v88
	v_max_f32_e32 v60, v60, v60
	v_min_f32_e32 v89, v60, v88
	v_max_f32_e32 v60, v60, v88
	v_cndmask_b32_e32 v88, v60, v89, vcc
	v_and_b32_e32 v60, 0x7f800000, v88
	v_cmp_ne_u32_e64 s[26:27], s68, v60
                                        ; implicit-def: $vgpr60
	s_and_saveexec_b64 s[44:45], s[26:27]
	s_xor_b64 s[26:27], exec, s[44:45]
; %bb.800:                              ;   in Loop: Header=BB8_787 Depth=2
	v_bfe_u32 v60, v88, 16, 1
	v_add3_u32 v60, v88, v60, s69
                                        ; implicit-def: $vgpr88
; %bb.801:                              ;   in Loop: Header=BB8_787 Depth=2
	s_andn2_saveexec_b64 s[44:45], s[26:27]
; %bb.802:                              ;   in Loop: Header=BB8_787 Depth=2
	v_or_b32_e32 v60, 0x10000, v88
	v_cmp_eq_u32_sdwa s[26:27], v88, v3 src0_sel:WORD_0 src1_sel:DWORD
	s_nop 1
	v_cndmask_b32_e64 v60, v60, v88, s[26:27]
; %bb.803:                              ;   in Loop: Header=BB8_787 Depth=2
	s_or_b64 exec, exec, s[44:45]
	v_and_b32_e32 v88, 0xffff0000, v46
	v_lshlrev_b32_e32 v61, 16, v61
	v_max_f32_e32 v88, v88, v88
	v_max_f32_e32 v61, v61, v61
	v_min_f32_e32 v89, v88, v61
	v_max_f32_e32 v61, v88, v61
	v_cndmask_b32_e32 v61, v61, v89, vcc
	v_and_b32_e32 v88, 0x7f800000, v61
	v_cmp_ne_u32_e64 s[26:27], s68, v88
                                        ; implicit-def: $vgpr88
	s_and_saveexec_b64 s[44:45], s[26:27]
	s_xor_b64 s[26:27], exec, s[44:45]
; %bb.804:                              ;   in Loop: Header=BB8_787 Depth=2
	v_bfe_u32 v88, v61, 16, 1
	v_add3_u32 v88, v61, v88, s69
                                        ; implicit-def: $vgpr61
; %bb.805:                              ;   in Loop: Header=BB8_787 Depth=2
	s_andn2_saveexec_b64 s[44:45], s[26:27]
; %bb.806:                              ;   in Loop: Header=BB8_787 Depth=2
	v_or_b32_e32 v88, 0x10000, v61
	v_cmp_eq_u32_sdwa s[26:27], v61, v3 src0_sel:WORD_0 src1_sel:DWORD
	s_nop 1
	v_cndmask_b32_e64 v88, v88, v61, s[26:27]
; %bb.807:                              ;   in Loop: Header=BB8_787 Depth=2
	s_or_b64 exec, exec, s[44:45]
	v_and_b32_e32 v61, 0xffff0000, v56
	v_lshlrev_b32_e32 v59, 16, v59
	v_max_f32_e32 v61, v61, v61
	v_max_f32_e32 v59, v59, v59
	flat_store_short_d16_hi v[10:11], v88 nt
	v_min_f32_e32 v88, v61, v59
	v_max_f32_e32 v59, v61, v59
	v_cndmask_b32_e32 v59, v59, v88, vcc
	v_and_b32_e32 v61, 0x7f800000, v59
	v_cmp_ne_u32_e64 s[26:27], s68, v61
                                        ; implicit-def: $vgpr61
	s_and_saveexec_b64 s[44:45], s[26:27]
	s_xor_b64 s[26:27], exec, s[44:45]
; %bb.808:                              ;   in Loop: Header=BB8_787 Depth=2
	v_bfe_u32 v61, v59, 16, 1
	v_add3_u32 v61, v59, v61, s69
                                        ; implicit-def: $vgpr59
; %bb.809:                              ;   in Loop: Header=BB8_787 Depth=2
	s_andn2_saveexec_b64 s[44:45], s[26:27]
; %bb.810:                              ;   in Loop: Header=BB8_787 Depth=2
	v_or_b32_e32 v61, 0x10000, v59
	v_cmp_eq_u32_sdwa s[26:27], v59, v3 src0_sel:WORD_0 src1_sel:DWORD
	s_nop 1
	v_cndmask_b32_e64 v61, v61, v59, s[26:27]
; %bb.811:                              ;   in Loop: Header=BB8_787 Depth=2
	s_or_b64 exec, exec, s[44:45]
	v_and_b32_e32 v59, 0xffff0000, v58
	v_lshlrev_b32_e32 v57, 16, v57
	v_max_f32_e32 v59, v59, v59
	v_max_f32_e32 v57, v57, v57
	flat_store_short_d16_hi v[10:11], v61 offset:128 nt
	v_min_f32_e32 v61, v59, v57
	v_max_f32_e32 v57, v59, v57
	v_cndmask_b32_e32 v57, v57, v61, vcc
	v_and_b32_e32 v59, 0x7f800000, v57
	v_cmp_ne_u32_e64 s[26:27], s68, v59
                                        ; implicit-def: $vgpr59
	s_and_saveexec_b64 s[44:45], s[26:27]
	s_xor_b64 s[26:27], exec, s[44:45]
; %bb.812:                              ;   in Loop: Header=BB8_787 Depth=2
	v_bfe_u32 v59, v57, 16, 1
	v_add3_u32 v59, v57, v59, s69
                                        ; implicit-def: $vgpr57
; %bb.813:                              ;   in Loop: Header=BB8_787 Depth=2
	s_andn2_saveexec_b64 s[44:45], s[26:27]
; %bb.814:                              ;   in Loop: Header=BB8_787 Depth=2
	v_or_b32_e32 v59, 0x10000, v57
	v_cmp_eq_u32_sdwa s[26:27], v57, v3 src0_sel:WORD_0 src1_sel:DWORD
	s_nop 1
	v_cndmask_b32_e64 v59, v59, v57, s[26:27]
; %bb.815:                              ;   in Loop: Header=BB8_787 Depth=2
	s_or_b64 exec, exec, s[44:45]
	v_and_b32_e32 v57, 0xffff0000, v60
	v_lshlrev_b32_e32 v47, 16, v47
	v_max_f32_e32 v57, v57, v57
	v_max_f32_e32 v47, v47, v47
	flat_store_short_d16_hi v[10:11], v59 offset:256 nt
	v_min_f32_e32 v59, v57, v47
	v_max_f32_e32 v47, v57, v47
	v_cndmask_b32_e32 v47, v47, v59, vcc
	v_and_b32_e32 v57, 0x7f800000, v47
	v_cmp_ne_u32_e64 s[26:27], s68, v57
                                        ; implicit-def: $vgpr57
	s_and_saveexec_b64 s[44:45], s[26:27]
	s_xor_b64 s[26:27], exec, s[44:45]
; %bb.816:                              ;   in Loop: Header=BB8_787 Depth=2
	v_bfe_u32 v57, v47, 16, 1
	v_add3_u32 v57, v47, v57, s69
                                        ; implicit-def: $vgpr47
; %bb.817:                              ;   in Loop: Header=BB8_787 Depth=2
	s_andn2_saveexec_b64 s[44:45], s[26:27]
	s_cbranch_execz .LBB8_786
; %bb.818:                              ;   in Loop: Header=BB8_787 Depth=2
	v_or_b32_e32 v57, 0x10000, v47
	v_cmp_eq_u32_sdwa s[26:27], v47, v3 src0_sel:WORD_0 src1_sel:DWORD
	s_nop 1
	v_cndmask_b32_e64 v57, v57, v47, s[26:27]
	s_branch .LBB8_786
.LBB8_819:                              ;   in Loop: Header=BB8_47 Depth=1
	s_or_b64 exec, exec, s[46:47]
	s_and_saveexec_b64 s[46:47], s[56:57]
	s_xor_b64 s[46:47], exec, s[46:47]
	s_cbranch_execz .LBB8_821
; %bb.820:                              ;   in Loop: Header=BB8_47 Depth=1
	ds_write_b32 v0, v74
	s_trap 2
.LBB8_821:                              ;   in Loop: Header=BB8_47 Depth=1
	s_or_b64 exec, exec, s[44:45]
	;;#ASMSTART
	s_wakeup
	;;#ASMEND
.LBB8_822:                              ;   in Loop: Header=BB8_47 Depth=1
	s_or_b64 exec, exec, s[42:43]
.LBB8_823:                              ;   in Loop: Header=BB8_47 Depth=1
	s_andn2_saveexec_b64 s[40:41], s[40:41]
	s_cbranch_execz .LBB8_825
; %bb.824:                              ;   in Loop: Header=BB8_47 Depth=1
	;;#ASMSTART
	s_waitcnt lgkmcnt(0) vmcnt(0)
	;;#ASMEND
	s_barrier
.LBB8_825:                              ;   in Loop: Header=BB8_47 Depth=1
	s_or_b64 exec, exec, s[40:41]
.LBB8_826:                              ;   in Loop: Header=BB8_47 Depth=1
	s_or_b64 exec, exec, s[26:27]
	v_cmp_ne_u32_e32 vcc, 0, v9
	s_xor_b64 s[26:27], s[10:11], -1
	s_and_b64 s[40:41], vcc, s[26:27]
	s_and_saveexec_b64 s[26:27], s[40:41]
	s_cbranch_execz .LBB8_828
; %bb.827:                              ;   in Loop: Header=BB8_47 Depth=1
	flat_store_dword v[36:37], v74 sc0 sc1
.LBB8_828:                              ;   in Loop: Header=BB8_47 Depth=1
	s_or_b64 exec, exec, s[26:27]
	v_and_b32_e32 v2, 48, v63
	v_cmp_ne_u32_e32 vcc, 0, v2
	s_and_saveexec_b64 s[26:27], vcc
	s_cbranch_execz .LBB8_830
; %bb.829:                              ;   in Loop: Header=BB8_47 Depth=1
	v_lshl_add_u64 v[112:113], v[112:113], 0, 4
	flat_store_dwordx2 v[32:33], v[112:113] sc0 sc1
.LBB8_830:                              ;   in Loop: Header=BB8_47 Depth=1
	s_or_b64 exec, exec, s[26:27]
	s_or_b64 exec, exec, s[28:29]
	s_and_b64 vcc, exec, s[24:25]
	s_cbranch_vccnz .LBB8_1366
	s_branch .LBB8_1016
.LBB8_831:                              ;   in Loop: Header=BB8_47 Depth=1
	s_or_b64 exec, exec, s[40:41]
.LBB8_832:                              ;   in Loop: Header=BB8_47 Depth=1
	s_or_b64 exec, exec, s[28:29]
	v_lshlrev_b32_e32 v8, 9, v45
	v_cmp_ne_u32_e32 vcc, v79, v8
	s_and_b64 exec, exec, vcc
	s_cbranch_execz .LBB8_842
; %bb.833:                              ;   in Loop: Header=BB8_47 Depth=1
	v_lshlrev_b32_e32 v9, 6, v19
	v_sub_u32_e32 v9, v18, v9
	v_lshlrev_b32_e32 v10, 6, v44
	v_sub_u32_e32 v9, v9, v10
	v_ashrrev_i32_e32 v10, 31, v9
	v_lshrrev_b32_e32 v10, 26, v10
	v_add_u32_e32 v10, v9, v10
	v_and_b32_e32 v11, 0x7fffffc0, v10
	v_sub_u32_e32 v9, v9, v11
	v_lshlrev_b32_e32 v10, 1, v10
	v_and_b32_e32 v10, 0xffffff80, v10
	v_lshlrev_b32_e32 v9, 1, v9
	v_add3_u32 v8, v10, v9, v8
	v_sub_u32_e32 v18, v79, v8
	v_cmp_lt_i32_e32 vcc, 1, v18
	s_and_b64 exec, exec, vcc
	s_cbranch_execz .LBB8_842
; %bb.834:                              ;   in Loop: Header=BB8_47 Depth=1
	s_trap 2
	ds_read_b64 v[44:45], v0
	v_add_u32_e32 v16, v8, v2
	s_and_b32 s76, s87, 1
	v_ashrrev_i32_e32 v17, 31, v16
	s_cmp_eq_u64 s[76:77], 0
	s_waitcnt lgkmcnt(0)
	v_lshl_add_u64 v[8:9], v[16:17], 0, v[42:43]
	v_lshl_add_u64 v[10:11], v[16:17], 0, v[22:23]
	;; [unrolled: 1-line block ×5, first 2 shown]
	s_mov_b64 s[44:45], 0
	s_cselect_b64 s[26:27], -1, 0
.LBB8_835:                              ;   Parent Loop BB8_47 Depth=1
                                        ; =>  This Loop Header: Depth=2
                                        ;       Child Loop BB8_840 Depth 3
	flat_load_ushort v2, v[16:17] nt
	flat_load_ushort v40, v[14:15] nt
	;; [unrolled: 1-line block ×3, first 2 shown]
	s_waitcnt vmcnt(0) lgkmcnt(0)
	v_lshlrev_b32_e32 v2, 16, v2
	v_lshlrev_b32_e32 v40, 16, v40
	v_max_f32_e32 v2, v2, v2
	v_max_f32_e32 v40, v40, v40
	v_min_f32_e32 v41, v40, v2
	v_max_f32_e32 v2, v40, v2
	v_cndmask_b32_e64 v40, v2, v41, s[26:27]
	v_and_b32_e32 v2, 0x7f800000, v40
	v_cmp_ne_u32_e32 vcc, s68, v2
                                        ; implicit-def: $vgpr2
	s_and_saveexec_b64 s[28:29], vcc
	s_xor_b64 s[28:29], exec, s[28:29]
; %bb.836:                              ;   in Loop: Header=BB8_835 Depth=2
	v_bfe_u32 v2, v40, 16, 1
	v_add3_u32 v2, v40, v2, s69
                                        ; implicit-def: $vgpr40
; %bb.837:                              ;   in Loop: Header=BB8_835 Depth=2
	s_andn2_saveexec_b64 s[28:29], s[28:29]
; %bb.838:                              ;   in Loop: Header=BB8_835 Depth=2
	v_or_b32_e32 v2, 0x10000, v40
	v_cmp_eq_u32_sdwa vcc, v40, v3 src0_sel:WORD_0 src1_sel:DWORD
	s_nop 1
	v_cndmask_b32_e32 v2, v2, v40, vcc
; %bb.839:                              ;   in Loop: Header=BB8_835 Depth=2
	s_or_b64 exec, exec, s[28:29]
	v_and_b32_e32 v40, 0xffff0000, v2
	v_lshlrev_b32_e32 v19, 16, v19
	v_max_f32_e32 v40, v40, v40
	v_max_f32_e32 v19, v19, v19
	v_min_f32_e32 v41, v40, v19
	v_max_f32_e32 v19, v40, v19
	v_cndmask_b32_e64 v19, v19, v41, s[26:27]
	v_and_b32_e32 v40, 0x7f800000, v19
	v_bfe_u32 v41, v19, 16, 1
	v_or_b32_e32 v42, 0x10000, v19
	v_cmp_eq_u32_sdwa vcc, v19, v3 src0_sel:WORD_0 src1_sel:DWORD
	v_add3_u32 v41, v19, v41, s69
	s_mov_b64 s[56:57], 0
	v_cndmask_b32_e32 v19, v42, v19, vcc
	v_cmp_eq_u32_e32 vcc, s68, v40
	s_mov_b64 s[46:47], -1
	s_nop 0
	v_cndmask_b32_e32 v19, v41, v19, vcc
.LBB8_840:                              ;   Parent Loop BB8_47 Depth=1
                                        ;     Parent Loop BB8_835 Depth=2
                                        ; =>    This Inner Loop Header: Depth=3
	v_cndmask_b32_e64 v40, 0, 1, s[46:47]
	s_cmp_eq_u32 s56, 1
	v_cmp_ne_u32_e32 vcc, 1, v40
	s_cselect_b64 s[28:29], -1, 0
	v_cndmask_b32_e64 v44, v2, v19, s[46:47]
	v_cndmask_b32_e32 v41, v11, v13, vcc
	v_cndmask_b32_e64 v43, v11, v13, s[28:29]
	s_cmp_eq_u32 s56, 0
	v_cndmask_b32_e32 v40, v10, v12, vcc
	v_cndmask_b32_e64 v42, v10, v12, s[28:29]
	flat_store_short_d16_hi v[40:41], v44 nt
	v_lshl_add_u64 v[40:41], v[42:43], 0, s[92:93]
	s_cselect_b64 vcc, -1, 0
	s_and_b64 s[40:41], exec, s[46:47]
	s_mov_b64 s[56:57], 1
	s_mov_b64 s[46:47], 0
	v_cndmask_b32_e64 v13, v13, v41, s[28:29]
	v_cndmask_b32_e64 v12, v12, v40, s[28:29]
	v_cndmask_b32_e32 v11, v11, v41, vcc
	v_cndmask_b32_e32 v10, v10, v40, vcc
	s_mov_b64 vcc, s[40:41]
	s_cbranch_vccnz .LBB8_840
; %bb.841:                              ;   in Loop: Header=BB8_835 Depth=2
	v_sub_u32_e32 v18, v18, v84
	v_cmp_gt_i32_e32 vcc, 2, v18
	v_lshl_add_u64 v[14:15], v[14:15], 0, v[100:101]
	v_lshl_add_u64 v[16:17], v[16:17], 0, v[100:101]
	;; [unrolled: 1-line block ×4, first 2 shown]
	s_or_b64 s[44:45], vcc, s[44:45]
	v_lshl_add_u64 v[8:9], v[8:9], 0, v[100:101]
	s_andn2_b64 exec, exec, s[44:45]
	s_cbranch_execnz .LBB8_835
.LBB8_842:                              ;   in Loop: Header=BB8_47 Depth=1
	s_or_b64 exec, exec, s[42:43]
	s_branch .LBB8_704
.LBB8_843:                              ;   in Loop: Header=BB8_47 Depth=1
	s_mov_b64 s[26:27], -1
	s_and_saveexec_b64 s[28:29], s[20:21]
	s_cbranch_execz .LBB8_845
; %bb.844:                              ;   in Loop: Header=BB8_47 Depth=1
	ds_read_b32 v2, v0 offset:720
	s_waitcnt lgkmcnt(0)
	v_and_b32_e32 v2, 15, v2
	v_cmp_eq_u32_e32 vcc, 0, v2
	s_orn2_b64 s[26:27], vcc, exec
.LBB8_845:                              ;   in Loop: Header=BB8_47 Depth=1
	s_or_b64 exec, exec, s[28:29]
	s_and_saveexec_b64 s[28:29], s[16:17]
	s_cbranch_execz .LBB8_847
; %bb.846:                              ;   in Loop: Header=BB8_47 Depth=1
	ds_read_b32 v2, v0 offset:784
	s_waitcnt lgkmcnt(0)
	v_and_b32_e32 v2, 15, v2
	v_cmp_eq_u32_e32 vcc, 0, v2
	s_and_b64 s[40:41], s[26:27], vcc
	s_andn2_b64 s[26:27], s[26:27], exec
	s_and_b64 s[40:41], s[40:41], exec
	s_or_b64 s[26:27], s[26:27], s[40:41]
.LBB8_847:                              ;   in Loop: Header=BB8_47 Depth=1
	s_or_b64 exec, exec, s[28:29]
	s_xor_b64 s[26:27], s[26:27], -1
	v_cndmask_b32_e64 v8, 0, 1, s[26:27]
	v_lshlrev_b32_e32 v2, 1, v21
	s_mov_b64 s[42:43], -1
	v_mov_b32_e32 v16, 0
	v_cmp_ne_u32_e32 vcc, 0, v8
	s_cbranch_vccz .LBB8_849
; %bb.848:                              ;   in Loop: Header=BB8_47 Depth=1
	v_mov_b32_e32 v17, v0
	s_and_saveexec_b64 s[28:29], s[42:43]
	s_cbranch_execnz .LBB8_924
	s_branch .LBB8_968
.LBB8_849:                              ;   in Loop: Header=BB8_47 Depth=1
	v_ashrrev_i32_e32 v8, 31, v2
	v_lshrrev_b32_e32 v8, 22, v8
	v_add_u32_e32 v8, v2, v8
	v_and_b32_e32 v47, 0xfffffc00, v8
	v_ashrrev_i32_e32 v9, 10, v8
	v_sub_u32_e32 v57, v2, v47
	v_sub_u32_e32 v8, v9, v73
	v_cmp_lt_i32_e32 vcc, 15, v57
	v_sub_u32_e32 v46, v2, v54
	s_nop 0
	v_addc_co_u32_e64 v56, s[26:27], 0, v8, vcc
	v_cmp_lt_i32_e64 s[26:27], 15, v46
	s_and_saveexec_b64 s[40:41], s[26:27]
	s_cbranch_execz .LBB8_885
; %bb.850:                              ;   in Loop: Header=BB8_47 Depth=1
	s_trap 2
	ds_read_b64 v[8:9], v0
	s_and_b32 s76, s87, 1
	s_cmp_eq_u64 s[76:77], 0
	v_lshl_add_u64 v[40:41], v[118:119], 0, v[54:55]
	s_mov_b64 s[42:43], 0
	s_waitcnt lgkmcnt(0)
	v_lshl_add_u64 v[42:43], v[8:9], 0, v[54:55]
	s_cselect_b64 s[26:27], -1, 0
	v_mov_b64_e32 v[44:45], v[54:55]
	s_branch .LBB8_852
.LBB8_851:                              ;   in Loop: Header=BB8_852 Depth=2
	s_or_b64 exec, exec, s[44:45]
	v_and_b32_e32 v19, 0xffff0000, v59
	v_and_b32_e32 v58, 0xffff0000, v58
	;; [unrolled: 1-line block ×4, first 2 shown]
	v_lshlrev_b32_e32 v8, 16, v8
	v_max_f32_e32 v58, v58, v58
	v_max_f32_e32 v8, v8, v8
	v_min_f32_e32 v61, v58, v8
	v_max_f32_e32 v8, v58, v8
	v_and_b32_e32 v16, 0xffff0000, v16
	v_cndmask_b32_e64 v8, v8, v61, s[26:27]
	v_bfe_u32 v61, v8, 16, 1
	v_or_b32_e32 v79, 0x10000, v8
	v_cmp_eq_u32_sdwa s[28:29], v8, v3 src0_sel:WORD_0 src1_sel:DWORD
	v_max_f32_e32 v16, v16, v16
	v_max_f32_e32 v60, v60, v60
	v_and_b32_e32 v58, 0x7f800000, v8
	v_add3_u32 v61, v8, v61, s69
	v_cndmask_b32_e64 v8, v79, v8, s[28:29]
	v_min_f32_e32 v79, v16, v60
	v_max_f32_e32 v16, v16, v60
	v_cndmask_b32_e64 v16, v16, v79, s[26:27]
	v_bfe_u32 v79, v16, 16, 1
	v_or_b32_e32 v88, 0x10000, v16
	v_cmp_eq_u32_sdwa s[28:29], v16, v3 src0_sel:WORD_0 src1_sel:DWORD
	v_and_b32_e32 v60, 0x7f800000, v16
	v_add3_u32 v79, v16, v79, s69
	v_cndmask_b32_e64 v16, v88, v16, s[28:29]
	v_and_b32_e32 v88, 0xffff0000, v9
	v_lshlrev_b32_e32 v9, 16, v9
	v_max_f32_e32 v19, v19, v19
	v_max_f32_e32 v9, v9, v9
	v_min_f32_e32 v89, v19, v9
	v_max_f32_e32 v9, v19, v9
	v_and_b32_e32 v17, 0xffff0000, v17
	v_cndmask_b32_e64 v9, v9, v89, s[26:27]
	v_bfe_u32 v89, v9, 16, 1
	v_or_b32_e32 v90, 0x10000, v9
	v_cmp_eq_u32_sdwa s[28:29], v9, v3 src0_sel:WORD_0 src1_sel:DWORD
	v_max_f32_e32 v17, v17, v17
	v_max_f32_e32 v88, v88, v88
	v_and_b32_e32 v19, 0x7f800000, v9
	v_add3_u32 v89, v9, v89, s69
	v_cndmask_b32_e64 v9, v90, v9, s[28:29]
	v_min_f32_e32 v90, v17, v88
	v_max_f32_e32 v17, v17, v88
	v_cndmask_b32_e64 v17, v17, v90, s[26:27]
	v_bfe_u32 v90, v17, 16, 1
	v_or_b32_e32 v91, 0x10000, v17
	v_cmp_eq_u32_sdwa s[28:29], v17, v3 src0_sel:WORD_0 src1_sel:DWORD
	v_and_b32_e32 v88, 0x7f800000, v17
	v_add3_u32 v90, v17, v90, s69
	v_cndmask_b32_e64 v17, v91, v17, s[28:29]
	v_and_b32_e32 v91, 0xffff0000, v10
	v_lshlrev_b32_e32 v10, 16, v10
	v_max_f32_e32 v59, v59, v59
	v_max_f32_e32 v10, v10, v10
	v_min_f32_e32 v92, v59, v10
	v_max_f32_e32 v10, v59, v10
	v_and_b32_e32 v14, 0xffff0000, v14
	v_cndmask_b32_e64 v10, v10, v92, s[26:27]
	v_bfe_u32 v92, v10, 16, 1
	v_or_b32_e32 v93, 0x10000, v10
	v_cmp_eq_u32_sdwa s[28:29], v10, v3 src0_sel:WORD_0 src1_sel:DWORD
	v_max_f32_e32 v14, v14, v14
	v_max_f32_e32 v91, v91, v91
	v_and_b32_e32 v59, 0x7f800000, v10
	v_add3_u32 v92, v10, v92, s69
	v_cndmask_b32_e64 v10, v93, v10, s[28:29]
	v_min_f32_e32 v93, v14, v91
	v_max_f32_e32 v14, v14, v91
	v_cndmask_b32_e64 v14, v14, v93, s[26:27]
	v_bfe_u32 v93, v14, 16, 1
	v_or_b32_e32 v94, 0x10000, v14
	v_cmp_eq_u32_sdwa s[28:29], v14, v3 src0_sel:WORD_0 src1_sel:DWORD
	v_and_b32_e32 v18, 0xffff0000, v18
	v_and_b32_e32 v91, 0x7f800000, v14
	v_add3_u32 v93, v14, v93, s69
	v_cndmask_b32_e64 v14, v94, v14, s[28:29]
	v_and_b32_e32 v94, 0xffff0000, v11
	v_lshlrev_b32_e32 v11, 16, v11
	v_max_f32_e32 v18, v18, v18
	v_max_f32_e32 v11, v11, v11
	v_min_f32_e32 v95, v18, v11
	v_max_f32_e32 v11, v18, v11
	v_and_b32_e32 v15, 0xffff0000, v15
	v_cndmask_b32_e64 v11, v11, v95, s[26:27]
	v_bfe_u32 v95, v11, 16, 1
	v_or_b32_e32 v106, 0x10000, v11
	v_cmp_eq_u32_sdwa s[28:29], v11, v3 src0_sel:WORD_0 src1_sel:DWORD
	v_max_f32_e32 v15, v15, v15
	v_max_f32_e32 v94, v94, v94
	v_and_b32_e32 v18, 0x7f800000, v11
	v_add3_u32 v95, v11, v95, s69
	v_cndmask_b32_e64 v11, v106, v11, s[28:29]
	v_min_f32_e32 v106, v15, v94
	v_max_f32_e32 v15, v15, v94
	v_cndmask_b32_e64 v15, v15, v106, s[26:27]
	v_bfe_u32 v106, v15, 16, 1
	v_or_b32_e32 v107, 0x10000, v15
	v_cmp_eq_u32_sdwa s[28:29], v15, v3 src0_sel:WORD_0 src1_sel:DWORD
	v_and_b32_e32 v94, 0x7f800000, v15
	v_add3_u32 v106, v15, v106, s69
	v_cndmask_b32_e64 v15, v107, v15, s[28:29]
	v_cmp_eq_u32_e64 s[28:29], s68, v58
	v_sub_u32_e32 v46, v46, v80
	v_lshl_add_u64 v[12:13], v[22:23], 0, v[44:45]
	v_cndmask_b32_e64 v8, v61, v8, s[28:29]
	v_cmp_eq_u32_e64 s[28:29], s68, v60
	v_lshrrev_b32_e32 v8, 16, v8
	v_lshl_add_u64 v[40:41], v[40:41], 0, v[80:81]
	v_cndmask_b32_e64 v16, v79, v16, s[28:29]
	v_cmp_eq_u32_e64 s[28:29], s68, v19
	v_and_or_b32 v8, v16, s70, v8
	v_lshl_add_u64 v[42:43], v[42:43], 0, v[80:81]
	v_cndmask_b32_e64 v9, v89, v9, s[28:29]
	v_cmp_eq_u32_e64 s[28:29], s68, v88
	v_lshrrev_b32_e32 v9, 16, v9
	v_lshl_add_u64 v[44:45], v[44:45], 0, v[80:81]
	v_cndmask_b32_e64 v17, v90, v17, s[28:29]
	v_cmp_eq_u32_e64 s[28:29], s68, v59
	v_and_or_b32 v9, v17, s70, v9
	v_sub_u32_e32 v56, v56, v52
	v_cndmask_b32_e64 v10, v92, v10, s[28:29]
	v_cmp_eq_u32_e64 s[28:29], s68, v91
	v_lshrrev_b32_e32 v10, 16, v10
	s_nop 0
	v_cndmask_b32_e64 v14, v93, v14, s[28:29]
	v_cmp_eq_u32_e64 s[28:29], s68, v18
	v_and_or_b32 v10, v14, s70, v10
	s_nop 0
	v_cndmask_b32_e64 v11, v95, v11, s[28:29]
	v_cmp_eq_u32_e64 s[28:29], s68, v94
	v_lshrrev_b32_e32 v11, 16, v11
	s_nop 0
	v_cndmask_b32_e64 v15, v106, v15, s[28:29]
	v_cmp_gt_i32_e64 s[28:29], 16, v46
	v_and_or_b32 v11, v15, s70, v11
	s_or_b64 s[42:43], s[28:29], s[42:43]
	global_store_dwordx4 v[12:13], v[8:11], off
	s_andn2_b64 exec, exec, s[42:43]
	s_cbranch_execz .LBB8_884
.LBB8_852:                              ;   Parent Loop BB8_47 Depth=1
                                        ; =>  This Inner Loop Header: Depth=2
	global_load_dwordx4 v[12:15], v[42:43], off nt
	global_load_dwordx4 v[16:19], v[40:41], off nt
	;; [unrolled: 1-line block ×3, first 2 shown]
	s_waitcnt vmcnt(0)
	v_lshlrev_b32_e32 v58, 16, v12
	v_lshlrev_b32_e32 v59, 16, v16
	v_max_f32_e32 v58, v58, v58
	v_max_f32_e32 v59, v59, v59
	v_min_f32_e32 v60, v59, v58
	v_max_f32_e32 v58, v59, v58
	v_cndmask_b32_e64 v59, v58, v60, s[26:27]
	v_and_b32_e32 v58, 0x7f800000, v59
	v_cmp_ne_u32_e64 s[28:29], s68, v58
                                        ; implicit-def: $vgpr58
	s_and_saveexec_b64 s[44:45], s[28:29]
	s_xor_b64 s[28:29], exec, s[44:45]
; %bb.853:                              ;   in Loop: Header=BB8_852 Depth=2
	v_bfe_u32 v58, v59, 16, 1
	v_add3_u32 v58, v59, v58, s69
                                        ; implicit-def: $vgpr59
; %bb.854:                              ;   in Loop: Header=BB8_852 Depth=2
	s_andn2_saveexec_b64 s[44:45], s[28:29]
; %bb.855:                              ;   in Loop: Header=BB8_852 Depth=2
	v_or_b32_e32 v58, 0x10000, v59
	v_cmp_eq_u32_sdwa s[28:29], v59, v3 src0_sel:WORD_0 src1_sel:DWORD
	s_nop 1
	v_cndmask_b32_e64 v58, v58, v59, s[28:29]
; %bb.856:                              ;   in Loop: Header=BB8_852 Depth=2
	s_or_b64 exec, exec, s[44:45]
	v_and_b32_e32 v12, 0xffff0000, v12
	v_and_b32_e32 v16, 0xffff0000, v16
	v_max_f32_e32 v12, v12, v12
	v_max_f32_e32 v16, v16, v16
	v_min_f32_e32 v59, v16, v12
	v_max_f32_e32 v12, v16, v12
	v_cndmask_b32_e64 v12, v12, v59, s[26:27]
	v_and_b32_e32 v16, 0x7f800000, v12
	v_cmp_ne_u32_e64 s[28:29], s68, v16
                                        ; implicit-def: $vgpr16
	s_and_saveexec_b64 s[44:45], s[28:29]
	s_xor_b64 s[28:29], exec, s[44:45]
; %bb.857:                              ;   in Loop: Header=BB8_852 Depth=2
	v_bfe_u32 v16, v12, 16, 1
	v_add3_u32 v16, v12, v16, s69
                                        ; implicit-def: $vgpr12
; %bb.858:                              ;   in Loop: Header=BB8_852 Depth=2
	s_andn2_saveexec_b64 s[44:45], s[28:29]
; %bb.859:                              ;   in Loop: Header=BB8_852 Depth=2
	v_or_b32_e32 v16, 0x10000, v12
	v_cmp_eq_u32_sdwa s[28:29], v12, v3 src0_sel:WORD_0 src1_sel:DWORD
	s_nop 1
	v_cndmask_b32_e64 v16, v16, v12, s[28:29]
; %bb.860:                              ;   in Loop: Header=BB8_852 Depth=2
	s_or_b64 exec, exec, s[44:45]
	v_lshlrev_b32_e32 v12, 16, v13
	v_lshlrev_b32_e32 v59, 16, v17
	v_max_f32_e32 v12, v12, v12
	v_max_f32_e32 v59, v59, v59
	v_min_f32_e32 v60, v59, v12
	v_max_f32_e32 v12, v59, v12
	v_cndmask_b32_e64 v12, v12, v60, s[26:27]
	v_and_b32_e32 v59, 0x7f800000, v12
	v_cmp_ne_u32_e64 s[28:29], s68, v59
                                        ; implicit-def: $vgpr59
	s_and_saveexec_b64 s[44:45], s[28:29]
	s_xor_b64 s[28:29], exec, s[44:45]
; %bb.861:                              ;   in Loop: Header=BB8_852 Depth=2
	v_bfe_u32 v59, v12, 16, 1
	v_add3_u32 v59, v12, v59, s69
                                        ; implicit-def: $vgpr12
; %bb.862:                              ;   in Loop: Header=BB8_852 Depth=2
	s_andn2_saveexec_b64 s[44:45], s[28:29]
; %bb.863:                              ;   in Loop: Header=BB8_852 Depth=2
	v_or_b32_e32 v59, 0x10000, v12
	v_cmp_eq_u32_sdwa s[28:29], v12, v3 src0_sel:WORD_0 src1_sel:DWORD
	s_nop 1
	v_cndmask_b32_e64 v59, v59, v12, s[28:29]
; %bb.864:                              ;   in Loop: Header=BB8_852 Depth=2
	s_or_b64 exec, exec, s[44:45]
	v_and_b32_e32 v12, 0xffff0000, v17
	v_and_b32_e32 v13, 0xffff0000, v13
	v_max_f32_e32 v13, v13, v13
	v_max_f32_e32 v12, v12, v12
	v_min_f32_e32 v17, v12, v13
	v_max_f32_e32 v12, v12, v13
	v_cndmask_b32_e64 v12, v12, v17, s[26:27]
	v_and_b32_e32 v13, 0x7f800000, v12
	v_cmp_ne_u32_e64 s[28:29], s68, v13
                                        ; implicit-def: $vgpr17
	s_and_saveexec_b64 s[44:45], s[28:29]
	s_xor_b64 s[28:29], exec, s[44:45]
; %bb.865:                              ;   in Loop: Header=BB8_852 Depth=2
	v_bfe_u32 v13, v12, 16, 1
	v_add3_u32 v17, v12, v13, s69
                                        ; implicit-def: $vgpr12
; %bb.866:                              ;   in Loop: Header=BB8_852 Depth=2
	s_andn2_saveexec_b64 s[44:45], s[28:29]
; %bb.867:                              ;   in Loop: Header=BB8_852 Depth=2
	v_or_b32_e32 v13, 0x10000, v12
	v_cmp_eq_u32_sdwa s[28:29], v12, v3 src0_sel:WORD_0 src1_sel:DWORD
	s_nop 1
	v_cndmask_b32_e64 v17, v13, v12, s[28:29]
; %bb.868:                              ;   in Loop: Header=BB8_852 Depth=2
	s_or_b64 exec, exec, s[44:45]
	v_lshlrev_b32_e32 v12, 16, v14
	v_lshlrev_b32_e32 v13, 16, v18
	v_max_f32_e32 v12, v12, v12
	v_max_f32_e32 v13, v13, v13
	v_min_f32_e32 v60, v13, v12
	v_max_f32_e32 v12, v13, v12
	v_cndmask_b32_e64 v12, v12, v60, s[26:27]
	v_and_b32_e32 v13, 0x7f800000, v12
	v_cmp_ne_u32_e64 s[28:29], s68, v13
                                        ; implicit-def: $vgpr60
	s_and_saveexec_b64 s[44:45], s[28:29]
	s_xor_b64 s[28:29], exec, s[44:45]
; %bb.869:                              ;   in Loop: Header=BB8_852 Depth=2
	v_bfe_u32 v13, v12, 16, 1
	v_add3_u32 v60, v12, v13, s69
                                        ; implicit-def: $vgpr12
; %bb.870:                              ;   in Loop: Header=BB8_852 Depth=2
	s_andn2_saveexec_b64 s[44:45], s[28:29]
; %bb.871:                              ;   in Loop: Header=BB8_852 Depth=2
	v_or_b32_e32 v13, 0x10000, v12
	v_cmp_eq_u32_sdwa s[28:29], v12, v3 src0_sel:WORD_0 src1_sel:DWORD
	s_nop 1
	v_cndmask_b32_e64 v60, v13, v12, s[28:29]
; %bb.872:                              ;   in Loop: Header=BB8_852 Depth=2
	s_or_b64 exec, exec, s[44:45]
	v_and_b32_e32 v12, 0xffff0000, v18
	v_and_b32_e32 v13, 0xffff0000, v14
	v_max_f32_e32 v13, v13, v13
	v_max_f32_e32 v12, v12, v12
	v_min_f32_e32 v14, v12, v13
	v_max_f32_e32 v12, v12, v13
	v_cndmask_b32_e64 v12, v12, v14, s[26:27]
	v_and_b32_e32 v13, 0x7f800000, v12
	v_cmp_ne_u32_e64 s[28:29], s68, v13
                                        ; implicit-def: $vgpr14
	s_and_saveexec_b64 s[44:45], s[28:29]
	s_xor_b64 s[28:29], exec, s[44:45]
; %bb.873:                              ;   in Loop: Header=BB8_852 Depth=2
	v_bfe_u32 v13, v12, 16, 1
	v_add3_u32 v14, v12, v13, s69
                                        ; implicit-def: $vgpr12
; %bb.874:                              ;   in Loop: Header=BB8_852 Depth=2
	s_andn2_saveexec_b64 s[44:45], s[28:29]
; %bb.875:                              ;   in Loop: Header=BB8_852 Depth=2
	v_or_b32_e32 v13, 0x10000, v12
	v_cmp_eq_u32_sdwa s[28:29], v12, v3 src0_sel:WORD_0 src1_sel:DWORD
	s_nop 1
	v_cndmask_b32_e64 v14, v13, v12, s[28:29]
; %bb.876:                              ;   in Loop: Header=BB8_852 Depth=2
	s_or_b64 exec, exec, s[44:45]
	v_lshlrev_b32_e32 v12, 16, v15
	v_lshlrev_b32_e32 v13, 16, v19
	v_max_f32_e32 v12, v12, v12
	v_max_f32_e32 v13, v13, v13
	v_min_f32_e32 v18, v13, v12
	v_max_f32_e32 v12, v13, v12
	v_cndmask_b32_e64 v12, v12, v18, s[26:27]
	v_and_b32_e32 v13, 0x7f800000, v12
	v_cmp_ne_u32_e64 s[28:29], s68, v13
                                        ; implicit-def: $vgpr18
	s_and_saveexec_b64 s[44:45], s[28:29]
	s_xor_b64 s[28:29], exec, s[44:45]
; %bb.877:                              ;   in Loop: Header=BB8_852 Depth=2
	v_bfe_u32 v13, v12, 16, 1
	v_add3_u32 v18, v12, v13, s69
                                        ; implicit-def: $vgpr12
; %bb.878:                              ;   in Loop: Header=BB8_852 Depth=2
	s_andn2_saveexec_b64 s[44:45], s[28:29]
; %bb.879:                              ;   in Loop: Header=BB8_852 Depth=2
	v_or_b32_e32 v13, 0x10000, v12
	v_cmp_eq_u32_sdwa s[28:29], v12, v3 src0_sel:WORD_0 src1_sel:DWORD
	s_nop 1
	v_cndmask_b32_e64 v18, v13, v12, s[28:29]
; %bb.880:                              ;   in Loop: Header=BB8_852 Depth=2
	s_or_b64 exec, exec, s[44:45]
	v_and_b32_e32 v12, 0xffff0000, v19
	v_and_b32_e32 v13, 0xffff0000, v15
	v_max_f32_e32 v13, v13, v13
	v_max_f32_e32 v12, v12, v12
	v_min_f32_e32 v15, v12, v13
	v_max_f32_e32 v12, v12, v13
	v_cndmask_b32_e64 v12, v12, v15, s[26:27]
	v_and_b32_e32 v13, 0x7f800000, v12
	v_cmp_ne_u32_e64 s[28:29], s68, v13
                                        ; implicit-def: $vgpr15
	s_and_saveexec_b64 s[44:45], s[28:29]
	s_xor_b64 s[28:29], exec, s[44:45]
; %bb.881:                              ;   in Loop: Header=BB8_852 Depth=2
	v_bfe_u32 v13, v12, 16, 1
	v_add3_u32 v15, v12, v13, s69
                                        ; implicit-def: $vgpr12
; %bb.882:                              ;   in Loop: Header=BB8_852 Depth=2
	s_andn2_saveexec_b64 s[44:45], s[28:29]
	s_cbranch_execz .LBB8_851
; %bb.883:                              ;   in Loop: Header=BB8_852 Depth=2
	v_or_b32_e32 v13, 0x10000, v12
	v_cmp_eq_u32_sdwa s[28:29], v12, v3 src0_sel:WORD_0 src1_sel:DWORD
	s_nop 1
	v_cndmask_b32_e64 v15, v13, v12, s[28:29]
	s_branch .LBB8_851
.LBB8_884:                              ;   in Loop: Header=BB8_47 Depth=1
	s_or_b64 exec, exec, s[42:43]
.LBB8_885:                              ;   in Loop: Header=BB8_47 Depth=1
	s_or_b64 exec, exec, s[40:41]
	v_and_b32_e32 v8, 14, v2
	v_cndmask_b32_e32 v46, v57, v8, vcc
	v_mov_b32_e32 v16, 0
	v_cmp_ne_u32_e64 s[26:27], 0, v46
	s_mov_b64 s[42:43], 0
                                        ; implicit-def: $vgpr2
                                        ; implicit-def: $vgpr17
	s_and_saveexec_b64 s[40:41], s[26:27]
	s_cbranch_execz .LBB8_923
; %bb.886:                              ;   in Loop: Header=BB8_47 Depth=1
	v_sub_u32_e32 v2, v57, v8
	v_cndmask_b32_e32 v2, 0, v2, vcc
	v_cmp_lt_i32_e32 vcc, 0, v56
	v_add_u32_e32 v2, v2, v47
	s_nop 0
	v_cndmask_b32_e32 v8, 0, v52, vcc
	v_sub_u32_e32 v8, v8, v56
	v_lshl_or_b32 v8, v8, 6, v72
	v_ashrrev_i32_e32 v9, 31, v8
	v_lshrrev_b32_e32 v9, 26, v9
	v_add_u32_e32 v9, v8, v9
	v_ashrrev_i32_e32 v10, 6, v9
	v_and_b32_e32 v9, 0xffffffc0, v9
	v_sub_u32_e32 v47, v8, v9
	v_ashrrev_i32_e32 v9, 31, v46
	v_lshrrev_b32_e32 v9, 22, v9
	v_add_u32_e32 v9, v46, v9
	v_and_b32_e32 v56, 0xfffffc00, v9
	v_lshlrev_b32_e32 v8, 4, v47
	v_sub_u32_e32 v57, v46, v56
	v_lshl_add_u32 v8, v10, 10, v8
	v_ashrrev_i32_e32 v11, 10, v9
	v_cmp_lt_i32_e32 vcc, 15, v57
	v_sub_u32_e32 v59, v46, v8
	s_nop 0
	v_addc_co_u32_e64 v9, s[26:27], 0, v11, vcc
	v_sub_u32_e32 v58, v9, v10
	v_cmp_lt_i32_e64 s[26:27], 15, v59
	s_and_saveexec_b64 s[42:43], s[26:27]
	s_cbranch_execz .LBB8_922
; %bb.887:                              ;   in Loop: Header=BB8_47 Depth=1
	s_trap 2
	ds_read_b64 v[10:11], v0
	v_add_u32_e32 v40, v8, v2
	s_and_b32 s76, s87, 1
	v_ashrrev_i32_e32 v41, 31, v40
	s_cmp_eq_u64 s[76:77], 0
	s_waitcnt lgkmcnt(0)
	v_lshl_add_u64 v[42:43], v[40:41], 0, v[118:119]
	v_lshl_add_u64 v[44:45], v[10:11], 0, v[40:41]
	s_mov_b64 s[44:45], 0
	s_cselect_b64 s[26:27], -1, 0
	s_branch .LBB8_889
.LBB8_888:                              ;   in Loop: Header=BB8_889 Depth=2
	s_or_b64 exec, exec, s[46:47]
	v_and_b32_e32 v19, 0xffff0000, v61
	v_and_b32_e32 v60, 0xffff0000, v60
	;; [unrolled: 1-line block ×4, first 2 shown]
	v_lshlrev_b32_e32 v8, 16, v8
	v_max_f32_e32 v60, v60, v60
	v_max_f32_e32 v8, v8, v8
	v_min_f32_e32 v88, v60, v8
	v_max_f32_e32 v8, v60, v8
	v_and_b32_e32 v16, 0xffff0000, v16
	v_cndmask_b32_e64 v8, v8, v88, s[26:27]
	v_bfe_u32 v88, v8, 16, 1
	v_or_b32_e32 v89, 0x10000, v8
	v_cmp_eq_u32_sdwa s[28:29], v8, v3 src0_sel:WORD_0 src1_sel:DWORD
	v_max_f32_e32 v16, v16, v16
	v_max_f32_e32 v79, v79, v79
	v_and_b32_e32 v60, 0x7f800000, v8
	v_add3_u32 v88, v8, v88, s69
	v_cndmask_b32_e64 v8, v89, v8, s[28:29]
	v_min_f32_e32 v89, v16, v79
	v_max_f32_e32 v16, v16, v79
	v_cndmask_b32_e64 v16, v16, v89, s[26:27]
	v_bfe_u32 v89, v16, 16, 1
	v_or_b32_e32 v90, 0x10000, v16
	v_cmp_eq_u32_sdwa s[28:29], v16, v3 src0_sel:WORD_0 src1_sel:DWORD
	v_and_b32_e32 v79, 0x7f800000, v16
	v_add3_u32 v89, v16, v89, s69
	v_cndmask_b32_e64 v16, v90, v16, s[28:29]
	v_and_b32_e32 v90, 0xffff0000, v9
	v_lshlrev_b32_e32 v9, 16, v9
	v_max_f32_e32 v19, v19, v19
	v_max_f32_e32 v9, v9, v9
	v_min_f32_e32 v91, v19, v9
	v_max_f32_e32 v9, v19, v9
	v_and_b32_e32 v17, 0xffff0000, v17
	v_cndmask_b32_e64 v9, v9, v91, s[26:27]
	v_bfe_u32 v91, v9, 16, 1
	v_or_b32_e32 v92, 0x10000, v9
	v_cmp_eq_u32_sdwa s[28:29], v9, v3 src0_sel:WORD_0 src1_sel:DWORD
	v_max_f32_e32 v17, v17, v17
	v_max_f32_e32 v90, v90, v90
	v_and_b32_e32 v19, 0x7f800000, v9
	v_add3_u32 v91, v9, v91, s69
	v_cndmask_b32_e64 v9, v92, v9, s[28:29]
	v_min_f32_e32 v92, v17, v90
	v_max_f32_e32 v17, v17, v90
	v_cndmask_b32_e64 v17, v17, v92, s[26:27]
	v_bfe_u32 v92, v17, 16, 1
	v_or_b32_e32 v93, 0x10000, v17
	v_cmp_eq_u32_sdwa s[28:29], v17, v3 src0_sel:WORD_0 src1_sel:DWORD
	v_and_b32_e32 v90, 0x7f800000, v17
	v_add3_u32 v92, v17, v92, s69
	v_cndmask_b32_e64 v17, v93, v17, s[28:29]
	v_and_b32_e32 v93, 0xffff0000, v10
	v_lshlrev_b32_e32 v10, 16, v10
	v_max_f32_e32 v61, v61, v61
	v_max_f32_e32 v10, v10, v10
	v_min_f32_e32 v94, v61, v10
	v_max_f32_e32 v10, v61, v10
	v_and_b32_e32 v14, 0xffff0000, v14
	v_cndmask_b32_e64 v10, v10, v94, s[26:27]
	v_bfe_u32 v94, v10, 16, 1
	v_or_b32_e32 v95, 0x10000, v10
	v_cmp_eq_u32_sdwa s[28:29], v10, v3 src0_sel:WORD_0 src1_sel:DWORD
	v_max_f32_e32 v14, v14, v14
	v_max_f32_e32 v93, v93, v93
	v_and_b32_e32 v61, 0x7f800000, v10
	v_add3_u32 v94, v10, v94, s69
	v_cndmask_b32_e64 v10, v95, v10, s[28:29]
	v_min_f32_e32 v95, v14, v93
	v_max_f32_e32 v14, v14, v93
	v_cndmask_b32_e64 v14, v14, v95, s[26:27]
	v_bfe_u32 v95, v14, 16, 1
	v_or_b32_e32 v106, 0x10000, v14
	v_cmp_eq_u32_sdwa s[28:29], v14, v3 src0_sel:WORD_0 src1_sel:DWORD
	v_and_b32_e32 v18, 0xffff0000, v18
	v_and_b32_e32 v93, 0x7f800000, v14
	v_add3_u32 v95, v14, v95, s69
	v_cndmask_b32_e64 v14, v106, v14, s[28:29]
	v_and_b32_e32 v106, 0xffff0000, v11
	v_lshlrev_b32_e32 v11, 16, v11
	v_max_f32_e32 v18, v18, v18
	v_max_f32_e32 v11, v11, v11
	v_min_f32_e32 v107, v18, v11
	v_max_f32_e32 v11, v18, v11
	v_and_b32_e32 v15, 0xffff0000, v15
	v_cndmask_b32_e64 v11, v11, v107, s[26:27]
	v_bfe_u32 v107, v11, 16, 1
	v_or_b32_e32 v108, 0x10000, v11
	v_cmp_eq_u32_sdwa s[28:29], v11, v3 src0_sel:WORD_0 src1_sel:DWORD
	v_max_f32_e32 v15, v15, v15
	v_max_f32_e32 v106, v106, v106
	v_and_b32_e32 v18, 0x7f800000, v11
	v_add3_u32 v107, v11, v107, s69
	v_cndmask_b32_e64 v11, v108, v11, s[28:29]
	v_min_f32_e32 v108, v15, v106
	v_max_f32_e32 v15, v15, v106
	v_cndmask_b32_e64 v15, v15, v108, s[26:27]
	v_bfe_u32 v108, v15, 16, 1
	v_or_b32_e32 v109, 0x10000, v15
	v_cmp_eq_u32_sdwa s[28:29], v15, v3 src0_sel:WORD_0 src1_sel:DWORD
	v_and_b32_e32 v106, 0x7f800000, v15
	v_add3_u32 v108, v15, v108, s69
	v_cndmask_b32_e64 v15, v109, v15, s[28:29]
	v_cmp_eq_u32_e64 s[28:29], s68, v60
	v_sub_u32_e32 v59, v59, v80
	v_lshl_add_u64 v[12:13], v[22:23], 0, v[40:41]
	v_cndmask_b32_e64 v8, v88, v8, s[28:29]
	v_cmp_eq_u32_e64 s[28:29], s68, v79
	v_lshrrev_b32_e32 v8, 16, v8
	v_lshl_add_u64 v[42:43], v[42:43], 0, v[80:81]
	v_cndmask_b32_e64 v16, v89, v16, s[28:29]
	v_cmp_eq_u32_e64 s[28:29], s68, v19
	v_and_or_b32 v8, v16, s70, v8
	v_lshl_add_u64 v[44:45], v[44:45], 0, v[80:81]
	v_cndmask_b32_e64 v9, v91, v9, s[28:29]
	v_cmp_eq_u32_e64 s[28:29], s68, v90
	v_lshrrev_b32_e32 v9, 16, v9
	v_lshl_add_u64 v[40:41], v[40:41], 0, v[80:81]
	v_cndmask_b32_e64 v17, v92, v17, s[28:29]
	v_cmp_eq_u32_e64 s[28:29], s68, v61
	v_and_or_b32 v9, v17, s70, v9
	v_sub_u32_e32 v58, v58, v52
	v_cndmask_b32_e64 v10, v94, v10, s[28:29]
	v_cmp_eq_u32_e64 s[28:29], s68, v93
	v_lshrrev_b32_e32 v10, 16, v10
	s_nop 0
	v_cndmask_b32_e64 v14, v95, v14, s[28:29]
	v_cmp_eq_u32_e64 s[28:29], s68, v18
	v_and_or_b32 v10, v14, s70, v10
	s_nop 0
	v_cndmask_b32_e64 v11, v107, v11, s[28:29]
	v_cmp_eq_u32_e64 s[28:29], s68, v106
	v_lshrrev_b32_e32 v11, 16, v11
	s_nop 0
	v_cndmask_b32_e64 v15, v108, v15, s[28:29]
	v_cmp_gt_i32_e64 s[28:29], 16, v59
	v_and_or_b32 v11, v15, s70, v11
	s_or_b64 s[44:45], s[28:29], s[44:45]
	global_store_dwordx4 v[12:13], v[8:11], off
	s_andn2_b64 exec, exec, s[44:45]
	s_cbranch_execz .LBB8_921
.LBB8_889:                              ;   Parent Loop BB8_47 Depth=1
                                        ; =>  This Inner Loop Header: Depth=2
	global_load_dwordx4 v[12:15], v[44:45], off nt
	global_load_dwordx4 v[16:19], v[42:43], off nt
	;; [unrolled: 1-line block ×3, first 2 shown]
	s_waitcnt vmcnt(0)
	v_lshlrev_b32_e32 v60, 16, v12
	v_lshlrev_b32_e32 v61, 16, v16
	v_max_f32_e32 v60, v60, v60
	v_max_f32_e32 v61, v61, v61
	v_min_f32_e32 v79, v61, v60
	v_max_f32_e32 v60, v61, v60
	v_cndmask_b32_e64 v61, v60, v79, s[26:27]
	v_and_b32_e32 v60, 0x7f800000, v61
	v_cmp_ne_u32_e64 s[28:29], s68, v60
                                        ; implicit-def: $vgpr60
	s_and_saveexec_b64 s[46:47], s[28:29]
	s_xor_b64 s[28:29], exec, s[46:47]
; %bb.890:                              ;   in Loop: Header=BB8_889 Depth=2
	v_bfe_u32 v60, v61, 16, 1
	v_add3_u32 v60, v61, v60, s69
                                        ; implicit-def: $vgpr61
; %bb.891:                              ;   in Loop: Header=BB8_889 Depth=2
	s_andn2_saveexec_b64 s[46:47], s[28:29]
; %bb.892:                              ;   in Loop: Header=BB8_889 Depth=2
	v_or_b32_e32 v60, 0x10000, v61
	v_cmp_eq_u32_sdwa s[28:29], v61, v3 src0_sel:WORD_0 src1_sel:DWORD
	s_nop 1
	v_cndmask_b32_e64 v60, v60, v61, s[28:29]
; %bb.893:                              ;   in Loop: Header=BB8_889 Depth=2
	s_or_b64 exec, exec, s[46:47]
	v_and_b32_e32 v12, 0xffff0000, v12
	v_and_b32_e32 v16, 0xffff0000, v16
	v_max_f32_e32 v12, v12, v12
	v_max_f32_e32 v16, v16, v16
	v_min_f32_e32 v61, v16, v12
	v_max_f32_e32 v12, v16, v12
	v_cndmask_b32_e64 v12, v12, v61, s[26:27]
	v_and_b32_e32 v16, 0x7f800000, v12
	v_cmp_ne_u32_e64 s[28:29], s68, v16
                                        ; implicit-def: $vgpr16
	s_and_saveexec_b64 s[46:47], s[28:29]
	s_xor_b64 s[28:29], exec, s[46:47]
; %bb.894:                              ;   in Loop: Header=BB8_889 Depth=2
	v_bfe_u32 v16, v12, 16, 1
	v_add3_u32 v16, v12, v16, s69
                                        ; implicit-def: $vgpr12
; %bb.895:                              ;   in Loop: Header=BB8_889 Depth=2
	s_andn2_saveexec_b64 s[46:47], s[28:29]
; %bb.896:                              ;   in Loop: Header=BB8_889 Depth=2
	v_or_b32_e32 v16, 0x10000, v12
	v_cmp_eq_u32_sdwa s[28:29], v12, v3 src0_sel:WORD_0 src1_sel:DWORD
	s_nop 1
	v_cndmask_b32_e64 v16, v16, v12, s[28:29]
; %bb.897:                              ;   in Loop: Header=BB8_889 Depth=2
	s_or_b64 exec, exec, s[46:47]
	v_lshlrev_b32_e32 v12, 16, v13
	v_lshlrev_b32_e32 v61, 16, v17
	v_max_f32_e32 v12, v12, v12
	v_max_f32_e32 v61, v61, v61
	v_min_f32_e32 v79, v61, v12
	v_max_f32_e32 v12, v61, v12
	v_cndmask_b32_e64 v12, v12, v79, s[26:27]
	v_and_b32_e32 v61, 0x7f800000, v12
	v_cmp_ne_u32_e64 s[28:29], s68, v61
                                        ; implicit-def: $vgpr61
	s_and_saveexec_b64 s[46:47], s[28:29]
	s_xor_b64 s[28:29], exec, s[46:47]
; %bb.898:                              ;   in Loop: Header=BB8_889 Depth=2
	v_bfe_u32 v61, v12, 16, 1
	v_add3_u32 v61, v12, v61, s69
                                        ; implicit-def: $vgpr12
; %bb.899:                              ;   in Loop: Header=BB8_889 Depth=2
	s_andn2_saveexec_b64 s[46:47], s[28:29]
; %bb.900:                              ;   in Loop: Header=BB8_889 Depth=2
	v_or_b32_e32 v61, 0x10000, v12
	v_cmp_eq_u32_sdwa s[28:29], v12, v3 src0_sel:WORD_0 src1_sel:DWORD
	s_nop 1
	v_cndmask_b32_e64 v61, v61, v12, s[28:29]
; %bb.901:                              ;   in Loop: Header=BB8_889 Depth=2
	s_or_b64 exec, exec, s[46:47]
	v_and_b32_e32 v12, 0xffff0000, v17
	v_and_b32_e32 v13, 0xffff0000, v13
	v_max_f32_e32 v13, v13, v13
	v_max_f32_e32 v12, v12, v12
	v_min_f32_e32 v17, v12, v13
	v_max_f32_e32 v12, v12, v13
	v_cndmask_b32_e64 v12, v12, v17, s[26:27]
	v_and_b32_e32 v13, 0x7f800000, v12
	v_cmp_ne_u32_e64 s[28:29], s68, v13
                                        ; implicit-def: $vgpr17
	s_and_saveexec_b64 s[46:47], s[28:29]
	s_xor_b64 s[28:29], exec, s[46:47]
; %bb.902:                              ;   in Loop: Header=BB8_889 Depth=2
	v_bfe_u32 v13, v12, 16, 1
	v_add3_u32 v17, v12, v13, s69
                                        ; implicit-def: $vgpr12
; %bb.903:                              ;   in Loop: Header=BB8_889 Depth=2
	s_andn2_saveexec_b64 s[46:47], s[28:29]
; %bb.904:                              ;   in Loop: Header=BB8_889 Depth=2
	v_or_b32_e32 v13, 0x10000, v12
	v_cmp_eq_u32_sdwa s[28:29], v12, v3 src0_sel:WORD_0 src1_sel:DWORD
	s_nop 1
	v_cndmask_b32_e64 v17, v13, v12, s[28:29]
; %bb.905:                              ;   in Loop: Header=BB8_889 Depth=2
	s_or_b64 exec, exec, s[46:47]
	v_lshlrev_b32_e32 v12, 16, v14
	v_lshlrev_b32_e32 v13, 16, v18
	v_max_f32_e32 v12, v12, v12
	v_max_f32_e32 v13, v13, v13
	v_min_f32_e32 v79, v13, v12
	v_max_f32_e32 v12, v13, v12
	v_cndmask_b32_e64 v12, v12, v79, s[26:27]
	v_and_b32_e32 v13, 0x7f800000, v12
	v_cmp_ne_u32_e64 s[28:29], s68, v13
                                        ; implicit-def: $vgpr79
	s_and_saveexec_b64 s[46:47], s[28:29]
	s_xor_b64 s[28:29], exec, s[46:47]
; %bb.906:                              ;   in Loop: Header=BB8_889 Depth=2
	v_bfe_u32 v13, v12, 16, 1
	v_add3_u32 v79, v12, v13, s69
                                        ; implicit-def: $vgpr12
; %bb.907:                              ;   in Loop: Header=BB8_889 Depth=2
	s_andn2_saveexec_b64 s[46:47], s[28:29]
; %bb.908:                              ;   in Loop: Header=BB8_889 Depth=2
	v_or_b32_e32 v13, 0x10000, v12
	v_cmp_eq_u32_sdwa s[28:29], v12, v3 src0_sel:WORD_0 src1_sel:DWORD
	s_nop 1
	v_cndmask_b32_e64 v79, v13, v12, s[28:29]
; %bb.909:                              ;   in Loop: Header=BB8_889 Depth=2
	s_or_b64 exec, exec, s[46:47]
	v_and_b32_e32 v12, 0xffff0000, v18
	v_and_b32_e32 v13, 0xffff0000, v14
	v_max_f32_e32 v13, v13, v13
	v_max_f32_e32 v12, v12, v12
	v_min_f32_e32 v14, v12, v13
	v_max_f32_e32 v12, v12, v13
	v_cndmask_b32_e64 v12, v12, v14, s[26:27]
	v_and_b32_e32 v13, 0x7f800000, v12
	v_cmp_ne_u32_e64 s[28:29], s68, v13
                                        ; implicit-def: $vgpr14
	s_and_saveexec_b64 s[46:47], s[28:29]
	s_xor_b64 s[28:29], exec, s[46:47]
; %bb.910:                              ;   in Loop: Header=BB8_889 Depth=2
	v_bfe_u32 v13, v12, 16, 1
	v_add3_u32 v14, v12, v13, s69
                                        ; implicit-def: $vgpr12
; %bb.911:                              ;   in Loop: Header=BB8_889 Depth=2
	s_andn2_saveexec_b64 s[46:47], s[28:29]
; %bb.912:                              ;   in Loop: Header=BB8_889 Depth=2
	v_or_b32_e32 v13, 0x10000, v12
	v_cmp_eq_u32_sdwa s[28:29], v12, v3 src0_sel:WORD_0 src1_sel:DWORD
	s_nop 1
	v_cndmask_b32_e64 v14, v13, v12, s[28:29]
; %bb.913:                              ;   in Loop: Header=BB8_889 Depth=2
	s_or_b64 exec, exec, s[46:47]
	v_lshlrev_b32_e32 v12, 16, v15
	v_lshlrev_b32_e32 v13, 16, v19
	v_max_f32_e32 v12, v12, v12
	v_max_f32_e32 v13, v13, v13
	v_min_f32_e32 v18, v13, v12
	v_max_f32_e32 v12, v13, v12
	v_cndmask_b32_e64 v12, v12, v18, s[26:27]
	v_and_b32_e32 v13, 0x7f800000, v12
	v_cmp_ne_u32_e64 s[28:29], s68, v13
                                        ; implicit-def: $vgpr18
	s_and_saveexec_b64 s[46:47], s[28:29]
	s_xor_b64 s[28:29], exec, s[46:47]
; %bb.914:                              ;   in Loop: Header=BB8_889 Depth=2
	v_bfe_u32 v13, v12, 16, 1
	v_add3_u32 v18, v12, v13, s69
                                        ; implicit-def: $vgpr12
; %bb.915:                              ;   in Loop: Header=BB8_889 Depth=2
	s_andn2_saveexec_b64 s[46:47], s[28:29]
; %bb.916:                              ;   in Loop: Header=BB8_889 Depth=2
	v_or_b32_e32 v13, 0x10000, v12
	v_cmp_eq_u32_sdwa s[28:29], v12, v3 src0_sel:WORD_0 src1_sel:DWORD
	s_nop 1
	v_cndmask_b32_e64 v18, v13, v12, s[28:29]
; %bb.917:                              ;   in Loop: Header=BB8_889 Depth=2
	s_or_b64 exec, exec, s[46:47]
	v_and_b32_e32 v12, 0xffff0000, v19
	v_and_b32_e32 v13, 0xffff0000, v15
	v_max_f32_e32 v13, v13, v13
	v_max_f32_e32 v12, v12, v12
	v_min_f32_e32 v15, v12, v13
	v_max_f32_e32 v12, v12, v13
	v_cndmask_b32_e64 v12, v12, v15, s[26:27]
	v_and_b32_e32 v13, 0x7f800000, v12
	v_cmp_ne_u32_e64 s[28:29], s68, v13
                                        ; implicit-def: $vgpr15
	s_and_saveexec_b64 s[46:47], s[28:29]
	s_xor_b64 s[28:29], exec, s[46:47]
; %bb.918:                              ;   in Loop: Header=BB8_889 Depth=2
	v_bfe_u32 v13, v12, 16, 1
	v_add3_u32 v15, v12, v13, s69
                                        ; implicit-def: $vgpr12
; %bb.919:                              ;   in Loop: Header=BB8_889 Depth=2
	s_andn2_saveexec_b64 s[46:47], s[28:29]
	s_cbranch_execz .LBB8_888
; %bb.920:                              ;   in Loop: Header=BB8_889 Depth=2
	v_or_b32_e32 v13, 0x10000, v12
	v_cmp_eq_u32_sdwa s[28:29], v12, v3 src0_sel:WORD_0 src1_sel:DWORD
	s_nop 1
	v_cndmask_b32_e64 v15, v13, v12, s[28:29]
	s_branch .LBB8_888
.LBB8_921:                              ;   in Loop: Header=BB8_47 Depth=1
	s_or_b64 exec, exec, s[44:45]
.LBB8_922:                              ;   in Loop: Header=BB8_47 Depth=1
	s_or_b64 exec, exec, s[42:43]
	v_and_b32_e32 v8, 14, v46
	v_sub_u32_e32 v9, v57, v8
	v_cndmask_b32_e32 v9, 0, v9, vcc
	v_add3_u32 v16, v56, v2, v9
	v_cndmask_b32_e32 v2, v57, v8, vcc
	v_cmp_lt_i32_e32 vcc, 0, v58
	s_nop 1
	v_cndmask_b32_e32 v8, 0, v52, vcc
	v_sub_u32_e32 v8, v8, v58
	v_cmp_ne_u32_e32 vcc, 0, v2
	v_lshl_add_u32 v17, v8, 6, v47
	s_and_b64 s[42:43], vcc, exec
.LBB8_923:                              ;   in Loop: Header=BB8_47 Depth=1
	s_or_b64 exec, exec, s[40:41]
	s_and_saveexec_b64 s[28:29], s[42:43]
	s_cbranch_execz .LBB8_968
.LBB8_924:                              ;   in Loop: Header=BB8_47 Depth=1
	v_ashrrev_i32_e32 v8, 31, v17
	v_ashrrev_i32_e32 v9, 31, v2
	v_lshrrev_b32_e32 v8, 26, v8
	v_lshrrev_b32_e32 v9, 23, v9
	v_add_u32_e32 v8, v17, v8
	v_add_u32_e32 v9, v2, v9
	v_ashrrev_i32_e32 v18, 6, v8
	v_ashrrev_i32_e32 v40, 9, v9
	v_sub_u32_e32 v19, v40, v18
	v_cmp_lt_i32_e32 vcc, 0, v19
	s_and_saveexec_b64 s[40:41], vcc
	s_cbranch_execz .LBB8_960
; %bb.925:                              ;   in Loop: Header=BB8_47 Depth=1
	v_and_b32_e32 v8, 0x7fffffc0, v8
	s_trap 2
	ds_read_b64 v[10:11], v0
	v_sub_u32_e32 v8, v17, v8
	v_lshlrev_b32_e32 v8, 1, v8
	v_lshlrev_b32_e32 v9, 9, v18
	v_add3_u32 v12, v8, v16, v9
	s_and_b32 s76, s87, 1
	v_ashrrev_i32_e32 v13, 31, v12
	s_cmp_eq_u64 s[76:77], 0
	v_lshl_add_u64 v[8:9], v[12:13], 0, v[118:119]
	s_waitcnt lgkmcnt(0)
	v_lshl_add_u64 v[10:11], v[10:11], 0, v[12:13]
	s_mov_b64 s[42:43], 0
	s_cselect_b64 s[26:27], -1, 0
	v_lshl_add_u64 v[12:13], v[12:13], 0, s[94:95]
	s_branch .LBB8_927
.LBB8_926:                              ;   in Loop: Header=BB8_927 Depth=2
	s_or_b64 exec, exec, s[44:45]
	v_sub_u32_e32 v19, v19, v52
	v_cmp_gt_i32_e32 vcc, 1, v19
	v_lshl_add_u64 v[8:9], v[8:9], 0, v[82:83]
	v_lshl_add_u64 v[10:11], v[10:11], 0, v[82:83]
	s_or_b64 s[42:43], vcc, s[42:43]
	v_lshl_add_u64 v[12:13], v[12:13], 0, v[82:83]
	flat_store_short_d16_hi v[14:15], v42 nt
	s_andn2_b64 exec, exec, s[42:43]
	s_cbranch_execz .LBB8_959
.LBB8_927:                              ;   Parent Loop BB8_47 Depth=1
                                        ; =>  This Inner Loop Header: Depth=2
	v_add_co_u32_e32 v14, vcc, 0xfffffe80, v12
	s_nop 1
	v_addc_co_u32_e32 v15, vcc, -1, v13, vcc
	flat_load_ushort v14, v[14:15] nt
	s_nop 0
	flat_load_ushort v46, v[8:9] offset:128 nt
	flat_load_ushort v45, v[8:9] offset:256 nt
	;; [unrolled: 1-line block ×3, first 2 shown]
	flat_load_ushort v15, v[8:9] nt
	flat_load_ushort v57, v[10:11] offset:128 nt
	flat_load_ushort v56, v[10:11] offset:256 nt
	;; [unrolled: 1-line block ×3, first 2 shown]
	flat_load_ushort v60, v[10:11] nt
	v_add_co_u32_e32 v58, vcc, 0xffffff00, v12
	s_waitcnt vmcnt(0) lgkmcnt(0)
	v_lshlrev_b32_e32 v15, 16, v15
	v_addc_co_u32_e32 v59, vcc, -1, v13, vcc
	v_add_co_u32_e32 v42, vcc, s66, v12
	v_max_f32_e32 v15, v15, v15
	s_nop 0
	v_addc_co_u32_e32 v43, vcc, -1, v13, vcc
	flat_load_ushort v42, v[42:43] nt
	s_nop 0
	flat_load_ushort v41, v[12:13] nt
	flat_load_ushort v43, v[58:59] nt
	v_lshlrev_b32_e32 v58, 16, v60
	v_max_f32_e32 v58, v58, v58
	v_min_f32_e32 v59, v15, v58
	v_max_f32_e32 v15, v15, v58
	v_cndmask_b32_e64 v58, v15, v59, s[26:27]
	v_and_b32_e32 v15, 0x7f800000, v58
	v_cmp_ne_u32_e32 vcc, s68, v15
                                        ; implicit-def: $vgpr15
	s_and_saveexec_b64 s[44:45], vcc
	s_xor_b64 s[44:45], exec, s[44:45]
; %bb.928:                              ;   in Loop: Header=BB8_927 Depth=2
	v_bfe_u32 v15, v58, 16, 1
	v_add3_u32 v15, v58, v15, s69
                                        ; implicit-def: $vgpr58
; %bb.929:                              ;   in Loop: Header=BB8_927 Depth=2
	s_andn2_saveexec_b64 s[44:45], s[44:45]
; %bb.930:                              ;   in Loop: Header=BB8_927 Depth=2
	v_or_b32_e32 v15, 0x10000, v58
	v_cmp_eq_u32_sdwa vcc, v58, v3 src0_sel:WORD_0 src1_sel:DWORD
	s_nop 1
	v_cndmask_b32_e32 v15, v15, v58, vcc
; %bb.931:                              ;   in Loop: Header=BB8_927 Depth=2
	s_or_b64 exec, exec, s[44:45]
	v_lshlrev_b32_e32 v46, 16, v46
	v_lshlrev_b32_e32 v57, 16, v57
	v_max_f32_e32 v57, v57, v57
	v_max_f32_e32 v46, v46, v46
	v_min_f32_e32 v58, v46, v57
	v_max_f32_e32 v46, v46, v57
	v_cndmask_b32_e64 v57, v46, v58, s[26:27]
	v_and_b32_e32 v46, 0x7f800000, v57
	v_cmp_ne_u32_e32 vcc, s68, v46
                                        ; implicit-def: $vgpr46
	s_and_saveexec_b64 s[44:45], vcc
	s_xor_b64 s[44:45], exec, s[44:45]
; %bb.932:                              ;   in Loop: Header=BB8_927 Depth=2
	v_bfe_u32 v46, v57, 16, 1
	v_add3_u32 v46, v57, v46, s69
                                        ; implicit-def: $vgpr57
; %bb.933:                              ;   in Loop: Header=BB8_927 Depth=2
	s_andn2_saveexec_b64 s[44:45], s[44:45]
; %bb.934:                              ;   in Loop: Header=BB8_927 Depth=2
	v_or_b32_e32 v46, 0x10000, v57
	v_cmp_eq_u32_sdwa vcc, v57, v3 src0_sel:WORD_0 src1_sel:DWORD
	s_nop 1
	v_cndmask_b32_e32 v46, v46, v57, vcc
; %bb.935:                              ;   in Loop: Header=BB8_927 Depth=2
	s_or_b64 exec, exec, s[44:45]
	v_lshlrev_b32_e32 v45, 16, v45
	v_lshlrev_b32_e32 v56, 16, v56
	v_max_f32_e32 v56, v56, v56
	v_max_f32_e32 v45, v45, v45
	v_min_f32_e32 v57, v45, v56
	v_max_f32_e32 v45, v45, v56
	v_cndmask_b32_e64 v56, v45, v57, s[26:27]
	v_and_b32_e32 v45, 0x7f800000, v56
	v_cmp_ne_u32_e32 vcc, s68, v45
                                        ; implicit-def: $vgpr45
	s_and_saveexec_b64 s[44:45], vcc
	s_xor_b64 s[44:45], exec, s[44:45]
; %bb.936:                              ;   in Loop: Header=BB8_927 Depth=2
	v_bfe_u32 v45, v56, 16, 1
	v_add3_u32 v45, v56, v45, s69
                                        ; implicit-def: $vgpr56
; %bb.937:                              ;   in Loop: Header=BB8_927 Depth=2
	s_andn2_saveexec_b64 s[44:45], s[44:45]
; %bb.938:                              ;   in Loop: Header=BB8_927 Depth=2
	v_or_b32_e32 v45, 0x10000, v56
	v_cmp_eq_u32_sdwa vcc, v56, v3 src0_sel:WORD_0 src1_sel:DWORD
	s_nop 1
	v_cndmask_b32_e32 v45, v45, v56, vcc
; %bb.939:                              ;   in Loop: Header=BB8_927 Depth=2
	s_or_b64 exec, exec, s[44:45]
	v_lshlrev_b32_e32 v44, 16, v44
	v_lshlrev_b32_e32 v47, 16, v47
	v_max_f32_e32 v47, v47, v47
	v_max_f32_e32 v44, v44, v44
	v_min_f32_e32 v56, v44, v47
	v_max_f32_e32 v44, v44, v47
	v_cndmask_b32_e64 v47, v44, v56, s[26:27]
	v_and_b32_e32 v44, 0x7f800000, v47
	v_cmp_ne_u32_e32 vcc, s68, v44
                                        ; implicit-def: $vgpr44
	s_and_saveexec_b64 s[44:45], vcc
	s_xor_b64 s[44:45], exec, s[44:45]
; %bb.940:                              ;   in Loop: Header=BB8_927 Depth=2
	v_bfe_u32 v44, v47, 16, 1
	v_add3_u32 v44, v47, v44, s69
                                        ; implicit-def: $vgpr47
; %bb.941:                              ;   in Loop: Header=BB8_927 Depth=2
	s_andn2_saveexec_b64 s[44:45], s[44:45]
; %bb.942:                              ;   in Loop: Header=BB8_927 Depth=2
	v_or_b32_e32 v44, 0x10000, v47
	v_cmp_eq_u32_sdwa vcc, v47, v3 src0_sel:WORD_0 src1_sel:DWORD
	s_nop 1
	v_cndmask_b32_e32 v44, v44, v47, vcc
; %bb.943:                              ;   in Loop: Header=BB8_927 Depth=2
	s_or_b64 exec, exec, s[44:45]
	v_and_b32_e32 v15, 0xffff0000, v15
	v_lshlrev_b32_e32 v14, 16, v14
	v_max_f32_e32 v15, v15, v15
	v_max_f32_e32 v14, v14, v14
	v_min_f32_e32 v47, v15, v14
	v_max_f32_e32 v14, v15, v14
	v_cndmask_b32_e64 v14, v14, v47, s[26:27]
	v_and_b32_e32 v15, 0x7f800000, v14
	v_cmp_ne_u32_e32 vcc, s68, v15
                                        ; implicit-def: $vgpr47
	s_and_saveexec_b64 s[44:45], vcc
	s_xor_b64 s[44:45], exec, s[44:45]
; %bb.944:                              ;   in Loop: Header=BB8_927 Depth=2
	v_bfe_u32 v15, v14, 16, 1
	v_add3_u32 v47, v14, v15, s69
                                        ; implicit-def: $vgpr14
; %bb.945:                              ;   in Loop: Header=BB8_927 Depth=2
	s_andn2_saveexec_b64 s[44:45], s[44:45]
; %bb.946:                              ;   in Loop: Header=BB8_927 Depth=2
	v_or_b32_e32 v15, 0x10000, v14
	v_cmp_eq_u32_sdwa vcc, v14, v3 src0_sel:WORD_0 src1_sel:DWORD
	s_nop 1
	v_cndmask_b32_e32 v47, v15, v14, vcc
; %bb.947:                              ;   in Loop: Header=BB8_927 Depth=2
	s_or_b64 exec, exec, s[44:45]
	v_lshl_add_u64 v[14:15], v[22:23], 0, v[12:13]
	v_and_b32_e32 v46, 0xffff0000, v46
	v_add_co_u32_e32 v56, vcc, 0xfffffe80, v14
	s_waitcnt vmcnt(0) lgkmcnt(0)
	v_lshlrev_b32_e32 v43, 16, v43
	v_addc_co_u32_e32 v57, vcc, -1, v15, vcc
	v_max_f32_e32 v46, v46, v46
	v_max_f32_e32 v43, v43, v43
	flat_store_short_d16_hi v[56:57], v47 nt
	v_min_f32_e32 v47, v46, v43
	v_max_f32_e32 v43, v46, v43
	v_cndmask_b32_e64 v46, v43, v47, s[26:27]
	v_and_b32_e32 v43, 0x7f800000, v46
	v_cmp_ne_u32_e32 vcc, s68, v43
                                        ; implicit-def: $vgpr43
	s_and_saveexec_b64 s[44:45], vcc
	s_xor_b64 s[44:45], exec, s[44:45]
; %bb.948:                              ;   in Loop: Header=BB8_927 Depth=2
	v_bfe_u32 v43, v46, 16, 1
	v_add3_u32 v43, v46, v43, s69
                                        ; implicit-def: $vgpr46
; %bb.949:                              ;   in Loop: Header=BB8_927 Depth=2
	s_andn2_saveexec_b64 s[44:45], s[44:45]
; %bb.950:                              ;   in Loop: Header=BB8_927 Depth=2
	v_or_b32_e32 v43, 0x10000, v46
	v_cmp_eq_u32_sdwa vcc, v46, v3 src0_sel:WORD_0 src1_sel:DWORD
	s_nop 1
	v_cndmask_b32_e32 v43, v43, v46, vcc
; %bb.951:                              ;   in Loop: Header=BB8_927 Depth=2
	s_or_b64 exec, exec, s[44:45]
	v_add_co_u32_e32 v46, vcc, 0xffffff00, v14
	v_and_b32_e32 v45, 0xffff0000, v45
	s_nop 0
	v_addc_co_u32_e32 v47, vcc, -1, v15, vcc
	v_lshlrev_b32_e32 v42, 16, v42
	flat_store_short_d16_hi v[46:47], v43 nt
	v_max_f32_e32 v43, v45, v45
	v_max_f32_e32 v42, v42, v42
	v_min_f32_e32 v45, v43, v42
	v_max_f32_e32 v42, v43, v42
	v_cndmask_b32_e64 v43, v42, v45, s[26:27]
	v_and_b32_e32 v42, 0x7f800000, v43
	v_cmp_ne_u32_e32 vcc, s68, v42
                                        ; implicit-def: $vgpr42
	s_and_saveexec_b64 s[44:45], vcc
	s_xor_b64 s[44:45], exec, s[44:45]
; %bb.952:                              ;   in Loop: Header=BB8_927 Depth=2
	v_bfe_u32 v42, v43, 16, 1
	v_add3_u32 v42, v43, v42, s69
                                        ; implicit-def: $vgpr43
; %bb.953:                              ;   in Loop: Header=BB8_927 Depth=2
	s_andn2_saveexec_b64 s[44:45], s[44:45]
; %bb.954:                              ;   in Loop: Header=BB8_927 Depth=2
	v_or_b32_e32 v42, 0x10000, v43
	v_cmp_eq_u32_sdwa vcc, v43, v3 src0_sel:WORD_0 src1_sel:DWORD
	s_nop 1
	v_cndmask_b32_e32 v42, v42, v43, vcc
; %bb.955:                              ;   in Loop: Header=BB8_927 Depth=2
	s_or_b64 exec, exec, s[44:45]
	v_and_b32_e32 v43, 0xffff0000, v44
	v_add_co_u32_e32 v44, vcc, 0xffffff80, v14
	v_lshlrev_b32_e32 v41, 16, v41
	s_nop 0
	v_addc_co_u32_e32 v45, vcc, -1, v15, vcc
	flat_store_short_d16_hi v[44:45], v42 nt
	v_max_f32_e32 v42, v43, v43
	v_max_f32_e32 v41, v41, v41
	v_min_f32_e32 v43, v42, v41
	v_max_f32_e32 v41, v42, v41
	v_cndmask_b32_e64 v41, v41, v43, s[26:27]
	v_and_b32_e32 v42, 0x7f800000, v41
	v_cmp_ne_u32_e32 vcc, s68, v42
                                        ; implicit-def: $vgpr42
	s_and_saveexec_b64 s[44:45], vcc
	s_xor_b64 s[44:45], exec, s[44:45]
; %bb.956:                              ;   in Loop: Header=BB8_927 Depth=2
	v_bfe_u32 v42, v41, 16, 1
	v_add3_u32 v42, v41, v42, s69
                                        ; implicit-def: $vgpr41
; %bb.957:                              ;   in Loop: Header=BB8_927 Depth=2
	s_andn2_saveexec_b64 s[44:45], s[44:45]
	s_cbranch_execz .LBB8_926
; %bb.958:                              ;   in Loop: Header=BB8_927 Depth=2
	v_or_b32_e32 v42, 0x10000, v41
	v_cmp_eq_u32_sdwa vcc, v41, v3 src0_sel:WORD_0 src1_sel:DWORD
	s_nop 1
	v_cndmask_b32_e32 v42, v42, v41, vcc
	s_branch .LBB8_926
.LBB8_959:                              ;   in Loop: Header=BB8_47 Depth=1
	s_or_b64 exec, exec, s[42:43]
.LBB8_960:                              ;   in Loop: Header=BB8_47 Depth=1
	s_or_b64 exec, exec, s[40:41]
	v_lshlrev_b32_e32 v8, 9, v40
	v_cmp_ne_u32_e32 vcc, v2, v8
	s_and_b64 exec, exec, vcc
	s_cbranch_execz .LBB8_968
; %bb.961:                              ;   in Loop: Header=BB8_47 Depth=1
	v_lshlrev_b32_e32 v9, 6, v18
	v_sub_u32_e32 v9, v17, v9
	v_lshlrev_b32_e32 v10, 6, v19
	v_sub_u32_e32 v9, v9, v10
	v_ashrrev_i32_e32 v10, 31, v9
	v_lshrrev_b32_e32 v10, 26, v10
	v_add_u32_e32 v10, v9, v10
	v_and_b32_e32 v11, 0x7fffffc0, v10
	v_sub_u32_e32 v9, v9, v11
	v_lshlrev_b32_e32 v10, 1, v10
	v_and_b32_e32 v10, 0xffffff80, v10
	v_lshlrev_b32_e32 v9, 1, v9
	v_add3_u32 v8, v10, v9, v8
	v_sub_u32_e32 v2, v2, v8
	v_cmp_lt_i32_e32 vcc, 1, v2
	s_and_b64 exec, exec, vcc
	s_cbranch_execz .LBB8_968
; %bb.962:                              ;   in Loop: Header=BB8_47 Depth=1
	s_trap 2
	ds_read_b64 v[12:13], v0
	v_add_u32_e32 v8, v8, v16
	s_and_b32 s76, s87, 1
	v_ashrrev_i32_e32 v9, 31, v8
	s_cmp_eq_u64 s[76:77], 0
	v_lshl_add_u64 v[10:11], v[8:9], 0, v[118:119]
	s_waitcnt lgkmcnt(0)
	v_lshl_add_u64 v[12:13], v[12:13], 0, v[8:9]
	s_mov_b64 s[40:41], 0
	s_cselect_b64 vcc, -1, 0
	s_branch .LBB8_964
.LBB8_963:                              ;   in Loop: Header=BB8_964 Depth=2
	s_or_b64 exec, exec, s[42:43]
	v_and_b32_e32 v15, 0xffff0000, v16
	v_lshlrev_b32_e32 v14, 16, v14
	v_max_f32_e32 v15, v15, v15
	v_max_f32_e32 v14, v14, v14
	v_min_f32_e32 v16, v15, v14
	v_max_f32_e32 v14, v15, v14
	v_cndmask_b32_e32 v14, v14, v16, vcc
	v_and_b32_e32 v15, 0x7f800000, v14
	v_bfe_u32 v16, v14, 16, 1
	v_or_b32_e32 v17, 0x10000, v14
	v_cmp_eq_u32_sdwa s[26:27], v14, v3 src0_sel:WORD_0 src1_sel:DWORD
	v_add3_u32 v16, v14, v16, s69
	v_sub_u32_e32 v2, v2, v84
	v_cndmask_b32_e64 v14, v17, v14, s[26:27]
	v_cmp_eq_u32_e64 s[26:27], s68, v15
	v_lshl_add_u64 v[18:19], v[22:23], 0, v[8:9]
	v_lshl_add_u64 v[10:11], v[10:11], 0, v[84:85]
	v_cndmask_b32_e64 v14, v16, v14, s[26:27]
	v_cmp_gt_i32_e64 s[26:27], 2, v2
	v_lshl_add_u64 v[12:13], v[12:13], 0, v[84:85]
	s_or_b64 s[40:41], s[26:27], s[40:41]
	v_lshl_add_u64 v[8:9], v[8:9], 0, v[84:85]
	flat_store_short_d16_hi v[18:19], v14 nt
	s_andn2_b64 exec, exec, s[40:41]
	s_cbranch_execz .LBB8_968
.LBB8_964:                              ;   Parent Loop BB8_47 Depth=1
                                        ; =>  This Inner Loop Header: Depth=2
	flat_load_ushort v15, v[12:13] nt
	flat_load_ushort v16, v[10:11] nt
	;; [unrolled: 1-line block ×3, first 2 shown]
	s_waitcnt vmcnt(0) lgkmcnt(0)
	v_lshlrev_b32_e32 v15, 16, v15
	v_lshlrev_b32_e32 v16, 16, v16
	v_max_f32_e32 v15, v15, v15
	v_max_f32_e32 v16, v16, v16
	v_min_f32_e32 v17, v16, v15
	v_max_f32_e32 v15, v16, v15
	v_cndmask_b32_e32 v15, v15, v17, vcc
	v_and_b32_e32 v16, 0x7f800000, v15
	v_cmp_ne_u32_e64 s[26:27], s68, v16
                                        ; implicit-def: $vgpr16
	s_and_saveexec_b64 s[42:43], s[26:27]
	s_xor_b64 s[26:27], exec, s[42:43]
; %bb.965:                              ;   in Loop: Header=BB8_964 Depth=2
	v_bfe_u32 v16, v15, 16, 1
	v_add3_u32 v16, v15, v16, s69
                                        ; implicit-def: $vgpr15
; %bb.966:                              ;   in Loop: Header=BB8_964 Depth=2
	s_andn2_saveexec_b64 s[42:43], s[26:27]
	s_cbranch_execz .LBB8_963
; %bb.967:                              ;   in Loop: Header=BB8_964 Depth=2
	v_or_b32_e32 v16, 0x10000, v15
	v_cmp_eq_u32_sdwa s[26:27], v15, v3 src0_sel:WORD_0 src1_sel:DWORD
	s_nop 1
	v_cndmask_b32_e64 v16, v16, v15, s[26:27]
	s_branch .LBB8_963
.LBB8_968:                              ;   in Loop: Header=BB8_47 Depth=1
	s_or_b64 exec, exec, s[28:29]
	v_cmp_lt_i32_e64 s[26:27], 0, v21
	s_and_saveexec_b64 s[28:29], s[6:7]
	s_cbranch_execz .LBB8_987
.LBB8_969:                              ;   in Loop: Header=BB8_47 Depth=1
	s_and_saveexec_b64 s[40:41], s[78:79]
	s_xor_b64 s[40:41], exec, s[40:41]
	s_cbranch_execz .LBB8_984
; %bb.970:                              ;   in Loop: Header=BB8_47 Depth=1
	s_and_saveexec_b64 s[42:43], s[14:15]
	s_cbranch_execz .LBB8_983
; %bb.971:                              ;   in Loop: Header=BB8_47 Depth=1
	s_mov_b64 s[46:47], exec
	v_mbcnt_lo_u32_b32 v2, s46, 0
	v_mbcnt_hi_u32_b32 v2, s47, v2
	v_cmp_eq_u32_e32 vcc, 0, v2
	s_waitcnt lgkmcnt(0)
	s_and_saveexec_b64 s[44:45], vcc
	s_cbranch_execz .LBB8_973
; %bb.972:                              ;   in Loop: Header=BB8_47 Depth=1
	s_bcnt1_i32_b64 s46, s[46:47]
	v_mov_b32_e32 v2, s46
	ds_add_u64 v0, v[2:3]
	s_trap 2
.LBB8_973:                              ;   in Loop: Header=BB8_47 Depth=1
	s_or_b64 exec, exec, s[44:45]
	s_trap 2
	ds_read_b64 v[8:9], v0
	s_waitcnt lgkmcnt(0)
	v_lshl_add_u64 v[38:39], v[38:39], 0, v[52:53]
	v_cmp_lt_u64_e32 vcc, v[8:9], v[38:39]
	s_and_saveexec_b64 s[44:45], vcc
	s_cbranch_execz .LBB8_982
; %bb.974:                              ;   in Loop: Header=BB8_47 Depth=1
	s_mov_b32 s76, 0
	s_mov_b64 s[46:47], 0
                                        ; implicit-def: $sgpr56_sgpr57
                                        ; implicit-def: $sgpr58_sgpr59
	s_branch .LBB8_976
.LBB8_975:                              ;   in Loop: Header=BB8_976 Depth=2
	s_or_b64 exec, exec, s[62:63]
	s_and_b64 s[60:61], exec, vcc
	s_or_b64 s[46:47], s[60:61], s[46:47]
	s_andn2_b64 s[56:57], s[56:57], exec
	s_and_b64 s[60:61], s[58:59], exec
	s_or_b64 s[56:57], s[56:57], s[60:61]
	s_andn2_b64 exec, exec, s[46:47]
	s_cbranch_execz .LBB8_980
.LBB8_976:                              ;   Parent Loop BB8_47 Depth=1
                                        ; =>  This Inner Loop Header: Depth=2
	s_add_i32 s76, s76, 1
	s_cmpk_lg_i32 s76, 0x2710
	s_cselect_b64 s[60:61], -1, 0
	s_and_b64 vcc, exec, s[60:61]
	s_cbranch_vccz .LBB8_978
; %bb.977:                              ;   in Loop: Header=BB8_976 Depth=2
	s_mov_b64 vcc, -1
	s_or_b64 s[58:59], s[58:59], exec
	s_and_saveexec_b64 s[62:63], s[60:61]
	s_cbranch_execz .LBB8_975
	s_branch .LBB8_979
.LBB8_978:                              ;   in Loop: Header=BB8_976 Depth=2
	s_trap 2
	ds_read_b64 v[8:9], v0
	s_andn2_b64 s[60:61], s[60:61], exec
	s_mov_b32 s76, 0
	s_waitcnt vmcnt(0) lgkmcnt(0)
	flat_load_dword v2, v[8:9] sc0 sc1
	s_waitcnt vmcnt(0) lgkmcnt(0)
	buffer_inv sc0 sc1
	v_cmp_eq_u32_e32 vcc, 0, v2
	s_and_b64 s[62:63], vcc, exec
	s_or_b64 s[60:61], s[60:61], s[62:63]
	s_mov_b64 vcc, -1
	s_or_b64 s[58:59], s[58:59], exec
	s_and_saveexec_b64 s[62:63], s[60:61]
	s_cbranch_execz .LBB8_975
.LBB8_979:                              ;   in Loop: Header=BB8_976 Depth=2
	s_sleep 1
	s_trap 2
	ds_read_b64 v[8:9], v0
	s_waitcnt lgkmcnt(0)
	s_andn2_b64 s[58:59], s[58:59], exec
	v_cmp_ge_u64_e32 vcc, v[8:9], v[38:39]
	s_orn2_b64 vcc, vcc, exec
	s_branch .LBB8_975
.LBB8_980:                              ;   in Loop: Header=BB8_47 Depth=1
	s_or_b64 exec, exec, s[46:47]
	s_and_saveexec_b64 s[46:47], s[56:57]
	s_xor_b64 s[46:47], exec, s[46:47]
	s_cbranch_execz .LBB8_982
; %bb.981:                              ;   in Loop: Header=BB8_47 Depth=1
	ds_write_b32 v0, v74
	s_trap 2
.LBB8_982:                              ;   in Loop: Header=BB8_47 Depth=1
	s_or_b64 exec, exec, s[44:45]
	;;#ASMSTART
	s_wakeup
	;;#ASMEND
.LBB8_983:                              ;   in Loop: Header=BB8_47 Depth=1
	s_or_b64 exec, exec, s[42:43]
.LBB8_984:                              ;   in Loop: Header=BB8_47 Depth=1
	s_andn2_saveexec_b64 s[40:41], s[40:41]
	s_cbranch_execz .LBB8_986
; %bb.985:                              ;   in Loop: Header=BB8_47 Depth=1
	s_waitcnt lgkmcnt(0)
	s_barrier
.LBB8_986:                              ;   in Loop: Header=BB8_47 Depth=1
	s_or_b64 exec, exec, s[40:41]
.LBB8_987:                              ;   in Loop: Header=BB8_47 Depth=1
	s_or_b64 exec, exec, s[28:29]
	v_and_b32_e32 v8, 16, v63
	s_and_saveexec_b64 s[28:29], s[22:23]
	s_xor_b64 s[28:29], exec, s[28:29]
	s_cbranch_execz .LBB8_991
; %bb.988:                              ;   in Loop: Header=BB8_47 Depth=1
	v_and_b32_e32 v2, 16, v63
	v_cmp_ne_u32_e32 vcc, 0, v2
	v_and_b32_e32 v8, 16, v63
	s_and_b64 s[40:41], vcc, s[26:27]
	s_and_saveexec_b64 s[26:27], s[40:41]
	s_cbranch_execz .LBB8_990
; %bb.989:                              ;   in Loop: Header=BB8_47 Depth=1
	v_mov_b32_e32 v8, 1
	buffer_wbl2 sc1
	s_waitcnt vmcnt(0) lgkmcnt(0)
	buffer_inv sc1
.LBB8_990:                              ;   in Loop: Header=BB8_47 Depth=1
	s_or_b64 exec, exec, s[26:27]
.LBB8_991:                              ;   in Loop: Header=BB8_47 Depth=1
	s_andn2_saveexec_b64 s[26:27], s[28:29]
	s_cbranch_execz .LBB8_1010
; %bb.992:                              ;   in Loop: Header=BB8_47 Depth=1
	s_and_saveexec_b64 s[28:29], s[78:79]
	s_xor_b64 s[28:29], exec, s[28:29]
	s_cbranch_execz .LBB8_1007
; %bb.993:                              ;   in Loop: Header=BB8_47 Depth=1
	s_and_saveexec_b64 s[40:41], s[14:15]
	s_cbranch_execz .LBB8_1006
; %bb.994:                              ;   in Loop: Header=BB8_47 Depth=1
	s_mov_b64 s[44:45], exec
	v_mbcnt_lo_u32_b32 v2, s44, 0
	v_mbcnt_hi_u32_b32 v2, s45, v2
	v_cmp_eq_u32_e32 vcc, 0, v2
	;;#ASMSTART
	s_waitcnt lgkmcnt(0) vmcnt(0)
	;;#ASMEND
	s_and_saveexec_b64 s[42:43], vcc
	s_cbranch_execz .LBB8_996
; %bb.995:                              ;   in Loop: Header=BB8_47 Depth=1
	s_bcnt1_i32_b64 s44, s[44:45]
	v_mov_b32_e32 v2, s44
	s_waitcnt lgkmcnt(0)
	ds_add_u64 v0, v[2:3]
	s_trap 2
.LBB8_996:                              ;   in Loop: Header=BB8_47 Depth=1
	s_or_b64 exec, exec, s[42:43]
	s_trap 2
	ds_read_b64 v[10:11], v0
	s_waitcnt lgkmcnt(0)
	v_lshl_add_u64 v[38:39], v[38:39], 0, v[52:53]
	v_cmp_lt_u64_e32 vcc, v[10:11], v[38:39]
	s_and_saveexec_b64 s[42:43], vcc
	s_cbranch_execz .LBB8_1005
; %bb.997:                              ;   in Loop: Header=BB8_47 Depth=1
	s_mov_b32 s76, 0
	s_mov_b64 s[44:45], 0
                                        ; implicit-def: $sgpr46_sgpr47
                                        ; implicit-def: $sgpr56_sgpr57
	s_branch .LBB8_999
.LBB8_998:                              ;   in Loop: Header=BB8_999 Depth=2
	s_or_b64 exec, exec, s[60:61]
	s_and_b64 s[58:59], exec, s[62:63]
	s_or_b64 s[44:45], s[58:59], s[44:45]
	s_andn2_b64 s[46:47], s[46:47], exec
	s_and_b64 s[58:59], s[56:57], exec
	s_or_b64 s[46:47], s[46:47], s[58:59]
	s_andn2_b64 exec, exec, s[44:45]
	s_cbranch_execz .LBB8_1003
.LBB8_999:                              ;   Parent Loop BB8_47 Depth=1
                                        ; =>  This Inner Loop Header: Depth=2
	s_add_i32 s76, s76, 1
	s_cmpk_lg_i32 s76, 0x2710
	s_cselect_b64 s[58:59], -1, 0
	s_and_b64 vcc, exec, s[58:59]
	s_cbranch_vccz .LBB8_1001
; %bb.1000:                             ;   in Loop: Header=BB8_999 Depth=2
	s_mov_b64 s[62:63], -1
	s_or_b64 s[56:57], s[56:57], exec
	s_and_saveexec_b64 s[60:61], s[58:59]
	s_cbranch_execz .LBB8_998
	s_branch .LBB8_1002
.LBB8_1001:                             ;   in Loop: Header=BB8_999 Depth=2
	s_trap 2
	ds_read_b64 v[10:11], v0
	s_andn2_b64 s[58:59], s[58:59], exec
	s_mov_b32 s76, 0
	s_waitcnt vmcnt(0) lgkmcnt(0)
	flat_load_dword v2, v[10:11] sc0 sc1
	s_waitcnt vmcnt(0) lgkmcnt(0)
	buffer_inv sc0 sc1
	v_cmp_eq_u32_e32 vcc, 0, v2
	s_and_b64 s[60:61], vcc, exec
	s_or_b64 s[58:59], s[58:59], s[60:61]
	s_mov_b64 s[62:63], -1
	s_or_b64 s[56:57], s[56:57], exec
	s_and_saveexec_b64 s[60:61], s[58:59]
	s_cbranch_execz .LBB8_998
.LBB8_1002:                             ;   in Loop: Header=BB8_999 Depth=2
	s_sleep 1
	s_trap 2
	ds_read_b64 v[10:11], v0
	s_waitcnt lgkmcnt(0)
	s_andn2_b64 s[56:57], s[56:57], exec
	v_cmp_ge_u64_e32 vcc, v[10:11], v[38:39]
	s_orn2_b64 s[62:63], vcc, exec
	s_branch .LBB8_998
.LBB8_1003:                             ;   in Loop: Header=BB8_47 Depth=1
	s_or_b64 exec, exec, s[44:45]
	s_and_saveexec_b64 s[44:45], s[46:47]
	s_xor_b64 s[44:45], exec, s[44:45]
	s_cbranch_execz .LBB8_1005
; %bb.1004:                             ;   in Loop: Header=BB8_47 Depth=1
	ds_write_b32 v0, v74
	s_trap 2
.LBB8_1005:                             ;   in Loop: Header=BB8_47 Depth=1
	s_or_b64 exec, exec, s[42:43]
	;;#ASMSTART
	s_wakeup
	;;#ASMEND
.LBB8_1006:                             ;   in Loop: Header=BB8_47 Depth=1
	s_or_b64 exec, exec, s[40:41]
.LBB8_1007:                             ;   in Loop: Header=BB8_47 Depth=1
	s_andn2_saveexec_b64 s[28:29], s[28:29]
	s_cbranch_execz .LBB8_1009
; %bb.1008:                             ;   in Loop: Header=BB8_47 Depth=1
	;;#ASMSTART
	s_waitcnt lgkmcnt(0) vmcnt(0)
	;;#ASMEND
	s_barrier
.LBB8_1009:                             ;   in Loop: Header=BB8_47 Depth=1
	s_or_b64 exec, exec, s[28:29]
.LBB8_1010:                             ;   in Loop: Header=BB8_47 Depth=1
	s_or_b64 exec, exec, s[26:27]
	v_cmp_ne_u32_e32 vcc, 0, v8
	s_xor_b64 s[26:27], s[10:11], -1
	s_and_b64 s[28:29], vcc, s[26:27]
	s_and_saveexec_b64 s[26:27], s[28:29]
	s_cbranch_execz .LBB8_1012
; %bb.1011:                             ;   in Loop: Header=BB8_47 Depth=1
	flat_store_dword v[36:37], v74 sc0 sc1
.LBB8_1012:                             ;   in Loop: Header=BB8_47 Depth=1
	s_or_b64 exec, exec, s[26:27]
	v_and_b32_e32 v2, 48, v63
	v_cmp_ne_u32_e32 vcc, 0, v2
	s_and_saveexec_b64 s[26:27], vcc
	s_cbranch_execz .LBB8_1014
; %bb.1013:                             ;   in Loop: Header=BB8_47 Depth=1
	v_lshl_add_u64 v[112:113], v[112:113], 0, 4
	flat_store_dwordx2 v[32:33], v[112:113] sc0 sc1
.LBB8_1014:                             ;   in Loop: Header=BB8_47 Depth=1
	s_or_b64 exec, exec, s[26:27]
	v_mov_b32_e32 v2, v20
	s_or_b64 exec, exec, s[48:49]
	s_and_saveexec_b64 s[28:29], s[38:39]
	s_cbranch_execnz .LBB8_571
.LBB8_1015:                             ;   in Loop: Header=BB8_47 Depth=1
	s_or_b64 exec, exec, s[28:29]
	s_and_b64 vcc, exec, s[24:25]
	s_cbranch_vccnz .LBB8_1366
.LBB8_1016:                             ;   in Loop: Header=BB8_47 Depth=1
	s_mov_b32 s54, 1
.LBB8_1017:                             ;   Parent Loop BB8_47 Depth=1
                                        ; =>  This Loop Header: Depth=2
                                        ;       Child Loop BB8_1030 Depth 3
                                        ;       Child Loop BB8_1065 Depth 3
                                        ;       Child Loop BB8_1112 Depth 3
                                        ;       Child Loop BB8_1221 Depth 3
                                        ;       Child Loop BB8_1289 Depth 3
                                        ;       Child Loop BB8_1296 Depth 3
                                        ;       Child Loop BB8_1316 Depth 3
                                        ;       Child Loop BB8_1160 Depth 3
                                        ;         Child Loop BB8_1161 Depth 4
                                        ;       Child Loop BB8_1167 Depth 3
                                        ;         Child Loop BB8_1168 Depth 4
                                        ;       Child Loop BB8_1176 Depth 3
                                        ;       Child Loop BB8_1208 Depth 3
                                        ;         Child Loop BB8_1209 Depth 4
                                        ;       Child Loop BB8_1325 Depth 3
                                        ;       Child Loop BB8_1348 Depth 3
	;; [unrolled: 1-line block ×5, first 2 shown]
	s_sub_i32 s24, s80, s54
	s_cmp_ge_i32 s24, s64
	s_cselect_b32 s25, s64, 0
	s_sub_i32 s24, s24, s25
	s_ashr_i32 s25, s24, 31
	v_mul_lo_u32 v2, v102, s25
	v_mul_lo_u32 v10, v103, s24
	v_mad_u64_u32 v[8:9], s[24:25], v102, s24, 0
	v_add3_u32 v9, v9, v2, v10
	v_sub_co_u32_e32 v10, vcc, v114, v8
	s_nop 1
	v_subb_co_u32_e32 v11, vcc, v115, v9, vcc
	v_cmp_lt_i64_e32 vcc, v[102:103], v[10:11]
	s_nop 1
	v_cndmask_b32_e32 v2, v10, v102, vcc
	v_max_i32_e32 v56, 0, v2
	v_add_u32_e32 v10, 15, v56
	v_ashrrev_i32_e32 v11, 31, v10
	v_lshrrev_b32_e32 v11, 28, v11
	v_add_u32_e32 v10, v10, v11
	v_cmp_gt_i32_e32 vcc, 1, v2
	v_and_b32_e32 v10, -16, v10
	s_or_b64 s[62:63], s[2:3], vcc
	v_max_i32_e32 v118, s83, v10
	s_xor_b64 s[24:25], s[62:63], -1
	v_mov_b32_e32 v2, 0
	s_and_saveexec_b64 s[38:39], s[24:25]
	s_cbranch_execz .LBB8_1023
; %bb.1018:                             ;   in Loop: Header=BB8_1017 Depth=2
	s_and_saveexec_b64 s[24:25], s[0:1]
	s_cbranch_execz .LBB8_1020
; %bb.1019:                             ;   in Loop: Header=BB8_1017 Depth=2
	s_trap 2
	ds_read_b128 v[10:13], v0
	v_lshl_add_u64 v[8:9], v[8:9], 0, v[116:117]
	v_lshlrev_b64 v[8:9], 1, v[8:9]
	s_waitcnt lgkmcnt(0)
	v_lshl_add_u64 v[10:11], v[10:11], 0, v[8:9]
	v_lshl_add_u64 v[8:9], v[12:13], 0, v[8:9]
	v_cmp_ne_u64_e32 vcc, 0, v[12:13]
	ds_write_b64 v0, v[10:11]
	s_nop 0
	v_cndmask_b32_e32 v9, 0, v9, vcc
	v_cndmask_b32_e32 v8, 0, v8, vcc
	ds_write_b64 v0, v[8:9]
.LBB8_1020:                             ;   in Loop: Header=BB8_1017 Depth=2
	s_or_b64 exec, exec, s[24:25]
	v_and_b32_e32 v2, 12, v63
	v_min_i32_e32 v118, v118, v56
	v_cmp_ne_u32_e32 vcc, 0, v2
	s_and_saveexec_b64 s[26:27], vcc
	s_cbranch_execz .LBB8_1057
; %bb.1021:                             ;   in Loop: Header=BB8_1017 Depth=2
	v_and_b32_e32 v2, 8, v63
	s_waitcnt vmcnt(0) lgkmcnt(0)
	v_lshl_add_u64 v[10:11], v[48:49], 0, v[2:3]
	v_lshl_add_u64 v[8:9], v[112:113], 0, 4
	v_cmp_lt_u64_e32 vcc, v[10:11], v[8:9]
	s_and_saveexec_b64 s[28:29], vcc
	s_cbranch_execz .LBB8_1044
; %bb.1022:                             ;   in Loop: Header=BB8_1017 Depth=2
	v_and_b32_e32 v10, 64, v63
	s_mov_b32 s76, 0
	v_cmp_eq_u32_e32 vcc, 0, v10
	s_mov_b64 s[40:41], 0
                                        ; implicit-def: $sgpr42_sgpr43
                                        ; implicit-def: $sgpr44_sgpr45
                                        ; implicit-def: $sgpr46_sgpr47
	s_branch .LBB8_1030
.LBB8_1023:                             ;   in Loop: Header=BB8_1017 Depth=2
	s_or_b64 exec, exec, s[38:39]
	s_and_saveexec_b64 s[26:27], s[62:63]
	s_cbranch_execz .LBB8_1364
.LBB8_1024:                             ;   in Loop: Header=BB8_1017 Depth=2
	v_sub_u32_e32 v2, v56, v2
	v_min_i32_e32 v8, v118, v2
	v_and_b32_e32 v2, 12, v63
	v_cmp_ne_u32_e32 vcc, 0, v2
	s_and_saveexec_b64 s[28:29], vcc
	s_cbranch_execz .LBB8_1085
; %bb.1025:                             ;   in Loop: Header=BB8_1017 Depth=2
	v_and_b32_e32 v2, 8, v63
	s_waitcnt vmcnt(0) lgkmcnt(0)
	v_lshl_add_u64 v[12:13], v[48:49], 0, v[2:3]
	v_lshl_add_u64 v[10:11], v[112:113], 0, 4
	v_cmp_lt_u64_e32 vcc, v[12:13], v[10:11]
	s_and_saveexec_b64 s[40:41], vcc
	s_cbranch_execz .LBB8_1072
; %bb.1026:                             ;   in Loop: Header=BB8_1017 Depth=2
	v_and_b32_e32 v9, 64, v63
	s_mov_b32 s76, 0
	v_cmp_eq_u32_e32 vcc, 0, v9
	s_mov_b64 s[42:43], 0
                                        ; implicit-def: $sgpr44_sgpr45
                                        ; implicit-def: $sgpr46_sgpr47
                                        ; implicit-def: $sgpr56_sgpr57
	s_branch .LBB8_1037
.LBB8_1027:                             ;   in Loop: Header=BB8_1030 Depth=3
	s_waitcnt vmcnt(0) lgkmcnt(0)
	v_lshl_add_u64 v[12:13], v[48:49], 0, v[2:3]
	v_cmp_ge_u64_e64 s[24:25], v[12:13], v[8:9]
	s_or_b64 s[60:61], s[60:61], exec
	s_orn2_b64 s[58:59], s[24:25], exec
.LBB8_1028:                             ;   in Loop: Header=BB8_1030 Depth=3
	s_or_b64 exec, exec, s[50:51]
	s_andn2_b64 s[24:25], s[46:47], exec
	s_and_b64 s[46:47], s[60:61], exec
	s_or_b64 s[46:47], s[24:25], s[46:47]
	s_andn2_b64 s[24:25], s[44:45], exec
	s_and_b64 s[44:45], s[58:59], exec
	s_or_b64 s[44:45], s[24:25], s[44:45]
.LBB8_1029:                             ;   in Loop: Header=BB8_1030 Depth=3
	s_or_b64 exec, exec, s[56:57]
	s_and_b64 s[24:25], exec, s[44:45]
	s_or_b64 s[40:41], s[24:25], s[40:41]
	s_andn2_b64 s[24:25], s[42:43], exec
	s_and_b64 s[42:43], s[46:47], exec
	s_or_b64 s[42:43], s[24:25], s[42:43]
	s_andn2_b64 exec, exec, s[40:41]
	s_cbranch_execz .LBB8_1041
.LBB8_1030:                             ;   Parent Loop BB8_47 Depth=1
                                        ;     Parent Loop BB8_1017 Depth=2
                                        ; =>    This Inner Loop Header: Depth=3
	s_sleep 1
	s_waitcnt vmcnt(0) lgkmcnt(0)
	flat_load_dwordx2 v[48:49], v[32:33] sc0 sc1
	s_or_b64 s[46:47], s[46:47], exec
	s_or_b64 s[44:45], s[44:45], exec
                                        ; implicit-def: $vgpr10
	s_and_saveexec_b64 s[56:57], vcc
	s_cbranch_execz .LBB8_1029
; %bb.1031:                             ;   in Loop: Header=BB8_1030 Depth=3
	s_cmpk_lt_i32 s76, 0x270f
	s_cselect_b64 s[48:49], -1, 0
	s_cmpk_gt_i32 s76, 0x270e
	s_mov_b64 s[58:59], -1
	s_cbranch_scc0 .LBB8_1033
; %bb.1032:                             ;   in Loop: Header=BB8_1030 Depth=3
	s_trap 2
	ds_read_b64 v[10:11], v0
	s_andn2_b64 s[48:49], s[48:49], exec
	s_mov_b32 s76, 0
	s_mov_b64 s[60:61], 0
	s_waitcnt vmcnt(0) lgkmcnt(0)
	flat_load_dword v10, v[10:11] sc0 sc1
	s_waitcnt vmcnt(0) lgkmcnt(0)
	buffer_inv sc0 sc1
	v_cmp_eq_u32_e64 s[24:25], 0, v10
	s_and_b64 s[24:25], s[24:25], exec
	s_or_b64 s[48:49], s[48:49], s[24:25]
	s_and_saveexec_b64 s[50:51], s[48:49]
	s_cbranch_execz .LBB8_1028
	s_branch .LBB8_1027
.LBB8_1033:                             ;   in Loop: Header=BB8_1030 Depth=3
	s_add_i32 s76, s76, 1
	s_mov_b64 s[60:61], -1
                                        ; implicit-def: $vgpr10
	s_and_saveexec_b64 s[50:51], s[48:49]
	s_cbranch_execz .LBB8_1028
	s_branch .LBB8_1027
.LBB8_1034:                             ;   in Loop: Header=BB8_1037 Depth=3
	s_waitcnt vmcnt(0) lgkmcnt(0)
	v_lshl_add_u64 v[12:13], v[48:49], 0, v[2:3]
	v_cmp_ge_u64_e64 s[24:25], v[12:13], v[10:11]
	s_or_b64 s[62:63], s[62:63], exec
	s_orn2_b64 s[60:61], s[24:25], exec
.LBB8_1035:                             ;   in Loop: Header=BB8_1037 Depth=3
	s_or_b64 exec, exec, s[48:49]
	s_andn2_b64 s[24:25], s[56:57], exec
	s_and_b64 s[56:57], s[62:63], exec
	s_or_b64 s[56:57], s[24:25], s[56:57]
	s_andn2_b64 s[24:25], s[46:47], exec
	s_and_b64 s[46:47], s[60:61], exec
	s_or_b64 s[46:47], s[24:25], s[46:47]
.LBB8_1036:                             ;   in Loop: Header=BB8_1037 Depth=3
	s_or_b64 exec, exec, s[58:59]
	s_and_b64 s[24:25], exec, s[46:47]
	s_or_b64 s[42:43], s[24:25], s[42:43]
	s_andn2_b64 s[24:25], s[44:45], exec
	s_and_b64 s[44:45], s[56:57], exec
	s_or_b64 s[44:45], s[24:25], s[44:45]
	s_andn2_b64 exec, exec, s[42:43]
	s_cbranch_execz .LBB8_1069
.LBB8_1037:                             ;   Parent Loop BB8_47 Depth=1
                                        ;     Parent Loop BB8_1017 Depth=2
                                        ; =>    This Inner Loop Header: Depth=3
	s_sleep 1
	s_waitcnt vmcnt(0) lgkmcnt(0)
	flat_load_dwordx2 v[48:49], v[32:33] sc0 sc1
	s_or_b64 s[56:57], s[56:57], exec
	s_or_b64 s[46:47], s[46:47], exec
                                        ; implicit-def: $vgpr9
	s_and_saveexec_b64 s[58:59], vcc
	s_cbranch_execz .LBB8_1036
; %bb.1038:                             ;   in Loop: Header=BB8_1037 Depth=3
	s_cmpk_lt_i32 s76, 0x270f
	s_cselect_b64 s[38:39], -1, 0
	s_cmpk_gt_i32 s76, 0x270e
	s_mov_b64 s[60:61], -1
	s_cbranch_scc0 .LBB8_1040
; %bb.1039:                             ;   in Loop: Header=BB8_1037 Depth=3
	s_trap 2
	ds_read_b64 v[12:13], v0
	s_andn2_b64 s[38:39], s[38:39], exec
	s_mov_b32 s76, 0
	s_mov_b64 s[62:63], 0
	s_waitcnt vmcnt(0) lgkmcnt(0)
	flat_load_dword v9, v[12:13] sc0 sc1
	s_waitcnt vmcnt(0) lgkmcnt(0)
	buffer_inv sc0 sc1
	v_cmp_eq_u32_e64 s[24:25], 0, v9
	s_and_b64 s[24:25], s[24:25], exec
	s_or_b64 s[38:39], s[38:39], s[24:25]
	s_and_saveexec_b64 s[48:49], s[38:39]
	s_cbranch_execz .LBB8_1035
	s_branch .LBB8_1034
.LBB8_1040:                             ;   in Loop: Header=BB8_1037 Depth=3
	s_add_i32 s76, s76, 1
	s_mov_b64 s[62:63], -1
                                        ; implicit-def: $vgpr9
	s_and_saveexec_b64 s[48:49], s[38:39]
	s_cbranch_execz .LBB8_1035
	s_branch .LBB8_1034
.LBB8_1041:                             ;   in Loop: Header=BB8_1017 Depth=2
	s_or_b64 exec, exec, s[40:41]
	s_xor_b64 s[24:25], s[42:43], -1
	s_and_saveexec_b64 s[40:41], s[24:25]
	s_xor_b64 s[24:25], exec, s[40:41]
	s_cbranch_execz .LBB8_1043
; %bb.1042:                             ;   in Loop: Header=BB8_1017 Depth=2
	v_or_b32_e32 v63, 64, v63
	s_waitcnt lgkmcnt(0)
	ds_write_b32 v0, v10
	s_trap 2
.LBB8_1043:                             ;   in Loop: Header=BB8_1017 Depth=2
	s_or_b64 exec, exec, s[24:25]
.LBB8_1044:                             ;   in Loop: Header=BB8_1017 Depth=2
	s_or_b64 exec, exec, s[28:29]
	v_and_b32_e32 v10, 0x108, v63
	v_cmp_ne_u32_e32 vcc, s67, v10
	;;#ASMSTART
	s_wakeup
	;;#ASMEND
                                        ; implicit-def: $vgpr10_vgpr11
	s_and_saveexec_b64 s[24:25], vcc
	s_xor_b64 s[24:25], exec, s[24:25]
; %bb.1045:                             ;   in Loop: Header=BB8_1017 Depth=2
	v_and_b32_e32 v10, 7, v112
	v_mov_b32_e32 v11, v3
                                        ; implicit-def: $vgpr112_vgpr113
; %bb.1046:                             ;   in Loop: Header=BB8_1017 Depth=2
	s_andn2_saveexec_b64 s[24:25], s[24:25]
	s_cbranch_execz .LBB8_1048
; %bb.1047:                             ;   in Loop: Header=BB8_1017 Depth=2
	v_and_b32_e32 v10, 7, v112
	v_ashrrev_i32_e32 v119, 31, v118
	v_mov_b32_e32 v11, v3
	v_mad_u64_u32 v[12:13], s[28:29], v10, 24, v[6:7]
	v_lshlrev_b64 v[14:15], 1, v[118:119]
	flat_store_dwordx2 v[12:13], v[14:15] offset:8
.LBB8_1048:                             ;   in Loop: Header=BB8_1017 Depth=2
	s_or_b64 exec, exec, s[24:25]
	v_and_b32_e32 v12, 0x100, v63
	v_cmp_ne_u32_e32 vcc, 0, v12
	s_mov_b64 s[24:25], -1
                                        ; implicit-def: $vgpr12_vgpr13
	s_and_saveexec_b64 s[28:29], vcc
	s_cbranch_execz .LBB8_1052
; %bb.1049:                             ;   in Loop: Header=BB8_1017 Depth=2
	v_mad_u64_u32 v[14:15], s[24:25], v10, 24, v[6:7]
	v_mov_b32_e32 v12, v15
	v_mad_u64_u32 v[12:13], s[24:25], v11, 24, v[12:13]
	v_mov_b32_e32 v15, v12
	flat_load_dword v12, v[14:15]
	s_waitcnt vmcnt(0) lgkmcnt(0)
	v_cmp_ne_u32_e32 vcc, 1, v12
	v_cmp_eq_u32_e64 s[24:25], 1, v12
                                        ; implicit-def: $vgpr12_vgpr13
	s_and_saveexec_b64 s[40:41], s[24:25]
	s_cbranch_execz .LBB8_1051
; %bb.1050:                             ;   in Loop: Header=BB8_1017 Depth=2
	flat_load_dword v12, v[14:15] offset:4 sc0 sc1
	s_waitcnt vmcnt(0) lgkmcnt(0)
	v_ashrrev_i32_e32 v13, 31, v12
	v_lshrrev_b64 v[12:13], 1, v[12:13]
.LBB8_1051:                             ;   in Loop: Header=BB8_1017 Depth=2
	s_or_b64 exec, exec, s[40:41]
	s_orn2_b64 s[24:25], vcc, exec
.LBB8_1052:                             ;   in Loop: Header=BB8_1017 Depth=2
	s_or_b64 exec, exec, s[28:29]
	s_and_saveexec_b64 s[28:29], s[24:25]
; %bb.1053:                             ;   in Loop: Header=BB8_1017 Depth=2
	v_mul_lo_u32 v11, v11, v30
	v_mul_lo_u32 v14, v10, v51
	v_mad_u64_u32 v[12:13], s[24:25], v10, v30, 0
	v_add3_u32 v13, v13, v14, v11
; %bb.1054:                             ;   in Loop: Header=BB8_1017 Depth=2
	s_or_b64 exec, exec, s[28:29]
	v_cmp_eq_u32_e32 vcc, 0, v2
	v_lshl_add_u64 v[10:11], v[12:13], 1, v[34:35]
	s_nop 0
	v_cndmask_b32_e32 v2, v77, v78, vcc
	v_add_u32_e32 v2, v0, v2
	ds_write_b64 v2, v[10:11] offset:584
	v_and_b32_e32 v2, 0x2000, v63
	v_cmp_ne_u32_e32 vcc, 0, v2
	s_and_saveexec_b64 s[24:25], vcc
	s_cbranch_execz .LBB8_1056
; %bb.1055:                             ;   in Loop: Header=BB8_1017 Depth=2
	ds_read_b64 v[10:11], v0 offset:872
	s_waitcnt lgkmcnt(0)
	v_lshl_add_u64 v[10:11], v[10:11], 0, 1
	ds_write_b64 v0, v[10:11] offset:872
.LBB8_1056:                             ;   in Loop: Header=BB8_1017 Depth=2
	s_or_b64 exec, exec, s[24:25]
	v_mov_b64_e32 v[112:113], v[8:9]
.LBB8_1057:                             ;   in Loop: Header=BB8_1017 Depth=2
	s_or_b64 exec, exec, s[26:27]
	s_and_saveexec_b64 s[24:25], s[6:7]
	s_cbranch_execz .LBB8_1104
; %bb.1058:                             ;   in Loop: Header=BB8_1017 Depth=2
	s_and_saveexec_b64 s[26:27], s[78:79]
	s_xor_b64 s[26:27], exec, s[26:27]
	s_cbranch_execz .LBB8_1101
; %bb.1059:                             ;   in Loop: Header=BB8_1017 Depth=2
	s_and_saveexec_b64 s[28:29], s[14:15]
	s_cbranch_execz .LBB8_1100
; %bb.1060:                             ;   in Loop: Header=BB8_1017 Depth=2
	s_mov_b64 s[42:43], exec
	v_mbcnt_lo_u32_b32 v2, s42, 0
	v_mbcnt_hi_u32_b32 v2, s43, v2
	v_cmp_eq_u32_e32 vcc, 0, v2
	s_waitcnt lgkmcnt(0)
	s_and_saveexec_b64 s[40:41], vcc
	s_cbranch_execz .LBB8_1062
; %bb.1061:                             ;   in Loop: Header=BB8_1017 Depth=2
	s_bcnt1_i32_b64 s42, s[42:43]
	v_mov_b32_e32 v2, s42
	ds_add_u64 v0, v[2:3]
	s_trap 2
.LBB8_1062:                             ;   in Loop: Header=BB8_1017 Depth=2
	s_or_b64 exec, exec, s[40:41]
	s_trap 2
	ds_read_b64 v[8:9], v0
	s_waitcnt lgkmcnt(0)
	v_lshl_add_u64 v[38:39], v[38:39], 0, v[52:53]
	v_cmp_lt_u64_e32 vcc, v[8:9], v[38:39]
	s_and_saveexec_b64 s[40:41], vcc
	s_cbranch_execz .LBB8_1099
; %bb.1063:                             ;   in Loop: Header=BB8_1017 Depth=2
	s_mov_b32 s76, 0
	s_mov_b64 s[42:43], 0
                                        ; implicit-def: $sgpr44_sgpr45
                                        ; implicit-def: $sgpr46_sgpr47
	s_branch .LBB8_1065
.LBB8_1064:                             ;   in Loop: Header=BB8_1065 Depth=3
	s_or_b64 exec, exec, s[58:59]
	s_and_b64 s[56:57], exec, s[60:61]
	s_or_b64 s[42:43], s[56:57], s[42:43]
	s_andn2_b64 s[44:45], s[44:45], exec
	s_and_b64 s[56:57], s[46:47], exec
	s_or_b64 s[44:45], s[44:45], s[56:57]
	s_andn2_b64 exec, exec, s[42:43]
	s_cbranch_execz .LBB8_1097
.LBB8_1065:                             ;   Parent Loop BB8_47 Depth=1
                                        ;     Parent Loop BB8_1017 Depth=2
                                        ; =>    This Inner Loop Header: Depth=3
	s_add_i32 s76, s76, 1
	s_cmpk_lg_i32 s76, 0x2710
	s_cselect_b64 s[56:57], -1, 0
	s_and_b64 vcc, exec, s[56:57]
	s_cbranch_vccz .LBB8_1067
; %bb.1066:                             ;   in Loop: Header=BB8_1065 Depth=3
	s_mov_b64 s[60:61], -1
	s_or_b64 s[46:47], s[46:47], exec
	s_and_saveexec_b64 s[58:59], s[56:57]
	s_cbranch_execz .LBB8_1064
	s_branch .LBB8_1068
.LBB8_1067:                             ;   in Loop: Header=BB8_1065 Depth=3
	s_trap 2
	ds_read_b64 v[8:9], v0
	s_andn2_b64 s[56:57], s[56:57], exec
	s_mov_b32 s76, 0
	s_waitcnt vmcnt(0) lgkmcnt(0)
	flat_load_dword v2, v[8:9] sc0 sc1
	s_waitcnt vmcnt(0) lgkmcnt(0)
	buffer_inv sc0 sc1
	v_cmp_eq_u32_e32 vcc, 0, v2
	s_and_b64 s[58:59], vcc, exec
	s_or_b64 s[56:57], s[56:57], s[58:59]
	s_mov_b64 s[60:61], -1
	s_or_b64 s[46:47], s[46:47], exec
	s_and_saveexec_b64 s[58:59], s[56:57]
	s_cbranch_execz .LBB8_1064
.LBB8_1068:                             ;   in Loop: Header=BB8_1065 Depth=3
	s_sleep 1
	s_trap 2
	ds_read_b64 v[8:9], v0
	s_waitcnt lgkmcnt(0)
	s_andn2_b64 s[46:47], s[46:47], exec
	v_cmp_ge_u64_e32 vcc, v[8:9], v[38:39]
	s_orn2_b64 s[60:61], vcc, exec
	s_branch .LBB8_1064
.LBB8_1069:                             ;   in Loop: Header=BB8_1017 Depth=2
	s_or_b64 exec, exec, s[42:43]
	s_xor_b64 s[24:25], s[44:45], -1
	s_and_saveexec_b64 s[42:43], s[24:25]
	s_xor_b64 s[24:25], exec, s[42:43]
	s_cbranch_execz .LBB8_1071
; %bb.1070:                             ;   in Loop: Header=BB8_1017 Depth=2
	v_or_b32_e32 v63, 64, v63
	s_waitcnt lgkmcnt(0)
	ds_write_b32 v0, v9
	s_trap 2
.LBB8_1071:                             ;   in Loop: Header=BB8_1017 Depth=2
	s_or_b64 exec, exec, s[24:25]
.LBB8_1072:                             ;   in Loop: Header=BB8_1017 Depth=2
	s_or_b64 exec, exec, s[40:41]
	v_and_b32_e32 v9, 0x108, v63
	v_cmp_ne_u32_e32 vcc, s67, v9
	;;#ASMSTART
	s_wakeup
	;;#ASMEND
                                        ; implicit-def: $vgpr12_vgpr13
	s_and_saveexec_b64 s[24:25], vcc
	s_xor_b64 s[24:25], exec, s[24:25]
; %bb.1073:                             ;   in Loop: Header=BB8_1017 Depth=2
	v_and_b32_e32 v12, 7, v112
	v_mov_b32_e32 v13, v3
                                        ; implicit-def: $vgpr112_vgpr113
; %bb.1074:                             ;   in Loop: Header=BB8_1017 Depth=2
	s_andn2_saveexec_b64 s[24:25], s[24:25]
	s_cbranch_execz .LBB8_1076
; %bb.1075:                             ;   in Loop: Header=BB8_1017 Depth=2
	v_and_b32_e32 v12, 7, v112
	v_ashrrev_i32_e32 v9, 31, v8
	v_mov_b32_e32 v13, v3
	v_mad_u64_u32 v[14:15], s[40:41], v12, 24, v[6:7]
	v_lshlrev_b64 v[16:17], 1, v[8:9]
	flat_store_dwordx2 v[14:15], v[16:17] offset:8
.LBB8_1076:                             ;   in Loop: Header=BB8_1017 Depth=2
	s_or_b64 exec, exec, s[24:25]
	v_and_b32_e32 v9, 0x100, v63
	v_cmp_ne_u32_e32 vcc, 0, v9
	s_mov_b64 s[24:25], -1
                                        ; implicit-def: $vgpr14_vgpr15
	s_and_saveexec_b64 s[40:41], vcc
	s_cbranch_execz .LBB8_1080
; %bb.1077:                             ;   in Loop: Header=BB8_1017 Depth=2
	v_mad_u64_u32 v[16:17], s[24:25], v12, 24, v[6:7]
	v_mov_b32_e32 v14, v17
	v_mad_u64_u32 v[14:15], s[24:25], v13, 24, v[14:15]
	v_mov_b32_e32 v17, v14
	flat_load_dword v9, v[16:17]
                                        ; implicit-def: $vgpr14_vgpr15
	s_waitcnt vmcnt(0) lgkmcnt(0)
	v_cmp_ne_u32_e32 vcc, 1, v9
	v_cmp_eq_u32_e64 s[24:25], 1, v9
	s_and_saveexec_b64 s[42:43], s[24:25]
	s_cbranch_execz .LBB8_1079
; %bb.1078:                             ;   in Loop: Header=BB8_1017 Depth=2
	flat_load_dword v14, v[16:17] offset:4 sc0 sc1
	s_waitcnt vmcnt(0) lgkmcnt(0)
	v_ashrrev_i32_e32 v15, 31, v14
	v_lshrrev_b64 v[14:15], 1, v[14:15]
.LBB8_1079:                             ;   in Loop: Header=BB8_1017 Depth=2
	s_or_b64 exec, exec, s[42:43]
	s_orn2_b64 s[24:25], vcc, exec
.LBB8_1080:                             ;   in Loop: Header=BB8_1017 Depth=2
	s_or_b64 exec, exec, s[40:41]
	s_and_saveexec_b64 s[40:41], s[24:25]
; %bb.1081:                             ;   in Loop: Header=BB8_1017 Depth=2
	v_mul_lo_u32 v9, v13, v30
	v_mul_lo_u32 v13, v12, v51
	v_mad_u64_u32 v[14:15], s[24:25], v12, v30, 0
	v_add3_u32 v15, v15, v13, v9
; %bb.1082:                             ;   in Loop: Header=BB8_1017 Depth=2
	s_or_b64 exec, exec, s[40:41]
	v_cmp_eq_u32_e32 vcc, 0, v2
	v_lshl_add_u64 v[12:13], v[14:15], 1, v[34:35]
	s_nop 0
	v_cndmask_b32_e32 v2, v77, v78, vcc
	v_add_u32_e32 v2, v0, v2
	ds_write_b64 v2, v[12:13] offset:584
	v_and_b32_e32 v2, 0x2000, v63
	v_cmp_ne_u32_e32 vcc, 0, v2
	s_and_saveexec_b64 s[24:25], vcc
	s_cbranch_execz .LBB8_1084
; %bb.1083:                             ;   in Loop: Header=BB8_1017 Depth=2
	ds_read_b64 v[12:13], v0 offset:872
	s_waitcnt lgkmcnt(0)
	v_lshl_add_u64 v[12:13], v[12:13], 0, 1
	ds_write_b64 v0, v[12:13] offset:872
.LBB8_1084:                             ;   in Loop: Header=BB8_1017 Depth=2
	s_or_b64 exec, exec, s[24:25]
	v_mov_b64_e32 v[112:113], v[10:11]
.LBB8_1085:                             ;   in Loop: Header=BB8_1017 Depth=2
	s_or_b64 exec, exec, s[28:29]
	s_and_saveexec_b64 s[24:25], s[6:7]
	s_cbranch_execz .LBB8_1123
; %bb.1086:                             ;   in Loop: Header=BB8_1017 Depth=2
	s_and_saveexec_b64 s[28:29], s[78:79]
	s_xor_b64 s[28:29], exec, s[28:29]
	s_cbranch_execz .LBB8_1120
; %bb.1087:                             ;   in Loop: Header=BB8_1017 Depth=2
	s_and_saveexec_b64 s[40:41], s[14:15]
	s_cbranch_execz .LBB8_1119
; %bb.1088:                             ;   in Loop: Header=BB8_1017 Depth=2
	s_mov_b64 s[44:45], exec
	v_mbcnt_lo_u32_b32 v2, s44, 0
	v_mbcnt_hi_u32_b32 v2, s45, v2
	v_cmp_eq_u32_e32 vcc, 0, v2
	s_waitcnt lgkmcnt(0)
	s_and_saveexec_b64 s[42:43], vcc
	s_cbranch_execz .LBB8_1090
; %bb.1089:                             ;   in Loop: Header=BB8_1017 Depth=2
	s_bcnt1_i32_b64 s44, s[44:45]
	v_mov_b32_e32 v2, s44
	ds_add_u64 v0, v[2:3]
	s_trap 2
.LBB8_1090:                             ;   in Loop: Header=BB8_1017 Depth=2
	s_or_b64 exec, exec, s[42:43]
	s_trap 2
	ds_read_b64 v[10:11], v0
	s_waitcnt lgkmcnt(0)
	v_lshl_add_u64 v[38:39], v[38:39], 0, v[52:53]
	v_cmp_lt_u64_e32 vcc, v[10:11], v[38:39]
	s_and_saveexec_b64 s[42:43], vcc
	s_cbranch_execz .LBB8_1118
; %bb.1091:                             ;   in Loop: Header=BB8_1017 Depth=2
	s_mov_b32 s76, 0
	s_mov_b64 s[44:45], 0
                                        ; implicit-def: $sgpr46_sgpr47
                                        ; implicit-def: $sgpr56_sgpr57
	s_branch .LBB8_1093
.LBB8_1092:                             ;   in Loop: Header=BB8_1093 Depth=3
	s_or_b64 exec, exec, s[60:61]
	s_and_b64 s[58:59], exec, s[62:63]
	s_or_b64 s[44:45], s[58:59], s[44:45]
	s_andn2_b64 s[46:47], s[46:47], exec
	s_and_b64 s[58:59], s[56:57], exec
	s_or_b64 s[46:47], s[46:47], s[58:59]
	s_andn2_b64 exec, exec, s[44:45]
	s_cbranch_execz .LBB8_1116
.LBB8_1093:                             ;   Parent Loop BB8_47 Depth=1
                                        ;     Parent Loop BB8_1017 Depth=2
                                        ; =>    This Inner Loop Header: Depth=3
	s_add_i32 s76, s76, 1
	s_cmpk_lg_i32 s76, 0x2710
	s_cselect_b64 s[58:59], -1, 0
	s_and_b64 vcc, exec, s[58:59]
	s_cbranch_vccz .LBB8_1095
; %bb.1094:                             ;   in Loop: Header=BB8_1093 Depth=3
	s_mov_b64 s[62:63], -1
	s_or_b64 s[56:57], s[56:57], exec
	s_and_saveexec_b64 s[60:61], s[58:59]
	s_cbranch_execz .LBB8_1092
	s_branch .LBB8_1096
.LBB8_1095:                             ;   in Loop: Header=BB8_1093 Depth=3
	s_trap 2
	ds_read_b64 v[10:11], v0
	s_andn2_b64 s[58:59], s[58:59], exec
	s_mov_b32 s76, 0
	s_waitcnt vmcnt(0) lgkmcnt(0)
	flat_load_dword v2, v[10:11] sc0 sc1
	s_waitcnt vmcnt(0) lgkmcnt(0)
	buffer_inv sc0 sc1
	v_cmp_eq_u32_e32 vcc, 0, v2
	s_and_b64 s[60:61], vcc, exec
	s_or_b64 s[58:59], s[58:59], s[60:61]
	s_mov_b64 s[62:63], -1
	s_or_b64 s[56:57], s[56:57], exec
	s_and_saveexec_b64 s[60:61], s[58:59]
	s_cbranch_execz .LBB8_1092
.LBB8_1096:                             ;   in Loop: Header=BB8_1093 Depth=3
	s_sleep 1
	s_trap 2
	ds_read_b64 v[10:11], v0
	s_waitcnt lgkmcnt(0)
	s_andn2_b64 s[56:57], s[56:57], exec
	v_cmp_ge_u64_e32 vcc, v[10:11], v[38:39]
	s_orn2_b64 s[62:63], vcc, exec
	s_branch .LBB8_1092
.LBB8_1097:                             ;   in Loop: Header=BB8_1017 Depth=2
	s_or_b64 exec, exec, s[42:43]
	s_and_saveexec_b64 s[42:43], s[44:45]
	s_xor_b64 s[42:43], exec, s[42:43]
	s_cbranch_execz .LBB8_1099
; %bb.1098:                             ;   in Loop: Header=BB8_1017 Depth=2
	ds_write_b32 v0, v74
	s_trap 2
.LBB8_1099:                             ;   in Loop: Header=BB8_1017 Depth=2
	s_or_b64 exec, exec, s[40:41]
	;;#ASMSTART
	s_wakeup
	;;#ASMEND
.LBB8_1100:                             ;   in Loop: Header=BB8_1017 Depth=2
	s_or_b64 exec, exec, s[28:29]
.LBB8_1101:                             ;   in Loop: Header=BB8_1017 Depth=2
	s_andn2_saveexec_b64 s[26:27], s[26:27]
	s_cbranch_execz .LBB8_1103
; %bb.1102:                             ;   in Loop: Header=BB8_1017 Depth=2
	s_waitcnt lgkmcnt(0)
	s_barrier
.LBB8_1103:                             ;   in Loop: Header=BB8_1017 Depth=2
	s_or_b64 exec, exec, s[26:27]
.LBB8_1104:                             ;   in Loop: Header=BB8_1017 Depth=2
	s_or_b64 exec, exec, s[24:25]
	s_trap 2
	ds_read_b32 v8, v0
	v_and_b32_e32 v2, 0x4000, v63
	v_cmp_ne_u32_e32 vcc, 0, v2
	s_xor_b64 s[24:25], s[4:5], -1
	s_and_b64 s[26:27], s[24:25], vcc
	s_and_saveexec_b64 s[24:25], s[26:27]
	s_cbranch_execz .LBB8_1146
; %bb.1105:                             ;   in Loop: Header=BB8_1017 Depth=2
	s_and_saveexec_b64 s[26:27], s[78:79]
	s_xor_b64 s[26:27], exec, s[26:27]
	s_cbranch_execz .LBB8_1143
; %bb.1106:                             ;   in Loop: Header=BB8_1017 Depth=2
	s_and_saveexec_b64 s[28:29], s[14:15]
	s_cbranch_execz .LBB8_1142
; %bb.1107:                             ;   in Loop: Header=BB8_1017 Depth=2
	s_mov_b64 s[42:43], exec
	v_mbcnt_lo_u32_b32 v2, s42, 0
	v_mbcnt_hi_u32_b32 v2, s43, v2
	v_cmp_eq_u32_e32 vcc, 0, v2
	s_waitcnt lgkmcnt(0)
	s_and_saveexec_b64 s[40:41], vcc
	s_cbranch_execz .LBB8_1109
; %bb.1108:                             ;   in Loop: Header=BB8_1017 Depth=2
	s_bcnt1_i32_b64 s42, s[42:43]
	v_mov_b32_e32 v2, s42
	ds_add_u64 v0, v[2:3]
	s_trap 2
.LBB8_1109:                             ;   in Loop: Header=BB8_1017 Depth=2
	s_or_b64 exec, exec, s[40:41]
	s_trap 2
	ds_read_b64 v[10:11], v0
	s_waitcnt lgkmcnt(0)
	v_lshl_add_u64 v[38:39], v[38:39], 0, v[52:53]
	v_cmp_lt_u64_e32 vcc, v[10:11], v[38:39]
	s_and_saveexec_b64 s[40:41], vcc
	s_cbranch_execz .LBB8_1141
; %bb.1110:                             ;   in Loop: Header=BB8_1017 Depth=2
	s_mov_b32 s76, 0
	s_mov_b64 s[42:43], 0
                                        ; implicit-def: $sgpr44_sgpr45
                                        ; implicit-def: $sgpr46_sgpr47
	s_branch .LBB8_1112
.LBB8_1111:                             ;   in Loop: Header=BB8_1112 Depth=3
	s_or_b64 exec, exec, s[58:59]
	s_and_b64 s[56:57], exec, s[60:61]
	s_or_b64 s[42:43], s[56:57], s[42:43]
	s_andn2_b64 s[44:45], s[44:45], exec
	s_and_b64 s[56:57], s[46:47], exec
	s_or_b64 s[44:45], s[44:45], s[56:57]
	s_andn2_b64 exec, exec, s[42:43]
	s_cbranch_execz .LBB8_1139
.LBB8_1112:                             ;   Parent Loop BB8_47 Depth=1
                                        ;     Parent Loop BB8_1017 Depth=2
                                        ; =>    This Inner Loop Header: Depth=3
	s_add_i32 s76, s76, 1
	s_cmpk_lg_i32 s76, 0x2710
	s_cselect_b64 s[56:57], -1, 0
	s_and_b64 vcc, exec, s[56:57]
	s_cbranch_vccz .LBB8_1114
; %bb.1113:                             ;   in Loop: Header=BB8_1112 Depth=3
	s_mov_b64 s[60:61], -1
	s_or_b64 s[46:47], s[46:47], exec
	s_and_saveexec_b64 s[58:59], s[56:57]
	s_cbranch_execz .LBB8_1111
	s_branch .LBB8_1115
.LBB8_1114:                             ;   in Loop: Header=BB8_1112 Depth=3
	s_trap 2
	ds_read_b64 v[10:11], v0
	s_andn2_b64 s[56:57], s[56:57], exec
	s_mov_b32 s76, 0
	s_waitcnt vmcnt(0) lgkmcnt(0)
	flat_load_dword v2, v[10:11] sc0 sc1
	s_waitcnt vmcnt(0) lgkmcnt(0)
	buffer_inv sc0 sc1
	v_cmp_eq_u32_e32 vcc, 0, v2
	s_and_b64 s[58:59], vcc, exec
	s_or_b64 s[56:57], s[56:57], s[58:59]
	s_mov_b64 s[60:61], -1
	s_or_b64 s[46:47], s[46:47], exec
	s_and_saveexec_b64 s[58:59], s[56:57]
	s_cbranch_execz .LBB8_1111
.LBB8_1115:                             ;   in Loop: Header=BB8_1112 Depth=3
	s_sleep 1
	s_trap 2
	ds_read_b64 v[10:11], v0
	s_waitcnt lgkmcnt(0)
	s_andn2_b64 s[46:47], s[46:47], exec
	v_cmp_ge_u64_e32 vcc, v[10:11], v[38:39]
	s_orn2_b64 s[60:61], vcc, exec
	s_branch .LBB8_1111
.LBB8_1116:                             ;   in Loop: Header=BB8_1017 Depth=2
	s_or_b64 exec, exec, s[44:45]
	s_and_saveexec_b64 s[44:45], s[46:47]
	s_xor_b64 s[44:45], exec, s[44:45]
	s_cbranch_execz .LBB8_1118
; %bb.1117:                             ;   in Loop: Header=BB8_1017 Depth=2
	ds_write_b32 v0, v74
	s_trap 2
.LBB8_1118:                             ;   in Loop: Header=BB8_1017 Depth=2
	s_or_b64 exec, exec, s[42:43]
	;;#ASMSTART
	s_wakeup
	;;#ASMEND
.LBB8_1119:                             ;   in Loop: Header=BB8_1017 Depth=2
	s_or_b64 exec, exec, s[40:41]
.LBB8_1120:                             ;   in Loop: Header=BB8_1017 Depth=2
	s_andn2_saveexec_b64 s[28:29], s[28:29]
	s_cbranch_execz .LBB8_1122
; %bb.1121:                             ;   in Loop: Header=BB8_1017 Depth=2
	s_waitcnt lgkmcnt(0)
	s_barrier
.LBB8_1122:                             ;   in Loop: Header=BB8_1017 Depth=2
	s_or_b64 exec, exec, s[28:29]
.LBB8_1123:                             ;   in Loop: Header=BB8_1017 Depth=2
	s_or_b64 exec, exec, s[24:25]
	v_and_b32_e32 v9, 16, v63
	s_and_saveexec_b64 s[24:25], s[22:23]
	s_xor_b64 s[24:25], exec, s[24:25]
	s_cbranch_execz .LBB8_1127
; %bb.1124:                             ;   in Loop: Header=BB8_1017 Depth=2
	s_trap 2
	ds_read_b32 v2, v0
	v_cmp_lt_i32_e32 vcc, 0, v8
	v_and_b32_e32 v8, 16, v63
	v_and_b32_e32 v9, 16, v63
	s_waitcnt lgkmcnt(0)
	v_readfirstlane_b32 s28, v2
	s_cmp_eq_u32 s28, 0
	s_cselect_b64 s[28:29], -1, 0
	s_and_b64 s[28:29], vcc, s[28:29]
	v_cmp_ne_u32_e32 vcc, 0, v8
	s_and_b64 s[40:41], vcc, s[28:29]
	s_and_saveexec_b64 s[28:29], s[40:41]
	s_cbranch_execz .LBB8_1126
; %bb.1125:                             ;   in Loop: Header=BB8_1017 Depth=2
	v_mov_b32_e32 v9, 1
	buffer_wbl2 sc1
	s_waitcnt vmcnt(0)
	buffer_inv sc1
.LBB8_1126:                             ;   in Loop: Header=BB8_1017 Depth=2
	s_or_b64 exec, exec, s[28:29]
.LBB8_1127:                             ;   in Loop: Header=BB8_1017 Depth=2
	s_andn2_saveexec_b64 s[24:25], s[24:25]
	s_cbranch_execz .LBB8_1199
; %bb.1128:                             ;   in Loop: Header=BB8_1017 Depth=2
	s_and_saveexec_b64 s[28:29], s[78:79]
	s_xor_b64 s[28:29], exec, s[28:29]
	s_cbranch_execz .LBB8_1196
; %bb.1129:                             ;   in Loop: Header=BB8_1017 Depth=2
	s_and_saveexec_b64 s[40:41], s[14:15]
	s_cbranch_execz .LBB8_1195
; %bb.1130:                             ;   in Loop: Header=BB8_1017 Depth=2
	s_mov_b64 s[44:45], exec
	v_mbcnt_lo_u32_b32 v2, s44, 0
	v_mbcnt_hi_u32_b32 v2, s45, v2
	v_cmp_eq_u32_e32 vcc, 0, v2
	;;#ASMSTART
	s_waitcnt lgkmcnt(0) vmcnt(0)
	;;#ASMEND
	s_and_saveexec_b64 s[42:43], vcc
	s_cbranch_execz .LBB8_1132
; %bb.1131:                             ;   in Loop: Header=BB8_1017 Depth=2
	s_bcnt1_i32_b64 s44, s[44:45]
	v_mov_b32_e32 v2, s44
	s_waitcnt lgkmcnt(0)
	ds_add_u64 v0, v[2:3]
	s_trap 2
.LBB8_1132:                             ;   in Loop: Header=BB8_1017 Depth=2
	s_or_b64 exec, exec, s[42:43]
	s_trap 2
	ds_read_b64 v[10:11], v0
	s_waitcnt lgkmcnt(0)
	v_lshl_add_u64 v[38:39], v[38:39], 0, v[52:53]
	v_cmp_lt_u64_e32 vcc, v[10:11], v[38:39]
	s_and_saveexec_b64 s[42:43], vcc
	s_cbranch_execz .LBB8_1194
; %bb.1133:                             ;   in Loop: Header=BB8_1017 Depth=2
	s_mov_b32 s76, 0
	s_mov_b64 s[44:45], 0
                                        ; implicit-def: $sgpr46_sgpr47
                                        ; implicit-def: $sgpr56_sgpr57
	s_branch .LBB8_1135
.LBB8_1134:                             ;   in Loop: Header=BB8_1135 Depth=3
	s_or_b64 exec, exec, s[60:61]
	s_and_b64 s[58:59], exec, s[62:63]
	s_or_b64 s[44:45], s[58:59], s[44:45]
	s_andn2_b64 s[46:47], s[46:47], exec
	s_and_b64 s[58:59], s[56:57], exec
	s_or_b64 s[46:47], s[46:47], s[58:59]
	s_andn2_b64 exec, exec, s[44:45]
	s_cbranch_execz .LBB8_1192
.LBB8_1135:                             ;   Parent Loop BB8_47 Depth=1
                                        ;     Parent Loop BB8_1017 Depth=2
                                        ; =>    This Inner Loop Header: Depth=3
	s_add_i32 s76, s76, 1
	s_cmpk_lg_i32 s76, 0x2710
	s_cselect_b64 s[58:59], -1, 0
	s_and_b64 vcc, exec, s[58:59]
	s_cbranch_vccz .LBB8_1137
; %bb.1136:                             ;   in Loop: Header=BB8_1135 Depth=3
	s_mov_b64 s[62:63], -1
	s_or_b64 s[56:57], s[56:57], exec
	s_and_saveexec_b64 s[60:61], s[58:59]
	s_cbranch_execz .LBB8_1134
	s_branch .LBB8_1138
.LBB8_1137:                             ;   in Loop: Header=BB8_1135 Depth=3
	s_trap 2
	ds_read_b64 v[10:11], v0
	s_andn2_b64 s[58:59], s[58:59], exec
	s_mov_b32 s76, 0
	s_waitcnt vmcnt(0) lgkmcnt(0)
	flat_load_dword v2, v[10:11] sc0 sc1
	s_waitcnt vmcnt(0) lgkmcnt(0)
	buffer_inv sc0 sc1
	v_cmp_eq_u32_e32 vcc, 0, v2
	s_and_b64 s[60:61], vcc, exec
	s_or_b64 s[58:59], s[58:59], s[60:61]
	s_mov_b64 s[62:63], -1
	s_or_b64 s[56:57], s[56:57], exec
	s_and_saveexec_b64 s[60:61], s[58:59]
	s_cbranch_execz .LBB8_1134
.LBB8_1138:                             ;   in Loop: Header=BB8_1135 Depth=3
	s_sleep 1
	s_trap 2
	ds_read_b64 v[10:11], v0
	s_waitcnt lgkmcnt(0)
	s_andn2_b64 s[56:57], s[56:57], exec
	v_cmp_ge_u64_e32 vcc, v[10:11], v[38:39]
	s_orn2_b64 s[62:63], vcc, exec
	s_branch .LBB8_1134
.LBB8_1139:                             ;   in Loop: Header=BB8_1017 Depth=2
	s_or_b64 exec, exec, s[42:43]
	s_and_saveexec_b64 s[42:43], s[44:45]
	s_xor_b64 s[42:43], exec, s[42:43]
	s_cbranch_execz .LBB8_1141
; %bb.1140:                             ;   in Loop: Header=BB8_1017 Depth=2
	ds_write_b32 v0, v74
	s_trap 2
.LBB8_1141:                             ;   in Loop: Header=BB8_1017 Depth=2
	s_or_b64 exec, exec, s[40:41]
	;;#ASMSTART
	s_wakeup
	;;#ASMEND
.LBB8_1142:                             ;   in Loop: Header=BB8_1017 Depth=2
	s_or_b64 exec, exec, s[28:29]
.LBB8_1143:                             ;   in Loop: Header=BB8_1017 Depth=2
	s_andn2_saveexec_b64 s[26:27], s[26:27]
	s_cbranch_execz .LBB8_1145
; %bb.1144:                             ;   in Loop: Header=BB8_1017 Depth=2
	s_waitcnt lgkmcnt(0)
	s_barrier
.LBB8_1145:                             ;   in Loop: Header=BB8_1017 Depth=2
	s_or_b64 exec, exec, s[26:27]
.LBB8_1146:                             ;   in Loop: Header=BB8_1017 Depth=2
	s_or_b64 exec, exec, s[24:25]
	s_trap 2
	ds_read_b64 v[40:41], v0
	s_waitcnt lgkmcnt(0)
	v_cmp_eq_u64_e32 vcc, 0, v[40:41]
	s_cbranch_vccnz .LBB8_1155
; %bb.1147:                             ;   in Loop: Header=BB8_1017 Depth=2
	s_trap 2
	ds_read_b64 v[42:43], v0
	s_waitcnt lgkmcnt(0)
	v_cmp_eq_u64_e32 vcc, 0, v[42:43]
	s_cbranch_vccnz .LBB8_1155
; %bb.1148:                             ;   in Loop: Header=BB8_1017 Depth=2
	s_trap 2
	ds_read_b64 v[16:17], v0
	v_cmp_eq_u32_e32 vcc, 0, v8
	s_waitcnt lgkmcnt(0)
	v_readfirstlane_b32 s55, v16
	v_cndmask_b32_e32 v57, 0, v118, vcc
	v_cmp_ne_u64_e32 vcc, 0, v[16:17]
	s_cbranch_vccz .LBB8_1156
; %bb.1149:                             ;   in Loop: Header=BB8_1017 Depth=2
	s_trap 2
	ds_read_b64 v[18:19], v0
	s_mov_b64 s[24:25], -1
	s_and_saveexec_b64 s[26:27], s[18:19]
	s_cbranch_execz .LBB8_1151
; %bb.1150:                             ;   in Loop: Header=BB8_1017 Depth=2
	ds_read_b32 v2, v0 offset:720
	s_waitcnt lgkmcnt(0)
	v_and_b32_e32 v2, 15, v2
	v_cmp_eq_u32_e32 vcc, 0, v2
	s_orn2_b64 s[24:25], vcc, exec
.LBB8_1151:                             ;   in Loop: Header=BB8_1017 Depth=2
	s_or_b64 exec, exec, s[26:27]
	s_and_saveexec_b64 s[26:27], s[20:21]
	s_cbranch_execz .LBB8_1153
; %bb.1152:                             ;   in Loop: Header=BB8_1017 Depth=2
	ds_read_b32 v2, v0 offset:784
	s_waitcnt lgkmcnt(0)
	v_and_b32_e32 v2, 15, v2
	v_cmp_eq_u32_e32 vcc, 0, v2
	s_and_b64 s[28:29], s[24:25], vcc
	s_andn2_b64 s[24:25], s[24:25], exec
	s_and_b64 s[28:29], s[28:29], exec
	s_or_b64 s[24:25], s[24:25], s[28:29]
.LBB8_1153:                             ;   in Loop: Header=BB8_1017 Depth=2
	s_or_b64 exec, exec, s[26:27]
	s_xor_b64 s[24:25], s[24:25], -1
	v_cndmask_b32_e64 v8, 0, 1, s[24:25]
	v_lshlrev_b32_e32 v44, 1, v57
	s_mov_b64 s[26:27], -1
	v_mov_b32_e32 v2, 0
	v_cmp_ne_u32_e32 vcc, 0, v8
	s_cbranch_vccz .LBB8_1158
; %bb.1154:                             ;   in Loop: Header=BB8_1017 Depth=2
	v_mov_b32_e32 v22, v0
	s_and_saveexec_b64 s[42:43], s[26:27]
	s_cbranch_execnz .LBB8_1173
	s_branch .LBB8_1211
.LBB8_1155:                             ;   in Loop: Header=BB8_1017 Depth=2
	s_mov_b64 s[24:25], 0
	s_and_saveexec_b64 s[26:27], s[6:7]
	s_cbranch_execnz .LBB8_1318
	s_branch .LBB8_1336
.LBB8_1156:                             ;   in Loop: Header=BB8_1017 Depth=2
	s_cbranch_execnz .LBB8_1212
.LBB8_1157:                             ;   in Loop: Header=BB8_1017 Depth=2
	v_cmp_lt_i32_e64 s[24:25], 0, v57
	s_and_saveexec_b64 s[26:27], s[6:7]
	s_cbranch_execnz .LBB8_1318
	s_branch .LBB8_1336
.LBB8_1158:                             ;   in Loop: Header=BB8_1017 Depth=2
	v_ashrrev_i32_e32 v2, 31, v44
	v_lshrrev_b32_e32 v2, 22, v2
	v_add_u32_e32 v2, v44, v2
	v_and_b32_e32 v46, 0xfffffc00, v2
	v_ashrrev_i32_e32 v8, 10, v2
	v_sub_u32_e32 v58, v44, v46
	v_sub_u32_e32 v2, v8, v73
	v_cmp_lt_i32_e64 s[24:25], 15, v58
	v_sub_u32_e32 v59, v44, v54
	s_nop 0
	v_addc_co_u32_e64 v47, vcc, 0, v2, s[24:25]
	v_cmp_lt_i32_e32 vcc, 15, v59
	s_and_saveexec_b64 s[42:43], vcc
	s_cbranch_execz .LBB8_1164
; %bb.1159:                             ;   in Loop: Header=BB8_1017 Depth=2
	s_and_b32 s76, s55, 1
	s_cmp_eq_u64 s[76:77], 0
	v_lshl_add_u64 v[12:13], v[40:41], 0, v[54:55]
	s_waitcnt lgkmcnt(0)
	v_lshl_add_u64 v[14:15], v[18:19], 0, v[54:55]
	v_lshl_add_u64 v[20:21], v[42:43], 0, v[54:55]
	;; [unrolled: 1-line block ×3, first 2 shown]
	s_mov_b64 s[44:45], 0
	s_cselect_b64 s[26:27], -1, 0
.LBB8_1160:                             ;   Parent Loop BB8_47 Depth=1
                                        ;     Parent Loop BB8_1017 Depth=2
                                        ; =>    This Loop Header: Depth=3
                                        ;         Child Loop BB8_1161 Depth 4
	global_load_dwordx4 v[8:11], v[12:13], off nt
	global_load_dwordx4 v[88:91], v[14:15], off nt
	s_mov_b64 s[46:47], -1
	s_mov_b64 s[56:57], 0
	s_waitcnt vmcnt(0)
	v_lshlrev_b32_e32 v119, 16, v8
	v_lshlrev_b32_e32 v45, 16, v88
	v_and_b32_e32 v2, 0xffff0000, v8
	v_and_b32_e32 v50, 0xffff0000, v88
	;; [unrolled: 1-line block ×4, first 2 shown]
	v_lshlrev_b32_e32 v79, 16, v9
	v_lshlrev_b32_e32 v88, 16, v89
	v_and_b32_e32 v89, 0xffff0000, v10
	v_and_b32_e32 v92, 0xffff0000, v90
	v_lshlrev_b32_e32 v93, 16, v10
	v_lshlrev_b32_e32 v90, 16, v90
	v_max_f32_e32 v45, v45, v45
	v_max_f32_e32 v119, v119, v119
	;; [unrolled: 1-line block ×12, first 2 shown]
	v_min_f32_e32 v107, v119, v45
	v_max_f32_e32 v119, v119, v45
	v_min_f32_e32 v45, v2, v50
	v_max_f32_e32 v2, v2, v50
	;; [unrolled: 2-line block ×6, first 2 shown]
	v_cndmask_b32_e64 v119, v119, v107, s[26:27]
	v_cndmask_b32_e64 v2, v2, v45, s[26:27]
	;; [unrolled: 1-line block ×5, first 2 shown]
	v_bfe_u32 v88, v119, 16, 1
	v_or_b32_e32 v89, 0x10000, v119
	v_cmp_eq_u32_sdwa vcc, v119, v3 src0_sel:WORD_0 src1_sel:DWORD
	v_cndmask_b32_e64 v50, v79, v50, s[26:27]
	v_and_b32_e32 v79, 0x7f800000, v119
	v_bfe_u32 v92, v2, 16, 1
	v_or_b32_e32 v93, 0x10000, v2
	v_add3_u32 v88, v119, v88, s69
	v_cndmask_b32_e32 v119, v89, v119, vcc
	v_cmp_eq_u32_sdwa vcc, v2, v3 src0_sel:WORD_0 src1_sel:DWORD
	v_and_b32_e32 v95, 0xffff0000, v91
	v_lshlrev_b32_e32 v106, 16, v11
	v_lshlrev_b32_e32 v91, 16, v91
	v_and_b32_e32 v90, 0x7f800000, v2
	v_bfe_u32 v108, v50, 16, 1
	v_or_b32_e32 v109, 0x10000, v50
	v_add3_u32 v89, v2, v92, s69
	v_cndmask_b32_e32 v2, v93, v2, vcc
	v_cmp_eq_u32_sdwa vcc, v50, v3 src0_sel:WORD_0 src1_sel:DWORD
	v_max_f32_e32 v91, v91, v91
	v_max_f32_e32 v106, v106, v106
	v_and_b32_e32 v107, 0x7f800000, v50
	v_bfe_u32 v111, v45, 16, 1
	v_or_b32_e32 v120, 0x10000, v45
	v_add3_u32 v92, v50, v108, s69
	v_cndmask_b32_e32 v50, v109, v50, vcc
	v_cmp_eq_u32_sdwa vcc, v45, v3 src0_sel:WORD_0 src1_sel:DWORD
	v_and_b32_e32 v110, 0x7f800000, v45
	v_bfe_u32 v122, v60, 16, 1
	v_or_b32_e32 v123, 0x10000, v60
	v_add3_u32 v93, v45, v111, s69
	v_cndmask_b32_e32 v45, v120, v45, vcc
	v_cmp_eq_u32_sdwa vcc, v60, v3 src0_sel:WORD_0 src1_sel:DWORD
	v_min_f32_e32 v111, v106, v91
	v_max_f32_e32 v91, v106, v91
	v_and_b32_e32 v94, 0xffff0000, v11
	v_and_b32_e32 v121, 0x7f800000, v60
	v_bfe_u32 v125, v61, 16, 1
	v_or_b32_e32 v126, 0x10000, v61
	v_add3_u32 v108, v60, v122, s69
	v_cndmask_b32_e32 v60, v123, v60, vcc
	v_cmp_eq_u32_sdwa vcc, v61, v3 src0_sel:WORD_0 src1_sel:DWORD
	v_cndmask_b32_e64 v91, v91, v111, s[26:27]
	v_and_b32_e32 v124, 0x7f800000, v61
	v_add3_u32 v109, v61, v125, s69
	v_cndmask_b32_e32 v61, v126, v61, vcc
	v_bfe_u32 v111, v91, 16, 1
	v_or_b32_e32 v120, 0x10000, v91
	v_cmp_eq_u32_sdwa vcc, v91, v3 src0_sel:WORD_0 src1_sel:DWORD
	v_max_f32_e32 v95, v95, v95
	v_max_f32_e32 v94, v94, v94
	v_and_b32_e32 v106, 0x7f800000, v91
	v_add3_u32 v111, v91, v111, s69
	v_cndmask_b32_e32 v91, v120, v91, vcc
	v_min_f32_e32 v120, v94, v95
	v_max_f32_e32 v94, v94, v95
	v_cndmask_b32_e64 v94, v94, v120, s[26:27]
	v_bfe_u32 v120, v94, 16, 1
	v_or_b32_e32 v122, 0x10000, v94
	v_cmp_eq_u32_sdwa vcc, v94, v3 src0_sel:WORD_0 src1_sel:DWORD
	v_and_b32_e32 v95, 0x7f800000, v94
	v_add3_u32 v120, v94, v120, s69
	v_cndmask_b32_e32 v94, v122, v94, vcc
	v_cmp_eq_u32_e32 vcc, s68, v79
	s_nop 1
	v_cndmask_b32_e32 v79, v88, v119, vcc
	v_cmp_eq_u32_e32 vcc, s68, v90
	s_nop 1
	v_cndmask_b32_e32 v2, v89, v2, vcc
	v_cmp_eq_u32_e32 vcc, s68, v107
	s_nop 1
	v_cndmask_b32_e32 v50, v92, v50, vcc
	v_cmp_eq_u32_e32 vcc, s68, v110
	v_lshrrev_b32_e32 v50, 16, v50
	s_nop 0
	v_cndmask_b32_e32 v119, v93, v45, vcc
	v_cmp_eq_u32_e32 vcc, s68, v121
	v_and_or_b32 v119, v119, s70, v50
	v_lshrrev_b32_e32 v50, 16, v79
	v_cndmask_b32_e32 v45, v108, v60, vcc
	v_cmp_eq_u32_e32 vcc, s68, v124
	v_and_or_b32 v2, v2, s70, v50
	v_lshrrev_b32_e32 v50, 16, v45
	v_cndmask_b32_e32 v60, v109, v61, vcc
	v_cmp_eq_u32_e32 vcc, s68, v106
	v_and_or_b32 v50, v60, s70, v50
	s_nop 0
	v_cndmask_b32_e32 v61, v111, v91, vcc
	v_cmp_eq_u32_e32 vcc, s68, v95
	v_lshrrev_b32_e32 v45, 16, v61
	s_nop 0
	v_cndmask_b32_e32 v88, v120, v94, vcc
	v_and_or_b32 v45, v88, s70, v45
.LBB8_1161:                             ;   Parent Loop BB8_47 Depth=1
                                        ;     Parent Loop BB8_1017 Depth=2
                                        ;       Parent Loop BB8_1160 Depth=3
                                        ; =>      This Inner Loop Header: Depth=4
	v_cndmask_b32_e64 v60, 0, 1, s[46:47]
	s_cmp_eq_u32 s56, 1
	v_cmp_ne_u32_e32 vcc, 1, v60
	s_cselect_b64 s[28:29], -1, 0
	v_cndmask_b32_e64 v89, v9, v119, s[46:47]
	v_cndmask_b32_e64 v88, v8, v2, s[46:47]
	v_cndmask_b32_e64 v91, v11, v45, s[46:47]
	v_cndmask_b32_e64 v90, v10, v50, s[46:47]
	v_cndmask_b32_e32 v61, v21, v23, vcc
	v_cndmask_b32_e64 v93, v21, v23, s[28:29]
	s_cmp_eq_u32 s56, 0
	v_cndmask_b32_e32 v60, v20, v22, vcc
	v_cndmask_b32_e64 v92, v20, v22, s[28:29]
	global_store_dwordx4 v[60:61], v[88:91], off
	v_lshl_add_u64 v[60:61], v[92:93], 0, s[90:91]
	s_cselect_b64 vcc, -1, 0
	s_and_b64 s[40:41], exec, s[46:47]
	s_mov_b64 s[56:57], 1
	s_mov_b64 s[46:47], 0
	v_cndmask_b32_e64 v23, v23, v61, s[28:29]
	v_cndmask_b32_e64 v22, v22, v60, s[28:29]
	v_cndmask_b32_e32 v21, v21, v61, vcc
	v_cndmask_b32_e32 v20, v20, v60, vcc
	s_mov_b64 vcc, s[40:41]
	s_cbranch_vccnz .LBB8_1161
; %bb.1162:                             ;   in Loop: Header=BB8_1160 Depth=3
	v_sub_u32_e32 v59, v59, v80
	v_cmp_gt_i32_e32 vcc, 16, v59
	v_lshl_add_u64 v[20:21], v[20:21], 0, v[86:87]
	v_lshl_add_u64 v[22:23], v[22:23], 0, v[86:87]
	v_lshl_add_u64 v[12:13], v[12:13], 0, v[98:99]
	v_lshl_add_u64 v[14:15], v[14:15], 0, v[98:99]
	s_or_b64 s[44:45], vcc, s[44:45]
	v_sub_u32_e32 v47, v47, v52
	s_andn2_b64 exec, exec, s[44:45]
	s_cbranch_execnz .LBB8_1160
; %bb.1163:                             ;   in Loop: Header=BB8_1017 Depth=2
	s_or_b64 exec, exec, s[44:45]
.LBB8_1164:                             ;   in Loop: Header=BB8_1017 Depth=2
	s_or_b64 exec, exec, s[42:43]
	v_and_b32_e32 v8, 14, v44
	v_cndmask_b32_e64 v50, v58, v8, s[24:25]
	v_mov_b32_e32 v2, 0
	v_cmp_ne_u32_e32 vcc, 0, v50
	s_mov_b64 s[26:27], 0
                                        ; implicit-def: $vgpr44
                                        ; implicit-def: $vgpr22
	s_and_saveexec_b64 s[48:49], vcc
	s_cbranch_execz .LBB8_1172
; %bb.1165:                             ;   in Loop: Header=BB8_1017 Depth=2
	v_sub_u32_e32 v2, v58, v8
	v_cndmask_b32_e64 v2, 0, v2, s[24:25]
	v_cmp_lt_i32_e32 vcc, 0, v47
	v_add_u32_e32 v119, v2, v46
	s_nop 0
	v_cndmask_b32_e32 v2, 0, v52, vcc
	v_sub_u32_e32 v2, v2, v47
	v_lshl_or_b32 v2, v2, 6, v72
	v_ashrrev_i32_e32 v8, 31, v2
	v_lshrrev_b32_e32 v8, 26, v8
	v_add_u32_e32 v8, v2, v8
	v_ashrrev_i32_e32 v9, 6, v8
	v_and_b32_e32 v8, 0xffffffc0, v8
	v_sub_u32_e32 v58, v2, v8
	v_ashrrev_i32_e32 v8, 31, v50
	v_lshrrev_b32_e32 v8, 22, v8
	v_add_u32_e32 v8, v50, v8
	v_and_b32_e32 v59, 0xfffffc00, v8
	v_lshlrev_b32_e32 v2, 4, v58
	v_sub_u32_e32 v60, v50, v59
	v_lshl_add_u32 v2, v9, 10, v2
	v_ashrrev_i32_e32 v10, 10, v8
	v_cmp_lt_i32_e64 s[24:25], 15, v60
	v_sub_u32_e32 v79, v50, v2
	s_nop 0
	v_addc_co_u32_e64 v8, vcc, 0, v10, s[24:25]
	v_sub_u32_e32 v61, v8, v9
	v_cmp_lt_i32_e32 vcc, 15, v79
	s_and_saveexec_b64 s[50:51], vcc
	s_cbranch_execz .LBB8_1171
; %bb.1166:                             ;   in Loop: Header=BB8_1017 Depth=2
	v_add_u32_e32 v8, v2, v119
	s_and_b32 s76, s55, 1
	v_ashrrev_i32_e32 v9, 31, v8
	s_cmp_eq_u64 s[76:77], 0
	v_lshl_add_u64 v[20:21], v[8:9], 0, v[40:41]
	s_waitcnt lgkmcnt(0)
	v_lshl_add_u64 v[22:23], v[8:9], 0, v[18:19]
	v_lshl_add_u64 v[44:45], v[8:9], 0, v[42:43]
	;; [unrolled: 1-line block ×3, first 2 shown]
	s_mov_b64 s[52:53], 0
	s_cselect_b64 s[26:27], -1, 0
.LBB8_1167:                             ;   Parent Loop BB8_47 Depth=1
                                        ;     Parent Loop BB8_1017 Depth=2
                                        ; =>    This Loop Header: Depth=3
                                        ;         Child Loop BB8_1168 Depth 4
	global_load_dwordx4 v[8:11], v[20:21], off nt
	global_load_dwordx4 v[12:15], v[22:23], off nt
	s_waitcnt vmcnt(0)
	v_lshlrev_b32_e32 v2, 16, v8
	v_and_b32_e32 v89, 0xffff0000, v12
	v_lshlrev_b32_e32 v12, 16, v12
	v_max_f32_e32 v12, v12, v12
	v_max_f32_e32 v2, v2, v2
	v_min_f32_e32 v90, v2, v12
	v_max_f32_e32 v2, v2, v12
	v_cndmask_b32_e64 v12, v2, v90, s[26:27]
	v_and_b32_e32 v88, 0xffff0000, v8
	v_and_b32_e32 v2, 0x7f800000, v12
	v_cmp_eq_u32_e32 vcc, s68, v2
	v_bfe_u32 v2, v12, 16, 1
	v_cmp_eq_u32_sdwa s[28:29], v12, v3 src0_sel:WORD_0 src1_sel:DWORD
	v_or_b32_e32 v90, 0x10000, v12
	v_max_f32_e32 v89, v89, v89
	v_max_f32_e32 v88, v88, v88
	v_add3_u32 v2, v12, v2, s69
	v_cndmask_b32_e64 v12, v90, v12, s[28:29]
	v_min_f32_e32 v90, v88, v89
	v_max_f32_e32 v88, v88, v89
	v_cndmask_b32_e64 v89, v88, v90, s[26:27]
	v_and_b32_e32 v88, 0x7f800000, v89
	v_cmp_eq_u32_e64 s[28:29], s68, v88
	v_bfe_u32 v88, v89, 16, 1
	v_cmp_eq_u32_sdwa s[40:41], v89, v3 src0_sel:WORD_0 src1_sel:DWORD
	v_or_b32_e32 v90, 0x10000, v89
	v_add3_u32 v88, v89, v88, s69
	v_cndmask_b32_e64 v89, v90, v89, s[40:41]
	v_and_b32_e32 v92, 0xffff0000, v13
	v_lshlrev_b32_e32 v90, 16, v9
	v_lshlrev_b32_e32 v13, 16, v13
	v_max_f32_e32 v13, v13, v13
	v_max_f32_e32 v90, v90, v90
	v_min_f32_e32 v93, v90, v13
	v_max_f32_e32 v13, v90, v13
	v_cndmask_b32_e64 v90, v13, v93, s[26:27]
	v_and_b32_e32 v91, 0xffff0000, v9
	v_and_b32_e32 v13, 0x7f800000, v90
	v_cmp_eq_u32_e64 s[40:41], s68, v13
	v_bfe_u32 v13, v90, 16, 1
	v_cmp_eq_u32_sdwa s[42:43], v90, v3 src0_sel:WORD_0 src1_sel:DWORD
	v_or_b32_e32 v93, 0x10000, v90
	v_max_f32_e32 v92, v92, v92
	v_max_f32_e32 v91, v91, v91
	v_add3_u32 v13, v90, v13, s69
	v_cndmask_b32_e64 v90, v93, v90, s[42:43]
	v_min_f32_e32 v93, v91, v92
	v_max_f32_e32 v91, v91, v92
	v_cndmask_b32_e64 v92, v91, v93, s[26:27]
	v_and_b32_e32 v91, 0x7f800000, v92
	v_cmp_eq_u32_e64 s[42:43], s68, v91
	v_bfe_u32 v91, v92, 16, 1
	v_cmp_eq_u32_sdwa s[44:45], v92, v3 src0_sel:WORD_0 src1_sel:DWORD
	v_or_b32_e32 v93, 0x10000, v92
	v_add3_u32 v91, v92, v91, s69
	v_cndmask_b32_e64 v92, v93, v92, s[44:45]
	v_and_b32_e32 v95, 0xffff0000, v14
	v_lshlrev_b32_e32 v93, 16, v10
	v_lshlrev_b32_e32 v14, 16, v14
	v_max_f32_e32 v14, v14, v14
	v_max_f32_e32 v93, v93, v93
	v_min_f32_e32 v106, v93, v14
	v_max_f32_e32 v14, v93, v14
	v_cndmask_b32_e64 v93, v14, v106, s[26:27]
	v_and_b32_e32 v94, 0xffff0000, v10
	v_and_b32_e32 v14, 0x7f800000, v93
	v_cmp_eq_u32_e64 s[44:45], s68, v14
	v_bfe_u32 v14, v93, 16, 1
	v_cmp_eq_u32_sdwa s[46:47], v93, v3 src0_sel:WORD_0 src1_sel:DWORD
	v_or_b32_e32 v106, 0x10000, v93
	v_max_f32_e32 v95, v95, v95
	v_max_f32_e32 v94, v94, v94
	v_add3_u32 v14, v93, v14, s69
	v_cndmask_b32_e64 v93, v106, v93, s[46:47]
	v_min_f32_e32 v106, v94, v95
	v_max_f32_e32 v94, v94, v95
	v_and_b32_e32 v107, 0xffff0000, v15
	v_lshlrev_b32_e32 v108, 16, v11
	v_lshlrev_b32_e32 v15, 16, v15
	v_cndmask_b32_e64 v95, v94, v106, s[26:27]
	v_max_f32_e32 v15, v15, v15
	v_max_f32_e32 v108, v108, v108
	v_and_b32_e32 v94, 0x7f800000, v95
	v_min_f32_e32 v109, v108, v15
	v_max_f32_e32 v15, v108, v15
	v_cmp_eq_u32_e64 s[46:47], s68, v94
	v_bfe_u32 v94, v95, 16, 1
	v_cmp_eq_u32_sdwa s[56:57], v95, v3 src0_sel:WORD_0 src1_sel:DWORD
	v_or_b32_e32 v106, 0x10000, v95
	v_cndmask_b32_e64 v15, v15, v109, s[26:27]
	v_add3_u32 v94, v95, v94, s69
	v_cndmask_b32_e64 v95, v106, v95, s[56:57]
	v_and_b32_e32 v106, 0xffff0000, v11
	v_and_b32_e32 v108, 0x7f800000, v15
	v_cmp_eq_u32_e64 s[56:57], s68, v108
	v_bfe_u32 v108, v15, 16, 1
	v_cmp_eq_u32_sdwa s[58:59], v15, v3 src0_sel:WORD_0 src1_sel:DWORD
	v_or_b32_e32 v109, 0x10000, v15
	v_max_f32_e32 v107, v107, v107
	v_max_f32_e32 v106, v106, v106
	v_add3_u32 v108, v15, v108, s69
	v_cndmask_b32_e64 v15, v109, v15, s[58:59]
	v_min_f32_e32 v109, v106, v107
	v_max_f32_e32 v106, v106, v107
	v_cndmask_b32_e64 v106, v106, v109, s[26:27]
	v_and_b32_e32 v107, 0x7f800000, v106
	v_cmp_eq_u32_e64 s[58:59], s68, v107
	v_bfe_u32 v107, v106, 16, 1
	v_cmp_eq_u32_sdwa s[60:61], v106, v3 src0_sel:WORD_0 src1_sel:DWORD
	v_or_b32_e32 v109, 0x10000, v106
	v_cndmask_b32_e32 v2, v2, v12, vcc
	v_add3_u32 v107, v106, v107, s69
	v_cndmask_b32_e64 v106, v109, v106, s[60:61]
	v_cndmask_b32_e64 v12, v88, v89, s[28:29]
	v_cndmask_b32_e64 v13, v13, v90, s[40:41]
	v_cndmask_b32_e64 v14, v14, v93, s[44:45]
	v_cndmask_b32_e64 v15, v108, v15, s[56:57]
	v_lshrrev_b32_e32 v2, 16, v2
	v_cndmask_b32_e64 v88, v91, v92, s[42:43]
	v_cndmask_b32_e64 v89, v94, v95, s[46:47]
	;; [unrolled: 1-line block ×3, first 2 shown]
	v_lshrrev_b32_e32 v13, 16, v13
	v_and_or_b32 v2, v12, s70, v2
	v_lshrrev_b32_e32 v12, 16, v14
	v_lshrrev_b32_e32 v14, 16, v15
	v_and_or_b32 v13, v88, s70, v13
	v_and_or_b32 v12, v89, s70, v12
	;; [unrolled: 1-line block ×3, first 2 shown]
	s_mov_b64 s[42:43], -1
	s_mov_b64 s[44:45], 0
.LBB8_1168:                             ;   Parent Loop BB8_47 Depth=1
                                        ;     Parent Loop BB8_1017 Depth=2
                                        ;       Parent Loop BB8_1167 Depth=3
                                        ; =>      This Inner Loop Header: Depth=4
	v_cndmask_b32_e64 v14, 0, 1, s[42:43]
	s_cmp_eq_u32 s44, 1
	v_cmp_ne_u32_e32 vcc, 1, v14
	s_cselect_b64 s[28:29], -1, 0
	v_cndmask_b32_e64 v89, v9, v13, s[42:43]
	v_cndmask_b32_e64 v88, v8, v2, s[42:43]
	;; [unrolled: 1-line block ×4, first 2 shown]
	v_cndmask_b32_e32 v93, v45, v47, vcc
	v_cndmask_b32_e64 v95, v45, v47, s[28:29]
	s_cmp_eq_u32 s44, 0
	v_cndmask_b32_e32 v92, v44, v46, vcc
	v_cndmask_b32_e64 v94, v44, v46, s[28:29]
	global_store_dwordx4 v[92:93], v[88:91], off
	s_cselect_b64 vcc, -1, 0
	s_and_b64 s[40:41], exec, s[42:43]
	v_lshl_add_u64 v[88:89], v[94:95], 0, s[90:91]
	s_mov_b64 s[44:45], 1
	s_mov_b64 s[42:43], 0
	v_cndmask_b32_e64 v47, v47, v89, s[28:29]
	v_cndmask_b32_e64 v46, v46, v88, s[28:29]
	v_cndmask_b32_e32 v45, v45, v89, vcc
	v_cndmask_b32_e32 v44, v44, v88, vcc
	s_mov_b64 vcc, s[40:41]
	s_cbranch_vccnz .LBB8_1168
; %bb.1169:                             ;   in Loop: Header=BB8_1167 Depth=3
	v_sub_u32_e32 v79, v79, v80
	v_cmp_gt_i32_e32 vcc, 16, v79
	v_lshl_add_u64 v[44:45], v[44:45], 0, v[86:87]
	v_lshl_add_u64 v[46:47], v[46:47], 0, v[86:87]
	v_lshl_add_u64 v[20:21], v[20:21], 0, v[98:99]
	v_lshl_add_u64 v[22:23], v[22:23], 0, v[98:99]
	s_or_b64 s[52:53], vcc, s[52:53]
	v_sub_u32_e32 v61, v61, v52
	s_andn2_b64 exec, exec, s[52:53]
	s_cbranch_execnz .LBB8_1167
; %bb.1170:                             ;   in Loop: Header=BB8_1017 Depth=2
	s_or_b64 exec, exec, s[52:53]
.LBB8_1171:                             ;   in Loop: Header=BB8_1017 Depth=2
	s_or_b64 exec, exec, s[50:51]
	v_and_b32_e32 v8, 14, v50
	v_cmp_lt_i32_e32 vcc, 0, v61
	v_sub_u32_e32 v2, v60, v8
	v_cndmask_b32_e64 v44, v60, v8, s[24:25]
	v_cndmask_b32_e32 v8, 0, v52, vcc
	v_cndmask_b32_e64 v2, 0, v2, s[24:25]
	v_sub_u32_e32 v8, v8, v61
	v_cmp_ne_u32_e32 vcc, 0, v44
	v_add3_u32 v2, v59, v119, v2
	v_lshl_add_u32 v22, v8, 6, v58
	s_and_b64 s[26:27], vcc, exec
.LBB8_1172:                             ;   in Loop: Header=BB8_1017 Depth=2
	s_or_b64 exec, exec, s[48:49]
	s_and_saveexec_b64 s[42:43], s[26:27]
	s_cbranch_execz .LBB8_1211
.LBB8_1173:                             ;   in Loop: Header=BB8_1017 Depth=2
	v_ashrrev_i32_e32 v8, 31, v22
	v_ashrrev_i32_e32 v9, 31, v44
	v_lshrrev_b32_e32 v8, 26, v8
	v_lshrrev_b32_e32 v9, 23, v9
	v_add_u32_e32 v8, v22, v8
	v_add_u32_e32 v9, v44, v9
	v_ashrrev_i32_e32 v23, 6, v8
	v_ashrrev_i32_e32 v119, 9, v9
	v_sub_u32_e32 v50, v119, v23
	v_cmp_lt_i32_e32 vcc, 0, v50
	s_and_saveexec_b64 s[26:27], vcc
	s_cbranch_execz .LBB8_1205
; %bb.1174:                             ;   in Loop: Header=BB8_1017 Depth=2
	v_and_b32_e32 v8, 0x7fffffc0, v8
	v_sub_u32_e32 v8, v22, v8
	v_lshlrev_b32_e32 v8, 1, v8
	v_lshlrev_b32_e32 v9, 9, v23
	v_add3_u32 v8, v8, v2, v9
	s_and_b32 s76, s55, 1
	v_ashrrev_i32_e32 v9, 31, v8
	s_cmp_eq_u64 s[76:77], 0
	v_lshl_add_u64 v[10:11], v[8:9], 0, v[42:43]
	v_lshl_add_u64 v[12:13], v[8:9], 0, v[16:17]
	s_mov_b64 s[28:29], 0
	s_cselect_b64 vcc, -1, 0
	v_mov_b64_e32 v[14:15], v[40:41]
	s_waitcnt lgkmcnt(0)
	v_mov_b64_e32 v[20:21], v[18:19]
	s_branch .LBB8_1176
.LBB8_1175:                             ;   in Loop: Header=BB8_1176 Depth=3
	s_or_b64 exec, exec, s[40:41]
	v_sub_u32_e32 v50, v50, v52
	v_cmp_gt_i32_e64 s[24:25], 1, v50
	flat_store_short_d16_hi v[10:11], v60 offset:384 nt
	flat_store_short v[12:13], v45 nt
	flat_store_short v[12:13], v46 offset:128 nt
	flat_store_short v[12:13], v47 offset:256 nt
	;; [unrolled: 1-line block ×3, first 2 shown]
	v_lshl_add_u64 v[10:11], v[10:11], 0, v[82:83]
	v_lshl_add_u64 v[12:13], v[12:13], 0, v[82:83]
	;; [unrolled: 1-line block ×3, first 2 shown]
	s_or_b64 s[28:29], s[24:25], s[28:29]
	v_lshl_add_u64 v[14:15], v[14:15], 0, v[82:83]
	s_andn2_b64 exec, exec, s[28:29]
	s_cbranch_execz .LBB8_1204
.LBB8_1176:                             ;   Parent Loop BB8_47 Depth=1
                                        ;     Parent Loop BB8_1017 Depth=2
                                        ; =>    This Inner Loop Header: Depth=3
	v_lshl_add_u64 v[46:47], v[8:9], 0, v[20:21]
	v_lshl_add_u64 v[88:89], v[8:9], 0, v[14:15]
	flat_load_ushort v45, v[88:89] nt
	flat_load_ushort v60, v[46:47] offset:256 nt
	flat_load_ushort v59, v[46:47] offset:384 nt
	flat_load_ushort v79, v[46:47] nt
	flat_load_ushort v61, v[46:47] offset:128 nt
	s_nop 0
	flat_load_ushort v46, v[88:89] offset:128 nt
	flat_load_ushort v47, v[88:89] offset:256 nt
	;; [unrolled: 1-line block ×3, first 2 shown]
	s_waitcnt vmcnt(0) lgkmcnt(0)
	v_lshlrev_b32_e32 v88, 16, v45
	v_max_f32_e32 v88, v88, v88
	v_lshlrev_b32_e32 v79, 16, v79
	v_max_f32_e32 v79, v79, v79
	v_min_f32_e32 v89, v88, v79
	v_max_f32_e32 v79, v88, v79
	v_cndmask_b32_e32 v79, v79, v89, vcc
	v_and_b32_e32 v88, 0x7f800000, v79
	v_cmp_ne_u32_e64 s[24:25], s68, v88
                                        ; implicit-def: $vgpr88
	s_and_saveexec_b64 s[40:41], s[24:25]
	s_xor_b64 s[24:25], exec, s[40:41]
; %bb.1177:                             ;   in Loop: Header=BB8_1176 Depth=3
	v_bfe_u32 v88, v79, 16, 1
	v_add3_u32 v88, v79, v88, s69
                                        ; implicit-def: $vgpr79
; %bb.1178:                             ;   in Loop: Header=BB8_1176 Depth=3
	s_andn2_saveexec_b64 s[40:41], s[24:25]
; %bb.1179:                             ;   in Loop: Header=BB8_1176 Depth=3
	v_or_b32_e32 v88, 0x10000, v79
	v_cmp_eq_u32_sdwa s[24:25], v79, v3 src0_sel:WORD_0 src1_sel:DWORD
	s_nop 1
	v_cndmask_b32_e64 v88, v88, v79, s[24:25]
; %bb.1180:                             ;   in Loop: Header=BB8_1176 Depth=3
	s_or_b64 exec, exec, s[40:41]
	v_lshlrev_b32_e32 v79, 16, v46
	v_lshlrev_b32_e32 v61, 16, v61
	v_max_f32_e32 v61, v61, v61
	v_max_f32_e32 v79, v79, v79
	flat_store_short_d16_hi v[10:11], v88 nt
	v_min_f32_e32 v88, v79, v61
	v_max_f32_e32 v61, v79, v61
	v_cndmask_b32_e32 v61, v61, v88, vcc
	v_and_b32_e32 v79, 0x7f800000, v61
	v_cmp_ne_u32_e64 s[24:25], s68, v79
                                        ; implicit-def: $vgpr79
	s_and_saveexec_b64 s[40:41], s[24:25]
	s_xor_b64 s[24:25], exec, s[40:41]
; %bb.1181:                             ;   in Loop: Header=BB8_1176 Depth=3
	v_bfe_u32 v79, v61, 16, 1
	v_add3_u32 v79, v61, v79, s69
                                        ; implicit-def: $vgpr61
; %bb.1182:                             ;   in Loop: Header=BB8_1176 Depth=3
	s_andn2_saveexec_b64 s[40:41], s[24:25]
; %bb.1183:                             ;   in Loop: Header=BB8_1176 Depth=3
	v_or_b32_e32 v79, 0x10000, v61
	v_cmp_eq_u32_sdwa s[24:25], v61, v3 src0_sel:WORD_0 src1_sel:DWORD
	s_nop 1
	v_cndmask_b32_e64 v79, v79, v61, s[24:25]
; %bb.1184:                             ;   in Loop: Header=BB8_1176 Depth=3
	s_or_b64 exec, exec, s[40:41]
	v_lshlrev_b32_e32 v61, 16, v47
	v_lshlrev_b32_e32 v60, 16, v60
	v_max_f32_e32 v60, v60, v60
	v_max_f32_e32 v61, v61, v61
	flat_store_short_d16_hi v[10:11], v79 offset:128 nt
	v_min_f32_e32 v79, v61, v60
	v_max_f32_e32 v60, v61, v60
	v_cndmask_b32_e32 v60, v60, v79, vcc
	v_and_b32_e32 v61, 0x7f800000, v60
	v_cmp_ne_u32_e64 s[24:25], s68, v61
                                        ; implicit-def: $vgpr61
	s_and_saveexec_b64 s[40:41], s[24:25]
	s_xor_b64 s[24:25], exec, s[40:41]
; %bb.1185:                             ;   in Loop: Header=BB8_1176 Depth=3
	v_bfe_u32 v61, v60, 16, 1
	v_add3_u32 v61, v60, v61, s69
                                        ; implicit-def: $vgpr60
; %bb.1186:                             ;   in Loop: Header=BB8_1176 Depth=3
	s_andn2_saveexec_b64 s[40:41], s[24:25]
; %bb.1187:                             ;   in Loop: Header=BB8_1176 Depth=3
	v_or_b32_e32 v61, 0x10000, v60
	v_cmp_eq_u32_sdwa s[24:25], v60, v3 src0_sel:WORD_0 src1_sel:DWORD
	s_nop 1
	v_cndmask_b32_e64 v61, v61, v60, s[24:25]
; %bb.1188:                             ;   in Loop: Header=BB8_1176 Depth=3
	s_or_b64 exec, exec, s[40:41]
	v_lshlrev_b32_e32 v60, 16, v58
	v_lshlrev_b32_e32 v59, 16, v59
	v_max_f32_e32 v59, v59, v59
	v_max_f32_e32 v60, v60, v60
	flat_store_short_d16_hi v[10:11], v61 offset:256 nt
	v_min_f32_e32 v61, v60, v59
	v_max_f32_e32 v59, v60, v59
	v_cndmask_b32_e32 v59, v59, v61, vcc
	v_and_b32_e32 v60, 0x7f800000, v59
	v_cmp_ne_u32_e64 s[24:25], s68, v60
                                        ; implicit-def: $vgpr60
	s_and_saveexec_b64 s[40:41], s[24:25]
	s_xor_b64 s[24:25], exec, s[40:41]
; %bb.1189:                             ;   in Loop: Header=BB8_1176 Depth=3
	v_bfe_u32 v60, v59, 16, 1
	v_add3_u32 v60, v59, v60, s69
                                        ; implicit-def: $vgpr59
; %bb.1190:                             ;   in Loop: Header=BB8_1176 Depth=3
	s_andn2_saveexec_b64 s[40:41], s[24:25]
	s_cbranch_execz .LBB8_1175
; %bb.1191:                             ;   in Loop: Header=BB8_1176 Depth=3
	v_or_b32_e32 v60, 0x10000, v59
	v_cmp_eq_u32_sdwa s[24:25], v59, v3 src0_sel:WORD_0 src1_sel:DWORD
	s_nop 1
	v_cndmask_b32_e64 v60, v60, v59, s[24:25]
	s_branch .LBB8_1175
.LBB8_1192:                             ;   in Loop: Header=BB8_1017 Depth=2
	s_or_b64 exec, exec, s[44:45]
	s_and_saveexec_b64 s[44:45], s[46:47]
	s_xor_b64 s[44:45], exec, s[44:45]
	s_cbranch_execz .LBB8_1194
; %bb.1193:                             ;   in Loop: Header=BB8_1017 Depth=2
	ds_write_b32 v0, v74
	s_trap 2
.LBB8_1194:                             ;   in Loop: Header=BB8_1017 Depth=2
	s_or_b64 exec, exec, s[42:43]
	;;#ASMSTART
	s_wakeup
	;;#ASMEND
.LBB8_1195:                             ;   in Loop: Header=BB8_1017 Depth=2
	s_or_b64 exec, exec, s[40:41]
.LBB8_1196:                             ;   in Loop: Header=BB8_1017 Depth=2
	s_andn2_saveexec_b64 s[28:29], s[28:29]
	s_cbranch_execz .LBB8_1198
; %bb.1197:                             ;   in Loop: Header=BB8_1017 Depth=2
	;;#ASMSTART
	s_waitcnt lgkmcnt(0) vmcnt(0)
	;;#ASMEND
	s_barrier
.LBB8_1198:                             ;   in Loop: Header=BB8_1017 Depth=2
	s_or_b64 exec, exec, s[28:29]
.LBB8_1199:                             ;   in Loop: Header=BB8_1017 Depth=2
	s_or_b64 exec, exec, s[24:25]
	v_cmp_ne_u32_e32 vcc, 0, v9
	s_xor_b64 s[24:25], s[10:11], -1
	s_and_b64 s[28:29], vcc, s[24:25]
	s_and_saveexec_b64 s[24:25], s[28:29]
	s_cbranch_execz .LBB8_1201
; %bb.1200:                             ;   in Loop: Header=BB8_1017 Depth=2
	flat_store_dword v[36:37], v74 sc0 sc1
.LBB8_1201:                             ;   in Loop: Header=BB8_1017 Depth=2
	s_or_b64 exec, exec, s[24:25]
	v_and_b32_e32 v2, 48, v63
	v_cmp_ne_u32_e32 vcc, 0, v2
	s_and_saveexec_b64 s[24:25], vcc
	s_cbranch_execz .LBB8_1203
; %bb.1202:                             ;   in Loop: Header=BB8_1017 Depth=2
	v_lshl_add_u64 v[112:113], v[112:113], 0, 4
	flat_store_dwordx2 v[32:33], v[112:113] sc0 sc1
.LBB8_1203:                             ;   in Loop: Header=BB8_1017 Depth=2
	s_or_b64 exec, exec, s[24:25]
	s_or_b64 exec, exec, s[26:27]
	s_add_i32 s24, s54, 1
	s_cmp_eq_u32 s54, s84
	s_cbranch_scc0 .LBB8_1365
	s_branch .LBB8_1366
.LBB8_1204:                             ;   in Loop: Header=BB8_1017 Depth=2
	s_or_b64 exec, exec, s[28:29]
.LBB8_1205:                             ;   in Loop: Header=BB8_1017 Depth=2
	s_or_b64 exec, exec, s[26:27]
	v_lshlrev_b32_e32 v8, 9, v119
	v_cmp_ne_u32_e32 vcc, v44, v8
	s_and_b64 exec, exec, vcc
	s_cbranch_execz .LBB8_1211
; %bb.1206:                             ;   in Loop: Header=BB8_1017 Depth=2
	v_lshlrev_b32_e32 v9, 6, v23
	v_sub_u32_e32 v9, v22, v9
	v_lshlrev_b32_e32 v10, 6, v50
	v_sub_u32_e32 v9, v9, v10
	v_ashrrev_i32_e32 v10, 31, v9
	v_lshrrev_b32_e32 v10, 26, v10
	v_add_u32_e32 v10, v9, v10
	v_and_b32_e32 v11, 0x7fffffc0, v10
	v_sub_u32_e32 v9, v9, v11
	v_lshlrev_b32_e32 v10, 1, v10
	v_and_b32_e32 v10, 0xffffff80, v10
	v_lshlrev_b32_e32 v9, 1, v9
	v_add3_u32 v8, v10, v9, v8
	v_sub_u32_e32 v20, v44, v8
	v_cmp_lt_i32_e32 vcc, 1, v20
	s_and_b64 exec, exec, vcc
	s_cbranch_execz .LBB8_1211
; %bb.1207:                             ;   in Loop: Header=BB8_1017 Depth=2
	v_add_u32_e32 v14, v8, v2
	s_and_b32 s76, s55, 1
	v_ashrrev_i32_e32 v15, 31, v14
	s_cmp_eq_u64 s[76:77], 0
	v_lshl_add_u64 v[8:9], v[14:15], 0, v[40:41]
	s_waitcnt lgkmcnt(0)
	v_lshl_add_u64 v[10:11], v[14:15], 0, v[18:19]
	v_lshl_add_u64 v[12:13], v[14:15], 0, v[42:43]
	;; [unrolled: 1-line block ×3, first 2 shown]
	s_mov_b64 s[44:45], 0
	s_cselect_b64 s[24:25], -1, 0
.LBB8_1208:                             ;   Parent Loop BB8_47 Depth=1
                                        ;     Parent Loop BB8_1017 Depth=2
                                        ; =>    This Loop Header: Depth=3
                                        ;         Child Loop BB8_1209 Depth 4
	flat_load_ushort v2, v[8:9] nt
	flat_load_ushort v16, v[10:11] nt
	s_mov_b64 s[26:27], -1
	s_mov_b64 s[46:47], 0
	s_waitcnt vmcnt(0) lgkmcnt(0)
	v_lshlrev_b32_e32 v17, 16, v2
	v_lshlrev_b32_e32 v16, 16, v16
	v_max_f32_e32 v16, v16, v16
	v_max_f32_e32 v17, v17, v17
	v_min_f32_e32 v18, v17, v16
	v_max_f32_e32 v16, v17, v16
	v_cndmask_b32_e64 v16, v16, v18, s[24:25]
	v_and_b32_e32 v17, 0x7f800000, v16
	v_bfe_u32 v18, v16, 16, 1
	v_or_b32_e32 v19, 0x10000, v16
	v_cmp_eq_u32_sdwa vcc, v16, v3 src0_sel:WORD_0 src1_sel:DWORD
	v_add3_u32 v18, v16, v18, s69
	s_nop 0
	v_cndmask_b32_e32 v16, v19, v16, vcc
	v_cmp_eq_u32_e32 vcc, s68, v17
	s_nop 1
	v_cndmask_b32_e32 v16, v18, v16, vcc
.LBB8_1209:                             ;   Parent Loop BB8_47 Depth=1
                                        ;     Parent Loop BB8_1017 Depth=2
                                        ;       Parent Loop BB8_1208 Depth=3
                                        ; =>      This Inner Loop Header: Depth=4
	s_mov_b64 vcc, s[26:27]
	v_cndmask_b32_e64 v17, 0, 1, s[26:27]
	s_cmp_eq_u32 s46, 1
	v_cndmask_b32_sdwa v21, v2, v16, vcc dst_sel:DWORD dst_unused:UNUSED_PAD src0_sel:DWORD src1_sel:WORD_1
	v_cmp_ne_u32_e32 vcc, 1, v17
	s_cselect_b64 s[28:29], -1, 0
	v_cndmask_b32_e64 v23, v13, v15, s[28:29]
	v_cndmask_b32_e32 v19, v13, v15, vcc
	s_cmp_eq_u32 s46, 0
	v_cndmask_b32_e32 v18, v12, v14, vcc
	v_cndmask_b32_e64 v22, v12, v14, s[28:29]
	flat_store_short v[18:19], v21 nt
	v_lshl_add_u64 v[18:19], v[22:23], 0, s[92:93]
	s_cselect_b64 vcc, -1, 0
	s_and_b64 s[40:41], exec, s[26:27]
	s_mov_b64 s[46:47], 1
	s_mov_b64 s[26:27], 0
	v_cndmask_b32_e64 v15, v15, v19, s[28:29]
	v_cndmask_b32_e64 v14, v14, v18, s[28:29]
	v_cndmask_b32_e32 v13, v13, v19, vcc
	v_cndmask_b32_e32 v12, v12, v18, vcc
	s_mov_b64 vcc, s[40:41]
	s_cbranch_vccnz .LBB8_1209
; %bb.1210:                             ;   in Loop: Header=BB8_1208 Depth=3
	v_sub_u32_e32 v20, v20, v84
	v_cmp_gt_i32_e32 vcc, 2, v20
	v_lshl_add_u64 v[12:13], v[12:13], 0, v[96:97]
	v_lshl_add_u64 v[14:15], v[14:15], 0, v[96:97]
	;; [unrolled: 1-line block ×3, first 2 shown]
	s_or_b64 s[44:45], vcc, s[44:45]
	v_lshl_add_u64 v[10:11], v[10:11], 0, v[100:101]
	s_andn2_b64 exec, exec, s[44:45]
	s_cbranch_execnz .LBB8_1208
.LBB8_1211:                             ;   in Loop: Header=BB8_1017 Depth=2
	s_or_b64 exec, exec, s[42:43]
	s_branch .LBB8_1157
.LBB8_1212:                             ;   in Loop: Header=BB8_1017 Depth=2
	s_mov_b64 s[26:27], -1
	s_and_saveexec_b64 s[24:25], s[18:19]
	s_cbranch_execz .LBB8_1214
; %bb.1213:                             ;   in Loop: Header=BB8_1017 Depth=2
	ds_read_b32 v2, v0 offset:720
	s_waitcnt lgkmcnt(0)
	v_and_b32_e32 v2, 15, v2
	v_cmp_eq_u32_e32 vcc, 0, v2
	s_orn2_b64 s[26:27], vcc, exec
.LBB8_1214:                             ;   in Loop: Header=BB8_1017 Depth=2
	s_or_b64 exec, exec, s[24:25]
	s_and_saveexec_b64 s[24:25], s[16:17]
	s_cbranch_execz .LBB8_1216
; %bb.1215:                             ;   in Loop: Header=BB8_1017 Depth=2
	ds_read_b32 v2, v0 offset:784
	s_waitcnt lgkmcnt(0)
	v_and_b32_e32 v2, 15, v2
	v_cmp_eq_u32_e32 vcc, 0, v2
	s_and_b64 s[28:29], s[26:27], vcc
	s_andn2_b64 s[26:27], s[26:27], exec
	s_and_b64 s[28:29], s[28:29], exec
	s_or_b64 s[26:27], s[26:27], s[28:29]
.LBB8_1216:                             ;   in Loop: Header=BB8_1017 Depth=2
	s_or_b64 exec, exec, s[24:25]
	s_xor_b64 s[26:27], s[26:27], -1
	v_cndmask_b32_e64 v8, 0, 1, s[26:27]
	v_lshlrev_b32_e32 v2, 1, v57
	s_mov_b64 s[24:25], -1
	v_mov_b32_e32 v12, 0
	v_cmp_ne_u32_e32 vcc, 0, v8
	s_cbranch_vccz .LBB8_1218
; %bb.1217:                             ;   in Loop: Header=BB8_1017 Depth=2
	v_mov_b32_e32 v13, v0
	s_and_saveexec_b64 s[40:41], s[24:25]
	s_cbranch_execnz .LBB8_1293
	s_branch .LBB8_1317
.LBB8_1218:                             ;   in Loop: Header=BB8_1017 Depth=2
	v_ashrrev_i32_e32 v8, 31, v2
	v_lshrrev_b32_e32 v8, 21, v8
	v_add_u32_e32 v8, v2, v8
	v_ashrrev_i32_e32 v119, 11, v8
	v_sub_u32_e32 v50, v119, v73
	v_cmp_lt_i32_e32 vcc, 0, v50
	s_and_saveexec_b64 s[26:27], vcc
	s_cbranch_execz .LBB8_1286
; %bb.1219:                             ;   in Loop: Header=BB8_1017 Depth=2
	s_and_b32 s76, s55, 1
	s_cmp_eq_u64 s[76:77], 0
	s_mov_b64 s[28:29], 0
	s_cselect_b64 vcc, -1, 0
	v_mov_b64_e32 v[44:45], v[68:69]
	s_branch .LBB8_1221
.LBB8_1220:                             ;   in Loop: Header=BB8_1221 Depth=3
	s_or_b64 exec, exec, s[40:41]
	v_lshrrev_b32_e32 v12, 16, v12
	v_and_or_b32 v9, v9, s70, v12
	v_lshrrev_b32_e32 v12, 16, v18
	v_and_or_b32 v8, v8, s70, v12
	v_lshrrev_b32_e32 v12, 16, v13
	v_sub_u32_e32 v50, v50, v52
	v_and_or_b32 v10, v10, s70, v12
	v_lshrrev_b32_e32 v12, 16, v14
	v_cmp_gt_i32_e64 s[24:25], 1, v50
	v_and_or_b32 v11, v11, s70, v12
	s_or_b64 s[28:29], s[24:25], s[28:29]
	v_lshl_add_u64 v[44:45], v[44:45], 0, v[70:71]
	global_store_dwordx4 v[16:17], v[8:11], off offset:1024
	s_andn2_b64 exec, exec, s[28:29]
	s_cbranch_execz .LBB8_1285
.LBB8_1221:                             ;   Parent Loop BB8_47 Depth=1
                                        ;     Parent Loop BB8_1017 Depth=2
                                        ; =>    This Inner Loop Header: Depth=3
	v_lshl_add_u64 v[12:13], v[40:41], 0, v[44:45]
	s_waitcnt lgkmcnt(0)
	global_load_dwordx4 v[16:19], v[44:45], off nt
	global_load_dwordx4 v[20:23], v[12:13], off nt
	global_load_dwordx4 v[8:11], v[44:45], off offset:1024 nt
	s_nop 0
	global_load_dwordx4 v[12:15], v[12:13], off offset:1024 nt
	s_waitcnt vmcnt(0)
	v_lshlrev_b32_e32 v46, 16, v16
	v_lshlrev_b32_e32 v47, 16, v20
	v_max_f32_e32 v46, v46, v46
	v_max_f32_e32 v47, v47, v47
	v_min_f32_e32 v58, v47, v46
	v_max_f32_e32 v46, v47, v46
	v_cndmask_b32_e32 v47, v46, v58, vcc
	v_and_b32_e32 v46, 0x7f800000, v47
	v_cmp_ne_u32_e64 s[24:25], s68, v46
                                        ; implicit-def: $vgpr46
	s_and_saveexec_b64 s[40:41], s[24:25]
	s_xor_b64 s[24:25], exec, s[40:41]
; %bb.1222:                             ;   in Loop: Header=BB8_1221 Depth=3
	v_bfe_u32 v46, v47, 16, 1
	v_add3_u32 v46, v47, v46, s69
                                        ; implicit-def: $vgpr47
; %bb.1223:                             ;   in Loop: Header=BB8_1221 Depth=3
	s_andn2_saveexec_b64 s[40:41], s[24:25]
; %bb.1224:                             ;   in Loop: Header=BB8_1221 Depth=3
	v_or_b32_e32 v46, 0x10000, v47
	v_cmp_eq_u32_sdwa s[24:25], v47, v3 src0_sel:WORD_0 src1_sel:DWORD
	s_nop 1
	v_cndmask_b32_e64 v46, v46, v47, s[24:25]
; %bb.1225:                             ;   in Loop: Header=BB8_1221 Depth=3
	s_or_b64 exec, exec, s[40:41]
	v_and_b32_e32 v20, 0xffff0000, v20
	v_and_b32_e32 v16, 0xffff0000, v16
	v_max_f32_e32 v16, v16, v16
	v_max_f32_e32 v20, v20, v20
	v_min_f32_e32 v47, v20, v16
	v_max_f32_e32 v16, v20, v16
	v_cndmask_b32_e32 v16, v16, v47, vcc
	v_and_b32_e32 v20, 0x7f800000, v16
	v_cmp_ne_u32_e64 s[24:25], s68, v20
                                        ; implicit-def: $vgpr20
	s_and_saveexec_b64 s[40:41], s[24:25]
	s_xor_b64 s[24:25], exec, s[40:41]
; %bb.1226:                             ;   in Loop: Header=BB8_1221 Depth=3
	v_bfe_u32 v20, v16, 16, 1
	v_add3_u32 v20, v16, v20, s69
                                        ; implicit-def: $vgpr16
; %bb.1227:                             ;   in Loop: Header=BB8_1221 Depth=3
	s_andn2_saveexec_b64 s[40:41], s[24:25]
; %bb.1228:                             ;   in Loop: Header=BB8_1221 Depth=3
	v_or_b32_e32 v20, 0x10000, v16
	v_cmp_eq_u32_sdwa s[24:25], v16, v3 src0_sel:WORD_0 src1_sel:DWORD
	s_nop 1
	v_cndmask_b32_e64 v20, v20, v16, s[24:25]
; %bb.1229:                             ;   in Loop: Header=BB8_1221 Depth=3
	s_or_b64 exec, exec, s[40:41]
	v_lshlrev_b32_e32 v16, 16, v21
	v_lshlrev_b32_e32 v47, 16, v17
	v_max_f32_e32 v47, v47, v47
	v_max_f32_e32 v16, v16, v16
	v_min_f32_e32 v58, v16, v47
	v_max_f32_e32 v16, v16, v47
	v_cndmask_b32_e32 v16, v16, v58, vcc
	v_and_b32_e32 v47, 0x7f800000, v16
	v_cmp_ne_u32_e64 s[24:25], s68, v47
                                        ; implicit-def: $vgpr47
	s_and_saveexec_b64 s[40:41], s[24:25]
	s_xor_b64 s[24:25], exec, s[40:41]
; %bb.1230:                             ;   in Loop: Header=BB8_1221 Depth=3
	v_bfe_u32 v47, v16, 16, 1
	v_add3_u32 v47, v16, v47, s69
                                        ; implicit-def: $vgpr16
; %bb.1231:                             ;   in Loop: Header=BB8_1221 Depth=3
	s_andn2_saveexec_b64 s[40:41], s[24:25]
; %bb.1232:                             ;   in Loop: Header=BB8_1221 Depth=3
	v_or_b32_e32 v47, 0x10000, v16
	v_cmp_eq_u32_sdwa s[24:25], v16, v3 src0_sel:WORD_0 src1_sel:DWORD
	s_nop 1
	v_cndmask_b32_e64 v47, v47, v16, s[24:25]
; %bb.1233:                             ;   in Loop: Header=BB8_1221 Depth=3
	s_or_b64 exec, exec, s[40:41]
	v_and_b32_e32 v16, 0xffff0000, v21
	v_and_b32_e32 v17, 0xffff0000, v17
	v_max_f32_e32 v17, v17, v17
	v_max_f32_e32 v16, v16, v16
	v_min_f32_e32 v21, v16, v17
	v_max_f32_e32 v16, v16, v17
	v_cndmask_b32_e32 v16, v16, v21, vcc
	v_and_b32_e32 v17, 0x7f800000, v16
	v_cmp_ne_u32_e64 s[24:25], s68, v17
                                        ; implicit-def: $vgpr21
	s_and_saveexec_b64 s[40:41], s[24:25]
	s_xor_b64 s[24:25], exec, s[40:41]
; %bb.1234:                             ;   in Loop: Header=BB8_1221 Depth=3
	v_bfe_u32 v17, v16, 16, 1
	v_add3_u32 v21, v16, v17, s69
                                        ; implicit-def: $vgpr16
; %bb.1235:                             ;   in Loop: Header=BB8_1221 Depth=3
	s_andn2_saveexec_b64 s[40:41], s[24:25]
; %bb.1236:                             ;   in Loop: Header=BB8_1221 Depth=3
	v_or_b32_e32 v17, 0x10000, v16
	v_cmp_eq_u32_sdwa s[24:25], v16, v3 src0_sel:WORD_0 src1_sel:DWORD
	s_nop 1
	v_cndmask_b32_e64 v21, v17, v16, s[24:25]
; %bb.1237:                             ;   in Loop: Header=BB8_1221 Depth=3
	s_or_b64 exec, exec, s[40:41]
	v_lshlrev_b32_e32 v16, 16, v22
	v_lshlrev_b32_e32 v17, 16, v18
	v_max_f32_e32 v17, v17, v17
	v_max_f32_e32 v16, v16, v16
	v_min_f32_e32 v58, v16, v17
	v_max_f32_e32 v16, v16, v17
	v_cndmask_b32_e32 v16, v16, v58, vcc
	v_and_b32_e32 v17, 0x7f800000, v16
	v_cmp_ne_u32_e64 s[24:25], s68, v17
                                        ; implicit-def: $vgpr58
	s_and_saveexec_b64 s[40:41], s[24:25]
	s_xor_b64 s[24:25], exec, s[40:41]
; %bb.1238:                             ;   in Loop: Header=BB8_1221 Depth=3
	v_bfe_u32 v17, v16, 16, 1
	v_add3_u32 v58, v16, v17, s69
                                        ; implicit-def: $vgpr16
; %bb.1239:                             ;   in Loop: Header=BB8_1221 Depth=3
	s_andn2_saveexec_b64 s[40:41], s[24:25]
; %bb.1240:                             ;   in Loop: Header=BB8_1221 Depth=3
	v_or_b32_e32 v17, 0x10000, v16
	v_cmp_eq_u32_sdwa s[24:25], v16, v3 src0_sel:WORD_0 src1_sel:DWORD
	s_nop 1
	v_cndmask_b32_e64 v58, v17, v16, s[24:25]
; %bb.1241:                             ;   in Loop: Header=BB8_1221 Depth=3
	s_or_b64 exec, exec, s[40:41]
	v_and_b32_e32 v16, 0xffff0000, v22
	v_and_b32_e32 v17, 0xffff0000, v18
	v_max_f32_e32 v17, v17, v17
	v_max_f32_e32 v16, v16, v16
	v_min_f32_e32 v18, v16, v17
	v_max_f32_e32 v16, v16, v17
	v_cndmask_b32_e32 v16, v16, v18, vcc
	v_and_b32_e32 v17, 0x7f800000, v16
	v_cmp_ne_u32_e64 s[24:25], s68, v17
                                        ; implicit-def: $vgpr18
	s_and_saveexec_b64 s[40:41], s[24:25]
	s_xor_b64 s[24:25], exec, s[40:41]
; %bb.1242:                             ;   in Loop: Header=BB8_1221 Depth=3
	v_bfe_u32 v17, v16, 16, 1
	v_add3_u32 v18, v16, v17, s69
                                        ; implicit-def: $vgpr16
; %bb.1243:                             ;   in Loop: Header=BB8_1221 Depth=3
	s_andn2_saveexec_b64 s[40:41], s[24:25]
; %bb.1244:                             ;   in Loop: Header=BB8_1221 Depth=3
	v_or_b32_e32 v17, 0x10000, v16
	v_cmp_eq_u32_sdwa s[24:25], v16, v3 src0_sel:WORD_0 src1_sel:DWORD
	s_nop 1
	v_cndmask_b32_e64 v18, v17, v16, s[24:25]
; %bb.1245:                             ;   in Loop: Header=BB8_1221 Depth=3
	s_or_b64 exec, exec, s[40:41]
	v_lshlrev_b32_e32 v16, 16, v23
	v_lshlrev_b32_e32 v17, 16, v19
	v_max_f32_e32 v17, v17, v17
	v_max_f32_e32 v16, v16, v16
	v_min_f32_e32 v22, v16, v17
	v_max_f32_e32 v16, v16, v17
	v_cndmask_b32_e32 v16, v16, v22, vcc
	v_and_b32_e32 v17, 0x7f800000, v16
	v_cmp_ne_u32_e64 s[24:25], s68, v17
                                        ; implicit-def: $vgpr22
	s_and_saveexec_b64 s[40:41], s[24:25]
	s_xor_b64 s[24:25], exec, s[40:41]
; %bb.1246:                             ;   in Loop: Header=BB8_1221 Depth=3
	v_bfe_u32 v17, v16, 16, 1
	v_add3_u32 v22, v16, v17, s69
                                        ; implicit-def: $vgpr16
; %bb.1247:                             ;   in Loop: Header=BB8_1221 Depth=3
	s_andn2_saveexec_b64 s[40:41], s[24:25]
; %bb.1248:                             ;   in Loop: Header=BB8_1221 Depth=3
	v_or_b32_e32 v17, 0x10000, v16
	v_cmp_eq_u32_sdwa s[24:25], v16, v3 src0_sel:WORD_0 src1_sel:DWORD
	s_nop 1
	v_cndmask_b32_e64 v22, v17, v16, s[24:25]
; %bb.1249:                             ;   in Loop: Header=BB8_1221 Depth=3
	s_or_b64 exec, exec, s[40:41]
	v_and_b32_e32 v16, 0xffff0000, v23
	v_and_b32_e32 v17, 0xffff0000, v19
	v_max_f32_e32 v17, v17, v17
	v_max_f32_e32 v16, v16, v16
	v_min_f32_e32 v19, v16, v17
	v_max_f32_e32 v16, v16, v17
	v_cndmask_b32_e32 v16, v16, v19, vcc
	v_and_b32_e32 v17, 0x7f800000, v16
	v_cmp_ne_u32_e64 s[24:25], s68, v17
                                        ; implicit-def: $vgpr19
	s_and_saveexec_b64 s[40:41], s[24:25]
	s_xor_b64 s[24:25], exec, s[40:41]
; %bb.1250:                             ;   in Loop: Header=BB8_1221 Depth=3
	v_bfe_u32 v17, v16, 16, 1
	v_add3_u32 v19, v16, v17, s69
                                        ; implicit-def: $vgpr16
; %bb.1251:                             ;   in Loop: Header=BB8_1221 Depth=3
	s_andn2_saveexec_b64 s[40:41], s[24:25]
; %bb.1252:                             ;   in Loop: Header=BB8_1221 Depth=3
	v_or_b32_e32 v17, 0x10000, v16
	v_cmp_eq_u32_sdwa s[24:25], v16, v3 src0_sel:WORD_0 src1_sel:DWORD
	s_nop 1
	v_cndmask_b32_e64 v19, v17, v16, s[24:25]
; %bb.1253:                             ;   in Loop: Header=BB8_1221 Depth=3
	s_or_b64 exec, exec, s[40:41]
	v_lshrrev_b32_e32 v23, 16, v47
	v_and_or_b32 v89, v21, s70, v23
	v_lshrrev_b32_e32 v21, 16, v46
	v_and_or_b32 v88, v20, s70, v21
	;; [unrolled: 2-line block ×4, first 2 shown]
	v_lshlrev_b32_e32 v18, 16, v12
	v_lshlrev_b32_e32 v19, 16, v8
	v_max_f32_e32 v19, v19, v19
	v_max_f32_e32 v18, v18, v18
	v_min_f32_e32 v20, v18, v19
	v_max_f32_e32 v18, v18, v19
	v_cndmask_b32_e32 v19, v18, v20, vcc
	v_and_b32_e32 v18, 0x7f800000, v19
	v_lshl_add_u64 v[16:17], v[42:43], 0, v[44:45]
	v_cmp_ne_u32_e64 s[24:25], s68, v18
	global_store_dwordx4 v[16:17], v[88:91], off
                                        ; implicit-def: $vgpr18
	s_and_saveexec_b64 s[40:41], s[24:25]
	s_xor_b64 s[24:25], exec, s[40:41]
; %bb.1254:                             ;   in Loop: Header=BB8_1221 Depth=3
	v_bfe_u32 v18, v19, 16, 1
	v_add3_u32 v18, v19, v18, s69
                                        ; implicit-def: $vgpr19
; %bb.1255:                             ;   in Loop: Header=BB8_1221 Depth=3
	s_andn2_saveexec_b64 s[40:41], s[24:25]
; %bb.1256:                             ;   in Loop: Header=BB8_1221 Depth=3
	v_or_b32_e32 v18, 0x10000, v19
	v_cmp_eq_u32_sdwa s[24:25], v19, v3 src0_sel:WORD_0 src1_sel:DWORD
	s_nop 1
	v_cndmask_b32_e64 v18, v18, v19, s[24:25]
; %bb.1257:                             ;   in Loop: Header=BB8_1221 Depth=3
	s_or_b64 exec, exec, s[40:41]
	v_and_b32_e32 v12, 0xffff0000, v12
	v_and_b32_e32 v8, 0xffff0000, v8
	v_max_f32_e32 v8, v8, v8
	v_max_f32_e32 v12, v12, v12
	v_min_f32_e32 v19, v12, v8
	v_max_f32_e32 v8, v12, v8
	v_cndmask_b32_e32 v12, v8, v19, vcc
	v_and_b32_e32 v8, 0x7f800000, v12
	v_cmp_ne_u32_e64 s[24:25], s68, v8
                                        ; implicit-def: $vgpr8
	s_and_saveexec_b64 s[40:41], s[24:25]
	s_xor_b64 s[24:25], exec, s[40:41]
; %bb.1258:                             ;   in Loop: Header=BB8_1221 Depth=3
	v_bfe_u32 v8, v12, 16, 1
	v_add3_u32 v8, v12, v8, s69
                                        ; implicit-def: $vgpr12
; %bb.1259:                             ;   in Loop: Header=BB8_1221 Depth=3
	s_andn2_saveexec_b64 s[40:41], s[24:25]
; %bb.1260:                             ;   in Loop: Header=BB8_1221 Depth=3
	v_or_b32_e32 v8, 0x10000, v12
	v_cmp_eq_u32_sdwa s[24:25], v12, v3 src0_sel:WORD_0 src1_sel:DWORD
	s_nop 1
	v_cndmask_b32_e64 v8, v8, v12, s[24:25]
; %bb.1261:                             ;   in Loop: Header=BB8_1221 Depth=3
	s_or_b64 exec, exec, s[40:41]
	v_lshlrev_b32_e32 v12, 16, v13
	v_lshlrev_b32_e32 v19, 16, v9
	v_max_f32_e32 v19, v19, v19
	v_max_f32_e32 v12, v12, v12
	v_min_f32_e32 v20, v12, v19
	v_max_f32_e32 v12, v12, v19
	v_cndmask_b32_e32 v19, v12, v20, vcc
	v_and_b32_e32 v12, 0x7f800000, v19
	v_cmp_ne_u32_e64 s[24:25], s68, v12
                                        ; implicit-def: $vgpr12
	s_and_saveexec_b64 s[40:41], s[24:25]
	s_xor_b64 s[24:25], exec, s[40:41]
; %bb.1262:                             ;   in Loop: Header=BB8_1221 Depth=3
	v_bfe_u32 v12, v19, 16, 1
	v_add3_u32 v12, v19, v12, s69
                                        ; implicit-def: $vgpr19
; %bb.1263:                             ;   in Loop: Header=BB8_1221 Depth=3
	s_andn2_saveexec_b64 s[40:41], s[24:25]
; %bb.1264:                             ;   in Loop: Header=BB8_1221 Depth=3
	v_or_b32_e32 v12, 0x10000, v19
	v_cmp_eq_u32_sdwa s[24:25], v19, v3 src0_sel:WORD_0 src1_sel:DWORD
	s_nop 1
	v_cndmask_b32_e64 v12, v12, v19, s[24:25]
; %bb.1265:                             ;   in Loop: Header=BB8_1221 Depth=3
	s_or_b64 exec, exec, s[40:41]
	v_and_b32_e32 v13, 0xffff0000, v13
	v_and_b32_e32 v9, 0xffff0000, v9
	v_max_f32_e32 v9, v9, v9
	v_max_f32_e32 v13, v13, v13
	v_min_f32_e32 v19, v13, v9
	v_max_f32_e32 v9, v13, v9
	v_cndmask_b32_e32 v13, v9, v19, vcc
	v_and_b32_e32 v9, 0x7f800000, v13
	v_cmp_ne_u32_e64 s[24:25], s68, v9
                                        ; implicit-def: $vgpr9
	s_and_saveexec_b64 s[40:41], s[24:25]
	s_xor_b64 s[24:25], exec, s[40:41]
; %bb.1266:                             ;   in Loop: Header=BB8_1221 Depth=3
	v_bfe_u32 v9, v13, 16, 1
	v_add3_u32 v9, v13, v9, s69
                                        ; implicit-def: $vgpr13
; %bb.1267:                             ;   in Loop: Header=BB8_1221 Depth=3
	s_andn2_saveexec_b64 s[40:41], s[24:25]
; %bb.1268:                             ;   in Loop: Header=BB8_1221 Depth=3
	v_or_b32_e32 v9, 0x10000, v13
	v_cmp_eq_u32_sdwa s[24:25], v13, v3 src0_sel:WORD_0 src1_sel:DWORD
	s_nop 1
	v_cndmask_b32_e64 v9, v9, v13, s[24:25]
; %bb.1269:                             ;   in Loop: Header=BB8_1221 Depth=3
	s_or_b64 exec, exec, s[40:41]
	v_lshlrev_b32_e32 v13, 16, v14
	v_lshlrev_b32_e32 v19, 16, v10
	v_max_f32_e32 v19, v19, v19
	v_max_f32_e32 v13, v13, v13
	v_min_f32_e32 v20, v13, v19
	v_max_f32_e32 v13, v13, v19
	v_cndmask_b32_e32 v19, v13, v20, vcc
	v_and_b32_e32 v13, 0x7f800000, v19
	v_cmp_ne_u32_e64 s[24:25], s68, v13
                                        ; implicit-def: $vgpr13
	s_and_saveexec_b64 s[40:41], s[24:25]
	s_xor_b64 s[24:25], exec, s[40:41]
; %bb.1270:                             ;   in Loop: Header=BB8_1221 Depth=3
	v_bfe_u32 v13, v19, 16, 1
	v_add3_u32 v13, v19, v13, s69
                                        ; implicit-def: $vgpr19
; %bb.1271:                             ;   in Loop: Header=BB8_1221 Depth=3
	s_andn2_saveexec_b64 s[40:41], s[24:25]
; %bb.1272:                             ;   in Loop: Header=BB8_1221 Depth=3
	v_or_b32_e32 v13, 0x10000, v19
	v_cmp_eq_u32_sdwa s[24:25], v19, v3 src0_sel:WORD_0 src1_sel:DWORD
	s_nop 1
	v_cndmask_b32_e64 v13, v13, v19, s[24:25]
; %bb.1273:                             ;   in Loop: Header=BB8_1221 Depth=3
	s_or_b64 exec, exec, s[40:41]
	v_and_b32_e32 v14, 0xffff0000, v14
	v_and_b32_e32 v10, 0xffff0000, v10
	v_max_f32_e32 v10, v10, v10
	v_max_f32_e32 v14, v14, v14
	v_min_f32_e32 v19, v14, v10
	v_max_f32_e32 v10, v14, v10
	v_cndmask_b32_e32 v14, v10, v19, vcc
	v_and_b32_e32 v10, 0x7f800000, v14
	v_cmp_ne_u32_e64 s[24:25], s68, v10
                                        ; implicit-def: $vgpr10
	s_and_saveexec_b64 s[40:41], s[24:25]
	s_xor_b64 s[24:25], exec, s[40:41]
; %bb.1274:                             ;   in Loop: Header=BB8_1221 Depth=3
	v_bfe_u32 v10, v14, 16, 1
	v_add3_u32 v10, v14, v10, s69
                                        ; implicit-def: $vgpr14
; %bb.1275:                             ;   in Loop: Header=BB8_1221 Depth=3
	s_andn2_saveexec_b64 s[40:41], s[24:25]
; %bb.1276:                             ;   in Loop: Header=BB8_1221 Depth=3
	v_or_b32_e32 v10, 0x10000, v14
	v_cmp_eq_u32_sdwa s[24:25], v14, v3 src0_sel:WORD_0 src1_sel:DWORD
	s_nop 1
	v_cndmask_b32_e64 v10, v10, v14, s[24:25]
; %bb.1277:                             ;   in Loop: Header=BB8_1221 Depth=3
	s_or_b64 exec, exec, s[40:41]
	v_lshlrev_b32_e32 v14, 16, v15
	v_lshlrev_b32_e32 v19, 16, v11
	v_max_f32_e32 v19, v19, v19
	v_max_f32_e32 v14, v14, v14
	v_min_f32_e32 v20, v14, v19
	v_max_f32_e32 v14, v14, v19
	v_cndmask_b32_e32 v19, v14, v20, vcc
	v_and_b32_e32 v14, 0x7f800000, v19
	v_cmp_ne_u32_e64 s[24:25], s68, v14
                                        ; implicit-def: $vgpr14
	s_and_saveexec_b64 s[40:41], s[24:25]
	s_xor_b64 s[24:25], exec, s[40:41]
; %bb.1278:                             ;   in Loop: Header=BB8_1221 Depth=3
	v_bfe_u32 v14, v19, 16, 1
	v_add3_u32 v14, v19, v14, s69
                                        ; implicit-def: $vgpr19
; %bb.1279:                             ;   in Loop: Header=BB8_1221 Depth=3
	s_andn2_saveexec_b64 s[40:41], s[24:25]
; %bb.1280:                             ;   in Loop: Header=BB8_1221 Depth=3
	v_or_b32_e32 v14, 0x10000, v19
	v_cmp_eq_u32_sdwa s[24:25], v19, v3 src0_sel:WORD_0 src1_sel:DWORD
	s_nop 1
	v_cndmask_b32_e64 v14, v14, v19, s[24:25]
; %bb.1281:                             ;   in Loop: Header=BB8_1221 Depth=3
	s_or_b64 exec, exec, s[40:41]
	v_and_b32_e32 v15, 0xffff0000, v15
	v_and_b32_e32 v11, 0xffff0000, v11
	v_max_f32_e32 v11, v11, v11
	v_max_f32_e32 v15, v15, v15
	v_min_f32_e32 v19, v15, v11
	v_max_f32_e32 v11, v15, v11
	v_cndmask_b32_e32 v15, v11, v19, vcc
	v_and_b32_e32 v11, 0x7f800000, v15
	v_cmp_ne_u32_e64 s[24:25], s68, v11
                                        ; implicit-def: $vgpr11
	s_and_saveexec_b64 s[40:41], s[24:25]
	s_xor_b64 s[24:25], exec, s[40:41]
; %bb.1282:                             ;   in Loop: Header=BB8_1221 Depth=3
	v_bfe_u32 v11, v15, 16, 1
	v_add3_u32 v11, v15, v11, s69
                                        ; implicit-def: $vgpr15
; %bb.1283:                             ;   in Loop: Header=BB8_1221 Depth=3
	s_andn2_saveexec_b64 s[40:41], s[24:25]
	s_cbranch_execz .LBB8_1220
; %bb.1284:                             ;   in Loop: Header=BB8_1221 Depth=3
	v_or_b32_e32 v11, 0x10000, v15
	v_cmp_eq_u32_sdwa s[24:25], v15, v3 src0_sel:WORD_0 src1_sel:DWORD
	s_nop 1
	v_cndmask_b32_e64 v11, v11, v15, s[24:25]
	s_branch .LBB8_1220
.LBB8_1285:                             ;   in Loop: Header=BB8_1017 Depth=2
	s_or_b64 exec, exec, s[28:29]
.LBB8_1286:                             ;   in Loop: Header=BB8_1017 Depth=2
	s_or_b64 exec, exec, s[26:27]
	s_waitcnt lgkmcnt(0)
	v_lshlrev_b32_e32 v18, 11, v119
	v_cmp_ne_u32_e32 vcc, v2, v18
	s_mov_b64 s[24:25], 0
	v_mov_b32_e32 v12, 0
                                        ; implicit-def: $vgpr13
	s_and_saveexec_b64 s[60:61], vcc
	s_cbranch_execz .LBB8_1292
; %bb.1287:                             ;   in Loop: Header=BB8_1017 Depth=2
	v_lshlrev_b32_e32 v8, 6, v50
	v_sub_u32_e32 v8, v72, v8
	v_ashrrev_i32_e32 v10, 31, v8
	v_lshrrev_b32_e32 v10, 26, v10
	v_add_u32_e32 v10, v8, v10
	v_sub_u32_e32 v9, v2, v18
	v_ashrrev_i32_e32 v11, 6, v10
	v_and_b32_e32 v10, 0xffffffc0, v10
	v_sub_u32_e32 v19, v8, v10
	v_ashrrev_i32_e32 v10, 31, v9
	v_lshrrev_b32_e32 v10, 22, v10
	v_add_u32_e32 v10, v9, v10
	v_and_b32_e32 v20, 0xfffffc00, v10
	v_lshlrev_b32_e32 v8, 4, v19
	v_sub_u32_e32 v21, v9, v20
	v_lshl_add_u32 v8, v11, 10, v8
	v_ashrrev_i32_e32 v12, 10, v10
	v_cmp_lt_i32_e32 vcc, 15, v21
	v_sub_u32_e32 v23, v9, v8
	s_nop 0
	v_addc_co_u32_e64 v9, s[24:25], 0, v12, vcc
	v_sub_u32_e32 v22, v9, v11
	v_cmp_lt_i32_e64 s[24:25], 15, v23
	s_and_saveexec_b64 s[48:49], s[24:25]
	s_cbranch_execz .LBB8_1291
; %bb.1288:                             ;   in Loop: Header=BB8_1017 Depth=2
	s_and_b32 s76, s55, 1
	v_add_u32_e32 v12, v8, v18
	s_cmp_eq_u64 s[76:77], 0
	v_ashrrev_i32_e32 v13, 31, v12
	s_mov_b64 s[50:51], 0
	s_cselect_b64 s[24:25], -1, 0
.LBB8_1289:                             ;   Parent Loop BB8_47 Depth=1
                                        ;     Parent Loop BB8_1017 Depth=2
                                        ; =>    This Inner Loop Header: Depth=3
	v_lshl_add_u64 v[16:17], v[40:41], 0, v[12:13]
	global_load_dwordx4 v[8:11], v[12:13], off nt
	global_load_dwordx4 v[44:47], v[16:17], off nt
	v_sub_u32_e32 v23, v23, v80
	v_cmp_gt_i32_e64 s[26:27], 16, v23
	s_or_b64 s[50:51], s[26:27], s[50:51]
	v_lshl_add_u64 v[14:15], v[42:43], 0, v[12:13]
	v_lshl_add_u64 v[12:13], v[12:13], 0, v[80:81]
	v_sub_u32_e32 v22, v22, v52
	s_waitcnt vmcnt(0)
	v_and_b32_e32 v16, 0xffff0000, v8
	v_lshlrev_b32_e32 v8, 16, v8
	v_and_b32_e32 v17, 0xffff0000, v9
	v_lshlrev_b32_e32 v9, 16, v9
	;; [unrolled: 2-line block ×8, first 2 shown]
	v_max_f32_e32 v8, v8, v8
	v_max_f32_e32 v16, v16, v16
	;; [unrolled: 1-line block ×16, first 2 shown]
	v_min_f32_e32 v79, v44, v8
	v_max_f32_e32 v8, v44, v8
	v_min_f32_e32 v44, v58, v16
	v_max_f32_e32 v16, v58, v16
	;; [unrolled: 2-line block ×8, first 2 shown]
	v_cndmask_b32_e64 v8, v8, v79, s[24:25]
	v_cndmask_b32_e64 v16, v16, v44, s[24:25]
	;; [unrolled: 1-line block ×8, first 2 shown]
	v_and_b32_e32 v44, 0x7f800000, v8
	v_bfe_u32 v45, v8, 16, 1
	v_or_b32_e32 v46, 0x10000, v8
	v_cmp_eq_u32_sdwa s[26:27], v8, v3 src0_sel:WORD_0 src1_sel:DWORD
	v_and_b32_e32 v47, 0x7f800000, v16
	v_bfe_u32 v58, v16, 16, 1
	v_or_b32_e32 v59, 0x10000, v16
	v_cmp_eq_u32_sdwa s[28:29], v16, v3 src0_sel:WORD_0 src1_sel:DWORD
	;; [unrolled: 4-line block ×3, first 2 shown]
	v_bfe_u32 v89, v17, 16, 1
	v_or_b32_e32 v90, 0x10000, v17
	v_cmp_eq_u32_sdwa s[42:43], v17, v3 src0_sel:WORD_0 src1_sel:DWORD
	v_and_b32_e32 v91, 0x7f800000, v10
	v_bfe_u32 v92, v10, 16, 1
	v_or_b32_e32 v93, 0x10000, v10
	v_cmp_eq_u32_sdwa s[44:45], v10, v3 src0_sel:WORD_0 src1_sel:DWORD
	v_bfe_u32 v95, v50, 16, 1
	v_or_b32_e32 v106, 0x10000, v50
	v_cmp_eq_u32_sdwa s[46:47], v50, v3 src0_sel:WORD_0 src1_sel:DWORD
	v_and_b32_e32 v107, 0x7f800000, v11
	v_bfe_u32 v108, v11, 16, 1
	v_or_b32_e32 v109, 0x10000, v11
	v_cmp_eq_u32_sdwa s[56:57], v11, v3 src0_sel:WORD_0 src1_sel:DWORD
	v_bfe_u32 v111, v119, 16, 1
	v_or_b32_e32 v120, 0x10000, v119
	v_cmp_eq_u32_sdwa s[58:59], v119, v3 src0_sel:WORD_0 src1_sel:DWORD
	v_and_b32_e32 v88, 0x7f800000, v17
	v_and_b32_e32 v94, 0x7f800000, v50
	;; [unrolled: 1-line block ×3, first 2 shown]
	v_add3_u32 v45, v8, v45, s69
	v_cndmask_b32_e64 v8, v46, v8, s[26:27]
	v_add3_u32 v46, v16, v58, s69
	v_cndmask_b32_e64 v16, v59, v16, s[28:29]
	v_cmp_eq_u32_e64 s[26:27], s68, v47
	v_add3_u32 v47, v9, v61, s69
	v_cndmask_b32_e64 v9, v79, v9, s[40:41]
	v_cmp_eq_u32_e64 s[28:29], s68, v60
	v_add3_u32 v58, v17, v89, s69
	v_cndmask_b32_e64 v17, v90, v17, s[42:43]
	v_add3_u32 v59, v10, v92, s69
	v_cndmask_b32_e64 v10, v93, v10, s[44:45]
	v_cmp_eq_u32_e64 s[42:43], s68, v91
	v_add3_u32 v60, v50, v95, s69
	v_cndmask_b32_e64 v50, v106, v50, s[46:47]
	v_add3_u32 v61, v11, v108, s69
	v_cndmask_b32_e64 v11, v109, v11, s[56:57]
	v_cmp_eq_u32_e64 s[46:47], s68, v107
	v_add3_u32 v79, v119, v111, s69
	v_cndmask_b32_e64 v119, v120, v119, s[58:59]
	v_cmp_eq_u32_e64 s[58:59], s68, v44
	v_cmp_eq_u32_e64 s[40:41], s68, v88
	;; [unrolled: 1-line block ×4, first 2 shown]
	v_cndmask_b32_e64 v8, v45, v8, s[58:59]
	v_cndmask_b32_e64 v9, v47, v9, s[28:29]
	;; [unrolled: 1-line block ×8, first 2 shown]
	v_lshrrev_b32_e32 v9, 16, v9
	v_lshrrev_b32_e32 v8, 16, v8
	;; [unrolled: 1-line block ×4, first 2 shown]
	v_and_or_b32 v9, v17, s70, v9
	v_and_or_b32 v8, v16, s70, v8
	;; [unrolled: 1-line block ×4, first 2 shown]
	global_store_dwordx4 v[14:15], v[8:11], off
	s_andn2_b64 exec, exec, s[50:51]
	s_cbranch_execnz .LBB8_1289
; %bb.1290:                             ;   in Loop: Header=BB8_1017 Depth=2
	s_or_b64 exec, exec, s[50:51]
.LBB8_1291:                             ;   in Loop: Header=BB8_1017 Depth=2
	s_or_b64 exec, exec, s[48:49]
	v_and_b32_e32 v2, 14, v2
	v_sub_u32_e32 v8, v21, v2
	v_cndmask_b32_e32 v8, 0, v8, vcc
	v_cndmask_b32_e32 v2, v21, v2, vcc
	v_cmp_lt_i32_e32 vcc, 0, v22
	v_add3_u32 v12, v20, v18, v8
	s_nop 0
	v_cndmask_b32_e32 v8, 0, v52, vcc
	v_sub_u32_e32 v8, v8, v22
	v_cmp_ne_u32_e32 vcc, 0, v2
	v_lshl_add_u32 v13, v8, 6, v19
	s_and_b64 s[24:25], vcc, exec
.LBB8_1292:                             ;   in Loop: Header=BB8_1017 Depth=2
	s_or_b64 exec, exec, s[60:61]
	s_and_saveexec_b64 s[40:41], s[24:25]
	s_cbranch_execz .LBB8_1317
.LBB8_1293:                             ;   in Loop: Header=BB8_1017 Depth=2
	v_ashrrev_i32_e32 v8, 31, v13
	v_ashrrev_i32_e32 v9, 31, v2
	v_lshrrev_b32_e32 v8, 26, v8
	v_lshrrev_b32_e32 v9, 23, v9
	v_add_u32_e32 v8, v13, v8
	v_add_u32_e32 v9, v2, v9
	v_ashrrev_i32_e32 v14, 6, v8
	v_ashrrev_i32_e32 v16, 9, v9
	v_sub_u32_e32 v15, v16, v14
	v_cmp_lt_i32_e32 vcc, 0, v15
	s_and_saveexec_b64 s[42:43], vcc
	s_cbranch_execz .LBB8_1313
; %bb.1294:                             ;   in Loop: Header=BB8_1017 Depth=2
	v_and_b32_e32 v8, 0x7fffffc0, v8
	v_sub_u32_e32 v8, v13, v8
	v_lshlrev_b32_e32 v8, 1, v8
	v_lshlrev_b32_e32 v9, 9, v14
	v_add3_u32 v8, v8, v12, v9
	s_and_b32 s76, s55, 1
	v_ashrrev_i32_e32 v9, 31, v8
	s_cmp_eq_u64 s[76:77], 0
	s_mov_b64 s[44:45], 0
	s_cselect_b64 s[24:25], -1, 0
	v_lshl_add_u64 v[8:9], v[8:9], 0, s[94:95]
	s_branch .LBB8_1296
.LBB8_1295:                             ;   in Loop: Header=BB8_1296 Depth=3
	s_or_b64 exec, exec, s[26:27]
	v_sub_u32_e32 v15, v15, v52
	v_cmp_gt_i32_e32 vcc, 1, v15
	s_or_b64 s[44:45], vcc, s[44:45]
	v_lshl_add_u64 v[8:9], v[8:9], 0, v[82:83]
	flat_store_short_d16_hi v[10:11], v18 nt
	s_andn2_b64 exec, exec, s[44:45]
	s_cbranch_execz .LBB8_1312
.LBB8_1296:                             ;   Parent Loop BB8_47 Depth=1
                                        ;     Parent Loop BB8_1017 Depth=2
                                        ; =>    This Inner Loop Header: Depth=3
	v_lshl_add_u64 v[10:11], v[40:41], 0, v[8:9]
	s_waitcnt lgkmcnt(0)
	v_add_co_u32_e32 v18, vcc, 0xffffff00, v10
	s_nop 1
	v_addc_co_u32_e32 v19, vcc, -1, v11, vcc
	v_add_co_u32_e32 v22, vcc, 0xffffff00, v8
	s_mov_b64 s[26:27], vcc
	v_add_co_u32_e32 v44, vcc, s71, v10
	flat_load_ushort v21, v[18:19] nt
	s_nop 0
	v_addc_co_u32_e32 v45, vcc, -1, v11, vcc
	v_add_co_u32_e32 v46, vcc, s66, v8
	s_mov_b64 s[28:29], vcc
	flat_load_ushort v19, v[44:45] offset:256 nt
	flat_load_ushort v50, v[44:45] nt
	v_add_co_u32_e32 v44, vcc, 0xfffffe80, v8
	s_nop 1
	v_addc_co_u32_e32 v45, vcc, -1, v9, vcc
	flat_load_ushort v119, v[44:45] nt
	v_addc_co_u32_e64 v23, vcc, -1, v9, s[26:27]
	flat_load_ushort v22, v[22:23] nt
	v_addc_co_u32_e64 v47, vcc, -1, v9, s[28:29]
	flat_load_ushort v17, v[10:11] nt
	flat_load_ushort v18, v[8:9] nt
	;; [unrolled: 1-line block ×3, first 2 shown]
	s_waitcnt vmcnt(0) lgkmcnt(0)
	v_lshlrev_b32_e32 v10, 16, v50
	v_max_f32_e32 v10, v10, v10
	v_lshlrev_b32_e32 v11, 16, v119
	v_max_f32_e32 v11, v11, v11
	v_min_f32_e32 v23, v10, v11
	v_max_f32_e32 v10, v10, v11
	v_cndmask_b32_e64 v10, v10, v23, s[24:25]
	v_and_b32_e32 v11, 0x7f800000, v10
	v_cmp_ne_u32_e32 vcc, s68, v11
                                        ; implicit-def: $vgpr23
	s_and_saveexec_b64 s[26:27], vcc
	s_xor_b64 s[26:27], exec, s[26:27]
; %bb.1297:                             ;   in Loop: Header=BB8_1296 Depth=3
	v_bfe_u32 v11, v10, 16, 1
	v_add3_u32 v23, v10, v11, s69
                                        ; implicit-def: $vgpr10
; %bb.1298:                             ;   in Loop: Header=BB8_1296 Depth=3
	s_andn2_saveexec_b64 s[26:27], s[26:27]
; %bb.1299:                             ;   in Loop: Header=BB8_1296 Depth=3
	v_or_b32_e32 v11, 0x10000, v10
	v_cmp_eq_u32_sdwa vcc, v10, v3 src0_sel:WORD_0 src1_sel:DWORD
	s_nop 1
	v_cndmask_b32_e32 v23, v11, v10, vcc
; %bb.1300:                             ;   in Loop: Header=BB8_1296 Depth=3
	s_or_b64 exec, exec, s[26:27]
	v_lshl_add_u64 v[10:11], v[42:43], 0, v[8:9]
	v_add_co_u32_e32 v44, vcc, 0xfffffe80, v10
	v_lshlrev_b32_e32 v21, 16, v21
	v_lshlrev_b32_e32 v22, 16, v22
	v_addc_co_u32_e32 v45, vcc, -1, v11, vcc
	v_max_f32_e32 v22, v22, v22
	v_max_f32_e32 v21, v21, v21
	flat_store_short_d16_hi v[44:45], v23 nt
	v_min_f32_e32 v23, v21, v22
	v_max_f32_e32 v21, v21, v22
	v_cndmask_b32_e64 v22, v21, v23, s[24:25]
	v_and_b32_e32 v21, 0x7f800000, v22
	v_cmp_ne_u32_e32 vcc, s68, v21
                                        ; implicit-def: $vgpr21
	s_and_saveexec_b64 s[26:27], vcc
	s_xor_b64 s[26:27], exec, s[26:27]
; %bb.1301:                             ;   in Loop: Header=BB8_1296 Depth=3
	v_bfe_u32 v21, v22, 16, 1
	v_add3_u32 v21, v22, v21, s69
                                        ; implicit-def: $vgpr22
; %bb.1302:                             ;   in Loop: Header=BB8_1296 Depth=3
	s_andn2_saveexec_b64 s[26:27], s[26:27]
; %bb.1303:                             ;   in Loop: Header=BB8_1296 Depth=3
	v_or_b32_e32 v21, 0x10000, v22
	v_cmp_eq_u32_sdwa vcc, v22, v3 src0_sel:WORD_0 src1_sel:DWORD
	s_nop 1
	v_cndmask_b32_e32 v21, v21, v22, vcc
; %bb.1304:                             ;   in Loop: Header=BB8_1296 Depth=3
	s_or_b64 exec, exec, s[26:27]
	v_add_co_u32_e32 v22, vcc, 0xffffff00, v10
	v_lshlrev_b32_e32 v19, 16, v19
	v_lshlrev_b32_e32 v20, 16, v20
	v_addc_co_u32_e32 v23, vcc, -1, v11, vcc
	v_max_f32_e32 v20, v20, v20
	v_max_f32_e32 v19, v19, v19
	flat_store_short_d16_hi v[22:23], v21 nt
	v_min_f32_e32 v21, v19, v20
	v_max_f32_e32 v19, v19, v20
	v_cndmask_b32_e64 v20, v19, v21, s[24:25]
	v_and_b32_e32 v19, 0x7f800000, v20
	v_cmp_ne_u32_e32 vcc, s68, v19
                                        ; implicit-def: $vgpr19
	s_and_saveexec_b64 s[26:27], vcc
	s_xor_b64 s[26:27], exec, s[26:27]
; %bb.1305:                             ;   in Loop: Header=BB8_1296 Depth=3
	v_bfe_u32 v19, v20, 16, 1
	v_add3_u32 v19, v20, v19, s69
                                        ; implicit-def: $vgpr20
; %bb.1306:                             ;   in Loop: Header=BB8_1296 Depth=3
	s_andn2_saveexec_b64 s[26:27], s[26:27]
; %bb.1307:                             ;   in Loop: Header=BB8_1296 Depth=3
	v_or_b32_e32 v19, 0x10000, v20
	v_cmp_eq_u32_sdwa vcc, v20, v3 src0_sel:WORD_0 src1_sel:DWORD
	s_nop 1
	v_cndmask_b32_e32 v19, v19, v20, vcc
; %bb.1308:                             ;   in Loop: Header=BB8_1296 Depth=3
	s_or_b64 exec, exec, s[26:27]
	v_add_co_u32_e32 v20, vcc, 0xffffff80, v10
	v_lshlrev_b32_e32 v17, 16, v17
	v_lshlrev_b32_e32 v18, 16, v18
	v_addc_co_u32_e32 v21, vcc, -1, v11, vcc
	v_max_f32_e32 v18, v18, v18
	v_max_f32_e32 v17, v17, v17
	flat_store_short_d16_hi v[20:21], v19 nt
	v_min_f32_e32 v19, v17, v18
	v_max_f32_e32 v17, v17, v18
	v_cndmask_b32_e64 v17, v17, v19, s[24:25]
	v_and_b32_e32 v18, 0x7f800000, v17
	v_cmp_ne_u32_e32 vcc, s68, v18
                                        ; implicit-def: $vgpr18
	s_and_saveexec_b64 s[26:27], vcc
	s_xor_b64 s[26:27], exec, s[26:27]
; %bb.1309:                             ;   in Loop: Header=BB8_1296 Depth=3
	v_bfe_u32 v18, v17, 16, 1
	v_add3_u32 v18, v17, v18, s69
                                        ; implicit-def: $vgpr17
; %bb.1310:                             ;   in Loop: Header=BB8_1296 Depth=3
	s_andn2_saveexec_b64 s[26:27], s[26:27]
	s_cbranch_execz .LBB8_1295
; %bb.1311:                             ;   in Loop: Header=BB8_1296 Depth=3
	v_or_b32_e32 v18, 0x10000, v17
	v_cmp_eq_u32_sdwa vcc, v17, v3 src0_sel:WORD_0 src1_sel:DWORD
	s_nop 1
	v_cndmask_b32_e32 v18, v18, v17, vcc
	s_branch .LBB8_1295
.LBB8_1312:                             ;   in Loop: Header=BB8_1017 Depth=2
	s_or_b64 exec, exec, s[44:45]
.LBB8_1313:                             ;   in Loop: Header=BB8_1017 Depth=2
	s_or_b64 exec, exec, s[42:43]
	v_lshlrev_b32_e32 v8, 9, v16
	v_cmp_ne_u32_e32 vcc, v2, v8
	s_and_b64 exec, exec, vcc
	s_cbranch_execz .LBB8_1317
; %bb.1314:                             ;   in Loop: Header=BB8_1017 Depth=2
	v_lshlrev_b32_e32 v9, 6, v14
	v_sub_u32_e32 v9, v13, v9
	v_lshlrev_b32_e32 v10, 6, v15
	v_sub_u32_e32 v9, v9, v10
	v_ashrrev_i32_e32 v10, 31, v9
	v_lshrrev_b32_e32 v10, 26, v10
	v_add_u32_e32 v10, v9, v10
	v_and_b32_e32 v11, 0x7fffffc0, v10
	v_sub_u32_e32 v9, v9, v11
	v_lshlrev_b32_e32 v10, 1, v10
	v_and_b32_e32 v10, 0xffffff80, v10
	v_lshlrev_b32_e32 v9, 1, v9
	v_add3_u32 v8, v10, v9, v8
	v_sub_u32_e32 v2, v2, v8
	v_cmp_lt_i32_e32 vcc, 1, v2
	s_and_b64 exec, exec, vcc
	s_cbranch_execz .LBB8_1317
; %bb.1315:                             ;   in Loop: Header=BB8_1017 Depth=2
	s_and_b32 s76, s55, 1
	v_add_u32_e32 v8, v8, v12
	s_cmp_eq_u64 s[76:77], 0
	v_ashrrev_i32_e32 v9, 31, v8
	s_mov_b64 s[26:27], 0
	s_cselect_b64 vcc, -1, 0
.LBB8_1316:                             ;   Parent Loop BB8_47 Depth=1
                                        ;     Parent Loop BB8_1017 Depth=2
                                        ; =>    This Inner Loop Header: Depth=3
	v_lshl_add_u64 v[10:11], v[40:41], 0, v[8:9]
	flat_load_ushort v12, v[8:9] nt
	flat_load_ushort v13, v[10:11] nt
	v_sub_u32_e32 v2, v2, v84
	v_cmp_gt_i32_e64 s[24:25], 2, v2
	s_or_b64 s[26:27], s[24:25], s[26:27]
	v_lshl_add_u64 v[10:11], v[42:43], 0, v[8:9]
	v_lshl_add_u64 v[8:9], v[8:9], 0, v[84:85]
	s_waitcnt vmcnt(0) lgkmcnt(0)
	v_lshlrev_b32_e32 v12, 16, v12
	v_lshlrev_b32_e32 v13, 16, v13
	v_max_f32_e32 v12, v12, v12
	v_max_f32_e32 v13, v13, v13
	v_min_f32_e32 v14, v13, v12
	v_max_f32_e32 v12, v13, v12
	v_cndmask_b32_e32 v12, v12, v14, vcc
	v_and_b32_e32 v13, 0x7f800000, v12
	v_bfe_u32 v14, v12, 16, 1
	v_or_b32_e32 v15, 0x10000, v12
	v_cmp_eq_u32_sdwa s[24:25], v12, v3 src0_sel:WORD_0 src1_sel:DWORD
	v_add3_u32 v14, v12, v14, s69
	s_nop 0
	v_cndmask_b32_e64 v12, v15, v12, s[24:25]
	v_cmp_eq_u32_e64 s[24:25], s68, v13
	s_nop 1
	v_cndmask_b32_e64 v12, v14, v12, s[24:25]
	flat_store_short_d16_hi v[10:11], v12 nt
	s_andn2_b64 exec, exec, s[26:27]
	s_cbranch_execnz .LBB8_1316
.LBB8_1317:                             ;   in Loop: Header=BB8_1017 Depth=2
	s_or_b64 exec, exec, s[40:41]
	v_cmp_lt_i32_e64 s[24:25], 0, v57
	s_and_saveexec_b64 s[26:27], s[6:7]
	s_cbranch_execz .LBB8_1336
.LBB8_1318:                             ;   in Loop: Header=BB8_1017 Depth=2
	s_and_saveexec_b64 s[28:29], s[78:79]
	s_xor_b64 s[28:29], exec, s[28:29]
	s_cbranch_execz .LBB8_1333
; %bb.1319:                             ;   in Loop: Header=BB8_1017 Depth=2
	s_and_saveexec_b64 s[40:41], s[14:15]
	s_cbranch_execz .LBB8_1332
; %bb.1320:                             ;   in Loop: Header=BB8_1017 Depth=2
	s_mov_b64 s[44:45], exec
	v_mbcnt_lo_u32_b32 v2, s44, 0
	v_mbcnt_hi_u32_b32 v2, s45, v2
	v_cmp_eq_u32_e32 vcc, 0, v2
	s_waitcnt lgkmcnt(0)
	s_and_saveexec_b64 s[42:43], vcc
	s_cbranch_execz .LBB8_1322
; %bb.1321:                             ;   in Loop: Header=BB8_1017 Depth=2
	s_bcnt1_i32_b64 s44, s[44:45]
	v_mov_b32_e32 v2, s44
	ds_add_u64 v0, v[2:3]
	s_trap 2
.LBB8_1322:                             ;   in Loop: Header=BB8_1017 Depth=2
	s_or_b64 exec, exec, s[42:43]
	s_trap 2
	ds_read_b64 v[8:9], v0
	s_waitcnt lgkmcnt(0)
	v_lshl_add_u64 v[38:39], v[38:39], 0, v[52:53]
	v_cmp_lt_u64_e32 vcc, v[8:9], v[38:39]
	s_and_saveexec_b64 s[42:43], vcc
	s_cbranch_execz .LBB8_1331
; %bb.1323:                             ;   in Loop: Header=BB8_1017 Depth=2
	s_mov_b32 s76, 0
	s_mov_b64 s[44:45], 0
                                        ; implicit-def: $sgpr46_sgpr47
                                        ; implicit-def: $sgpr56_sgpr57
	s_branch .LBB8_1325
.LBB8_1324:                             ;   in Loop: Header=BB8_1325 Depth=3
	s_or_b64 exec, exec, s[60:61]
	s_and_b64 s[58:59], exec, vcc
	s_or_b64 s[44:45], s[58:59], s[44:45]
	s_andn2_b64 s[46:47], s[46:47], exec
	s_and_b64 s[58:59], s[56:57], exec
	s_or_b64 s[46:47], s[46:47], s[58:59]
	s_andn2_b64 exec, exec, s[44:45]
	s_cbranch_execz .LBB8_1329
.LBB8_1325:                             ;   Parent Loop BB8_47 Depth=1
                                        ;     Parent Loop BB8_1017 Depth=2
                                        ; =>    This Inner Loop Header: Depth=3
	s_add_i32 s76, s76, 1
	s_cmpk_lg_i32 s76, 0x2710
	s_cselect_b64 s[58:59], -1, 0
	s_and_b64 vcc, exec, s[58:59]
	s_cbranch_vccz .LBB8_1327
; %bb.1326:                             ;   in Loop: Header=BB8_1325 Depth=3
	s_mov_b64 vcc, -1
	s_or_b64 s[56:57], s[56:57], exec
	s_and_saveexec_b64 s[60:61], s[58:59]
	s_cbranch_execz .LBB8_1324
	s_branch .LBB8_1328
.LBB8_1327:                             ;   in Loop: Header=BB8_1325 Depth=3
	s_trap 2
	ds_read_b64 v[8:9], v0
	s_andn2_b64 s[58:59], s[58:59], exec
	s_mov_b32 s76, 0
	s_waitcnt vmcnt(0) lgkmcnt(0)
	flat_load_dword v2, v[8:9] sc0 sc1
	s_waitcnt vmcnt(0) lgkmcnt(0)
	buffer_inv sc0 sc1
	v_cmp_eq_u32_e32 vcc, 0, v2
	s_and_b64 s[60:61], vcc, exec
	s_or_b64 s[58:59], s[58:59], s[60:61]
	s_mov_b64 vcc, -1
	s_or_b64 s[56:57], s[56:57], exec
	s_and_saveexec_b64 s[60:61], s[58:59]
	s_cbranch_execz .LBB8_1324
.LBB8_1328:                             ;   in Loop: Header=BB8_1325 Depth=3
	s_sleep 1
	s_trap 2
	ds_read_b64 v[8:9], v0
	s_waitcnt lgkmcnt(0)
	s_andn2_b64 s[56:57], s[56:57], exec
	v_cmp_ge_u64_e32 vcc, v[8:9], v[38:39]
	s_orn2_b64 vcc, vcc, exec
	s_branch .LBB8_1324
.LBB8_1329:                             ;   in Loop: Header=BB8_1017 Depth=2
	s_or_b64 exec, exec, s[44:45]
	s_and_saveexec_b64 s[44:45], s[46:47]
	s_xor_b64 s[44:45], exec, s[44:45]
	s_cbranch_execz .LBB8_1331
; %bb.1330:                             ;   in Loop: Header=BB8_1017 Depth=2
	ds_write_b32 v0, v74
	s_trap 2
.LBB8_1331:                             ;   in Loop: Header=BB8_1017 Depth=2
	s_or_b64 exec, exec, s[42:43]
	;;#ASMSTART
	s_wakeup
	;;#ASMEND
.LBB8_1332:                             ;   in Loop: Header=BB8_1017 Depth=2
	s_or_b64 exec, exec, s[40:41]
.LBB8_1333:                             ;   in Loop: Header=BB8_1017 Depth=2
	s_andn2_saveexec_b64 s[28:29], s[28:29]
	s_cbranch_execz .LBB8_1335
; %bb.1334:                             ;   in Loop: Header=BB8_1017 Depth=2
	s_waitcnt lgkmcnt(0)
	s_barrier
.LBB8_1335:                             ;   in Loop: Header=BB8_1017 Depth=2
	s_or_b64 exec, exec, s[28:29]
.LBB8_1336:                             ;   in Loop: Header=BB8_1017 Depth=2
	s_or_b64 exec, exec, s[26:27]
	v_and_b32_e32 v8, 16, v63
	s_and_saveexec_b64 s[26:27], s[22:23]
	s_xor_b64 s[26:27], exec, s[26:27]
	s_cbranch_execz .LBB8_1340
; %bb.1337:                             ;   in Loop: Header=BB8_1017 Depth=2
	v_and_b32_e32 v2, 16, v63
	v_cmp_ne_u32_e32 vcc, 0, v2
	v_and_b32_e32 v8, 16, v63
	s_and_b64 s[28:29], vcc, s[24:25]
	s_and_saveexec_b64 s[24:25], s[28:29]
	s_cbranch_execz .LBB8_1339
; %bb.1338:                             ;   in Loop: Header=BB8_1017 Depth=2
	v_mov_b32_e32 v8, 1
	buffer_wbl2 sc1
	s_waitcnt vmcnt(0) lgkmcnt(0)
	buffer_inv sc1
.LBB8_1339:                             ;   in Loop: Header=BB8_1017 Depth=2
	s_or_b64 exec, exec, s[24:25]
.LBB8_1340:                             ;   in Loop: Header=BB8_1017 Depth=2
	s_andn2_saveexec_b64 s[24:25], s[26:27]
	s_cbranch_execz .LBB8_1359
; %bb.1341:                             ;   in Loop: Header=BB8_1017 Depth=2
	s_and_saveexec_b64 s[26:27], s[78:79]
	s_xor_b64 s[26:27], exec, s[26:27]
	s_cbranch_execz .LBB8_1356
; %bb.1342:                             ;   in Loop: Header=BB8_1017 Depth=2
	s_and_saveexec_b64 s[28:29], s[14:15]
	s_cbranch_execz .LBB8_1355
; %bb.1343:                             ;   in Loop: Header=BB8_1017 Depth=2
	s_mov_b64 s[42:43], exec
	v_mbcnt_lo_u32_b32 v2, s42, 0
	v_mbcnt_hi_u32_b32 v2, s43, v2
	v_cmp_eq_u32_e32 vcc, 0, v2
	;;#ASMSTART
	s_waitcnt lgkmcnt(0) vmcnt(0)
	;;#ASMEND
	s_and_saveexec_b64 s[40:41], vcc
	s_cbranch_execz .LBB8_1345
; %bb.1344:                             ;   in Loop: Header=BB8_1017 Depth=2
	s_bcnt1_i32_b64 s42, s[42:43]
	v_mov_b32_e32 v2, s42
	s_waitcnt lgkmcnt(0)
	ds_add_u64 v0, v[2:3]
	s_trap 2
.LBB8_1345:                             ;   in Loop: Header=BB8_1017 Depth=2
	s_or_b64 exec, exec, s[40:41]
	s_trap 2
	ds_read_b64 v[10:11], v0
	s_waitcnt lgkmcnt(0)
	v_lshl_add_u64 v[38:39], v[38:39], 0, v[52:53]
	v_cmp_lt_u64_e32 vcc, v[10:11], v[38:39]
	s_and_saveexec_b64 s[40:41], vcc
	s_cbranch_execz .LBB8_1354
; %bb.1346:                             ;   in Loop: Header=BB8_1017 Depth=2
	s_mov_b32 s76, 0
	s_mov_b64 s[42:43], 0
                                        ; implicit-def: $sgpr44_sgpr45
                                        ; implicit-def: $sgpr46_sgpr47
	s_branch .LBB8_1348
.LBB8_1347:                             ;   in Loop: Header=BB8_1348 Depth=3
	s_or_b64 exec, exec, s[58:59]
	s_and_b64 s[56:57], exec, s[60:61]
	s_or_b64 s[42:43], s[56:57], s[42:43]
	s_andn2_b64 s[44:45], s[44:45], exec
	s_and_b64 s[56:57], s[46:47], exec
	s_or_b64 s[44:45], s[44:45], s[56:57]
	s_andn2_b64 exec, exec, s[42:43]
	s_cbranch_execz .LBB8_1352
.LBB8_1348:                             ;   Parent Loop BB8_47 Depth=1
                                        ;     Parent Loop BB8_1017 Depth=2
                                        ; =>    This Inner Loop Header: Depth=3
	s_add_i32 s76, s76, 1
	s_cmpk_lg_i32 s76, 0x2710
	s_cselect_b64 s[56:57], -1, 0
	s_and_b64 vcc, exec, s[56:57]
	s_cbranch_vccz .LBB8_1350
; %bb.1349:                             ;   in Loop: Header=BB8_1348 Depth=3
	s_mov_b64 s[60:61], -1
	s_or_b64 s[46:47], s[46:47], exec
	s_and_saveexec_b64 s[58:59], s[56:57]
	s_cbranch_execz .LBB8_1347
	s_branch .LBB8_1351
.LBB8_1350:                             ;   in Loop: Header=BB8_1348 Depth=3
	s_trap 2
	ds_read_b64 v[10:11], v0
	s_andn2_b64 s[56:57], s[56:57], exec
	s_mov_b32 s76, 0
	s_waitcnt vmcnt(0) lgkmcnt(0)
	flat_load_dword v2, v[10:11] sc0 sc1
	s_waitcnt vmcnt(0) lgkmcnt(0)
	buffer_inv sc0 sc1
	v_cmp_eq_u32_e32 vcc, 0, v2
	s_and_b64 s[58:59], vcc, exec
	s_or_b64 s[56:57], s[56:57], s[58:59]
	s_mov_b64 s[60:61], -1
	s_or_b64 s[46:47], s[46:47], exec
	s_and_saveexec_b64 s[58:59], s[56:57]
	s_cbranch_execz .LBB8_1347
.LBB8_1351:                             ;   in Loop: Header=BB8_1348 Depth=3
	s_sleep 1
	s_trap 2
	ds_read_b64 v[10:11], v0
	s_waitcnt lgkmcnt(0)
	s_andn2_b64 s[46:47], s[46:47], exec
	v_cmp_ge_u64_e32 vcc, v[10:11], v[38:39]
	s_orn2_b64 s[60:61], vcc, exec
	s_branch .LBB8_1347
.LBB8_1352:                             ;   in Loop: Header=BB8_1017 Depth=2
	s_or_b64 exec, exec, s[42:43]
	s_and_saveexec_b64 s[42:43], s[44:45]
	s_xor_b64 s[42:43], exec, s[42:43]
	s_cbranch_execz .LBB8_1354
; %bb.1353:                             ;   in Loop: Header=BB8_1017 Depth=2
	ds_write_b32 v0, v74
	s_trap 2
.LBB8_1354:                             ;   in Loop: Header=BB8_1017 Depth=2
	s_or_b64 exec, exec, s[40:41]
	;;#ASMSTART
	s_wakeup
	;;#ASMEND
.LBB8_1355:                             ;   in Loop: Header=BB8_1017 Depth=2
	s_or_b64 exec, exec, s[28:29]
.LBB8_1356:                             ;   in Loop: Header=BB8_1017 Depth=2
	s_andn2_saveexec_b64 s[26:27], s[26:27]
	s_cbranch_execz .LBB8_1358
; %bb.1357:                             ;   in Loop: Header=BB8_1017 Depth=2
	;;#ASMSTART
	s_waitcnt lgkmcnt(0) vmcnt(0)
	;;#ASMEND
	s_barrier
.LBB8_1358:                             ;   in Loop: Header=BB8_1017 Depth=2
	s_or_b64 exec, exec, s[26:27]
.LBB8_1359:                             ;   in Loop: Header=BB8_1017 Depth=2
	s_or_b64 exec, exec, s[24:25]
	v_cmp_ne_u32_e32 vcc, 0, v8
	s_xor_b64 s[24:25], s[10:11], -1
	s_and_b64 s[26:27], vcc, s[24:25]
	s_and_saveexec_b64 s[24:25], s[26:27]
	s_cbranch_execz .LBB8_1361
; %bb.1360:                             ;   in Loop: Header=BB8_1017 Depth=2
	flat_store_dword v[36:37], v74 sc0 sc1
.LBB8_1361:                             ;   in Loop: Header=BB8_1017 Depth=2
	s_or_b64 exec, exec, s[24:25]
	v_and_b32_e32 v2, 48, v63
	v_cmp_ne_u32_e32 vcc, 0, v2
	s_and_saveexec_b64 s[24:25], vcc
	s_cbranch_execz .LBB8_1363
; %bb.1362:                             ;   in Loop: Header=BB8_1017 Depth=2
	v_lshl_add_u64 v[112:113], v[112:113], 0, 4
	flat_store_dwordx2 v[32:33], v[112:113] sc0 sc1
.LBB8_1363:                             ;   in Loop: Header=BB8_1017 Depth=2
	s_or_b64 exec, exec, s[24:25]
	v_mov_b32_e32 v2, v118
	s_or_b64 exec, exec, s[38:39]
	s_and_saveexec_b64 s[26:27], s[62:63]
	s_cbranch_execnz .LBB8_1024
.LBB8_1364:                             ;   in Loop: Header=BB8_1017 Depth=2
	s_or_b64 exec, exec, s[26:27]
	s_add_i32 s24, s54, 1
	s_cmp_eq_u32 s54, s84
	s_cbranch_scc1 .LBB8_1366
.LBB8_1365:                             ;   in Loop: Header=BB8_1017 Depth=2
	s_mov_b32 s54, s24
	s_branch .LBB8_1017
.LBB8_1366:                             ;   in Loop: Header=BB8_47 Depth=1
	v_mul_lo_u32 v2, v103, s85
	v_mul_lo_u32 v10, v102, s86
	v_mad_u64_u32 v[8:9], s[24:25], v102, s85, 0
	v_add3_u32 v9, v9, v10, v2
	v_sub_co_u32_e32 v10, vcc, v114, v8
	v_mov_b32_e32 v14, 0
	s_nop 0
	v_subb_co_u32_e32 v11, vcc, v115, v9, vcc
	v_cmp_lt_i64_e32 vcc, v[102:103], v[10:11]
	s_nop 1
	v_cndmask_b32_e32 v2, v10, v102, vcc
	v_max_i32_e32 v50, 0, v2
	v_add_u32_e32 v10, 15, v50
	v_ashrrev_i32_e32 v11, 31, v10
	v_lshrrev_b32_e32 v11, 28, v11
	v_add_u32_e32 v10, v10, v11
	v_cmp_gt_i32_e32 vcc, 1, v2
	v_and_b32_e32 v10, -16, v10
	s_or_b64 s[60:61], s[2:3], vcc
	s_waitcnt lgkmcnt(0)
	v_max_i32_e32 v42, s83, v10
	s_xor_b64 s[24:25], s[60:61], -1
	s_and_saveexec_b64 s[62:63], s[24:25]
	s_cbranch_execz .LBB8_1582
; %bb.1367:                             ;   in Loop: Header=BB8_47 Depth=1
	s_and_saveexec_b64 s[24:25], s[0:1]
	s_cbranch_execz .LBB8_1369
; %bb.1368:                             ;   in Loop: Header=BB8_47 Depth=1
	s_trap 2
	ds_read_b128 v[10:13], v0
	v_lshl_add_u64 v[8:9], v[8:9], 0, v[116:117]
	v_lshlrev_b64 v[8:9], 1, v[8:9]
	s_waitcnt lgkmcnt(0)
	v_lshl_add_u64 v[10:11], v[10:11], 0, v[8:9]
	v_lshl_add_u64 v[8:9], v[12:13], 0, v[8:9]
	v_cmp_ne_u64_e32 vcc, 0, v[12:13]
	ds_write_b64 v0, v[10:11]
	s_nop 0
	v_cndmask_b32_e32 v9, 0, v9, vcc
	v_cndmask_b32_e32 v8, 0, v8, vcc
	ds_write_b64 v0, v[8:9]
.LBB8_1369:                             ;   in Loop: Header=BB8_47 Depth=1
	s_or_b64 exec, exec, s[24:25]
	v_and_b32_e32 v2, 4, v63
	v_cmp_ne_u32_e32 vcc, 0, v2
	s_and_saveexec_b64 s[26:27], vcc
	s_cbranch_execz .LBB8_1391
; %bb.1370:                             ;   in Loop: Header=BB8_47 Depth=1
	v_lshl_add_u64 v[8:9], v[112:113], 0, 4
	s_waitcnt vmcnt(0)
	v_cmp_lt_u64_e32 vcc, v[48:49], v[8:9]
	s_and_saveexec_b64 s[28:29], vcc
	s_cbranch_execz .LBB8_1382
; %bb.1371:                             ;   in Loop: Header=BB8_47 Depth=1
	v_and_b32_e32 v2, 64, v63
	s_mov_b32 s76, 0
	v_cmp_eq_u32_e32 vcc, 0, v2
	s_mov_b64 s[40:41], 0
                                        ; implicit-def: $sgpr42_sgpr43
                                        ; implicit-def: $sgpr44_sgpr45
                                        ; implicit-def: $sgpr46_sgpr47
	s_branch .LBB8_1375
.LBB8_1372:                             ;   in Loop: Header=BB8_1375 Depth=2
	s_waitcnt vmcnt(0) lgkmcnt(0)
	v_cmp_ge_u64_e64 s[24:25], v[48:49], v[8:9]
	s_or_b64 s[38:39], s[38:39], exec
	s_orn2_b64 s[58:59], s[24:25], exec
.LBB8_1373:                             ;   in Loop: Header=BB8_1375 Depth=2
	s_or_b64 exec, exec, s[50:51]
	s_andn2_b64 s[24:25], s[46:47], exec
	s_and_b64 s[46:47], s[38:39], exec
	s_or_b64 s[46:47], s[24:25], s[46:47]
	s_andn2_b64 s[24:25], s[44:45], exec
	s_and_b64 s[44:45], s[58:59], exec
	s_or_b64 s[44:45], s[24:25], s[44:45]
.LBB8_1374:                             ;   in Loop: Header=BB8_1375 Depth=2
	s_or_b64 exec, exec, s[56:57]
	s_and_b64 s[24:25], exec, s[44:45]
	s_or_b64 s[40:41], s[24:25], s[40:41]
	s_andn2_b64 s[24:25], s[42:43], exec
	s_and_b64 s[42:43], s[46:47], exec
	s_or_b64 s[42:43], s[24:25], s[42:43]
	s_andn2_b64 exec, exec, s[40:41]
	s_cbranch_execz .LBB8_1379
.LBB8_1375:                             ;   Parent Loop BB8_47 Depth=1
                                        ; =>  This Inner Loop Header: Depth=2
	s_sleep 1
	s_waitcnt vmcnt(0) lgkmcnt(0)
	flat_load_dwordx2 v[48:49], v[32:33] sc0 sc1
	s_or_b64 s[46:47], s[46:47], exec
	s_or_b64 s[44:45], s[44:45], exec
                                        ; implicit-def: $vgpr2
	s_and_saveexec_b64 s[56:57], vcc
	s_cbranch_execz .LBB8_1374
; %bb.1376:                             ;   in Loop: Header=BB8_1375 Depth=2
	s_cmpk_lt_i32 s76, 0x270f
	s_cselect_b64 s[48:49], -1, 0
	s_cmpk_gt_i32 s76, 0x270e
	s_mov_b64 s[58:59], -1
	s_cbranch_scc0 .LBB8_1378
; %bb.1377:                             ;   in Loop: Header=BB8_1375 Depth=2
	s_trap 2
	ds_read_b64 v[10:11], v0
	s_andn2_b64 s[48:49], s[48:49], exec
	s_mov_b32 s76, 0
	s_mov_b64 s[38:39], 0
	s_waitcnt vmcnt(0) lgkmcnt(0)
	flat_load_dword v2, v[10:11] sc0 sc1
	s_waitcnt vmcnt(0) lgkmcnt(0)
	buffer_inv sc0 sc1
	v_cmp_eq_u32_e64 s[24:25], 0, v2
	s_and_b64 s[24:25], s[24:25], exec
	s_or_b64 s[48:49], s[48:49], s[24:25]
	s_and_saveexec_b64 s[50:51], s[48:49]
	s_cbranch_execz .LBB8_1373
	s_branch .LBB8_1372
.LBB8_1378:                             ;   in Loop: Header=BB8_1375 Depth=2
	s_add_i32 s76, s76, 1
	s_mov_b64 s[38:39], -1
                                        ; implicit-def: $vgpr2
	s_and_saveexec_b64 s[50:51], s[48:49]
	s_cbranch_execz .LBB8_1373
	s_branch .LBB8_1372
.LBB8_1379:                             ;   in Loop: Header=BB8_47 Depth=1
	s_or_b64 exec, exec, s[40:41]
	s_xor_b64 s[24:25], s[42:43], -1
	s_and_saveexec_b64 s[40:41], s[24:25]
	s_xor_b64 s[24:25], exec, s[40:41]
	s_cbranch_execz .LBB8_1381
; %bb.1380:                             ;   in Loop: Header=BB8_47 Depth=1
	v_or_b32_e32 v63, 64, v63
	s_waitcnt lgkmcnt(0)
	ds_write_b32 v0, v2
	s_trap 2
.LBB8_1381:                             ;   in Loop: Header=BB8_47 Depth=1
	s_or_b64 exec, exec, s[24:25]
.LBB8_1382:                             ;   in Loop: Header=BB8_47 Depth=1
	s_or_b64 exec, exec, s[28:29]
	v_and_b32_e32 v2, 0x100, v63
	v_cmp_ne_u32_e32 vcc, 0, v2
	v_and_b32_e32 v2, 7, v112
	s_mov_b64 s[24:25], -1
	;;#ASMSTART
	s_wakeup
	;;#ASMEND
                                        ; implicit-def: $vgpr10_vgpr11
	s_and_saveexec_b64 s[28:29], vcc
	s_cbranch_execz .LBB8_1386
; %bb.1383:                             ;   in Loop: Header=BB8_47 Depth=1
	v_mad_u64_u32 v[12:13], s[24:25], v2, 24, v[6:7]
	flat_load_dword v10, v[12:13]
	s_waitcnt vmcnt(0) lgkmcnt(0)
	v_cmp_ne_u32_e32 vcc, 1, v10
	v_cmp_eq_u32_e64 s[24:25], 1, v10
                                        ; implicit-def: $vgpr10_vgpr11
	s_and_saveexec_b64 s[40:41], s[24:25]
	s_cbranch_execz .LBB8_1385
; %bb.1384:                             ;   in Loop: Header=BB8_47 Depth=1
	flat_load_dword v10, v[12:13] offset:4 sc0 sc1
	s_waitcnt vmcnt(0) lgkmcnt(0)
	v_ashrrev_i32_e32 v11, 31, v10
	v_lshrrev_b64 v[10:11], 1, v[10:11]
.LBB8_1385:                             ;   in Loop: Header=BB8_47 Depth=1
	s_or_b64 exec, exec, s[40:41]
	s_orn2_b64 s[24:25], vcc, exec
.LBB8_1386:                             ;   in Loop: Header=BB8_47 Depth=1
	s_or_b64 exec, exec, s[28:29]
	s_and_saveexec_b64 s[28:29], s[24:25]
; %bb.1387:                             ;   in Loop: Header=BB8_47 Depth=1
	v_mad_i64_i32 v[10:11], s[24:25], v2, v30, 0
; %bb.1388:                             ;   in Loop: Header=BB8_47 Depth=1
	s_or_b64 exec, exec, s[28:29]
	v_and_b32_e32 v2, 0x2000, v63
	v_lshl_add_u64 v[10:11], v[10:11], 1, v[34:35]
	v_cmp_ne_u32_e32 vcc, 0, v2
	ds_write_b64 v0, v[10:11] offset:720
	s_and_saveexec_b64 s[24:25], vcc
	s_cbranch_execz .LBB8_1390
; %bb.1389:                             ;   in Loop: Header=BB8_47 Depth=1
	ds_read_b64 v[10:11], v0 offset:872
	s_waitcnt lgkmcnt(0)
	v_lshl_add_u64 v[10:11], v[10:11], 0, 1
	ds_write_b64 v0, v[10:11] offset:872
.LBB8_1390:                             ;   in Loop: Header=BB8_47 Depth=1
	s_or_b64 exec, exec, s[24:25]
	v_mov_b64_e32 v[112:113], v[8:9]
.LBB8_1391:                             ;   in Loop: Header=BB8_47 Depth=1
	s_or_b64 exec, exec, s[26:27]
	s_and_saveexec_b64 s[24:25], s[6:7]
	s_cbranch_execz .LBB8_1410
; %bb.1392:                             ;   in Loop: Header=BB8_47 Depth=1
	s_and_saveexec_b64 s[26:27], s[78:79]
	s_xor_b64 s[26:27], exec, s[26:27]
	s_cbranch_execz .LBB8_1407
; %bb.1393:                             ;   in Loop: Header=BB8_47 Depth=1
	s_and_saveexec_b64 s[28:29], s[14:15]
	s_cbranch_execz .LBB8_1406
; %bb.1394:                             ;   in Loop: Header=BB8_47 Depth=1
	s_mov_b64 s[42:43], exec
	v_mbcnt_lo_u32_b32 v2, s42, 0
	v_mbcnt_hi_u32_b32 v2, s43, v2
	v_cmp_eq_u32_e32 vcc, 0, v2
	s_waitcnt lgkmcnt(0)
	s_and_saveexec_b64 s[40:41], vcc
	s_cbranch_execz .LBB8_1396
; %bb.1395:                             ;   in Loop: Header=BB8_47 Depth=1
	s_bcnt1_i32_b64 s42, s[42:43]
	v_mov_b32_e32 v2, s42
	ds_add_u64 v0, v[2:3]
	s_trap 2
.LBB8_1396:                             ;   in Loop: Header=BB8_47 Depth=1
	s_or_b64 exec, exec, s[40:41]
	s_trap 2
	ds_read_b64 v[8:9], v0
	s_waitcnt lgkmcnt(0)
	v_lshl_add_u64 v[38:39], v[38:39], 0, v[52:53]
	v_cmp_lt_u64_e32 vcc, v[8:9], v[38:39]
	s_and_saveexec_b64 s[40:41], vcc
	s_cbranch_execz .LBB8_1405
; %bb.1397:                             ;   in Loop: Header=BB8_47 Depth=1
	s_mov_b32 s76, 0
	s_mov_b64 s[42:43], 0
                                        ; implicit-def: $sgpr44_sgpr45
                                        ; implicit-def: $sgpr46_sgpr47
	s_branch .LBB8_1399
.LBB8_1398:                             ;   in Loop: Header=BB8_1399 Depth=2
	s_or_b64 exec, exec, s[58:59]
	s_and_b64 s[56:57], exec, vcc
	s_or_b64 s[42:43], s[56:57], s[42:43]
	s_andn2_b64 s[44:45], s[44:45], exec
	s_and_b64 s[56:57], s[46:47], exec
	s_or_b64 s[44:45], s[44:45], s[56:57]
	s_andn2_b64 exec, exec, s[42:43]
	s_cbranch_execz .LBB8_1403
.LBB8_1399:                             ;   Parent Loop BB8_47 Depth=1
                                        ; =>  This Inner Loop Header: Depth=2
	s_add_i32 s76, s76, 1
	s_cmpk_lg_i32 s76, 0x2710
	s_cselect_b64 s[56:57], -1, 0
	s_and_b64 vcc, exec, s[56:57]
	s_cbranch_vccz .LBB8_1401
; %bb.1400:                             ;   in Loop: Header=BB8_1399 Depth=2
	s_mov_b64 vcc, -1
	s_or_b64 s[46:47], s[46:47], exec
	s_and_saveexec_b64 s[58:59], s[56:57]
	s_cbranch_execz .LBB8_1398
	s_branch .LBB8_1402
.LBB8_1401:                             ;   in Loop: Header=BB8_1399 Depth=2
	s_trap 2
	ds_read_b64 v[8:9], v0
	s_andn2_b64 s[56:57], s[56:57], exec
	s_mov_b32 s76, 0
	s_waitcnt vmcnt(0) lgkmcnt(0)
	flat_load_dword v2, v[8:9] sc0 sc1
	s_waitcnt vmcnt(0) lgkmcnt(0)
	buffer_inv sc0 sc1
	v_cmp_eq_u32_e32 vcc, 0, v2
	s_and_b64 s[58:59], vcc, exec
	s_or_b64 s[56:57], s[56:57], s[58:59]
	s_mov_b64 vcc, -1
	s_or_b64 s[46:47], s[46:47], exec
	s_and_saveexec_b64 s[58:59], s[56:57]
	s_cbranch_execz .LBB8_1398
.LBB8_1402:                             ;   in Loop: Header=BB8_1399 Depth=2
	s_sleep 1
	s_trap 2
	ds_read_b64 v[8:9], v0
	s_waitcnt lgkmcnt(0)
	s_andn2_b64 s[46:47], s[46:47], exec
	v_cmp_ge_u64_e32 vcc, v[8:9], v[38:39]
	s_orn2_b64 vcc, vcc, exec
	s_branch .LBB8_1398
.LBB8_1403:                             ;   in Loop: Header=BB8_47 Depth=1
	s_or_b64 exec, exec, s[42:43]
	s_and_saveexec_b64 s[42:43], s[44:45]
	s_xor_b64 s[42:43], exec, s[42:43]
	s_cbranch_execz .LBB8_1405
; %bb.1404:                             ;   in Loop: Header=BB8_47 Depth=1
	ds_write_b32 v0, v74
	s_trap 2
.LBB8_1405:                             ;   in Loop: Header=BB8_47 Depth=1
	s_or_b64 exec, exec, s[40:41]
	;;#ASMSTART
	s_wakeup
	;;#ASMEND
.LBB8_1406:                             ;   in Loop: Header=BB8_47 Depth=1
	s_or_b64 exec, exec, s[28:29]
.LBB8_1407:                             ;   in Loop: Header=BB8_47 Depth=1
	s_andn2_saveexec_b64 s[26:27], s[26:27]
	s_cbranch_execz .LBB8_1409
; %bb.1408:                             ;   in Loop: Header=BB8_47 Depth=1
	s_waitcnt lgkmcnt(0)
	s_barrier
.LBB8_1409:                             ;   in Loop: Header=BB8_47 Depth=1
	s_or_b64 exec, exec, s[26:27]
.LBB8_1410:                             ;   in Loop: Header=BB8_47 Depth=1
	s_or_b64 exec, exec, s[24:25]
	s_trap 2
	ds_read_b32 v8, v0
	v_and_b32_e32 v2, 0x4000, v63
	v_cmp_ne_u32_e32 vcc, 0, v2
	s_xor_b64 s[24:25], s[4:5], -1
	s_and_b64 s[26:27], s[24:25], vcc
	s_and_saveexec_b64 s[24:25], s[26:27]
	s_cbranch_execz .LBB8_1429
; %bb.1411:                             ;   in Loop: Header=BB8_47 Depth=1
	s_and_saveexec_b64 s[26:27], s[78:79]
	s_xor_b64 s[26:27], exec, s[26:27]
	s_cbranch_execz .LBB8_1426
; %bb.1412:                             ;   in Loop: Header=BB8_47 Depth=1
	s_and_saveexec_b64 s[28:29], s[14:15]
	s_cbranch_execz .LBB8_1425
; %bb.1413:                             ;   in Loop: Header=BB8_47 Depth=1
	s_mov_b64 s[42:43], exec
	v_mbcnt_lo_u32_b32 v2, s42, 0
	v_mbcnt_hi_u32_b32 v2, s43, v2
	v_cmp_eq_u32_e32 vcc, 0, v2
	s_waitcnt lgkmcnt(0)
	s_and_saveexec_b64 s[40:41], vcc
	s_cbranch_execz .LBB8_1415
; %bb.1414:                             ;   in Loop: Header=BB8_47 Depth=1
	s_bcnt1_i32_b64 s42, s[42:43]
	v_mov_b32_e32 v2, s42
	ds_add_u64 v0, v[2:3]
	s_trap 2
.LBB8_1415:                             ;   in Loop: Header=BB8_47 Depth=1
	s_or_b64 exec, exec, s[40:41]
	s_trap 2
	ds_read_b64 v[10:11], v0
	s_waitcnt lgkmcnt(0)
	v_lshl_add_u64 v[38:39], v[38:39], 0, v[52:53]
	v_cmp_lt_u64_e32 vcc, v[10:11], v[38:39]
	s_and_saveexec_b64 s[40:41], vcc
	s_cbranch_execz .LBB8_1424
; %bb.1416:                             ;   in Loop: Header=BB8_47 Depth=1
	s_mov_b32 s76, 0
	s_mov_b64 s[42:43], 0
                                        ; implicit-def: $sgpr44_sgpr45
                                        ; implicit-def: $sgpr46_sgpr47
	s_branch .LBB8_1418
.LBB8_1417:                             ;   in Loop: Header=BB8_1418 Depth=2
	s_or_b64 exec, exec, s[58:59]
	s_and_b64 s[56:57], exec, vcc
	s_or_b64 s[42:43], s[56:57], s[42:43]
	s_andn2_b64 s[44:45], s[44:45], exec
	s_and_b64 s[56:57], s[46:47], exec
	s_or_b64 s[44:45], s[44:45], s[56:57]
	s_andn2_b64 exec, exec, s[42:43]
	s_cbranch_execz .LBB8_1422
.LBB8_1418:                             ;   Parent Loop BB8_47 Depth=1
                                        ; =>  This Inner Loop Header: Depth=2
	s_add_i32 s76, s76, 1
	s_cmpk_lg_i32 s76, 0x2710
	s_cselect_b64 s[56:57], -1, 0
	s_and_b64 vcc, exec, s[56:57]
	s_cbranch_vccz .LBB8_1420
; %bb.1419:                             ;   in Loop: Header=BB8_1418 Depth=2
	s_mov_b64 vcc, -1
	s_or_b64 s[46:47], s[46:47], exec
	s_and_saveexec_b64 s[58:59], s[56:57]
	s_cbranch_execz .LBB8_1417
	s_branch .LBB8_1421
.LBB8_1420:                             ;   in Loop: Header=BB8_1418 Depth=2
	s_trap 2
	ds_read_b64 v[10:11], v0
	s_andn2_b64 s[56:57], s[56:57], exec
	s_mov_b32 s76, 0
	s_waitcnt vmcnt(0) lgkmcnt(0)
	flat_load_dword v2, v[10:11] sc0 sc1
	s_waitcnt vmcnt(0) lgkmcnt(0)
	buffer_inv sc0 sc1
	v_cmp_eq_u32_e32 vcc, 0, v2
	s_and_b64 s[58:59], vcc, exec
	s_or_b64 s[56:57], s[56:57], s[58:59]
	s_mov_b64 vcc, -1
	s_or_b64 s[46:47], s[46:47], exec
	s_and_saveexec_b64 s[58:59], s[56:57]
	s_cbranch_execz .LBB8_1417
.LBB8_1421:                             ;   in Loop: Header=BB8_1418 Depth=2
	s_sleep 1
	s_trap 2
	ds_read_b64 v[10:11], v0
	s_waitcnt lgkmcnt(0)
	s_andn2_b64 s[46:47], s[46:47], exec
	v_cmp_ge_u64_e32 vcc, v[10:11], v[38:39]
	s_orn2_b64 vcc, vcc, exec
	s_branch .LBB8_1417
.LBB8_1422:                             ;   in Loop: Header=BB8_47 Depth=1
	s_or_b64 exec, exec, s[42:43]
	s_and_saveexec_b64 s[42:43], s[44:45]
	s_xor_b64 s[42:43], exec, s[42:43]
	s_cbranch_execz .LBB8_1424
; %bb.1423:                             ;   in Loop: Header=BB8_47 Depth=1
	ds_write_b32 v0, v74
	s_trap 2
.LBB8_1424:                             ;   in Loop: Header=BB8_47 Depth=1
	s_or_b64 exec, exec, s[40:41]
	;;#ASMSTART
	s_wakeup
	;;#ASMEND
.LBB8_1425:                             ;   in Loop: Header=BB8_47 Depth=1
	s_or_b64 exec, exec, s[28:29]
.LBB8_1426:                             ;   in Loop: Header=BB8_47 Depth=1
	s_andn2_saveexec_b64 s[26:27], s[26:27]
	s_cbranch_execz .LBB8_1428
; %bb.1427:                             ;   in Loop: Header=BB8_47 Depth=1
	s_waitcnt lgkmcnt(0)
	s_barrier
.LBB8_1428:                             ;   in Loop: Header=BB8_47 Depth=1
	s_or_b64 exec, exec, s[26:27]
.LBB8_1429:                             ;   in Loop: Header=BB8_47 Depth=1
	s_or_b64 exec, exec, s[24:25]
	s_trap 2
	ds_read_b64 v[114:115], v0
	v_min_i32_e32 v42, v42, v50
	s_waitcnt lgkmcnt(0)
	v_cmp_eq_u64_e32 vcc, 0, v[114:115]
	s_cbranch_vccnz .LBB8_1437
; %bb.1430:                             ;   in Loop: Header=BB8_47 Depth=1
	s_trap 2
	ds_read_b64 v[116:117], v0
	s_waitcnt lgkmcnt(0)
	v_cmp_eq_u64_e32 vcc, 0, v[116:117]
	s_cbranch_vccnz .LBB8_1437
; %bb.1431:                             ;   in Loop: Header=BB8_47 Depth=1
	s_trap 2
	ds_read_b64 v[118:119], v0
	s_mov_b64 s[26:27], -1
	s_waitcnt lgkmcnt(0)
	v_readfirstlane_b32 s52, v118
	s_and_saveexec_b64 s[24:25], s[18:19]
	s_cbranch_execz .LBB8_1433
; %bb.1432:                             ;   in Loop: Header=BB8_47 Depth=1
	ds_read_b32 v2, v0 offset:720
	s_waitcnt lgkmcnt(0)
	v_and_b32_e32 v2, 15, v2
	v_cmp_eq_u32_e32 vcc, 0, v2
	s_orn2_b64 s[26:27], vcc, exec
.LBB8_1433:                             ;   in Loop: Header=BB8_47 Depth=1
	s_or_b64 exec, exec, s[24:25]
	s_and_saveexec_b64 s[24:25], s[16:17]
	s_cbranch_execz .LBB8_1435
; %bb.1434:                             ;   in Loop: Header=BB8_47 Depth=1
	ds_read_b32 v2, v0 offset:784
	s_waitcnt lgkmcnt(0)
	v_and_b32_e32 v2, 15, v2
	v_cmp_eq_u32_e32 vcc, 0, v2
	s_and_b64 s[28:29], s[26:27], vcc
	s_andn2_b64 s[26:27], s[26:27], exec
	s_and_b64 s[28:29], s[28:29], exec
	s_or_b64 s[26:27], s[26:27], s[28:29]
.LBB8_1435:                             ;   in Loop: Header=BB8_47 Depth=1
	s_or_b64 exec, exec, s[24:25]
	v_cmp_eq_u32_e32 vcc, 0, v8
	s_xor_b64 s[26:27], s[26:27], -1
	v_cndmask_b32_e64 v8, 0, 1, s[26:27]
	v_cndmask_b32_e32 v2, 0, v42, vcc
	v_lshlrev_b32_e32 v43, 1, v2
	s_mov_b64 s[24:25], -1
	v_cmp_ne_u32_e32 vcc, 0, v8
	v_mov_b32_e32 v18, 0
	s_cbranch_vccz .LBB8_1442
; %bb.1436:                             ;   in Loop: Header=BB8_47 Depth=1
	v_mov_b32_e32 v19, v0
	s_and_saveexec_b64 s[26:27], s[24:25]
	s_cbranch_execnz .LBB8_1517
	s_branch .LBB8_1541
.LBB8_1437:                             ;   in Loop: Header=BB8_47 Depth=1
	s_mov_b64 s[24:25], 0
	s_and_saveexec_b64 s[26:27], s[6:7]
	s_cbranch_execnz .LBB8_1542
.LBB8_1438:                             ;   in Loop: Header=BB8_47 Depth=1
	s_or_b64 exec, exec, s[26:27]
	s_and_saveexec_b64 s[26:27], s[22:23]
	s_xor_b64 s[26:27], exec, s[26:27]
	s_cbranch_execz .LBB8_1560
.LBB8_1439:                             ;   in Loop: Header=BB8_47 Depth=1
	v_and_b32_e32 v2, 16, v63
	v_cmp_ne_u32_e32 vcc, 0, v2
	s_and_b64 s[28:29], vcc, s[24:25]
	s_and_saveexec_b64 s[24:25], s[28:29]
	s_cbranch_execz .LBB8_1441
; %bb.1440:                             ;   in Loop: Header=BB8_47 Depth=1
	buffer_wbl2 sc1
	s_waitcnt vmcnt(0) lgkmcnt(0)
	buffer_inv sc1
.LBB8_1441:                             ;   in Loop: Header=BB8_47 Depth=1
	s_or_b64 exec, exec, s[24:25]
	s_andn2_saveexec_b64 s[24:25], s[26:27]
	s_cbranch_execz .LBB8_1579
	s_branch .LBB8_1561
.LBB8_1442:                             ;   in Loop: Header=BB8_47 Depth=1
	v_ashrrev_i32_e32 v8, 31, v43
	v_lshrrev_b32_e32 v8, 21, v8
	v_add_u32_e32 v8, v43, v8
	v_ashrrev_i32_e32 v45, 11, v8
	v_sub_u32_e32 v44, v45, v73
	v_cmp_lt_i32_e32 vcc, 0, v44
	s_and_saveexec_b64 s[26:27], vcc
	s_cbranch_execz .LBB8_1510
; %bb.1443:                             ;   in Loop: Header=BB8_47 Depth=1
	s_and_b32 s76, s52, 1
	s_cmp_eq_u64 s[76:77], 0
	s_mov_b64 s[28:29], 0
	s_cselect_b64 vcc, -1, 0
	v_mov_b64_e32 v[40:41], v[68:69]
	s_branch .LBB8_1445
.LBB8_1444:                             ;   in Loop: Header=BB8_1445 Depth=2
	s_or_b64 exec, exec, s[40:41]
	v_lshrrev_b32_e32 v12, 16, v12
	v_and_or_b32 v9, v9, s70, v12
	v_lshrrev_b32_e32 v12, 16, v18
	v_and_or_b32 v8, v8, s70, v12
	v_lshrrev_b32_e32 v12, 16, v13
	v_sub_u32_e32 v44, v44, v52
	v_and_or_b32 v10, v10, s70, v12
	v_lshrrev_b32_e32 v12, 16, v14
	v_cmp_gt_i32_e64 s[24:25], 1, v44
	v_and_or_b32 v11, v11, s70, v12
	s_or_b64 s[28:29], s[24:25], s[28:29]
	v_lshl_add_u64 v[40:41], v[40:41], 0, v[70:71]
	global_store_dwordx4 v[16:17], v[8:11], off offset:1024
	s_andn2_b64 exec, exec, s[28:29]
	s_cbranch_execz .LBB8_1509
.LBB8_1445:                             ;   Parent Loop BB8_47 Depth=1
                                        ; =>  This Inner Loop Header: Depth=2
	v_lshl_add_u64 v[12:13], v[118:119], 0, v[40:41]
	v_lshl_add_u64 v[8:9], v[114:115], 0, v[40:41]
	global_load_dwordx4 v[16:19], v[8:9], off nt
	global_load_dwordx4 v[20:23], v[12:13], off nt
	s_nop 0
	global_load_dwordx4 v[8:11], v[8:9], off offset:1024 nt
	s_nop 0
	global_load_dwordx4 v[12:15], v[12:13], off offset:1024 nt
	s_waitcnt vmcnt(0)
	v_lshlrev_b32_e32 v46, 16, v16
	v_lshlrev_b32_e32 v47, 16, v20
	v_max_f32_e32 v47, v47, v47
	v_max_f32_e32 v46, v46, v46
	v_min_f32_e32 v56, v46, v47
	v_max_f32_e32 v46, v46, v47
	v_cndmask_b32_e32 v47, v46, v56, vcc
	v_and_b32_e32 v46, 0x7f800000, v47
	v_cmp_ne_u32_e64 s[24:25], s68, v46
                                        ; implicit-def: $vgpr46
	s_and_saveexec_b64 s[40:41], s[24:25]
	s_xor_b64 s[24:25], exec, s[40:41]
; %bb.1446:                             ;   in Loop: Header=BB8_1445 Depth=2
	v_bfe_u32 v46, v47, 16, 1
	v_add3_u32 v46, v47, v46, s69
                                        ; implicit-def: $vgpr47
; %bb.1447:                             ;   in Loop: Header=BB8_1445 Depth=2
	s_andn2_saveexec_b64 s[40:41], s[24:25]
; %bb.1448:                             ;   in Loop: Header=BB8_1445 Depth=2
	v_or_b32_e32 v46, 0x10000, v47
	v_cmp_eq_u32_sdwa s[24:25], v47, v3 src0_sel:WORD_0 src1_sel:DWORD
	s_nop 1
	v_cndmask_b32_e64 v46, v46, v47, s[24:25]
; %bb.1449:                             ;   in Loop: Header=BB8_1445 Depth=2
	s_or_b64 exec, exec, s[40:41]
	v_and_b32_e32 v16, 0xffff0000, v16
	v_and_b32_e32 v20, 0xffff0000, v20
	v_max_f32_e32 v20, v20, v20
	v_max_f32_e32 v16, v16, v16
	v_min_f32_e32 v47, v16, v20
	v_max_f32_e32 v16, v16, v20
	v_cndmask_b32_e32 v16, v16, v47, vcc
	v_and_b32_e32 v20, 0x7f800000, v16
	v_cmp_ne_u32_e64 s[24:25], s68, v20
                                        ; implicit-def: $vgpr20
	s_and_saveexec_b64 s[40:41], s[24:25]
	s_xor_b64 s[24:25], exec, s[40:41]
; %bb.1450:                             ;   in Loop: Header=BB8_1445 Depth=2
	v_bfe_u32 v20, v16, 16, 1
	v_add3_u32 v20, v16, v20, s69
                                        ; implicit-def: $vgpr16
; %bb.1451:                             ;   in Loop: Header=BB8_1445 Depth=2
	s_andn2_saveexec_b64 s[40:41], s[24:25]
; %bb.1452:                             ;   in Loop: Header=BB8_1445 Depth=2
	v_or_b32_e32 v20, 0x10000, v16
	v_cmp_eq_u32_sdwa s[24:25], v16, v3 src0_sel:WORD_0 src1_sel:DWORD
	s_nop 1
	v_cndmask_b32_e64 v20, v20, v16, s[24:25]
; %bb.1453:                             ;   in Loop: Header=BB8_1445 Depth=2
	s_or_b64 exec, exec, s[40:41]
	v_lshlrev_b32_e32 v16, 16, v17
	v_lshlrev_b32_e32 v47, 16, v21
	v_max_f32_e32 v47, v47, v47
	v_max_f32_e32 v16, v16, v16
	v_min_f32_e32 v56, v16, v47
	v_max_f32_e32 v16, v16, v47
	v_cndmask_b32_e32 v16, v16, v56, vcc
	v_and_b32_e32 v47, 0x7f800000, v16
	v_cmp_ne_u32_e64 s[24:25], s68, v47
                                        ; implicit-def: $vgpr47
	s_and_saveexec_b64 s[40:41], s[24:25]
	s_xor_b64 s[24:25], exec, s[40:41]
; %bb.1454:                             ;   in Loop: Header=BB8_1445 Depth=2
	v_bfe_u32 v47, v16, 16, 1
	v_add3_u32 v47, v16, v47, s69
                                        ; implicit-def: $vgpr16
; %bb.1455:                             ;   in Loop: Header=BB8_1445 Depth=2
	s_andn2_saveexec_b64 s[40:41], s[24:25]
; %bb.1456:                             ;   in Loop: Header=BB8_1445 Depth=2
	v_or_b32_e32 v47, 0x10000, v16
	v_cmp_eq_u32_sdwa s[24:25], v16, v3 src0_sel:WORD_0 src1_sel:DWORD
	s_nop 1
	v_cndmask_b32_e64 v47, v47, v16, s[24:25]
; %bb.1457:                             ;   in Loop: Header=BB8_1445 Depth=2
	s_or_b64 exec, exec, s[40:41]
	v_and_b32_e32 v16, 0xffff0000, v17
	v_and_b32_e32 v17, 0xffff0000, v21
	v_max_f32_e32 v17, v17, v17
	v_max_f32_e32 v16, v16, v16
	v_min_f32_e32 v21, v16, v17
	v_max_f32_e32 v16, v16, v17
	v_cndmask_b32_e32 v16, v16, v21, vcc
	v_and_b32_e32 v17, 0x7f800000, v16
	v_cmp_ne_u32_e64 s[24:25], s68, v17
                                        ; implicit-def: $vgpr21
	s_and_saveexec_b64 s[40:41], s[24:25]
	s_xor_b64 s[24:25], exec, s[40:41]
; %bb.1458:                             ;   in Loop: Header=BB8_1445 Depth=2
	v_bfe_u32 v17, v16, 16, 1
	v_add3_u32 v21, v16, v17, s69
                                        ; implicit-def: $vgpr16
; %bb.1459:                             ;   in Loop: Header=BB8_1445 Depth=2
	s_andn2_saveexec_b64 s[40:41], s[24:25]
; %bb.1460:                             ;   in Loop: Header=BB8_1445 Depth=2
	v_or_b32_e32 v17, 0x10000, v16
	v_cmp_eq_u32_sdwa s[24:25], v16, v3 src0_sel:WORD_0 src1_sel:DWORD
	s_nop 1
	v_cndmask_b32_e64 v21, v17, v16, s[24:25]
; %bb.1461:                             ;   in Loop: Header=BB8_1445 Depth=2
	s_or_b64 exec, exec, s[40:41]
	v_lshlrev_b32_e32 v16, 16, v18
	v_lshlrev_b32_e32 v17, 16, v22
	v_max_f32_e32 v17, v17, v17
	v_max_f32_e32 v16, v16, v16
	v_min_f32_e32 v56, v16, v17
	v_max_f32_e32 v16, v16, v17
	v_cndmask_b32_e32 v16, v16, v56, vcc
	v_and_b32_e32 v17, 0x7f800000, v16
	v_cmp_ne_u32_e64 s[24:25], s68, v17
                                        ; implicit-def: $vgpr56
	s_and_saveexec_b64 s[40:41], s[24:25]
	s_xor_b64 s[24:25], exec, s[40:41]
; %bb.1462:                             ;   in Loop: Header=BB8_1445 Depth=2
	v_bfe_u32 v17, v16, 16, 1
	v_add3_u32 v56, v16, v17, s69
                                        ; implicit-def: $vgpr16
; %bb.1463:                             ;   in Loop: Header=BB8_1445 Depth=2
	s_andn2_saveexec_b64 s[40:41], s[24:25]
; %bb.1464:                             ;   in Loop: Header=BB8_1445 Depth=2
	v_or_b32_e32 v17, 0x10000, v16
	v_cmp_eq_u32_sdwa s[24:25], v16, v3 src0_sel:WORD_0 src1_sel:DWORD
	s_nop 1
	v_cndmask_b32_e64 v56, v17, v16, s[24:25]
; %bb.1465:                             ;   in Loop: Header=BB8_1445 Depth=2
	s_or_b64 exec, exec, s[40:41]
	v_and_b32_e32 v16, 0xffff0000, v18
	v_and_b32_e32 v17, 0xffff0000, v22
	v_max_f32_e32 v17, v17, v17
	v_max_f32_e32 v16, v16, v16
	v_min_f32_e32 v18, v16, v17
	v_max_f32_e32 v16, v16, v17
	v_cndmask_b32_e32 v16, v16, v18, vcc
	v_and_b32_e32 v17, 0x7f800000, v16
	v_cmp_ne_u32_e64 s[24:25], s68, v17
                                        ; implicit-def: $vgpr18
	s_and_saveexec_b64 s[40:41], s[24:25]
	s_xor_b64 s[24:25], exec, s[40:41]
; %bb.1466:                             ;   in Loop: Header=BB8_1445 Depth=2
	v_bfe_u32 v17, v16, 16, 1
	v_add3_u32 v18, v16, v17, s69
                                        ; implicit-def: $vgpr16
; %bb.1467:                             ;   in Loop: Header=BB8_1445 Depth=2
	s_andn2_saveexec_b64 s[40:41], s[24:25]
; %bb.1468:                             ;   in Loop: Header=BB8_1445 Depth=2
	v_or_b32_e32 v17, 0x10000, v16
	v_cmp_eq_u32_sdwa s[24:25], v16, v3 src0_sel:WORD_0 src1_sel:DWORD
	s_nop 1
	v_cndmask_b32_e64 v18, v17, v16, s[24:25]
; %bb.1469:                             ;   in Loop: Header=BB8_1445 Depth=2
	s_or_b64 exec, exec, s[40:41]
	v_lshlrev_b32_e32 v16, 16, v19
	v_lshlrev_b32_e32 v17, 16, v23
	v_max_f32_e32 v17, v17, v17
	v_max_f32_e32 v16, v16, v16
	v_min_f32_e32 v22, v16, v17
	v_max_f32_e32 v16, v16, v17
	v_cndmask_b32_e32 v16, v16, v22, vcc
	v_and_b32_e32 v17, 0x7f800000, v16
	v_cmp_ne_u32_e64 s[24:25], s68, v17
                                        ; implicit-def: $vgpr22
	s_and_saveexec_b64 s[40:41], s[24:25]
	s_xor_b64 s[24:25], exec, s[40:41]
; %bb.1470:                             ;   in Loop: Header=BB8_1445 Depth=2
	v_bfe_u32 v17, v16, 16, 1
	v_add3_u32 v22, v16, v17, s69
                                        ; implicit-def: $vgpr16
; %bb.1471:                             ;   in Loop: Header=BB8_1445 Depth=2
	s_andn2_saveexec_b64 s[40:41], s[24:25]
; %bb.1472:                             ;   in Loop: Header=BB8_1445 Depth=2
	v_or_b32_e32 v17, 0x10000, v16
	v_cmp_eq_u32_sdwa s[24:25], v16, v3 src0_sel:WORD_0 src1_sel:DWORD
	s_nop 1
	v_cndmask_b32_e64 v22, v17, v16, s[24:25]
; %bb.1473:                             ;   in Loop: Header=BB8_1445 Depth=2
	s_or_b64 exec, exec, s[40:41]
	v_and_b32_e32 v16, 0xffff0000, v19
	v_and_b32_e32 v17, 0xffff0000, v23
	v_max_f32_e32 v17, v17, v17
	v_max_f32_e32 v16, v16, v16
	v_min_f32_e32 v19, v16, v17
	v_max_f32_e32 v16, v16, v17
	v_cndmask_b32_e32 v16, v16, v19, vcc
	v_and_b32_e32 v17, 0x7f800000, v16
	v_cmp_ne_u32_e64 s[24:25], s68, v17
                                        ; implicit-def: $vgpr19
	s_and_saveexec_b64 s[40:41], s[24:25]
	s_xor_b64 s[24:25], exec, s[40:41]
; %bb.1474:                             ;   in Loop: Header=BB8_1445 Depth=2
	v_bfe_u32 v17, v16, 16, 1
	v_add3_u32 v19, v16, v17, s69
                                        ; implicit-def: $vgpr16
; %bb.1475:                             ;   in Loop: Header=BB8_1445 Depth=2
	s_andn2_saveexec_b64 s[40:41], s[24:25]
; %bb.1476:                             ;   in Loop: Header=BB8_1445 Depth=2
	v_or_b32_e32 v17, 0x10000, v16
	v_cmp_eq_u32_sdwa s[24:25], v16, v3 src0_sel:WORD_0 src1_sel:DWORD
	s_nop 1
	v_cndmask_b32_e64 v19, v17, v16, s[24:25]
; %bb.1477:                             ;   in Loop: Header=BB8_1445 Depth=2
	s_or_b64 exec, exec, s[40:41]
	v_lshrrev_b32_e32 v23, 16, v47
	v_and_or_b32 v59, v21, s70, v23
	v_lshrrev_b32_e32 v21, 16, v46
	v_and_or_b32 v58, v20, s70, v21
	;; [unrolled: 2-line block ×4, first 2 shown]
	v_lshlrev_b32_e32 v18, 16, v8
	v_lshlrev_b32_e32 v19, 16, v12
	v_max_f32_e32 v19, v19, v19
	v_max_f32_e32 v18, v18, v18
	v_min_f32_e32 v20, v18, v19
	v_max_f32_e32 v18, v18, v19
	v_cndmask_b32_e32 v19, v18, v20, vcc
	v_and_b32_e32 v18, 0x7f800000, v19
	v_lshl_add_u64 v[16:17], v[116:117], 0, v[40:41]
	v_cmp_ne_u32_e64 s[24:25], s68, v18
	global_store_dwordx4 v[16:17], v[58:61], off
                                        ; implicit-def: $vgpr18
	s_and_saveexec_b64 s[40:41], s[24:25]
	s_xor_b64 s[24:25], exec, s[40:41]
; %bb.1478:                             ;   in Loop: Header=BB8_1445 Depth=2
	v_bfe_u32 v18, v19, 16, 1
	v_add3_u32 v18, v19, v18, s69
                                        ; implicit-def: $vgpr19
; %bb.1479:                             ;   in Loop: Header=BB8_1445 Depth=2
	s_andn2_saveexec_b64 s[40:41], s[24:25]
; %bb.1480:                             ;   in Loop: Header=BB8_1445 Depth=2
	v_or_b32_e32 v18, 0x10000, v19
	v_cmp_eq_u32_sdwa s[24:25], v19, v3 src0_sel:WORD_0 src1_sel:DWORD
	s_nop 1
	v_cndmask_b32_e64 v18, v18, v19, s[24:25]
; %bb.1481:                             ;   in Loop: Header=BB8_1445 Depth=2
	s_or_b64 exec, exec, s[40:41]
	v_and_b32_e32 v8, 0xffff0000, v8
	v_and_b32_e32 v12, 0xffff0000, v12
	v_max_f32_e32 v12, v12, v12
	v_max_f32_e32 v8, v8, v8
	v_min_f32_e32 v19, v8, v12
	v_max_f32_e32 v8, v8, v12
	v_cndmask_b32_e32 v12, v8, v19, vcc
	v_and_b32_e32 v8, 0x7f800000, v12
	v_cmp_ne_u32_e64 s[24:25], s68, v8
                                        ; implicit-def: $vgpr8
	s_and_saveexec_b64 s[40:41], s[24:25]
	s_xor_b64 s[24:25], exec, s[40:41]
; %bb.1482:                             ;   in Loop: Header=BB8_1445 Depth=2
	v_bfe_u32 v8, v12, 16, 1
	v_add3_u32 v8, v12, v8, s69
                                        ; implicit-def: $vgpr12
; %bb.1483:                             ;   in Loop: Header=BB8_1445 Depth=2
	s_andn2_saveexec_b64 s[40:41], s[24:25]
; %bb.1484:                             ;   in Loop: Header=BB8_1445 Depth=2
	v_or_b32_e32 v8, 0x10000, v12
	v_cmp_eq_u32_sdwa s[24:25], v12, v3 src0_sel:WORD_0 src1_sel:DWORD
	s_nop 1
	v_cndmask_b32_e64 v8, v8, v12, s[24:25]
; %bb.1485:                             ;   in Loop: Header=BB8_1445 Depth=2
	s_or_b64 exec, exec, s[40:41]
	v_lshlrev_b32_e32 v12, 16, v9
	v_lshlrev_b32_e32 v19, 16, v13
	v_max_f32_e32 v19, v19, v19
	v_max_f32_e32 v12, v12, v12
	v_min_f32_e32 v20, v12, v19
	v_max_f32_e32 v12, v12, v19
	v_cndmask_b32_e32 v19, v12, v20, vcc
	v_and_b32_e32 v12, 0x7f800000, v19
	v_cmp_ne_u32_e64 s[24:25], s68, v12
                                        ; implicit-def: $vgpr12
	s_and_saveexec_b64 s[40:41], s[24:25]
	s_xor_b64 s[24:25], exec, s[40:41]
; %bb.1486:                             ;   in Loop: Header=BB8_1445 Depth=2
	v_bfe_u32 v12, v19, 16, 1
	v_add3_u32 v12, v19, v12, s69
                                        ; implicit-def: $vgpr19
; %bb.1487:                             ;   in Loop: Header=BB8_1445 Depth=2
	s_andn2_saveexec_b64 s[40:41], s[24:25]
; %bb.1488:                             ;   in Loop: Header=BB8_1445 Depth=2
	v_or_b32_e32 v12, 0x10000, v19
	v_cmp_eq_u32_sdwa s[24:25], v19, v3 src0_sel:WORD_0 src1_sel:DWORD
	s_nop 1
	v_cndmask_b32_e64 v12, v12, v19, s[24:25]
; %bb.1489:                             ;   in Loop: Header=BB8_1445 Depth=2
	s_or_b64 exec, exec, s[40:41]
	v_and_b32_e32 v9, 0xffff0000, v9
	v_and_b32_e32 v13, 0xffff0000, v13
	v_max_f32_e32 v13, v13, v13
	v_max_f32_e32 v9, v9, v9
	v_min_f32_e32 v19, v9, v13
	v_max_f32_e32 v9, v9, v13
	v_cndmask_b32_e32 v13, v9, v19, vcc
	v_and_b32_e32 v9, 0x7f800000, v13
	v_cmp_ne_u32_e64 s[24:25], s68, v9
                                        ; implicit-def: $vgpr9
	s_and_saveexec_b64 s[40:41], s[24:25]
	s_xor_b64 s[24:25], exec, s[40:41]
; %bb.1490:                             ;   in Loop: Header=BB8_1445 Depth=2
	v_bfe_u32 v9, v13, 16, 1
	v_add3_u32 v9, v13, v9, s69
                                        ; implicit-def: $vgpr13
; %bb.1491:                             ;   in Loop: Header=BB8_1445 Depth=2
	s_andn2_saveexec_b64 s[40:41], s[24:25]
; %bb.1492:                             ;   in Loop: Header=BB8_1445 Depth=2
	v_or_b32_e32 v9, 0x10000, v13
	v_cmp_eq_u32_sdwa s[24:25], v13, v3 src0_sel:WORD_0 src1_sel:DWORD
	s_nop 1
	v_cndmask_b32_e64 v9, v9, v13, s[24:25]
; %bb.1493:                             ;   in Loop: Header=BB8_1445 Depth=2
	s_or_b64 exec, exec, s[40:41]
	v_lshlrev_b32_e32 v13, 16, v10
	v_lshlrev_b32_e32 v19, 16, v14
	v_max_f32_e32 v19, v19, v19
	v_max_f32_e32 v13, v13, v13
	v_min_f32_e32 v20, v13, v19
	v_max_f32_e32 v13, v13, v19
	v_cndmask_b32_e32 v19, v13, v20, vcc
	v_and_b32_e32 v13, 0x7f800000, v19
	v_cmp_ne_u32_e64 s[24:25], s68, v13
                                        ; implicit-def: $vgpr13
	s_and_saveexec_b64 s[40:41], s[24:25]
	s_xor_b64 s[24:25], exec, s[40:41]
; %bb.1494:                             ;   in Loop: Header=BB8_1445 Depth=2
	v_bfe_u32 v13, v19, 16, 1
	v_add3_u32 v13, v19, v13, s69
                                        ; implicit-def: $vgpr19
; %bb.1495:                             ;   in Loop: Header=BB8_1445 Depth=2
	s_andn2_saveexec_b64 s[40:41], s[24:25]
; %bb.1496:                             ;   in Loop: Header=BB8_1445 Depth=2
	v_or_b32_e32 v13, 0x10000, v19
	v_cmp_eq_u32_sdwa s[24:25], v19, v3 src0_sel:WORD_0 src1_sel:DWORD
	s_nop 1
	v_cndmask_b32_e64 v13, v13, v19, s[24:25]
; %bb.1497:                             ;   in Loop: Header=BB8_1445 Depth=2
	s_or_b64 exec, exec, s[40:41]
	v_and_b32_e32 v10, 0xffff0000, v10
	v_and_b32_e32 v14, 0xffff0000, v14
	v_max_f32_e32 v14, v14, v14
	v_max_f32_e32 v10, v10, v10
	v_min_f32_e32 v19, v10, v14
	v_max_f32_e32 v10, v10, v14
	v_cndmask_b32_e32 v14, v10, v19, vcc
	v_and_b32_e32 v10, 0x7f800000, v14
	v_cmp_ne_u32_e64 s[24:25], s68, v10
                                        ; implicit-def: $vgpr10
	s_and_saveexec_b64 s[40:41], s[24:25]
	s_xor_b64 s[24:25], exec, s[40:41]
; %bb.1498:                             ;   in Loop: Header=BB8_1445 Depth=2
	v_bfe_u32 v10, v14, 16, 1
	v_add3_u32 v10, v14, v10, s69
                                        ; implicit-def: $vgpr14
; %bb.1499:                             ;   in Loop: Header=BB8_1445 Depth=2
	s_andn2_saveexec_b64 s[40:41], s[24:25]
; %bb.1500:                             ;   in Loop: Header=BB8_1445 Depth=2
	v_or_b32_e32 v10, 0x10000, v14
	v_cmp_eq_u32_sdwa s[24:25], v14, v3 src0_sel:WORD_0 src1_sel:DWORD
	s_nop 1
	v_cndmask_b32_e64 v10, v10, v14, s[24:25]
; %bb.1501:                             ;   in Loop: Header=BB8_1445 Depth=2
	s_or_b64 exec, exec, s[40:41]
	v_lshlrev_b32_e32 v14, 16, v11
	v_lshlrev_b32_e32 v19, 16, v15
	v_max_f32_e32 v19, v19, v19
	v_max_f32_e32 v14, v14, v14
	v_min_f32_e32 v20, v14, v19
	v_max_f32_e32 v14, v14, v19
	v_cndmask_b32_e32 v19, v14, v20, vcc
	v_and_b32_e32 v14, 0x7f800000, v19
	v_cmp_ne_u32_e64 s[24:25], s68, v14
                                        ; implicit-def: $vgpr14
	s_and_saveexec_b64 s[40:41], s[24:25]
	s_xor_b64 s[24:25], exec, s[40:41]
; %bb.1502:                             ;   in Loop: Header=BB8_1445 Depth=2
	v_bfe_u32 v14, v19, 16, 1
	v_add3_u32 v14, v19, v14, s69
                                        ; implicit-def: $vgpr19
; %bb.1503:                             ;   in Loop: Header=BB8_1445 Depth=2
	s_andn2_saveexec_b64 s[40:41], s[24:25]
; %bb.1504:                             ;   in Loop: Header=BB8_1445 Depth=2
	v_or_b32_e32 v14, 0x10000, v19
	v_cmp_eq_u32_sdwa s[24:25], v19, v3 src0_sel:WORD_0 src1_sel:DWORD
	s_nop 1
	v_cndmask_b32_e64 v14, v14, v19, s[24:25]
; %bb.1505:                             ;   in Loop: Header=BB8_1445 Depth=2
	s_or_b64 exec, exec, s[40:41]
	v_and_b32_e32 v11, 0xffff0000, v11
	v_and_b32_e32 v15, 0xffff0000, v15
	v_max_f32_e32 v15, v15, v15
	v_max_f32_e32 v11, v11, v11
	v_min_f32_e32 v19, v11, v15
	v_max_f32_e32 v11, v11, v15
	v_cndmask_b32_e32 v15, v11, v19, vcc
	v_and_b32_e32 v11, 0x7f800000, v15
	v_cmp_ne_u32_e64 s[24:25], s68, v11
                                        ; implicit-def: $vgpr11
	s_and_saveexec_b64 s[40:41], s[24:25]
	s_xor_b64 s[24:25], exec, s[40:41]
; %bb.1506:                             ;   in Loop: Header=BB8_1445 Depth=2
	v_bfe_u32 v11, v15, 16, 1
	v_add3_u32 v11, v15, v11, s69
                                        ; implicit-def: $vgpr15
; %bb.1507:                             ;   in Loop: Header=BB8_1445 Depth=2
	s_andn2_saveexec_b64 s[40:41], s[24:25]
	s_cbranch_execz .LBB8_1444
; %bb.1508:                             ;   in Loop: Header=BB8_1445 Depth=2
	v_or_b32_e32 v11, 0x10000, v15
	v_cmp_eq_u32_sdwa s[24:25], v15, v3 src0_sel:WORD_0 src1_sel:DWORD
	s_nop 1
	v_cndmask_b32_e64 v11, v11, v15, s[24:25]
	s_branch .LBB8_1444
.LBB8_1509:                             ;   in Loop: Header=BB8_47 Depth=1
	s_or_b64 exec, exec, s[28:29]
.LBB8_1510:                             ;   in Loop: Header=BB8_47 Depth=1
	s_or_b64 exec, exec, s[26:27]
	v_lshlrev_b32_e32 v16, 11, v45
	v_cmp_ne_u32_e32 vcc, v43, v16
	s_mov_b64 s[24:25], 0
	v_mov_b32_e32 v18, 0
                                        ; implicit-def: $vgpr19
	s_and_saveexec_b64 s[38:39], vcc
	s_cbranch_execz .LBB8_1516
; %bb.1511:                             ;   in Loop: Header=BB8_47 Depth=1
	v_lshlrev_b32_e32 v8, 6, v44
	v_sub_u32_e32 v8, v72, v8
	v_ashrrev_i32_e32 v10, 31, v8
	v_lshrrev_b32_e32 v10, 26, v10
	v_add_u32_e32 v10, v8, v10
	v_sub_u32_e32 v9, v43, v16
	v_ashrrev_i32_e32 v11, 6, v10
	v_and_b32_e32 v10, 0xffffffc0, v10
	v_sub_u32_e32 v17, v8, v10
	v_ashrrev_i32_e32 v10, 31, v9
	v_lshrrev_b32_e32 v10, 22, v10
	v_add_u32_e32 v10, v9, v10
	v_and_b32_e32 v18, 0xfffffc00, v10
	v_lshlrev_b32_e32 v8, 4, v17
	v_sub_u32_e32 v19, v9, v18
	v_lshl_add_u32 v8, v11, 10, v8
	v_ashrrev_i32_e32 v12, 10, v10
	v_cmp_lt_i32_e32 vcc, 15, v19
	v_sub_u32_e32 v21, v9, v8
	s_nop 0
	v_addc_co_u32_e64 v9, s[24:25], 0, v12, vcc
	v_sub_u32_e32 v20, v9, v11
	v_cmp_lt_i32_e64 s[24:25], 15, v21
	s_and_saveexec_b64 s[48:49], s[24:25]
	s_cbranch_execz .LBB8_1515
; %bb.1512:                             ;   in Loop: Header=BB8_47 Depth=1
	s_and_b32 s76, s52, 1
	v_add_u32_e32 v8, v8, v16
	s_cmp_eq_u64 s[76:77], 0
	v_ashrrev_i32_e32 v9, 31, v8
	s_mov_b64 s[50:51], 0
	s_cselect_b64 s[24:25], -1, 0
.LBB8_1513:                             ;   Parent Loop BB8_47 Depth=1
                                        ; =>  This Inner Loop Header: Depth=2
	v_lshl_add_u64 v[12:13], v[118:119], 0, v[8:9]
	v_lshl_add_u64 v[14:15], v[114:115], 0, v[8:9]
	global_load_dwordx4 v[44:47], v[14:15], off nt
	s_nop 0
	global_load_dwordx4 v[12:15], v[12:13], off nt
	v_sub_u32_e32 v21, v21, v80
	v_cmp_gt_i32_e64 s[26:27], 16, v21
	s_or_b64 s[50:51], s[26:27], s[50:51]
	v_lshl_add_u64 v[10:11], v[116:117], 0, v[8:9]
	v_sub_u32_e32 v20, v20, v52
	v_lshl_add_u64 v[8:9], v[8:9], 0, v[80:81]
	s_waitcnt vmcnt(0)
	v_and_b32_e32 v22, 0xffff0000, v44
	v_and_b32_e32 v23, 0xffff0000, v12
	v_lshlrev_b32_e32 v40, 16, v44
	v_lshlrev_b32_e32 v12, 16, v12
	v_and_b32_e32 v41, 0xffff0000, v45
	v_and_b32_e32 v44, 0xffff0000, v13
	v_lshlrev_b32_e32 v45, 16, v45
	v_lshlrev_b32_e32 v13, 16, v13
	;; [unrolled: 4-line block ×4, first 2 shown]
	v_max_f32_e32 v12, v12, v12
	v_max_f32_e32 v40, v40, v40
	;; [unrolled: 1-line block ×16, first 2 shown]
	v_min_f32_e32 v60, v40, v12
	v_max_f32_e32 v12, v40, v12
	v_min_f32_e32 v40, v22, v23
	v_max_f32_e32 v22, v22, v23
	;; [unrolled: 2-line block ×8, first 2 shown]
	v_cndmask_b32_e64 v12, v12, v60, s[24:25]
	v_cndmask_b32_e64 v22, v22, v40, s[24:25]
	;; [unrolled: 1-line block ×8, first 2 shown]
	v_and_b32_e32 v44, 0x7f800000, v12
	v_bfe_u32 v45, v12, 16, 1
	v_or_b32_e32 v46, 0x10000, v12
	v_cmp_eq_u32_sdwa s[26:27], v12, v3 src0_sel:WORD_0 src1_sel:DWORD
	v_and_b32_e32 v47, 0x7f800000, v22
	v_bfe_u32 v56, v22, 16, 1
	v_or_b32_e32 v57, 0x10000, v22
	v_cmp_eq_u32_sdwa s[28:29], v22, v3 src0_sel:WORD_0 src1_sel:DWORD
	;; [unrolled: 4-line block ×3, first 2 shown]
	v_bfe_u32 v79, v23, 16, 1
	v_or_b32_e32 v88, 0x10000, v23
	v_cmp_eq_u32_sdwa s[42:43], v23, v3 src0_sel:WORD_0 src1_sel:DWORD
	v_and_b32_e32 v89, 0x7f800000, v14
	v_bfe_u32 v90, v14, 16, 1
	v_or_b32_e32 v91, 0x10000, v14
	v_cmp_eq_u32_sdwa s[44:45], v14, v3 src0_sel:WORD_0 src1_sel:DWORD
	v_bfe_u32 v93, v40, 16, 1
	v_or_b32_e32 v94, 0x10000, v40
	v_cmp_eq_u32_sdwa s[46:47], v40, v3 src0_sel:WORD_0 src1_sel:DWORD
	v_and_b32_e32 v95, 0x7f800000, v15
	v_bfe_u32 v106, v15, 16, 1
	v_or_b32_e32 v107, 0x10000, v15
	v_cmp_eq_u32_sdwa s[56:57], v15, v3 src0_sel:WORD_0 src1_sel:DWORD
	v_bfe_u32 v109, v41, 16, 1
	v_or_b32_e32 v110, 0x10000, v41
	v_cmp_eq_u32_sdwa s[58:59], v41, v3 src0_sel:WORD_0 src1_sel:DWORD
	v_and_b32_e32 v61, 0x7f800000, v23
	v_and_b32_e32 v92, 0x7f800000, v40
	v_and_b32_e32 v108, 0x7f800000, v41
	v_add3_u32 v45, v12, v45, s69
	v_cndmask_b32_e64 v12, v46, v12, s[26:27]
	v_add3_u32 v46, v22, v56, s69
	v_cndmask_b32_e64 v22, v57, v22, s[28:29]
	v_cmp_eq_u32_e64 s[26:27], s68, v47
	v_add3_u32 v47, v13, v59, s69
	v_cndmask_b32_e64 v13, v60, v13, s[40:41]
	v_cmp_eq_u32_e64 s[28:29], s68, v58
	v_add3_u32 v56, v23, v79, s69
	v_cndmask_b32_e64 v23, v88, v23, s[42:43]
	v_add3_u32 v57, v14, v90, s69
	v_cndmask_b32_e64 v14, v91, v14, s[44:45]
	v_cmp_eq_u32_e64 s[42:43], s68, v89
	v_add3_u32 v58, v40, v93, s69
	v_cndmask_b32_e64 v40, v94, v40, s[46:47]
	;; [unrolled: 5-line block ×3, first 2 shown]
	v_cmp_eq_u32_e64 s[58:59], s68, v44
	v_cmp_eq_u32_e64 s[40:41], s68, v61
	;; [unrolled: 1-line block ×4, first 2 shown]
	v_cndmask_b32_e64 v12, v45, v12, s[58:59]
	v_cndmask_b32_e64 v13, v47, v13, s[28:29]
	;; [unrolled: 1-line block ×8, first 2 shown]
	v_lshrrev_b32_e32 v13, 16, v13
	v_lshrrev_b32_e32 v12, 16, v12
	;; [unrolled: 1-line block ×4, first 2 shown]
	v_and_or_b32 v13, v23, s70, v13
	v_and_or_b32 v12, v22, s70, v12
	;; [unrolled: 1-line block ×4, first 2 shown]
	global_store_dwordx4 v[10:11], v[12:15], off
	s_andn2_b64 exec, exec, s[50:51]
	s_cbranch_execnz .LBB8_1513
; %bb.1514:                             ;   in Loop: Header=BB8_47 Depth=1
	s_or_b64 exec, exec, s[50:51]
.LBB8_1515:                             ;   in Loop: Header=BB8_47 Depth=1
	s_or_b64 exec, exec, s[48:49]
	v_and_b32_e32 v8, 14, v43
	v_sub_u32_e32 v9, v19, v8
	v_cndmask_b32_e32 v9, 0, v9, vcc
	v_cndmask_b32_e32 v43, v19, v8, vcc
	v_cmp_lt_i32_e32 vcc, 0, v20
	v_add3_u32 v18, v18, v16, v9
	s_nop 0
	v_cndmask_b32_e32 v8, 0, v52, vcc
	v_sub_u32_e32 v8, v8, v20
	v_cmp_ne_u32_e32 vcc, 0, v43
	v_lshl_add_u32 v19, v8, 6, v17
	s_and_b64 s[24:25], vcc, exec
.LBB8_1516:                             ;   in Loop: Header=BB8_47 Depth=1
	s_or_b64 exec, exec, s[38:39]
	s_and_saveexec_b64 s[26:27], s[24:25]
	s_cbranch_execz .LBB8_1541
.LBB8_1517:                             ;   in Loop: Header=BB8_47 Depth=1
	v_ashrrev_i32_e32 v8, 31, v19
	v_ashrrev_i32_e32 v9, 31, v43
	v_lshrrev_b32_e32 v8, 26, v8
	v_lshrrev_b32_e32 v9, 23, v9
	v_add_u32_e32 v8, v19, v8
	v_add_u32_e32 v9, v43, v9
	v_ashrrev_i32_e32 v20, 6, v8
	v_ashrrev_i32_e32 v22, 9, v9
	v_sub_u32_e32 v21, v22, v20
	v_cmp_lt_i32_e32 vcc, 0, v21
	s_and_saveexec_b64 s[28:29], vcc
	s_cbranch_execz .LBB8_1537
; %bb.1518:                             ;   in Loop: Header=BB8_47 Depth=1
	v_and_b32_e32 v8, 0x7fffffc0, v8
	v_sub_u32_e32 v8, v19, v8
	v_lshlrev_b32_e32 v8, 1, v8
	v_lshlrev_b32_e32 v9, 9, v20
	s_and_b32 s76, s52, 1
	v_add3_u32 v8, v8, v18, v9
	s_cmp_eq_u64 s[76:77], 0
	v_ashrrev_i32_e32 v9, 31, v8
	s_mov_b64 s[40:41], 0
	s_cselect_b64 vcc, -1, 0
	v_mov_b64_e32 v[10:11], v[116:117]
	v_mov_b64_e32 v[12:13], v[114:115]
	;; [unrolled: 1-line block ×3, first 2 shown]
	s_branch .LBB8_1520
.LBB8_1519:                             ;   in Loop: Header=BB8_1520 Depth=2
	s_or_b64 exec, exec, s[42:43]
	v_sub_u32_e32 v21, v21, v52
	v_cmp_gt_i32_e64 s[24:25], 1, v21
	v_lshl_add_u64 v[14:15], v[14:15], 0, v[82:83]
	v_lshl_add_u64 v[12:13], v[12:13], 0, v[82:83]
	s_or_b64 s[40:41], s[24:25], s[40:41]
	v_lshl_add_u64 v[10:11], v[10:11], 0, v[82:83]
	flat_store_short_d16_hi v[16:17], v40 offset:384 nt
	s_andn2_b64 exec, exec, s[40:41]
	s_cbranch_execz .LBB8_1536
.LBB8_1520:                             ;   Parent Loop BB8_47 Depth=1
                                        ; =>  This Inner Loop Header: Depth=2
	v_lshl_add_u64 v[46:47], v[8:9], 0, v[12:13]
	v_lshl_add_u64 v[16:17], v[8:9], 0, v[14:15]
	flat_load_ushort v41, v[46:47] offset:256 nt
	flat_load_ushort v23, v[46:47] offset:384 nt
	flat_load_ushort v56, v[46:47] nt
	flat_load_ushort v44, v[16:17] offset:256 nt
	flat_load_ushort v40, v[16:17] offset:384 nt
	flat_load_ushort v57, v[16:17] nt
	flat_load_ushort v45, v[46:47] offset:128 nt
	s_nop 0
	flat_load_ushort v46, v[16:17] offset:128 nt
	s_waitcnt vmcnt(0) lgkmcnt(0)
	v_lshlrev_b32_e32 v16, 16, v56
	v_max_f32_e32 v16, v16, v16
	v_lshlrev_b32_e32 v17, 16, v57
	v_max_f32_e32 v17, v17, v17
	v_min_f32_e32 v47, v16, v17
	v_max_f32_e32 v16, v16, v17
	v_cndmask_b32_e32 v16, v16, v47, vcc
	v_and_b32_e32 v17, 0x7f800000, v16
	v_cmp_ne_u32_e64 s[24:25], s68, v17
                                        ; implicit-def: $vgpr47
	s_and_saveexec_b64 s[42:43], s[24:25]
	s_xor_b64 s[24:25], exec, s[42:43]
; %bb.1521:                             ;   in Loop: Header=BB8_1520 Depth=2
	v_bfe_u32 v17, v16, 16, 1
	v_add3_u32 v47, v16, v17, s69
                                        ; implicit-def: $vgpr16
; %bb.1522:                             ;   in Loop: Header=BB8_1520 Depth=2
	s_andn2_saveexec_b64 s[42:43], s[24:25]
; %bb.1523:                             ;   in Loop: Header=BB8_1520 Depth=2
	v_or_b32_e32 v17, 0x10000, v16
	v_cmp_eq_u32_sdwa s[24:25], v16, v3 src0_sel:WORD_0 src1_sel:DWORD
	s_nop 1
	v_cndmask_b32_e64 v47, v17, v16, s[24:25]
; %bb.1524:                             ;   in Loop: Header=BB8_1520 Depth=2
	s_or_b64 exec, exec, s[42:43]
	v_lshlrev_b32_e32 v45, 16, v45
	v_lshlrev_b32_e32 v46, 16, v46
	v_lshl_add_u64 v[16:17], v[8:9], 0, v[10:11]
	v_max_f32_e32 v46, v46, v46
	v_max_f32_e32 v45, v45, v45
	flat_store_short_d16_hi v[16:17], v47 nt
	v_min_f32_e32 v47, v45, v46
	v_max_f32_e32 v45, v45, v46
	v_cndmask_b32_e32 v45, v45, v47, vcc
	v_and_b32_e32 v46, 0x7f800000, v45
	v_cmp_ne_u32_e64 s[24:25], s68, v46
                                        ; implicit-def: $vgpr46
	s_and_saveexec_b64 s[42:43], s[24:25]
	s_xor_b64 s[24:25], exec, s[42:43]
; %bb.1525:                             ;   in Loop: Header=BB8_1520 Depth=2
	v_bfe_u32 v46, v45, 16, 1
	v_add3_u32 v46, v45, v46, s69
                                        ; implicit-def: $vgpr45
; %bb.1526:                             ;   in Loop: Header=BB8_1520 Depth=2
	s_andn2_saveexec_b64 s[42:43], s[24:25]
; %bb.1527:                             ;   in Loop: Header=BB8_1520 Depth=2
	v_or_b32_e32 v46, 0x10000, v45
	v_cmp_eq_u32_sdwa s[24:25], v45, v3 src0_sel:WORD_0 src1_sel:DWORD
	s_nop 1
	v_cndmask_b32_e64 v46, v46, v45, s[24:25]
; %bb.1528:                             ;   in Loop: Header=BB8_1520 Depth=2
	s_or_b64 exec, exec, s[42:43]
	v_lshlrev_b32_e32 v41, 16, v41
	v_lshlrev_b32_e32 v44, 16, v44
	v_max_f32_e32 v44, v44, v44
	v_max_f32_e32 v41, v41, v41
	v_min_f32_e32 v45, v41, v44
	v_max_f32_e32 v41, v41, v44
	v_cndmask_b32_e32 v41, v41, v45, vcc
	v_and_b32_e32 v44, 0x7f800000, v41
	v_cmp_ne_u32_e64 s[24:25], s68, v44
	flat_store_short_d16_hi v[16:17], v46 offset:128 nt
                                        ; implicit-def: $vgpr44
	s_and_saveexec_b64 s[42:43], s[24:25]
	s_xor_b64 s[24:25], exec, s[42:43]
; %bb.1529:                             ;   in Loop: Header=BB8_1520 Depth=2
	v_bfe_u32 v44, v41, 16, 1
	v_add3_u32 v44, v41, v44, s69
                                        ; implicit-def: $vgpr41
; %bb.1530:                             ;   in Loop: Header=BB8_1520 Depth=2
	s_andn2_saveexec_b64 s[42:43], s[24:25]
; %bb.1531:                             ;   in Loop: Header=BB8_1520 Depth=2
	v_or_b32_e32 v44, 0x10000, v41
	v_cmp_eq_u32_sdwa s[24:25], v41, v3 src0_sel:WORD_0 src1_sel:DWORD
	s_nop 1
	v_cndmask_b32_e64 v44, v44, v41, s[24:25]
; %bb.1532:                             ;   in Loop: Header=BB8_1520 Depth=2
	s_or_b64 exec, exec, s[42:43]
	v_lshlrev_b32_e32 v23, 16, v23
	v_lshlrev_b32_e32 v40, 16, v40
	v_max_f32_e32 v40, v40, v40
	v_max_f32_e32 v23, v23, v23
	v_min_f32_e32 v41, v23, v40
	v_max_f32_e32 v23, v23, v40
	v_cndmask_b32_e32 v23, v23, v41, vcc
	v_and_b32_e32 v40, 0x7f800000, v23
	v_cmp_ne_u32_e64 s[24:25], s68, v40
	flat_store_short_d16_hi v[16:17], v44 offset:256 nt
                                        ; implicit-def: $vgpr40
	s_and_saveexec_b64 s[42:43], s[24:25]
	s_xor_b64 s[24:25], exec, s[42:43]
; %bb.1533:                             ;   in Loop: Header=BB8_1520 Depth=2
	v_bfe_u32 v40, v23, 16, 1
	v_add3_u32 v40, v23, v40, s69
                                        ; implicit-def: $vgpr23
; %bb.1534:                             ;   in Loop: Header=BB8_1520 Depth=2
	s_andn2_saveexec_b64 s[42:43], s[24:25]
	s_cbranch_execz .LBB8_1519
; %bb.1535:                             ;   in Loop: Header=BB8_1520 Depth=2
	v_or_b32_e32 v40, 0x10000, v23
	v_cmp_eq_u32_sdwa s[24:25], v23, v3 src0_sel:WORD_0 src1_sel:DWORD
	s_nop 1
	v_cndmask_b32_e64 v40, v40, v23, s[24:25]
	s_branch .LBB8_1519
.LBB8_1536:                             ;   in Loop: Header=BB8_47 Depth=1
	s_or_b64 exec, exec, s[40:41]
.LBB8_1537:                             ;   in Loop: Header=BB8_47 Depth=1
	s_or_b64 exec, exec, s[28:29]
	v_lshlrev_b32_e32 v8, 9, v22
	v_cmp_ne_u32_e32 vcc, v43, v8
	s_and_b64 exec, exec, vcc
	s_cbranch_execz .LBB8_1541
; %bb.1538:                             ;   in Loop: Header=BB8_47 Depth=1
	v_lshlrev_b32_e32 v9, 6, v20
	v_sub_u32_e32 v9, v19, v9
	v_lshlrev_b32_e32 v10, 6, v21
	v_sub_u32_e32 v9, v9, v10
	v_ashrrev_i32_e32 v10, 31, v9
	v_lshrrev_b32_e32 v10, 26, v10
	v_add_u32_e32 v10, v9, v10
	v_and_b32_e32 v11, 0x7fffffc0, v10
	v_sub_u32_e32 v9, v9, v11
	v_lshlrev_b32_e32 v10, 1, v10
	v_and_b32_e32 v10, 0xffffff80, v10
	v_lshlrev_b32_e32 v9, 1, v9
	v_add3_u32 v8, v10, v9, v8
	v_sub_u32_e32 v10, v43, v8
	v_cmp_lt_i32_e32 vcc, 1, v10
	s_and_b64 exec, exec, vcc
	s_cbranch_execz .LBB8_1541
; %bb.1539:                             ;   in Loop: Header=BB8_47 Depth=1
	s_and_b32 s76, s52, 1
	v_add_u32_e32 v8, v8, v18
	s_cmp_eq_u64 s[76:77], 0
	v_ashrrev_i32_e32 v9, 31, v8
	s_mov_b64 s[28:29], 0
	s_cselect_b64 vcc, -1, 0
.LBB8_1540:                             ;   Parent Loop BB8_47 Depth=1
                                        ; =>  This Inner Loop Header: Depth=2
	v_lshl_add_u64 v[14:15], v[114:115], 0, v[8:9]
	v_lshl_add_u64 v[12:13], v[118:119], 0, v[8:9]
	flat_load_ushort v11, v[14:15] nt
	s_nop 0
	flat_load_ushort v14, v[12:13] nt
	v_sub_u32_e32 v10, v10, v84
	v_cmp_gt_i32_e64 s[24:25], 2, v10
	s_or_b64 s[28:29], s[24:25], s[28:29]
	v_lshl_add_u64 v[12:13], v[116:117], 0, v[8:9]
	v_lshl_add_u64 v[8:9], v[8:9], 0, v[84:85]
	s_waitcnt vmcnt(0) lgkmcnt(0)
	v_lshlrev_b32_e32 v11, 16, v11
	v_lshlrev_b32_e32 v14, 16, v14
	v_max_f32_e32 v14, v14, v14
	v_max_f32_e32 v11, v11, v11
	v_min_f32_e32 v15, v11, v14
	v_max_f32_e32 v11, v11, v14
	v_cndmask_b32_e32 v11, v11, v15, vcc
	v_and_b32_e32 v14, 0x7f800000, v11
	v_bfe_u32 v15, v11, 16, 1
	v_or_b32_e32 v16, 0x10000, v11
	v_cmp_eq_u32_sdwa s[24:25], v11, v3 src0_sel:WORD_0 src1_sel:DWORD
	v_add3_u32 v15, v11, v15, s69
	s_nop 0
	v_cndmask_b32_e64 v11, v16, v11, s[24:25]
	v_cmp_eq_u32_e64 s[24:25], s68, v14
	s_nop 1
	v_cndmask_b32_e64 v11, v15, v11, s[24:25]
	flat_store_short_d16_hi v[12:13], v11 nt
	s_andn2_b64 exec, exec, s[28:29]
	s_cbranch_execnz .LBB8_1540
.LBB8_1541:                             ;   in Loop: Header=BB8_47 Depth=1
	s_or_b64 exec, exec, s[26:27]
	v_cmp_lt_i32_e64 s[24:25], 0, v2
	s_and_saveexec_b64 s[26:27], s[6:7]
	s_cbranch_execz .LBB8_1438
.LBB8_1542:                             ;   in Loop: Header=BB8_47 Depth=1
	s_and_saveexec_b64 s[28:29], s[78:79]
	s_xor_b64 s[28:29], exec, s[28:29]
	s_cbranch_execz .LBB8_1557
; %bb.1543:                             ;   in Loop: Header=BB8_47 Depth=1
	s_and_saveexec_b64 s[40:41], s[14:15]
	s_cbranch_execz .LBB8_1556
; %bb.1544:                             ;   in Loop: Header=BB8_47 Depth=1
	s_mov_b64 s[44:45], exec
	v_mbcnt_lo_u32_b32 v2, s44, 0
	v_mbcnt_hi_u32_b32 v2, s45, v2
	v_cmp_eq_u32_e32 vcc, 0, v2
	s_waitcnt lgkmcnt(0)
	s_and_saveexec_b64 s[42:43], vcc
	s_cbranch_execz .LBB8_1546
; %bb.1545:                             ;   in Loop: Header=BB8_47 Depth=1
	s_bcnt1_i32_b64 s44, s[44:45]
	v_mov_b32_e32 v2, s44
	ds_add_u64 v0, v[2:3]
	s_trap 2
.LBB8_1546:                             ;   in Loop: Header=BB8_47 Depth=1
	s_or_b64 exec, exec, s[42:43]
	s_trap 2
	ds_read_b64 v[8:9], v0
	s_waitcnt lgkmcnt(0)
	v_lshl_add_u64 v[38:39], v[38:39], 0, v[52:53]
	v_cmp_lt_u64_e32 vcc, v[8:9], v[38:39]
	s_and_saveexec_b64 s[42:43], vcc
	s_cbranch_execz .LBB8_1555
; %bb.1547:                             ;   in Loop: Header=BB8_47 Depth=1
	s_mov_b32 s76, 0
	s_mov_b64 s[44:45], 0
                                        ; implicit-def: $sgpr46_sgpr47
                                        ; implicit-def: $sgpr56_sgpr57
	s_branch .LBB8_1549
.LBB8_1548:                             ;   in Loop: Header=BB8_1549 Depth=2
	s_or_b64 exec, exec, s[38:39]
	s_and_b64 s[58:59], exec, vcc
	s_or_b64 s[44:45], s[58:59], s[44:45]
	s_andn2_b64 s[46:47], s[46:47], exec
	s_and_b64 s[58:59], s[56:57], exec
	s_or_b64 s[46:47], s[46:47], s[58:59]
	s_andn2_b64 exec, exec, s[44:45]
	s_cbranch_execz .LBB8_1553
.LBB8_1549:                             ;   Parent Loop BB8_47 Depth=1
                                        ; =>  This Inner Loop Header: Depth=2
	s_add_i32 s76, s76, 1
	s_cmpk_lg_i32 s76, 0x2710
	s_cselect_b64 s[58:59], -1, 0
	s_and_b64 vcc, exec, s[58:59]
	s_cbranch_vccz .LBB8_1551
; %bb.1550:                             ;   in Loop: Header=BB8_1549 Depth=2
	s_mov_b64 vcc, -1
	s_or_b64 s[56:57], s[56:57], exec
	s_and_saveexec_b64 s[38:39], s[58:59]
	s_cbranch_execz .LBB8_1548
	s_branch .LBB8_1552
.LBB8_1551:                             ;   in Loop: Header=BB8_1549 Depth=2
	s_trap 2
	ds_read_b64 v[8:9], v0
	s_andn2_b64 s[58:59], s[58:59], exec
	s_mov_b32 s76, 0
	s_waitcnt vmcnt(0) lgkmcnt(0)
	flat_load_dword v2, v[8:9] sc0 sc1
	s_waitcnt vmcnt(0) lgkmcnt(0)
	buffer_inv sc0 sc1
	v_cmp_eq_u32_e32 vcc, 0, v2
	s_and_b64 vcc, vcc, exec
	s_or_b64 s[58:59], s[58:59], vcc
	s_mov_b64 vcc, -1
	s_or_b64 s[56:57], s[56:57], exec
	s_and_saveexec_b64 s[38:39], s[58:59]
	s_cbranch_execz .LBB8_1548
.LBB8_1552:                             ;   in Loop: Header=BB8_1549 Depth=2
	s_sleep 1
	s_trap 2
	ds_read_b64 v[8:9], v0
	s_waitcnt lgkmcnt(0)
	s_andn2_b64 s[56:57], s[56:57], exec
	v_cmp_ge_u64_e32 vcc, v[8:9], v[38:39]
	s_orn2_b64 vcc, vcc, exec
	s_branch .LBB8_1548
.LBB8_1553:                             ;   in Loop: Header=BB8_47 Depth=1
	s_or_b64 exec, exec, s[44:45]
	s_and_saveexec_b64 s[44:45], s[46:47]
	s_xor_b64 s[44:45], exec, s[44:45]
	s_cbranch_execz .LBB8_1555
; %bb.1554:                             ;   in Loop: Header=BB8_47 Depth=1
	ds_write_b32 v0, v74
	s_trap 2
.LBB8_1555:                             ;   in Loop: Header=BB8_47 Depth=1
	s_or_b64 exec, exec, s[42:43]
	;;#ASMSTART
	s_wakeup
	;;#ASMEND
.LBB8_1556:                             ;   in Loop: Header=BB8_47 Depth=1
	s_or_b64 exec, exec, s[40:41]
.LBB8_1557:                             ;   in Loop: Header=BB8_47 Depth=1
	s_andn2_saveexec_b64 s[28:29], s[28:29]
	s_cbranch_execz .LBB8_1559
; %bb.1558:                             ;   in Loop: Header=BB8_47 Depth=1
	s_waitcnt lgkmcnt(0)
	s_barrier
.LBB8_1559:                             ;   in Loop: Header=BB8_47 Depth=1
	s_or_b64 exec, exec, s[28:29]
	s_or_b64 exec, exec, s[26:27]
	s_and_saveexec_b64 s[26:27], s[22:23]
	s_xor_b64 s[26:27], exec, s[26:27]
	s_cbranch_execnz .LBB8_1439
.LBB8_1560:                             ;   in Loop: Header=BB8_47 Depth=1
	s_andn2_saveexec_b64 s[24:25], s[26:27]
	s_cbranch_execz .LBB8_1579
.LBB8_1561:                             ;   in Loop: Header=BB8_47 Depth=1
	s_and_saveexec_b64 s[26:27], s[78:79]
	s_xor_b64 s[26:27], exec, s[26:27]
	s_cbranch_execz .LBB8_1576
; %bb.1562:                             ;   in Loop: Header=BB8_47 Depth=1
	s_and_saveexec_b64 s[28:29], s[14:15]
	s_cbranch_execz .LBB8_1575
; %bb.1563:                             ;   in Loop: Header=BB8_47 Depth=1
	s_mov_b64 s[42:43], exec
	v_mbcnt_lo_u32_b32 v2, s42, 0
	v_mbcnt_hi_u32_b32 v2, s43, v2
	v_cmp_eq_u32_e32 vcc, 0, v2
	;;#ASMSTART
	s_waitcnt lgkmcnt(0) vmcnt(0)
	;;#ASMEND
	s_and_saveexec_b64 s[40:41], vcc
	s_cbranch_execz .LBB8_1565
; %bb.1564:                             ;   in Loop: Header=BB8_47 Depth=1
	s_bcnt1_i32_b64 s42, s[42:43]
	v_mov_b32_e32 v2, s42
	s_waitcnt lgkmcnt(0)
	ds_add_u64 v0, v[2:3]
	s_trap 2
.LBB8_1565:                             ;   in Loop: Header=BB8_47 Depth=1
	s_or_b64 exec, exec, s[40:41]
	s_trap 2
	ds_read_b64 v[8:9], v0
	s_waitcnt lgkmcnt(0)
	v_lshl_add_u64 v[38:39], v[38:39], 0, v[52:53]
	v_cmp_lt_u64_e32 vcc, v[8:9], v[38:39]
	s_and_saveexec_b64 s[40:41], vcc
	s_cbranch_execz .LBB8_1574
; %bb.1566:                             ;   in Loop: Header=BB8_47 Depth=1
	s_mov_b32 s76, 0
	s_mov_b64 s[42:43], 0
                                        ; implicit-def: $sgpr44_sgpr45
                                        ; implicit-def: $sgpr46_sgpr47
	s_branch .LBB8_1568
.LBB8_1567:                             ;   in Loop: Header=BB8_1568 Depth=2
	s_or_b64 exec, exec, s[58:59]
	s_and_b64 s[56:57], exec, vcc
	s_or_b64 s[42:43], s[56:57], s[42:43]
	s_andn2_b64 s[44:45], s[44:45], exec
	s_and_b64 s[56:57], s[46:47], exec
	s_or_b64 s[44:45], s[44:45], s[56:57]
	s_andn2_b64 exec, exec, s[42:43]
	s_cbranch_execz .LBB8_1572
.LBB8_1568:                             ;   Parent Loop BB8_47 Depth=1
                                        ; =>  This Inner Loop Header: Depth=2
	s_add_i32 s76, s76, 1
	s_cmpk_lg_i32 s76, 0x2710
	s_cselect_b64 s[56:57], -1, 0
	s_and_b64 vcc, exec, s[56:57]
	s_cbranch_vccz .LBB8_1570
; %bb.1569:                             ;   in Loop: Header=BB8_1568 Depth=2
	s_mov_b64 vcc, -1
	s_or_b64 s[46:47], s[46:47], exec
	s_and_saveexec_b64 s[58:59], s[56:57]
	s_cbranch_execz .LBB8_1567
	s_branch .LBB8_1571
.LBB8_1570:                             ;   in Loop: Header=BB8_1568 Depth=2
	s_trap 2
	ds_read_b64 v[8:9], v0
	s_andn2_b64 s[56:57], s[56:57], exec
	s_mov_b32 s76, 0
	s_waitcnt vmcnt(0) lgkmcnt(0)
	flat_load_dword v2, v[8:9] sc0 sc1
	s_waitcnt vmcnt(0) lgkmcnt(0)
	buffer_inv sc0 sc1
	v_cmp_eq_u32_e32 vcc, 0, v2
	s_and_b64 s[58:59], vcc, exec
	s_or_b64 s[56:57], s[56:57], s[58:59]
	s_mov_b64 vcc, -1
	s_or_b64 s[46:47], s[46:47], exec
	s_and_saveexec_b64 s[58:59], s[56:57]
	s_cbranch_execz .LBB8_1567
.LBB8_1571:                             ;   in Loop: Header=BB8_1568 Depth=2
	s_sleep 1
	s_trap 2
	ds_read_b64 v[8:9], v0
	s_waitcnt lgkmcnt(0)
	s_andn2_b64 s[46:47], s[46:47], exec
	v_cmp_ge_u64_e32 vcc, v[8:9], v[38:39]
	s_orn2_b64 vcc, vcc, exec
	s_branch .LBB8_1567
.LBB8_1572:                             ;   in Loop: Header=BB8_47 Depth=1
	s_or_b64 exec, exec, s[42:43]
	s_and_saveexec_b64 s[42:43], s[44:45]
	s_xor_b64 s[42:43], exec, s[42:43]
	s_cbranch_execz .LBB8_1574
; %bb.1573:                             ;   in Loop: Header=BB8_47 Depth=1
	ds_write_b32 v0, v74
	s_trap 2
.LBB8_1574:                             ;   in Loop: Header=BB8_47 Depth=1
	s_or_b64 exec, exec, s[40:41]
	;;#ASMSTART
	s_wakeup
	;;#ASMEND
.LBB8_1575:                             ;   in Loop: Header=BB8_47 Depth=1
	s_or_b64 exec, exec, s[28:29]
.LBB8_1576:                             ;   in Loop: Header=BB8_47 Depth=1
	s_andn2_saveexec_b64 s[26:27], s[26:27]
	s_cbranch_execz .LBB8_1578
; %bb.1577:                             ;   in Loop: Header=BB8_47 Depth=1
	;;#ASMSTART
	s_waitcnt lgkmcnt(0) vmcnt(0)
	;;#ASMEND
	s_barrier
.LBB8_1578:                             ;   in Loop: Header=BB8_47 Depth=1
	s_or_b64 exec, exec, s[26:27]
.LBB8_1579:                             ;   in Loop: Header=BB8_47 Depth=1
	s_or_b64 exec, exec, s[24:25]
	v_and_b32_e32 v2, 32, v63
	v_cmp_ne_u32_e32 vcc, 0, v2
	s_and_saveexec_b64 s[24:25], vcc
	s_cbranch_execz .LBB8_1581
; %bb.1580:                             ;   in Loop: Header=BB8_47 Depth=1
	v_lshl_add_u64 v[112:113], v[112:113], 0, 4
	flat_store_dwordx2 v[32:33], v[112:113] sc0 sc1
.LBB8_1581:                             ;   in Loop: Header=BB8_47 Depth=1
	s_or_b64 exec, exec, s[24:25]
	v_mov_b32_e32 v14, v42
.LBB8_1582:                             ;   in Loop: Header=BB8_47 Depth=1
	s_or_b64 exec, exec, s[62:63]
	s_and_saveexec_b64 s[26:27], s[60:61]
	s_cbranch_execz .LBB8_46
; %bb.1583:                             ;   in Loop: Header=BB8_47 Depth=1
	v_and_b32_e32 v2, 4, v63
	v_cmp_ne_u32_e32 vcc, 0, v2
	s_and_saveexec_b64 s[28:29], vcc
	s_cbranch_execz .LBB8_1593
; %bb.1584:                             ;   in Loop: Header=BB8_47 Depth=1
	v_lshl_add_u64 v[8:9], v[112:113], 0, 4
	s_waitcnt vmcnt(0)
	v_cmp_lt_u64_e32 vcc, v[48:49], v[8:9]
	s_and_saveexec_b64 s[40:41], vcc
	s_cbranch_execz .LBB8_1608
; %bb.1585:                             ;   in Loop: Header=BB8_47 Depth=1
	v_and_b32_e32 v2, 64, v63
	s_mov_b32 s76, 0
	v_cmp_eq_u32_e32 vcc, 0, v2
	s_mov_b64 s[42:43], 0
                                        ; implicit-def: $sgpr44_sgpr45
                                        ; implicit-def: $sgpr46_sgpr47
                                        ; implicit-def: $sgpr56_sgpr57
	s_branch .LBB8_1589
.LBB8_1586:                             ;   in Loop: Header=BB8_1589 Depth=2
	s_waitcnt vmcnt(0) lgkmcnt(0)
	v_cmp_ge_u64_e64 s[24:25], v[48:49], v[8:9]
	s_or_b64 s[62:63], s[62:63], exec
	s_orn2_b64 s[60:61], s[24:25], exec
.LBB8_1587:                             ;   in Loop: Header=BB8_1589 Depth=2
	s_or_b64 exec, exec, s[48:49]
	s_andn2_b64 s[24:25], s[56:57], exec
	s_and_b64 s[56:57], s[62:63], exec
	s_or_b64 s[56:57], s[24:25], s[56:57]
	s_andn2_b64 s[24:25], s[46:47], exec
	s_and_b64 s[46:47], s[60:61], exec
	s_or_b64 s[46:47], s[24:25], s[46:47]
.LBB8_1588:                             ;   in Loop: Header=BB8_1589 Depth=2
	s_or_b64 exec, exec, s[58:59]
	s_and_b64 s[24:25], exec, s[46:47]
	s_or_b64 s[42:43], s[24:25], s[42:43]
	s_andn2_b64 s[24:25], s[44:45], exec
	s_and_b64 s[44:45], s[56:57], exec
	s_or_b64 s[44:45], s[24:25], s[44:45]
	s_andn2_b64 exec, exec, s[42:43]
	s_cbranch_execz .LBB8_1605
.LBB8_1589:                             ;   Parent Loop BB8_47 Depth=1
                                        ; =>  This Inner Loop Header: Depth=2
	s_sleep 1
	s_waitcnt vmcnt(0) lgkmcnt(0)
	flat_load_dwordx2 v[48:49], v[32:33] sc0 sc1
	s_or_b64 s[56:57], s[56:57], exec
	s_or_b64 s[46:47], s[46:47], exec
                                        ; implicit-def: $vgpr2
	s_and_saveexec_b64 s[58:59], vcc
	s_cbranch_execz .LBB8_1588
; %bb.1590:                             ;   in Loop: Header=BB8_1589 Depth=2
	s_cmpk_lt_i32 s76, 0x270f
	s_cselect_b64 s[38:39], -1, 0
	s_cmpk_gt_i32 s76, 0x270e
	s_mov_b64 s[60:61], -1
	s_cbranch_scc0 .LBB8_1592
; %bb.1591:                             ;   in Loop: Header=BB8_1589 Depth=2
	s_trap 2
	ds_read_b64 v[10:11], v0
	s_andn2_b64 s[38:39], s[38:39], exec
	s_mov_b32 s76, 0
	s_mov_b64 s[62:63], 0
	s_waitcnt vmcnt(0) lgkmcnt(0)
	flat_load_dword v2, v[10:11] sc0 sc1
	s_waitcnt vmcnt(0) lgkmcnt(0)
	buffer_inv sc0 sc1
	v_cmp_eq_u32_e64 s[24:25], 0, v2
	s_and_b64 s[24:25], s[24:25], exec
	s_or_b64 s[38:39], s[38:39], s[24:25]
	s_and_saveexec_b64 s[48:49], s[38:39]
	s_cbranch_execz .LBB8_1587
	s_branch .LBB8_1586
.LBB8_1592:                             ;   in Loop: Header=BB8_1589 Depth=2
	s_add_i32 s76, s76, 1
	s_mov_b64 s[62:63], -1
                                        ; implicit-def: $vgpr2
	s_and_saveexec_b64 s[48:49], s[38:39]
	s_cbranch_execz .LBB8_1587
	s_branch .LBB8_1586
.LBB8_1593:                             ;   in Loop: Header=BB8_47 Depth=1
	s_or_b64 exec, exec, s[28:29]
	s_and_saveexec_b64 s[24:25], s[6:7]
	s_cbranch_execz .LBB8_1617
.LBB8_1594:                             ;   in Loop: Header=BB8_47 Depth=1
	s_and_saveexec_b64 s[28:29], s[78:79]
	s_xor_b64 s[28:29], exec, s[28:29]
	s_cbranch_execz .LBB8_1625
; %bb.1595:                             ;   in Loop: Header=BB8_47 Depth=1
	s_and_saveexec_b64 s[40:41], s[14:15]
	s_cbranch_execz .LBB8_1624
; %bb.1596:                             ;   in Loop: Header=BB8_47 Depth=1
	s_mov_b64 s[44:45], exec
	v_mbcnt_lo_u32_b32 v2, s44, 0
	v_mbcnt_hi_u32_b32 v2, s45, v2
	v_cmp_eq_u32_e32 vcc, 0, v2
	s_waitcnt lgkmcnt(0)
	s_and_saveexec_b64 s[42:43], vcc
	s_cbranch_execz .LBB8_1598
; %bb.1597:                             ;   in Loop: Header=BB8_47 Depth=1
	s_bcnt1_i32_b64 s44, s[44:45]
	v_mov_b32_e32 v2, s44
	ds_add_u64 v0, v[2:3]
	s_trap 2
.LBB8_1598:                             ;   in Loop: Header=BB8_47 Depth=1
	s_or_b64 exec, exec, s[42:43]
	s_trap 2
	ds_read_b64 v[8:9], v0
	s_waitcnt lgkmcnt(0)
	v_lshl_add_u64 v[38:39], v[38:39], 0, v[52:53]
	v_cmp_lt_u64_e32 vcc, v[8:9], v[38:39]
	s_and_saveexec_b64 s[42:43], vcc
	s_cbranch_execz .LBB8_1623
; %bb.1599:                             ;   in Loop: Header=BB8_47 Depth=1
	s_mov_b32 s76, 0
	s_mov_b64 s[44:45], 0
                                        ; implicit-def: $sgpr46_sgpr47
                                        ; implicit-def: $sgpr56_sgpr57
	s_branch .LBB8_1601
.LBB8_1600:                             ;   in Loop: Header=BB8_1601 Depth=2
	s_or_b64 exec, exec, s[60:61]
	s_and_b64 s[58:59], exec, s[62:63]
	s_or_b64 s[44:45], s[58:59], s[44:45]
	s_andn2_b64 s[46:47], s[46:47], exec
	s_and_b64 s[58:59], s[56:57], exec
	s_or_b64 s[46:47], s[46:47], s[58:59]
	s_andn2_b64 exec, exec, s[44:45]
	s_cbranch_execz .LBB8_1621
.LBB8_1601:                             ;   Parent Loop BB8_47 Depth=1
                                        ; =>  This Inner Loop Header: Depth=2
	s_add_i32 s76, s76, 1
	s_cmpk_lg_i32 s76, 0x2710
	s_cselect_b64 s[58:59], -1, 0
	s_and_b64 vcc, exec, s[58:59]
	s_cbranch_vccz .LBB8_1603
; %bb.1602:                             ;   in Loop: Header=BB8_1601 Depth=2
	s_mov_b64 s[62:63], -1
	s_or_b64 s[56:57], s[56:57], exec
	s_and_saveexec_b64 s[60:61], s[58:59]
	s_cbranch_execz .LBB8_1600
	s_branch .LBB8_1604
.LBB8_1603:                             ;   in Loop: Header=BB8_1601 Depth=2
	s_trap 2
	ds_read_b64 v[8:9], v0
	s_andn2_b64 s[58:59], s[58:59], exec
	s_mov_b32 s76, 0
	s_waitcnt vmcnt(0) lgkmcnt(0)
	flat_load_dword v2, v[8:9] sc0 sc1
	s_waitcnt vmcnt(0) lgkmcnt(0)
	buffer_inv sc0 sc1
	v_cmp_eq_u32_e32 vcc, 0, v2
	s_and_b64 s[60:61], vcc, exec
	s_or_b64 s[58:59], s[58:59], s[60:61]
	s_mov_b64 s[62:63], -1
	s_or_b64 s[56:57], s[56:57], exec
	s_and_saveexec_b64 s[60:61], s[58:59]
	s_cbranch_execz .LBB8_1600
.LBB8_1604:                             ;   in Loop: Header=BB8_1601 Depth=2
	s_sleep 1
	s_trap 2
	ds_read_b64 v[8:9], v0
	s_waitcnt lgkmcnt(0)
	s_andn2_b64 s[56:57], s[56:57], exec
	v_cmp_ge_u64_e32 vcc, v[8:9], v[38:39]
	s_orn2_b64 s[62:63], vcc, exec
	s_branch .LBB8_1600
.LBB8_1605:                             ;   in Loop: Header=BB8_47 Depth=1
	s_or_b64 exec, exec, s[42:43]
	s_xor_b64 s[24:25], s[44:45], -1
	s_and_saveexec_b64 s[42:43], s[24:25]
	s_xor_b64 s[24:25], exec, s[42:43]
	s_cbranch_execz .LBB8_1607
; %bb.1606:                             ;   in Loop: Header=BB8_47 Depth=1
	v_or_b32_e32 v63, 64, v63
	s_waitcnt lgkmcnt(0)
	ds_write_b32 v0, v2
	s_trap 2
.LBB8_1607:                             ;   in Loop: Header=BB8_47 Depth=1
	s_or_b64 exec, exec, s[24:25]
.LBB8_1608:                             ;   in Loop: Header=BB8_47 Depth=1
	s_or_b64 exec, exec, s[40:41]
	v_and_b32_e32 v2, 0x100, v63
	v_cmp_ne_u32_e32 vcc, 0, v2
	v_and_b32_e32 v2, 7, v112
	s_mov_b64 s[24:25], -1
	;;#ASMSTART
	s_wakeup
	;;#ASMEND
                                        ; implicit-def: $vgpr10_vgpr11
	s_and_saveexec_b64 s[40:41], vcc
	s_cbranch_execz .LBB8_1612
; %bb.1609:                             ;   in Loop: Header=BB8_47 Depth=1
	v_mad_u64_u32 v[12:13], s[24:25], v2, 24, v[6:7]
	flat_load_dword v10, v[12:13]
	s_waitcnt vmcnt(0) lgkmcnt(0)
	v_cmp_ne_u32_e32 vcc, 1, v10
	v_cmp_eq_u32_e64 s[24:25], 1, v10
                                        ; implicit-def: $vgpr10_vgpr11
	s_and_saveexec_b64 s[42:43], s[24:25]
	s_cbranch_execz .LBB8_1611
; %bb.1610:                             ;   in Loop: Header=BB8_47 Depth=1
	flat_load_dword v10, v[12:13] offset:4 sc0 sc1
	s_waitcnt vmcnt(0) lgkmcnt(0)
	v_ashrrev_i32_e32 v11, 31, v10
	v_lshrrev_b64 v[10:11], 1, v[10:11]
.LBB8_1611:                             ;   in Loop: Header=BB8_47 Depth=1
	s_or_b64 exec, exec, s[42:43]
	s_orn2_b64 s[24:25], vcc, exec
.LBB8_1612:                             ;   in Loop: Header=BB8_47 Depth=1
	s_or_b64 exec, exec, s[40:41]
	s_and_saveexec_b64 s[40:41], s[24:25]
; %bb.1613:                             ;   in Loop: Header=BB8_47 Depth=1
	v_mad_i64_i32 v[10:11], s[24:25], v2, v30, 0
; %bb.1614:                             ;   in Loop: Header=BB8_47 Depth=1
	s_or_b64 exec, exec, s[40:41]
	v_and_b32_e32 v2, 0x2000, v63
	v_lshl_add_u64 v[10:11], v[10:11], 1, v[34:35]
	v_cmp_ne_u32_e32 vcc, 0, v2
	ds_write_b64 v0, v[10:11] offset:720
	s_and_saveexec_b64 s[24:25], vcc
	s_cbranch_execz .LBB8_1616
; %bb.1615:                             ;   in Loop: Header=BB8_47 Depth=1
	ds_read_b64 v[10:11], v0 offset:872
	s_waitcnt lgkmcnt(0)
	v_lshl_add_u64 v[10:11], v[10:11], 0, 1
	ds_write_b64 v0, v[10:11] offset:872
.LBB8_1616:                             ;   in Loop: Header=BB8_47 Depth=1
	s_or_b64 exec, exec, s[24:25]
	v_mov_b64_e32 v[112:113], v[8:9]
	s_or_b64 exec, exec, s[28:29]
	s_and_saveexec_b64 s[24:25], s[6:7]
	s_cbranch_execnz .LBB8_1594
.LBB8_1617:                             ;   in Loop: Header=BB8_47 Depth=1
	s_or_b64 exec, exec, s[24:25]
	s_and_saveexec_b64 s[24:25], s[22:23]
	s_xor_b64 s[24:25], exec, s[24:25]
	s_cbranch_execz .LBB8_1628
.LBB8_1618:                             ;   in Loop: Header=BB8_47 Depth=1
	s_trap 2
	ds_read_b32 v2, v0
	v_sub_u32_e32 v8, v50, v14
	v_min_i32_e32 v8, v42, v8
	v_cmp_lt_i32_e32 vcc, 0, v8
	s_waitcnt lgkmcnt(0)
	v_readfirstlane_b32 s28, v2
	s_cmp_eq_u32 s28, 0
	s_cselect_b64 s[28:29], -1, 0
	v_and_b32_e32 v2, 16, v63
	s_and_b64 s[28:29], vcc, s[28:29]
	v_cmp_ne_u32_e32 vcc, 0, v2
	s_and_b64 s[40:41], vcc, s[28:29]
	s_and_saveexec_b64 s[28:29], s[40:41]
	s_cbranch_execz .LBB8_1620
; %bb.1619:                             ;   in Loop: Header=BB8_47 Depth=1
	buffer_wbl2 sc1
	s_waitcnt vmcnt(0)
	buffer_inv sc1
.LBB8_1620:                             ;   in Loop: Header=BB8_47 Depth=1
	s_or_b64 exec, exec, s[28:29]
	s_andn2_saveexec_b64 s[24:25], s[24:25]
	s_cbranch_execz .LBB8_1647
	s_branch .LBB8_1629
.LBB8_1621:                             ;   in Loop: Header=BB8_47 Depth=1
	s_or_b64 exec, exec, s[44:45]
	s_and_saveexec_b64 s[44:45], s[46:47]
	s_xor_b64 s[44:45], exec, s[44:45]
	s_cbranch_execz .LBB8_1623
; %bb.1622:                             ;   in Loop: Header=BB8_47 Depth=1
	ds_write_b32 v0, v74
	s_trap 2
.LBB8_1623:                             ;   in Loop: Header=BB8_47 Depth=1
	s_or_b64 exec, exec, s[42:43]
	;;#ASMSTART
	s_wakeup
	;;#ASMEND
.LBB8_1624:                             ;   in Loop: Header=BB8_47 Depth=1
	s_or_b64 exec, exec, s[40:41]
.LBB8_1625:                             ;   in Loop: Header=BB8_47 Depth=1
	s_andn2_saveexec_b64 s[28:29], s[28:29]
	s_cbranch_execz .LBB8_1627
; %bb.1626:                             ;   in Loop: Header=BB8_47 Depth=1
	s_waitcnt lgkmcnt(0)
	s_barrier
.LBB8_1627:                             ;   in Loop: Header=BB8_47 Depth=1
	s_or_b64 exec, exec, s[28:29]
	s_or_b64 exec, exec, s[24:25]
	s_and_saveexec_b64 s[24:25], s[22:23]
	s_xor_b64 s[24:25], exec, s[24:25]
	s_cbranch_execnz .LBB8_1618
.LBB8_1628:                             ;   in Loop: Header=BB8_47 Depth=1
	s_andn2_saveexec_b64 s[24:25], s[24:25]
	s_cbranch_execz .LBB8_1647
.LBB8_1629:                             ;   in Loop: Header=BB8_47 Depth=1
	s_and_saveexec_b64 s[28:29], s[78:79]
	s_xor_b64 s[28:29], exec, s[28:29]
	s_cbranch_execz .LBB8_1644
; %bb.1630:                             ;   in Loop: Header=BB8_47 Depth=1
	s_and_saveexec_b64 s[40:41], s[14:15]
	s_cbranch_execz .LBB8_1643
; %bb.1631:                             ;   in Loop: Header=BB8_47 Depth=1
	s_mov_b64 s[44:45], exec
	v_mbcnt_lo_u32_b32 v2, s44, 0
	v_mbcnt_hi_u32_b32 v2, s45, v2
	v_cmp_eq_u32_e32 vcc, 0, v2
	;;#ASMSTART
	s_waitcnt lgkmcnt(0) vmcnt(0)
	;;#ASMEND
	s_and_saveexec_b64 s[42:43], vcc
	s_cbranch_execz .LBB8_1633
; %bb.1632:                             ;   in Loop: Header=BB8_47 Depth=1
	s_bcnt1_i32_b64 s44, s[44:45]
	v_mov_b32_e32 v2, s44
	s_waitcnt lgkmcnt(0)
	ds_add_u64 v0, v[2:3]
	s_trap 2
.LBB8_1633:                             ;   in Loop: Header=BB8_47 Depth=1
	s_or_b64 exec, exec, s[42:43]
	s_trap 2
	ds_read_b64 v[8:9], v0
	s_waitcnt lgkmcnt(0)
	v_lshl_add_u64 v[38:39], v[38:39], 0, v[52:53]
	v_cmp_lt_u64_e32 vcc, v[8:9], v[38:39]
	s_and_saveexec_b64 s[42:43], vcc
	s_cbranch_execz .LBB8_1642
; %bb.1634:                             ;   in Loop: Header=BB8_47 Depth=1
	s_mov_b32 s76, 0
	s_mov_b64 s[44:45], 0
                                        ; implicit-def: $sgpr46_sgpr47
                                        ; implicit-def: $sgpr56_sgpr57
	s_branch .LBB8_1636
.LBB8_1635:                             ;   in Loop: Header=BB8_1636 Depth=2
	s_or_b64 exec, exec, s[60:61]
	s_and_b64 s[58:59], exec, s[62:63]
	s_or_b64 s[44:45], s[58:59], s[44:45]
	s_andn2_b64 s[46:47], s[46:47], exec
	s_and_b64 s[58:59], s[56:57], exec
	s_or_b64 s[46:47], s[46:47], s[58:59]
	s_andn2_b64 exec, exec, s[44:45]
	s_cbranch_execz .LBB8_1640
.LBB8_1636:                             ;   Parent Loop BB8_47 Depth=1
                                        ; =>  This Inner Loop Header: Depth=2
	s_add_i32 s76, s76, 1
	s_cmpk_lg_i32 s76, 0x2710
	s_cselect_b64 s[58:59], -1, 0
	s_and_b64 vcc, exec, s[58:59]
	s_cbranch_vccz .LBB8_1638
; %bb.1637:                             ;   in Loop: Header=BB8_1636 Depth=2
	s_mov_b64 s[62:63], -1
	s_or_b64 s[56:57], s[56:57], exec
	s_and_saveexec_b64 s[60:61], s[58:59]
	s_cbranch_execz .LBB8_1635
	s_branch .LBB8_1639
.LBB8_1638:                             ;   in Loop: Header=BB8_1636 Depth=2
	s_trap 2
	ds_read_b64 v[8:9], v0
	s_andn2_b64 s[58:59], s[58:59], exec
	s_mov_b32 s76, 0
	s_waitcnt vmcnt(0) lgkmcnt(0)
	flat_load_dword v2, v[8:9] sc0 sc1
	s_waitcnt vmcnt(0) lgkmcnt(0)
	buffer_inv sc0 sc1
	v_cmp_eq_u32_e32 vcc, 0, v2
	s_and_b64 s[60:61], vcc, exec
	s_or_b64 s[58:59], s[58:59], s[60:61]
	s_mov_b64 s[62:63], -1
	s_or_b64 s[56:57], s[56:57], exec
	s_and_saveexec_b64 s[60:61], s[58:59]
	s_cbranch_execz .LBB8_1635
.LBB8_1639:                             ;   in Loop: Header=BB8_1636 Depth=2
	s_sleep 1
	s_trap 2
	ds_read_b64 v[8:9], v0
	s_waitcnt lgkmcnt(0)
	s_andn2_b64 s[56:57], s[56:57], exec
	v_cmp_ge_u64_e32 vcc, v[8:9], v[38:39]
	s_orn2_b64 s[62:63], vcc, exec
	s_branch .LBB8_1635
.LBB8_1640:                             ;   in Loop: Header=BB8_47 Depth=1
	s_or_b64 exec, exec, s[44:45]
	s_and_saveexec_b64 s[44:45], s[46:47]
	s_xor_b64 s[44:45], exec, s[44:45]
	s_cbranch_execz .LBB8_1642
; %bb.1641:                             ;   in Loop: Header=BB8_47 Depth=1
	ds_write_b32 v0, v74
	s_trap 2
.LBB8_1642:                             ;   in Loop: Header=BB8_47 Depth=1
	s_or_b64 exec, exec, s[42:43]
	;;#ASMSTART
	s_wakeup
	;;#ASMEND
.LBB8_1643:                             ;   in Loop: Header=BB8_47 Depth=1
	s_or_b64 exec, exec, s[40:41]
.LBB8_1644:                             ;   in Loop: Header=BB8_47 Depth=1
	s_andn2_saveexec_b64 s[28:29], s[28:29]
	s_cbranch_execz .LBB8_1646
; %bb.1645:                             ;   in Loop: Header=BB8_47 Depth=1
	;;#ASMSTART
	s_waitcnt lgkmcnt(0) vmcnt(0)
	;;#ASMEND
	s_barrier
.LBB8_1646:                             ;   in Loop: Header=BB8_47 Depth=1
	s_or_b64 exec, exec, s[28:29]
.LBB8_1647:                             ;   in Loop: Header=BB8_47 Depth=1
	s_or_b64 exec, exec, s[24:25]
	v_and_b32_e32 v2, 32, v63
	v_cmp_ne_u32_e32 vcc, 0, v2
	s_and_saveexec_b64 s[24:25], vcc
	s_cbranch_execz .LBB8_45
; %bb.1648:                             ;   in Loop: Header=BB8_47 Depth=1
	v_lshl_add_u64 v[112:113], v[112:113], 0, 4
	flat_store_dwordx2 v[32:33], v[112:113] sc0 sc1
	s_branch .LBB8_45
.LBB8_1649:
	s_or_b64 exec, exec, s[88:89]
.LBB8_1650:
	s_or_b64 exec, exec, s[74:75]
	v_and_b32_e32 v0, 0x800, v63
	v_cmp_eq_u32_e32 vcc, 0, v0
	s_and_saveexec_b64 s[2:3], vcc
	s_cbranch_execz .LBB8_1683
; %bb.1651:
	v_and_b32_e32 v0, 48, v63
	v_cmp_ne_u32_e32 vcc, 0, v0
	s_and_saveexec_b64 s[0:1], vcc
	s_cbranch_execz .LBB8_1653
; %bb.1652:
	flat_store_dwordx2 v[28:29], v[112:113] offset:104
.LBB8_1653:
	s_or_b64 exec, exec, s[0:1]
	s_movk_i32 s0, 0x88
	v_and_b32_e32 v0, 0x88, v63
	v_cmp_eq_u32_e32 vcc, s0, v0
	s_and_saveexec_b64 s[4:5], vcc
	s_cbranch_execz .LBB8_1663
; %bb.1654:
	v_bitop3_b32 v0, v112, 4, 7 bitop3:0x6c
	v_mad_u64_u32 v[2:3], s[0:1], v0, 24, v[6:7]
	flat_load_dwordx2 v[4:5], v[2:3] offset:8 sc0 sc1
	s_waitcnt vmcnt(0)
	v_and_b32_e32 v0, 64, v63
	v_cmp_eq_u32_e64 s[0:1], 0, v0
	s_mov_b32 s18, 0
	s_waitcnt lgkmcnt(0)
	v_cmp_ne_u64_e32 vcc, -1, v[4:5]
	s_and_b64 s[0:1], vcc, s[0:1]
	s_and_b64 exec, exec, s[0:1]
	s_cbranch_execz .LBB8_1663
; %bb.1655:
	s_mov_b64 s[0:1], 0
                                        ; implicit-def: $sgpr6_sgpr7
                                        ; implicit-def: $sgpr10_sgpr11
	s_branch .LBB8_1658
.LBB8_1656:                             ;   in Loop: Header=BB8_1658 Depth=1
	flat_load_dwordx2 v[4:5], v[2:3] offset:8 sc0 sc1
	s_waitcnt vmcnt(0)
	s_andn2_b64 s[10:11], s[10:11], exec
	s_waitcnt lgkmcnt(0)
	v_cmp_eq_u64_e32 vcc, -1, v[4:5]
	s_orn2_b64 s[14:15], vcc, exec
.LBB8_1657:                             ;   in Loop: Header=BB8_1658 Depth=1
	s_or_b64 exec, exec, s[16:17]
	s_and_b64 s[12:13], exec, s[14:15]
	s_or_b64 s[0:1], s[12:13], s[0:1]
	s_andn2_b64 s[6:7], s[6:7], exec
	s_and_b64 s[12:13], s[10:11], exec
	s_or_b64 s[6:7], s[6:7], s[12:13]
	s_andn2_b64 exec, exec, s[0:1]
	s_cbranch_execz .LBB8_1661
.LBB8_1658:                             ; =>This Inner Loop Header: Depth=1
	s_cmpk_lt_i32 s18, 0x270f
	s_cselect_b64 s[12:13], -1, 0
	s_and_b64 vcc, exec, s[12:13]
	s_cbranch_vccnz .LBB8_1660
; %bb.1659:                             ;   in Loop: Header=BB8_1658 Depth=1
	s_trap 2
	ds_read_b64 v[4:5], v0
	s_andn2_b64 s[12:13], s[12:13], exec
	s_mov_b32 s18, 0
	s_waitcnt lgkmcnt(0)
	flat_load_dword v0, v[4:5] sc0 sc1
	s_waitcnt vmcnt(0) lgkmcnt(0)
	buffer_inv sc0 sc1
	v_cmp_eq_u32_e32 vcc, 0, v0
	s_and_b64 s[14:15], vcc, exec
	s_or_b64 s[12:13], s[12:13], s[14:15]
	s_mov_b64 s[14:15], -1
	s_or_b64 s[10:11], s[10:11], exec
	s_and_saveexec_b64 s[16:17], s[12:13]
	s_cbranch_execz .LBB8_1657
	s_branch .LBB8_1656
.LBB8_1660:                             ;   in Loop: Header=BB8_1658 Depth=1
	s_add_i32 s18, s18, 1
                                        ; implicit-def: $vgpr0
	s_mov_b64 s[14:15], -1
	s_or_b64 s[10:11], s[10:11], exec
	s_and_saveexec_b64 s[16:17], s[12:13]
	s_cbranch_execz .LBB8_1657
	s_branch .LBB8_1656
.LBB8_1661:
	s_or_b64 exec, exec, s[0:1]
	s_and_saveexec_b64 s[0:1], s[6:7]
	s_xor_b64 s[0:1], exec, s[0:1]
	s_cbranch_execz .LBB8_1663
; %bb.1662:
	ds_write_b32 v0, v0
	s_trap 2
.LBB8_1663:
	s_or_b64 exec, exec, s[4:5]
	v_and_b32_e32 v0, 0x2000, v63
	v_cmp_ne_u32_e32 vcc, 0, v0
	s_and_saveexec_b64 s[0:1], vcc
	s_cbranch_execz .LBB8_1665
; %bb.1664:
	ds_read_b64 v[2:3], v0 offset:872
	s_waitcnt lgkmcnt(0)
	flat_store_dwordx2 v[26:27], v[2:3] offset:16
.LBB8_1665:
	s_or_b64 exec, exec, s[0:1]
	v_cmp_ne_u32_e32 vcc, 64, v1
	s_and_b64 exec, exec, vcc
	s_cbranch_execz .LBB8_1683
; %bb.1666:
	v_cmp_ne_u32_sdwa s[0:1], v1, v62 src0_sel:DWORD src1_sel:WORD_0
	s_and_saveexec_b64 s[4:5], s[0:1]
	s_xor_b64 s[0:1], exec, s[4:5]
	s_cbranch_execz .LBB8_1681
; %bb.1667:
	v_and_b32_e32 v0, 63, v31
	v_cmp_eq_u32_e32 vcc, 0, v0
	s_and_saveexec_b64 s[4:5], vcc
	s_cbranch_execz .LBB8_1680
; %bb.1668:
	s_mov_b64 s[10:11], exec
	v_mbcnt_lo_u32_b32 v0, s10, 0
	v_mbcnt_hi_u32_b32 v0, s11, v0
	v_cmp_eq_u32_e32 vcc, 0, v0
	s_waitcnt lgkmcnt(0)
	s_and_saveexec_b64 s[6:7], vcc
	s_cbranch_execz .LBB8_1670
; %bb.1669:
	s_bcnt1_i32_b64 s10, s[10:11]
	v_mov_b32_e32 v2, s10
	v_mov_b32_e32 v3, 0
	ds_add_u64 v0, v[2:3]
	s_trap 2
.LBB8_1670:
	s_or_b64 exec, exec, s[6:7]
	s_trap 2
	ds_read_b64 v[2:3], v0
	s_waitcnt lgkmcnt(0)
	v_lshrrev_b32_e32 v0, 6, v1
	v_mov_b32_e32 v1, 0
	v_lshl_add_u64 v[0:1], v[38:39], 0, v[0:1]
	v_cmp_lt_u64_e32 vcc, v[2:3], v[0:1]
	s_and_saveexec_b64 s[6:7], vcc
	s_cbranch_execz .LBB8_1679
; %bb.1671:
	s_mov_b32 s22, 0
	s_mov_b64 s[10:11], 0
                                        ; implicit-def: $sgpr12_sgpr13
                                        ; implicit-def: $sgpr14_sgpr15
	s_branch .LBB8_1673
.LBB8_1672:                             ;   in Loop: Header=BB8_1673 Depth=1
	s_or_b64 exec, exec, s[18:19]
	s_and_b64 s[16:17], exec, s[20:21]
	s_or_b64 s[10:11], s[16:17], s[10:11]
	s_andn2_b64 s[12:13], s[12:13], exec
	s_and_b64 s[16:17], s[14:15], exec
	s_or_b64 s[12:13], s[12:13], s[16:17]
	s_andn2_b64 exec, exec, s[10:11]
	s_cbranch_execz .LBB8_1677
.LBB8_1673:                             ; =>This Inner Loop Header: Depth=1
	s_add_i32 s22, s22, 1
	s_cmpk_lg_i32 s22, 0x2710
	s_cselect_b64 s[16:17], -1, 0
	s_and_b64 vcc, exec, s[16:17]
	s_cbranch_vccz .LBB8_1675
; %bb.1674:                             ;   in Loop: Header=BB8_1673 Depth=1
	s_mov_b64 s[20:21], -1
	s_or_b64 s[14:15], s[14:15], exec
	s_and_saveexec_b64 s[18:19], s[16:17]
	s_cbranch_execz .LBB8_1672
	s_branch .LBB8_1676
.LBB8_1675:                             ;   in Loop: Header=BB8_1673 Depth=1
	s_trap 2
	ds_read_b64 v[2:3], v0
	s_andn2_b64 s[16:17], s[16:17], exec
	s_mov_b32 s22, 0
	s_waitcnt vmcnt(0) lgkmcnt(0)
	flat_load_dword v2, v[2:3] sc0 sc1
	s_waitcnt vmcnt(0) lgkmcnt(0)
	buffer_inv sc0 sc1
	v_cmp_eq_u32_e32 vcc, 0, v2
	s_and_b64 s[18:19], vcc, exec
	s_or_b64 s[16:17], s[16:17], s[18:19]
	s_mov_b64 s[20:21], -1
	s_or_b64 s[14:15], s[14:15], exec
	s_and_saveexec_b64 s[18:19], s[16:17]
	s_cbranch_execz .LBB8_1672
.LBB8_1676:                             ;   in Loop: Header=BB8_1673 Depth=1
	s_sleep 1
	s_trap 2
	ds_read_b64 v[2:3], v0
	s_waitcnt lgkmcnt(0)
	s_andn2_b64 s[14:15], s[14:15], exec
	v_cmp_ge_u64_e32 vcc, v[2:3], v[0:1]
	s_orn2_b64 s[20:21], vcc, exec
	s_branch .LBB8_1672
.LBB8_1677:
	s_or_b64 exec, exec, s[10:11]
	s_and_saveexec_b64 s[10:11], s[12:13]
	s_xor_b64 s[10:11], exec, s[10:11]
	s_cbranch_execz .LBB8_1679
; %bb.1678:
	v_mov_b32_e32 v0, 1
	ds_write_b32 v0, v0
	s_trap 2
.LBB8_1679:
	s_or_b64 exec, exec, s[6:7]
	;;#ASMSTART
	s_wakeup
	;;#ASMEND
.LBB8_1680:
	s_or_b64 exec, exec, s[4:5]
.LBB8_1681:
	s_andn2_saveexec_b64 s[0:1], s[0:1]
	s_cbranch_execz .LBB8_1683
; %bb.1682:
	s_waitcnt lgkmcnt(0)
	s_barrier
.LBB8_1683:
	s_or_b64 exec, exec, s[2:3]
.LBB8_1684:
	s_andn2_saveexec_b64 s[22:23], s[72:73]
	s_cbranch_execz .LBB8_1686
; %bb.1685:
	s_getpc_b64 s[0:1]
	s_add_u32 s0, s0, __PRETTY_FUNCTION__._ZN10PrimitivesI12hip_bfloat1610FuncMinMaxIS0_E12FanSymmetricILi1EELi0E11ProtoSimpleILi1ELi4ELi1ELi1ELi0ELi0EELi0ELb0ELi0ELi0ELi1EEC2EiiPKiS9_PKvPvmhhhP15ncclDevWorkCollP14ncclDevWorkP2pii@rel32@lo+4
	s_addc_u32 s1, s1, __PRETTY_FUNCTION__._ZN10PrimitivesI12hip_bfloat1610FuncMinMaxIS0_E12FanSymmetricILi1EELi0E11ProtoSimpleILi1ELi4ELi1ELi1ELi0ELi0EELi0ELb0ELi0ELi0ELi1EEC2EiiPKiS9_PKvPvmhhhP15ncclDevWorkCollP14ncclDevWorkP2pii@rel32@hi+12
	s_getpc_b64 s[2:3]
	s_add_u32 s2, s2, __assert_fail@rel32@lo+4
	s_addc_u32 s3, s3, __assert_fail@rel32@hi+12
	v_mov_b32_e32 v0, s0
	v_mov_b32_e32 v1, s1
	s_swappc_b64 s[30:31], s[2:3]
	; divergent unreachable
.LBB8_1686:
	s_or_b64 exec, exec, s[22:23]
	scratch_load_dword v126, off, s33       ; 4-byte Folded Reload
	scratch_load_dword v125, off, s33 offset:4 ; 4-byte Folded Reload
	scratch_load_dword v124, off, s33 offset:8 ; 4-byte Folded Reload
	;; [unrolled: 1-line block ×46, first 2 shown]
	v_readlane_b32 s30, v127, 30
	v_readlane_b32 s31, v127, 31
	;; [unrolled: 1-line block ×32, first 2 shown]
	s_mov_b32 s32, s33
	v_readlane_b32 s0, v127, 32
	s_or_saveexec_b64 s[2:3], -1
	scratch_load_dword v127, off, s33 offset:188 ; 4-byte Folded Reload
	s_mov_b64 exec, s[2:3]
	s_mov_b32 s33, s0
	s_waitcnt vmcnt(0) lgkmcnt(0)
	s_setpc_b64 s[30:31]
.Lfunc_end8:
	.size	_ZN12_GLOBAL__N_17runRingI12hip_bfloat1610FuncMinMaxIS1_E11ProtoSimpleILi1ELi4ELi1ELi1ELi0ELi0EELi0ELi1ELi1ELi0EEEviiP15ncclDevWorkColl, .Lfunc_end8-_ZN12_GLOBAL__N_17runRingI12hip_bfloat1610FuncMinMaxIS1_E11ProtoSimpleILi1ELi4ELi1ELi1ELi0ELi0EELi0ELi1ELi1ELi0EEEviiP15ncclDevWorkColl
                                        ; -- End function
	.set .L_ZN12_GLOBAL__N_17runRingI12hip_bfloat1610FuncMinMaxIS1_E11ProtoSimpleILi1ELi4ELi1ELi1ELi0ELi0EELi0ELi1ELi1ELi0EEEviiP15ncclDevWorkColl.num_vgpr, max(128, .L__assert_fail.num_vgpr)
	.set .L_ZN12_GLOBAL__N_17runRingI12hip_bfloat1610FuncMinMaxIS1_E11ProtoSimpleILi1ELi4ELi1ELi1ELi0ELi0EELi0ELi1ELi1ELi0EEEviiP15ncclDevWorkColl.num_agpr, max(0, .L__assert_fail.num_agpr)
	.set .L_ZN12_GLOBAL__N_17runRingI12hip_bfloat1610FuncMinMaxIS1_E11ProtoSimpleILi1ELi4ELi1ELi1ELi0ELi0EELi0ELi1ELi1ELi0EEEviiP15ncclDevWorkColl.numbered_sgpr, max(96, .L__assert_fail.numbered_sgpr)
	.set .L_ZN12_GLOBAL__N_17runRingI12hip_bfloat1610FuncMinMaxIS1_E11ProtoSimpleILi1ELi4ELi1ELi1ELi0ELi0EELi0ELi1ELi1ELi0EEEviiP15ncclDevWorkColl.num_named_barrier, max(0, .L__assert_fail.num_named_barrier)
	.set .L_ZN12_GLOBAL__N_17runRingI12hip_bfloat1610FuncMinMaxIS1_E11ProtoSimpleILi1ELi4ELi1ELi1ELi0ELi0EELi0ELi1ELi1ELi0EEEviiP15ncclDevWorkColl.private_seg_size, 208+max(.L__assert_fail.private_seg_size)
	.set .L_ZN12_GLOBAL__N_17runRingI12hip_bfloat1610FuncMinMaxIS1_E11ProtoSimpleILi1ELi4ELi1ELi1ELi0ELi0EELi0ELi1ELi1ELi0EEEviiP15ncclDevWorkColl.uses_vcc, or(1, .L__assert_fail.uses_vcc)
	.set .L_ZN12_GLOBAL__N_17runRingI12hip_bfloat1610FuncMinMaxIS1_E11ProtoSimpleILi1ELi4ELi1ELi1ELi0ELi0EELi0ELi1ELi1ELi0EEEviiP15ncclDevWorkColl.uses_flat_scratch, or(0, .L__assert_fail.uses_flat_scratch)
	.set .L_ZN12_GLOBAL__N_17runRingI12hip_bfloat1610FuncMinMaxIS1_E11ProtoSimpleILi1ELi4ELi1ELi1ELi0ELi0EELi0ELi1ELi1ELi0EEEviiP15ncclDevWorkColl.has_dyn_sized_stack, or(0, .L__assert_fail.has_dyn_sized_stack)
	.set .L_ZN12_GLOBAL__N_17runRingI12hip_bfloat1610FuncMinMaxIS1_E11ProtoSimpleILi1ELi4ELi1ELi1ELi0ELi0EELi0ELi1ELi1ELi0EEEviiP15ncclDevWorkColl.has_recursion, or(1, .L__assert_fail.has_recursion)
	.set .L_ZN12_GLOBAL__N_17runRingI12hip_bfloat1610FuncMinMaxIS1_E11ProtoSimpleILi1ELi4ELi1ELi1ELi0ELi0EELi0ELi1ELi1ELi0EEEviiP15ncclDevWorkColl.has_indirect_call, or(0, .L__assert_fail.has_indirect_call)
	.section	.AMDGPU.csdata,"",@progbits
; Function info:
; codeLenInByte = 56812
; TotalNumSgprs: 102
; NumVgprs: 128
; NumAgprs: 0
; TotalNumVgprs: 128
; ScratchSize: 272
; MemoryBound: 1
	.text
	.p2align	2                               ; -- Begin function _ZN12_GLOBAL__N_17runRingI12hip_bfloat1610FuncMinMaxIS1_E11ProtoSimpleILi2ELi2ELi1ELi1ELi0ELi0EELi0ELi1ELi1ELi0EEEviiP15ncclDevWorkColl
	.type	_ZN12_GLOBAL__N_17runRingI12hip_bfloat1610FuncMinMaxIS1_E11ProtoSimpleILi2ELi2ELi1ELi1ELi0ELi0EELi0ELi1ELi1ELi0EEEviiP15ncclDevWorkColl,@function
_ZN12_GLOBAL__N_17runRingI12hip_bfloat1610FuncMinMaxIS1_E11ProtoSimpleILi2ELi2ELi1ELi1ELi0ELi0EELi0ELi1ELi1ELi0EEEviiP15ncclDevWorkColl: ; @_ZN12_GLOBAL__N_17runRingI12hip_bfloat1610FuncMinMaxIS1_E11ProtoSimpleILi2ELi2ELi1ELi1ELi0ELi0EELi0ELi1ELi1ELi0EEEviiP15ncclDevWorkColl
; %bb.0:
	s_waitcnt vmcnt(0) expcnt(0) lgkmcnt(0)
	s_mov_b32 s0, s33
	s_mov_b32 s33, s32
	s_or_saveexec_b64 s[2:3], -1
	scratch_store_dword off, v124, s33 offset:176 ; 4-byte Folded Spill
	s_mov_b64 exec, s[2:3]
	v_writelane_b32 v124, s0, 35
	s_addk_i32 s32, 0xc0
	scratch_store_dword off, v40, s33 offset:172 ; 4-byte Folded Spill
	scratch_store_dword off, v41, s33 offset:168 ; 4-byte Folded Spill
	;; [unrolled: 1-line block ×43, first 2 shown]
	scratch_store_dword off, v123, s33      ; 4-byte Folded Spill
	v_writelane_b32 v124, s34, 0
	v_writelane_b32 v124, s35, 1
	;; [unrolled: 1-line block ×34, first 2 shown]
	s_nop 1
	v_writelane_b32 v124, s31, 34
	s_trap 2
	flat_load_dword v9, v[2:3]
	ds_read_b32 v6, v0
                                        ; implicit-def: $vgpr14_vgpr15
                                        ; implicit-def: $vgpr24_vgpr25
                                        ; implicit-def: $vgpr4_vgpr5
	s_waitcnt lgkmcnt(0)
	v_readfirstlane_b32 s66, v6
	s_waitcnt vmcnt(0)
	v_cmp_ne_u32_sdwa s[0:1], v6, v9 src0_sel:DWORD src1_sel:BYTE_0
	s_and_saveexec_b64 s[2:3], s[0:1]
	s_xor_b64 s[0:1], exec, s[2:3]
	s_cbranch_execz .LBB9_6
; %bb.1:
	v_not_b32_sdwa v8, v9 dst_sel:DWORD dst_unused:UNUSED_PAD src0_sel:BYTE_0
	v_cmp_ne_u32_sdwa s[2:3], v6, v9 src0_sel:DWORD src1_sel:BYTE_1
                                        ; implicit-def: $vgpr14_vgpr15
                                        ; implicit-def: $vgpr24_vgpr25
                                        ; implicit-def: $vgpr4_vgpr5
	s_and_saveexec_b64 s[4:5], s[2:3]
	s_xor_b64 s[2:3], exec, s[4:5]
	s_cbranch_execz .LBB9_3
; %bb.2:
	flat_load_dwordx4 v[10:13], v[2:3] offset:72
	flat_load_dwordx2 v[4:5], v[2:3] offset:96
	v_add_u32_e32 v6, v6, v8
	v_ashrrev_i32_e32 v7, 31, v6
                                        ; implicit-def: $vgpr9
                                        ; implicit-def: $vgpr8
	s_waitcnt vmcnt(0) lgkmcnt(0)
	v_mul_lo_u32 v7, v12, v7
	v_mad_u64_u32 v[24:25], s[4:5], v12, v6, v[10:11]
	v_mul_lo_u32 v6, v13, v6
	v_lshrrev_b64 v[14:15], 13, v[4:5]
	v_add3_u32 v25, v6, v25, v7
	v_mov_b64_e32 v[4:5], v[12:13]
.LBB9_3:
	s_andn2_saveexec_b64 s[2:3], s[2:3]
	s_cbranch_execz .LBB9_5
; %bb.4:
	flat_load_dwordx4 v[10:13], v[2:3] offset:72
	flat_load_dwordx4 v[4:7], v[2:3] offset:88
	s_waitcnt vmcnt(0) lgkmcnt(0)
	v_add_u32_sdwa v6, v9, v8 dst_sel:DWORD dst_unused:UNUSED_PAD src0_sel:BYTE_1 src1_sel:DWORD
	v_ashrrev_i32_e32 v8, 31, v6
	v_mul_lo_u32 v8, v12, v8
	v_mad_u64_u32 v[24:25], s[4:5], v12, v6, v[10:11]
	v_mul_lo_u32 v6, v13, v6
	v_add3_u32 v25, v6, v25, v8
	v_lshrrev_b32_e32 v14, 2, v7
.LBB9_5:
	s_or_b64 exec, exec, s[2:3]
.LBB9_6:
	s_andn2_saveexec_b64 s[0:1], s[0:1]
	s_cbranch_execz .LBB9_8
; %bb.7:
	flat_load_dwordx2 v[6:7], v[2:3] offset:96
	flat_load_dwordx2 v[4:5], v[2:3] offset:72
	v_mov_b64_e32 v[24:25], 0
	s_waitcnt vmcnt(0) lgkmcnt(0)
	v_lshlrev_b64 v[14:15], 8, v[6:7]
.LBB9_8:
	s_or_b64 exec, exec, s[0:1]
	s_trap 2
	ds_read_b64 v[6:7], v0
	s_waitcnt lgkmcnt(0)
	v_cmp_ne_u32_e32 vcc, -1, v6
	s_nop 1
	v_cndmask_b32_e64 v15, 0, 1, vcc
	v_cmp_ne_u32_e32 vcc, -1, v7
	s_nop 1
	v_addc_co_u32_e64 v8, s[0:1], 0, v15, vcc
	v_lshlrev_b32_e32 v6, 1, v8
	v_cmp_le_u32_e64 s[0:1], v6, v1
	s_and_saveexec_b64 s[2:3], s[0:1]
	s_xor_b64 s[62:63], exec, s[2:3]
	s_cbranch_execz .LBB9_1704
; %bb.9:
	flat_load_dwordx4 v[10:13], v[2:3] offset:16
	flat_load_dwordx2 v[16:17], v[2:3] offset:104
	flat_load_ushort v7, v[2:3] offset:8
	flat_load_dword v6, v[2:3] offset:4
	s_trap 2
	s_load_dword s0, s[8:9], 0x0
	v_mov_b32_e32 v9, 0
	v_mov_b32_e32 v74, 4
	s_waitcnt lgkmcnt(0)
	s_cmp_lt_u32 s12, s0
	s_cselect_b32 s0, 12, 18
	s_add_u32 s0, s8, s0
	s_addc_u32 s1, s9, 0
	global_load_ushort v50, v9, s[0:1]
	ds_read_b32 v9, v0
	v_cmp_ge_u32_e64 s[0:1], v0, v15
	s_waitcnt lgkmcnt(0)
	v_readfirstlane_b32 s20, v9
	s_and_saveexec_b64 s[2:3], s[0:1]
	s_cbranch_execz .LBB9_19
; %bb.10:
	v_cmp_ge_u32_e64 s[0:1], v0, v8
                                        ; implicit-def: $vgpr74
	s_and_saveexec_b64 s[4:5], s[0:1]
	s_xor_b64 s[0:1], exec, s[4:5]
	s_cbranch_execz .LBB9_16
; %bb.11:
	v_cndmask_b32_e64 v9, 0, 1, vcc
	v_sub_u32_e32 v9, v1, v9
	v_cmp_ge_u32_e32 vcc, v0, v9
	s_and_saveexec_b64 s[4:5], vcc
	s_xor_b64 s[4:5], exec, s[4:5]
; %bb.12:
                                        ; implicit-def: $vgpr8
; %bb.13:
	s_or_saveexec_b64 s[4:5], s[4:5]
	v_mov_b32_e32 v74, 16
	s_xor_b64 exec, exec, s[4:5]
; %bb.14:
	v_sub_u32_e32 v8, v1, v8
	v_cmp_lt_i32_e32 vcc, v0, v8
	s_nop 1
	v_cndmask_b32_e64 v74, 32, 0, vcc
; %bb.15:
	s_or_b64 exec, exec, s[4:5]
.LBB9_16:
	s_andn2_saveexec_b64 s[0:1], s[0:1]
; %bb.17:
	v_mov_b32_e32 v74, 8
; %bb.18:
	s_or_b64 exec, exec, s[0:1]
.LBB9_19:
	s_or_b64 exec, exec, s[2:3]
	v_and_b32_e32 v8, 36, v74
	v_cmp_ne_u32_e32 vcc, 0, v8
	v_mov_b32_e32 v8, -1
	s_and_saveexec_b64 s[0:1], vcc
	s_cbranch_execz .LBB9_21
; %bb.20:
	s_trap 2
	ds_read_b32 v8, v0
.LBB9_21:
	s_or_b64 exec, exec, s[0:1]
	v_and_b32_e32 v9, 24, v74
	v_cmp_ne_u32_e64 s[0:1], 0, v9
	s_and_saveexec_b64 s[2:3], s[0:1]
	s_cbranch_execz .LBB9_23
; %bb.22:
	s_trap 2
	s_waitcnt lgkmcnt(0)
	ds_read_b32 v8, v0
.LBB9_23:
	s_or_b64 exec, exec, s[2:3]
	s_waitcnt vmcnt(0)
	v_lshrrev_b64 v[6:7], 31, v[6:7]
	v_and_b32_e32 v20, 3, v6
	v_mov_b64_e32 v[28:29], 0
	s_waitcnt lgkmcnt(0)
	v_ashrrev_i32_e32 v9, 31, v8
	v_mov_b64_e32 v[6:7], 0
                                        ; implicit-def: $vgpr26_vgpr27
                                        ; implicit-def: $vgpr30
                                        ; implicit-def: $vgpr112_vgpr113
                                        ; implicit-def: $vgpr34_vgpr35
                                        ; implicit-def: $vgpr48_vgpr49
                                        ; implicit-def: $vgpr32_vgpr33
	s_and_saveexec_b64 s[0:1], vcc
	s_cbranch_execz .LBB9_33
; %bb.24:
	s_trap 2
	ds_read_b64 v[6:7], v0
	v_and_b32_e32 v18, 0xffff, v20
	s_movk_i32 s2, 0xa8
                                        ; implicit-def: $vgpr26_vgpr27
	s_waitcnt lgkmcnt(0)
	v_lshl_add_u64 v[6:7], v[8:9], 3, v[6:7]
	flat_load_dwordx2 v[6:7], v[6:7]
	s_waitcnt vmcnt(0) lgkmcnt(0)
	v_mad_u64_u32 v[18:19], s[2:3], v18, s2, v[6:7]
	flat_load_dword v6, v[18:19] offset:640
	s_waitcnt vmcnt(0) lgkmcnt(0)
	v_cmp_eq_u32_e32 vcc, 1, v6
	s_and_saveexec_b64 s[2:3], vcc
	s_cbranch_execz .LBB9_26
; %bb.25:
	flat_load_dwordx2 v[26:27], v[18:19] offset:648
	v_or_b32_e32 v74, 0x2000, v74
	s_waitcnt vmcnt(0) lgkmcnt(0)
	flat_load_dwordx2 v[6:7], v[26:27]
	s_trap 2
	s_waitcnt vmcnt(0) lgkmcnt(0)
	ds_write_b64 v0, v[6:7]
	flat_load_dwordx2 v[6:7], v[26:27] offset:8
	s_waitcnt vmcnt(0) lgkmcnt(0)
	ds_write_b64 v0, v[6:7]
	flat_load_dwordx2 v[6:7], v[26:27] offset:16
	s_waitcnt vmcnt(0) lgkmcnt(0)
	ds_write_b64 v0, v[6:7]
.LBB9_26:
	s_or_b64 exec, exec, s[2:3]
	flat_load_dwordx2 v[6:7], v[18:19] offset:608
	v_and_b32_e32 v21, 32, v74
	v_cmp_ne_u32_e32 vcc, 0, v21
                                        ; implicit-def: $vgpr32_vgpr33
	s_waitcnt vmcnt(0) lgkmcnt(0)
	v_lshl_add_u64 v[112:113], v[6:7], 0, 3
	v_and_b32_e32 v112, -4, v112
	s_and_saveexec_b64 s[2:3], vcc
	s_cbranch_execz .LBB9_28
; %bb.27:
	flat_load_dwordx2 v[32:33], v[18:19] offset:560
	s_waitcnt vmcnt(0) lgkmcnt(0)
	flat_store_dwordx2 v[32:33], v[112:113] sc0 sc1
.LBB9_28:
	s_or_b64 exec, exec, s[2:3]
	s_mov_b64 s[2:3], 0x1f8
	v_and_b32_e32 v6, 4, v74
	v_lshl_add_u64 v[28:29], v[18:19], 0, s[2:3]
	v_cmp_ne_u32_e32 vcc, 0, v6
	v_mov_b64_e32 v[6:7], 0
                                        ; implicit-def: $vgpr30
                                        ; implicit-def: $vgpr34_vgpr35
                                        ; implicit-def: $vgpr48_vgpr49
	s_and_saveexec_b64 s[2:3], vcc
	s_cbranch_execz .LBB9_32
; %bb.29:
	v_and_b32_e32 v6, 0x800, v74
	v_cmp_eq_u32_e32 vcc, 0, v6
	s_and_saveexec_b64 s[4:5], vcc
	s_cbranch_execz .LBB9_31
; %bb.30:
	s_trap 2
	ds_write_b64 v0, v[28:29]
.LBB9_31:
	s_or_b64 exec, exec, s[4:5]
	flat_load_dwordx2 v[32:33], v[18:19] offset:552
	s_waitcnt vmcnt(0) lgkmcnt(0)
	flat_load_dwordx2 v[48:49], v[32:33] sc0 sc1
	flat_load_dword v21, v[18:19] offset:576
	flat_load_dwordx2 v[6:7], v[18:19] offset:600
	flat_load_dwordx2 v[34:35], v[18:19] offset:520
	v_or_b32_e32 v18, 0x100, v74
	s_waitcnt vmcnt(0) lgkmcnt(0)
	v_ashrrev_i32_e32 v30, 1, v21
	v_cmp_eq_u64_e32 vcc, 0, v[6:7]
	s_nop 1
	v_cndmask_b32_e32 v74, v18, v74, vcc
.LBB9_32:
	s_or_b64 exec, exec, s[2:3]
.LBB9_33:
	s_or_b64 exec, exec, s[0:1]
	v_and_b32_e32 v18, 24, v74
	v_cmp_ne_u32_e32 vcc, 0, v18
                                        ; implicit-def: $vgpr36_vgpr37
	s_and_saveexec_b64 s[0:1], vcc
	s_cbranch_execz .LBB9_41
; %bb.34:
	s_trap 2
	ds_read_b64 v[6:7], v0
	s_movk_i32 s2, 0xa8
	v_or_b32_e32 v18, 0x100, v74
                                        ; implicit-def: $vgpr36_vgpr37
	s_waitcnt lgkmcnt(0)
	v_lshl_add_u64 v[6:7], v[8:9], 3, v[6:7]
	flat_load_dwordx2 v[6:7], v[6:7]
	v_and_b32_e32 v8, 0xffff, v20
	s_waitcnt vmcnt(0) lgkmcnt(0)
	v_mad_u64_u32 v[28:29], s[2:3], v8, s2, v[6:7]
	flat_load_dwordx4 v[6:9], v[28:29] offset:96
	s_waitcnt vmcnt(0) lgkmcnt(0)
	v_cmp_eq_u64_e32 vcc, 0, v[6:7]
	s_nop 1
	v_cndmask_b32_e32 v74, v18, v74, vcc
	v_and_b32_e32 v18, 16, v74
	v_cmp_ne_u32_e32 vcc, 0, v18
	s_and_saveexec_b64 s[2:3], vcc
	s_cbranch_execz .LBB9_36
; %bb.35:
	flat_load_dwordx2 v[32:33], v[28:29] offset:48
	flat_load_dwordx2 v[36:37], v[28:29] offset:120
	;; [unrolled: 1-line block ×3, first 2 shown]
.LBB9_36:
	s_or_b64 exec, exec, s[2:3]
	v_lshl_add_u64 v[112:113], v[8:9], 0, 3
	v_and_b32_e32 v8, 8, v74
	v_and_b32_e32 v112, -4, v112
	v_cmp_ne_u32_e32 vcc, 0, v8
	s_and_saveexec_b64 s[2:3], vcc
	s_cbranch_execz .LBB9_40
; %bb.37:
	v_and_b32_e32 v8, 0x800, v74
	v_cmp_eq_u32_e32 vcc, 0, v8
	s_and_saveexec_b64 s[4:5], vcc
	s_cbranch_execz .LBB9_39
; %bb.38:
	s_trap 2
	ds_write_b64 v0, v[28:29]
.LBB9_39:
	s_or_b64 exec, exec, s[4:5]
	s_waitcnt vmcnt(0) lgkmcnt(0)
	flat_load_dwordx2 v[32:33], v[28:29] offset:56
	s_waitcnt vmcnt(0) lgkmcnt(0)
	flat_load_dwordx2 v[48:49], v[32:33] sc0 sc1
	flat_load_dword v8, v[28:29] offset:72
	flat_load_dwordx2 v[34:35], v[28:29] offset:16
	s_waitcnt vmcnt(0) lgkmcnt(0)
	v_ashrrev_i32_e32 v30, 1, v8
.LBB9_40:
	s_or_b64 exec, exec, s[2:3]
.LBB9_41:
	s_or_b64 exec, exec, s[0:1]
	v_cmp_eq_u32_e64 s[0:1], 0, v0
	s_and_saveexec_b64 s[2:3], s[0:1]
	s_cbranch_execz .LBB9_43
; %bb.42:
	flat_load_dwordx2 v[8:9], v[2:3] offset:32
	ds_write2_b64 v0, v[12:13], v[10:11] offset1:1
	s_trap 2
	s_waitcnt vmcnt(0) lgkmcnt(0)
	ds_write_b64 v0, v[8:9]
	ds_write_b64 v0, v[16:17]
.LBB9_43:
	s_or_b64 exec, exec, s[2:3]
	v_mov_b64_e32 v[38:39], 0
	v_cmp_lt_i64_e32 vcc, 0, v[4:5]
	s_and_saveexec_b64 s[72:73], vcc
	s_cbranch_execz .LBB9_1670
; %bb.44:
	flat_load_dword v8, v[2:3] offset:4
	s_ashr_i32 s14, s20, 31
	s_lshr_b32 s21, s14, 29
	s_add_i32 s20, s20, s21
	s_ashr_i32 s67, s66, 31
	s_ashr_i32 s21, s20, 4
	s_add_u32 s94, s66, -1
	s_addc_u32 s95, s67, -1
	s_add_i32 s81, s66, s66
	s_not_b32 s22, s66
	s_cmp_gt_i32 s66, 0
	s_cselect_b32 s22, s22, -1
	s_ashr_i32 s20, s20, 31
	s_lshr_b32 s20, s20, 28
	s_add_i32 s82, s22, s81
	s_add_i32 s21, s21, s20
	s_ashr_i32 s83, s82, 31
	s_ashr_i32 s84, s21, 4
	s_cmp_gt_i32 s66, 2
	v_lshrrev_b32_e32 v52, 6, v1
	v_lshlrev_b32_e32 v10, 1, v1
	s_cselect_b64 s[30:31], -1, 0
	s_add_i32 s22, s66, 1
	v_and_b32_e32 v2, 0x1fffff00, v14
	v_lshlrev_b32_e32 v80, 10, v52
	v_and_b32_e32 v84, 0x7f80, v10
	v_and_b32_e32 v9, 63, v31
	v_lshrrev_b32_e32 v76, 6, v0
	v_mad_i64_i32 v[66:67], s[12:13], v2, s66, 0
	v_add_u32_e32 v86, 0xfffffc00, v80
	v_add_u32_e32 v96, 0xffffff80, v84
	v_mov_b32_e32 v3, 0
	v_cmp_ge_u32_e32 vcc, v0, v1
	v_and_b32_e32 v75, 63, v0
	s_mov_b64 s[88:89], 0x400
	s_mov_b64 s[90:91], 0x80
	v_cmp_eq_u32_e64 s[12:13], 0, v9
	v_lshlrev_b32_e32 v9, 11, v76
	v_ashrrev_i32_e32 v87, 31, v86
	v_ashrrev_i32_e32 v97, 31, v96
	s_mov_b32 s75, 0
	v_ashrrev_i32_e32 v51, 31, v30
	v_cmp_eq_u32_e64 s[2:3], 64, v1
	v_cmp_ne_u32_e64 s[4:5], 64, v1
	v_cmp_ne_u32_sdwa s[76:77], v1, v50 src0_sel:DWORD src1_sel:WORD_0
	s_mov_b64 s[78:79], 0
	s_waitcnt vmcnt(0) lgkmcnt(0)
	v_cmp_eq_u64_e64 s[6:7], 0, v[36:37]
	v_cmp_ne_u64_e64 s[10:11], 0, v[36:37]
	v_lshlrev_b32_e32 v54, 4, v0
	s_movk_i32 s68, 0xff80
	v_mov_b64_e32 v[64:65], 0
	v_mov_b64_e32 v[38:39], 0
	v_mov_b32_e32 v77, 1
	s_movk_i32 s69, 0x108
	s_mov_b32 s70, 0x7f800000
	s_movk_i32 s71, 0x7fff
	s_mov_b32 s80, 0xffff0000
	s_mov_b64 s[92:93], 0x180
	v_mov_b32_e32 v53, v3
	v_cmp_eq_u32_e64 s[14:15], 0, v75
	v_cmp_lt_u32_e64 s[16:17], v75, v15
	v_mov_b32_e32 v69, v3
	v_lshlrev_b32_e32 v70, 11, v52
	v_mov_b32_e32 v71, v3
	v_mov_b32_e32 v81, v3
	v_lshlrev_b32_e32 v82, 9, v52
	v_mov_b32_e32 v83, v3
	v_mov_b32_e32 v85, v3
	v_cmp_le_u32_e64 s[18:19], v75, v15
	v_mov_b32_e32 v55, v3
	v_lshl_or_b32 v68, v75, 4, v9
	v_lshl_add_u64 v[98:99], v[86:87], 0, s[88:89]
	v_lshl_add_u64 v[100:101], v[96:97], 0, s[90:91]
	s_movk_i32 s96, 0xfe80
	v_mov_b32_e32 v108, v3
	v_mov_b32_e32 v109, v3
	;; [unrolled: 1-line block ×5, first 2 shown]
	v_and_b32_e32 v8, 1, v8
	v_cmp_eq_u32_e64 s[20:21], 1, v8
	s_xor_b64 s[34:35], s[20:21], -1
	s_cmp_ge_i32 s22, s66
	s_cselect_b32 s23, s66, 0
	s_sub_i32 s86, s22, s23
	s_add_i32 s85, s66, -2
	s_xor_b64 s[36:37], vcc, -1
	s_ashr_i32 s87, s86, 31
	v_mov_b32_e32 v89, 0x88
	v_mov_b64_e32 v[102:103], v[2:3]
	s_trap 2
	s_branch .LBB9_47
.LBB9_45:                               ;   in Loop: Header=BB9_47 Depth=1
	s_or_b64 exec, exec, s[26:27]
.LBB9_46:                               ;   in Loop: Header=BB9_47 Depth=1
	s_or_b64 exec, exec, s[24:25]
	v_lshl_add_u64 v[64:65], v[64:65], 0, v[66:67]
	v_cmp_ge_i64_e32 vcc, v[64:65], v[4:5]
	s_or_b64 s[78:79], vcc, s[78:79]
	s_andn2_b64 exec, exec, s[78:79]
	s_cbranch_execz .LBB9_1669
.LBB9_47:                               ; =>This Loop Header: Depth=1
                                        ;     Child Loop BB9_57 Depth 2
                                        ;       Child Loop BB9_65 Depth 3
                                        ;       Child Loop BB9_89 Depth 3
                                        ;       Child Loop BB9_108 Depth 3
                                        ;       Child Loop BB9_130 Depth 3
                                        ;       Child Loop BB9_135 Depth 3
                                        ;       Child Loop BB9_141 Depth 3
                                        ;       Child Loop BB9_146 Depth 3
                                        ;       Child Loop BB9_155 Depth 3
                                        ;       Child Loop BB9_179 Depth 3
                                        ;     Child Loop BB9_197 Depth 2
                                        ;       Child Loop BB9_203 Depth 3
                                        ;       Child Loop BB9_227 Depth 3
                                        ;       Child Loop BB9_251 Depth 3
                                        ;     Child Loop BB9_269 Depth 2
                                        ;       Child Loop BB9_272 Depth 3
                                        ;         Child Loop BB9_280 Depth 4
                                        ;         Child Loop BB9_308 Depth 4
	;; [unrolled: 1-line block ×9, first 2 shown]
                                        ;       Child Loop BB9_500 Depth 3
                                        ;         Child Loop BB9_506 Depth 4
                                        ;         Child Loop BB9_534 Depth 4
	;; [unrolled: 1-line block ×3, first 2 shown]
                                        ;     Child Loop BB9_575 Depth 2
                                        ;       Child Loop BB9_583 Depth 3
                                        ;       Child Loop BB9_611 Depth 3
	;; [unrolled: 1-line block ×8, first 2 shown]
                                        ;         Child Loop BB9_688 Depth 4
                                        ;       Child Loop BB9_694 Depth 3
                                        ;         Child Loop BB9_727 Depth 4
                                        ;       Child Loop BB9_735 Depth 3
                                        ;       Child Loop BB9_771 Depth 3
                                        ;         Child Loop BB9_776 Depth 4
                                        ;       Child Loop BB9_912 Depth 3
                                        ;       Child Loop BB9_935 Depth 3
                                        ;     Child Loop BB9_953 Depth 2
                                        ;       Child Loop BB9_959 Depth 3
                                        ;       Child Loop BB9_987 Depth 3
	;; [unrolled: 1-line block ×3, first 2 shown]
                                        ;     Child Loop BB9_1029 Depth 2
                                        ;       Child Loop BB9_1032 Depth 3
                                        ;         Child Loop BB9_1040 Depth 4
                                        ;         Child Loop BB9_1068 Depth 4
	;; [unrolled: 1-line block ×8, first 2 shown]
                                        ;           Child Loop BB9_1113 Depth 5
                                        ;         Child Loop BB9_1119 Depth 4
                                        ;           Child Loop BB9_1120 Depth 5
                                        ;         Child Loop BB9_1128 Depth 4
                                        ;         Child Loop BB9_1148 Depth 4
                                        ;           Child Loop BB9_1149 Depth 5
                                        ;         Child Loop BB9_1265 Depth 4
                                        ;         Child Loop BB9_1288 Depth 4
                                        ;       Child Loop BB9_1306 Depth 3
                                        ;         Child Loop BB9_1312 Depth 4
                                        ;         Child Loop BB9_1340 Depth 4
	;; [unrolled: 1-line block ×3, first 2 shown]
                                        ;     Child Loop BB9_1385 Depth 2
                                        ;       Child Loop BB9_1393 Depth 3
                                        ;       Child Loop BB9_1417 Depth 3
	;; [unrolled: 1-line block ×9, first 2 shown]
                                        ;     Child Loop BB9_1603 Depth 2
                                        ;       Child Loop BB9_1609 Depth 3
                                        ;       Child Loop BB9_1633 Depth 3
                                        ;       Child Loop BB9_1656 Depth 3
	v_sub_co_u32_e32 v114, vcc, v4, v64
	s_nop 1
	v_subb_co_u32_e32 v115, vcc, v5, v65, vcc
	v_cmp_lt_i64_e32 vcc, v[114:115], v[66:67]
	s_and_saveexec_b64 s[24:25], vcc
	s_cbranch_execz .LBB9_53
; %bb.48:                               ;   in Loop: Header=BB9_47 Depth=1
	v_lshl_add_u64 v[8:9], s[94:95], 0, v[114:115]
	v_or_b32_e32 v11, s67, v9
	v_mov_b32_e32 v10, v3
	v_cmp_ne_u64_e32 vcc, 0, v[10:11]
                                        ; implicit-def: $vgpr10_vgpr11
	s_and_saveexec_b64 s[22:23], vcc
	s_xor_b64 s[26:27], exec, s[22:23]
	s_cbranch_execz .LBB9_50
; %bb.49:                               ;   in Loop: Header=BB9_47 Depth=1
	s_ashr_i32 s28, s67, 31
	s_add_u32 s22, s66, s28
	s_mov_b32 s29, s28
	s_addc_u32 s23, s67, s28
	s_xor_b64 s[40:41], s[22:23], s[28:29]
	v_cvt_f32_u32_e32 v2, s40
	v_cvt_f32_u32_e32 v10, s41
	s_sub_u32 s29, 0, s40
	s_subb_u32 s42, 0, s41
	v_fmac_f32_e32 v2, 0x4f800000, v10
	v_rcp_f32_e32 v2, v2
	s_nop 0
	v_mul_f32_e32 v2, 0x5f7ffffc, v2
	v_mul_f32_e32 v10, 0x2f800000, v2
	v_trunc_f32_e32 v10, v10
	v_fmac_f32_e32 v2, 0xcf800000, v10
	v_cvt_u32_f32_e32 v10, v10
	v_cvt_u32_f32_e32 v2, v2
	v_readfirstlane_b32 s43, v10
	v_readfirstlane_b32 s22, v2
	s_mul_i32 s23, s29, s43
	s_mul_hi_u32 s45, s29, s22
	s_mul_i32 s44, s42, s22
	s_add_i32 s23, s45, s23
	s_add_i32 s23, s23, s44
	s_mul_i32 s46, s29, s22
	s_mul_i32 s45, s22, s23
	s_mul_hi_u32 s47, s22, s46
	s_mul_hi_u32 s44, s22, s23
	s_add_u32 s45, s47, s45
	s_addc_u32 s44, 0, s44
	s_mul_hi_u32 s56, s43, s46
	s_mul_i32 s46, s43, s46
	s_add_u32 s45, s45, s46
	s_mul_hi_u32 s47, s43, s23
	s_addc_u32 s44, s44, s56
	s_addc_u32 s45, s47, 0
	s_mul_i32 s23, s43, s23
	s_add_u32 s23, s44, s23
	s_addc_u32 s44, 0, s45
	s_add_u32 s45, s22, s23
	s_cselect_b64 s[22:23], -1, 0
	s_cmp_lg_u64 s[22:23], 0
	s_addc_u32 s43, s43, s44
	s_mul_i32 s22, s29, s43
	s_mul_hi_u32 s23, s29, s45
	s_add_i32 s22, s23, s22
	s_mul_i32 s42, s42, s45
	s_add_i32 s22, s22, s42
	s_mul_i32 s29, s29, s45
	s_mul_hi_u32 s42, s43, s29
	s_mul_i32 s44, s43, s29
	s_mul_i32 s47, s45, s22
	s_mul_hi_u32 s29, s45, s29
	s_mul_hi_u32 s46, s45, s22
	s_add_u32 s29, s29, s47
	s_addc_u32 s46, 0, s46
	s_add_u32 s29, s29, s44
	s_mul_hi_u32 s23, s43, s22
	s_addc_u32 s29, s46, s42
	s_addc_u32 s23, s23, 0
	s_mul_i32 s22, s43, s22
	s_add_u32 s22, s29, s22
	s_addc_u32 s29, 0, s23
	s_add_u32 s42, s45, s22
	v_ashrrev_i32_e32 v10, 31, v9
	s_cselect_b64 s[22:23], -1, 0
	v_mov_b32_e32 v11, v10
	s_cmp_lg_u64 s[22:23], 0
	v_lshl_add_u64 v[8:9], v[8:9], 0, v[10:11]
	s_addc_u32 s29, s43, s29
	v_xor_b32_e32 v16, v8, v10
	v_xor_b32_e32 v11, v9, v10
	v_mad_u64_u32 v[8:9], s[22:23], v16, s29, 0
	v_mul_hi_u32 v2, v16, s42
	v_lshl_add_u64 v[8:9], v[2:3], 0, v[8:9]
	v_mad_u64_u32 v[14:15], s[22:23], v11, s42, 0
	v_add_co_u32_e32 v2, vcc, v8, v14
	v_mad_u64_u32 v[12:13], s[22:23], v11, s29, 0
	s_nop 0
	v_addc_co_u32_e32 v2, vcc, v9, v15, vcc
	s_nop 1
	v_addc_co_u32_e32 v13, vcc, 0, v13, vcc
	v_lshl_add_u64 v[8:9], v[2:3], 0, v[12:13]
	v_mul_lo_u32 v2, s41, v8
	v_mul_lo_u32 v14, s40, v9
	v_mad_u64_u32 v[12:13], s[22:23], s40, v8, 0
	v_add3_u32 v2, v13, v14, v2
	v_sub_u32_e32 v13, v11, v2
	v_mov_b32_e32 v14, s41
	v_sub_co_u32_e32 v16, vcc, v16, v12
	s_nop 1
	v_subb_co_u32_e64 v12, s[22:23], v13, v14, vcc
	v_subrev_co_u32_e64 v13, s[22:23], s40, v16
	v_subb_co_u32_e32 v2, vcc, v11, v2, vcc
	s_nop 0
	v_subbrev_co_u32_e64 v12, s[22:23], 0, v12, s[22:23]
	v_cmp_le_u32_e64 s[22:23], s41, v12
	v_cmp_le_u32_e32 vcc, s41, v2
	s_nop 0
	v_cndmask_b32_e64 v14, 0, -1, s[22:23]
	v_cmp_le_u32_e64 s[22:23], s40, v13
	v_cndmask_b32_e64 v11, 0, -1, vcc
	v_cmp_le_u32_e32 vcc, s40, v16
	v_cndmask_b32_e64 v13, 0, -1, s[22:23]
	v_cmp_eq_u32_e64 s[22:23], s41, v12
	s_nop 1
	v_cndmask_b32_e64 v17, v14, v13, s[22:23]
	v_lshl_add_u64 v[12:13], v[8:9], 0, 2
	v_lshl_add_u64 v[14:15], v[8:9], 0, 1
	v_cmp_ne_u32_e64 s[22:23], 0, v17
	s_nop 1
	v_cndmask_b32_e64 v13, v15, v13, s[22:23]
	v_cndmask_b32_e64 v15, 0, -1, vcc
	v_cmp_eq_u32_e32 vcc, s41, v2
	s_nop 1
	v_cndmask_b32_e32 v2, v11, v15, vcc
	v_cmp_ne_u32_e32 vcc, 0, v2
	s_nop 1
	v_cndmask_b32_e32 v2, v9, v13, vcc
	v_cndmask_b32_e64 v9, v14, v12, s[22:23]
	v_cndmask_b32_e32 v8, v8, v9, vcc
	v_xor_b32_e32 v9, s28, v10
	v_xor_b32_e32 v8, v8, v9
	;; [unrolled: 1-line block ×3, first 2 shown]
	v_sub_co_u32_e32 v10, vcc, v8, v9
	s_nop 1
	v_subb_co_u32_e32 v11, vcc, v2, v9, vcc
                                        ; implicit-def: $vgpr8_vgpr9
.LBB9_50:                               ;   in Loop: Header=BB9_47 Depth=1
	s_andn2_saveexec_b64 s[22:23], s[26:27]
	s_cbranch_execz .LBB9_52
; %bb.51:                               ;   in Loop: Header=BB9_47 Depth=1
	v_cvt_f32_u32_e32 v2, s66
	s_sub_i32 s26, 0, s66
	v_rcp_iflag_f32_e32 v2, v2
	s_nop 0
	v_mul_f32_e32 v2, 0x4f7ffffe, v2
	v_cvt_u32_f32_e32 v2, v2
	v_mul_lo_u32 v9, s26, v2
	v_mul_hi_u32 v9, v2, v9
	v_add_u32_e32 v2, v2, v9
	v_mul_hi_u32 v2, v8, v2
	v_mul_lo_u32 v9, v2, s66
	v_sub_u32_e32 v8, v8, v9
	v_add_u32_e32 v10, 1, v2
	v_subrev_u32_e32 v9, s66, v8
	v_cmp_le_u32_e32 vcc, s66, v8
	s_nop 1
	v_cndmask_b32_e32 v8, v8, v9, vcc
	v_cndmask_b32_e32 v2, v2, v10, vcc
	v_add_u32_e32 v9, 1, v2
	v_cmp_le_u32_e32 vcc, s66, v8
	s_nop 1
	v_cndmask_b32_e32 v2, v2, v9, vcc
	v_mov_b64_e32 v[10:11], v[2:3]
.LBB9_52:                               ;   in Loop: Header=BB9_47 Depth=1
	s_or_b64 exec, exec, s[22:23]
	v_lshl_add_u64 v[102:103], v[10:11], 0, 7
	v_and_b32_e32 v102, -8, v102
.LBB9_53:                               ;   in Loop: Header=BB9_47 Depth=1
	s_or_b64 exec, exec, s[24:25]
	v_mul_lo_u32 v2, v103, s82
	v_mul_lo_u32 v8, v102, s83
	v_mad_u64_u32 v[12:13], s[22:23], v102, s82, 0
	v_add3_u32 v13, v13, v8, v2
	v_sub_co_u32_e32 v8, vcc, v114, v12
	v_lshl_add_u64 v[116:117], v[64:65], 0, v[24:25]
	s_nop 0
	v_subb_co_u32_e32 v9, vcc, v115, v13, vcc
	v_cmp_lt_i64_e32 vcc, v[102:103], v[8:9]
	v_mov_b32_e32 v2, 0
	s_nop 0
	v_cndmask_b32_e32 v9, v8, v102, vcc
	v_max_i32_e32 v118, 0, v9
	v_add_u32_e32 v8, 31, v118
	v_ashrrev_i32_e32 v10, 31, v8
	v_lshrrev_b32_e32 v10, 27, v10
	v_add_u32_e32 v8, v8, v10
	v_ashrrev_i32_e32 v8, 5, v8
	v_lshlrev_b32_e32 v8, 4, v8
	v_cmp_lt_i32_e32 vcc, 0, v9
	v_max_i32_e32 v8, s84, v8
	s_and_b64 s[22:23], s[36:37], vcc
	v_mov_b32_e32 v10, 0
	s_and_saveexec_b64 s[24:25], s[22:23]
	s_cbranch_execz .LBB9_193
; %bb.54:                               ;   in Loop: Header=BB9_47 Depth=1
	s_mov_b32 s74, 1
	s_mov_b64 s[28:29], -1
	v_mov_b32_e32 v10, 0
	s_mov_b64 s[26:27], 0
	s_branch .LBB9_57
.LBB9_55:                               ;   in Loop: Header=BB9_57 Depth=2
	s_or_b64 exec, exec, s[40:41]
	v_lshl_add_u64 v[112:113], v[112:113], 0, 2
	flat_store_dwordx2 v[32:33], v[112:113] sc0 sc1
.LBB9_56:                               ;   in Loop: Header=BB9_57 Depth=2
	s_or_b64 exec, exec, s[22:23]
	v_add_u32_e32 v10, v8, v10
	v_cmp_ge_i32_e32 vcc, v10, v118
	s_xor_b64 s[22:23], s[28:29], -1
	s_or_b64 s[22:23], s[22:23], vcc
	s_and_b64 s[22:23], exec, s[22:23]
	s_or_b64 s[26:27], s[22:23], s[26:27]
	s_mov_b64 s[28:29], 0
	v_mov_b32_e32 v2, s74
	s_mov_b32 s74, 2
	s_andn2_b64 exec, exec, s[26:27]
	s_cbranch_execz .LBB9_192
.LBB9_57:                               ;   Parent Loop BB9_47 Depth=1
                                        ; =>  This Loop Header: Depth=2
                                        ;       Child Loop BB9_65 Depth 3
                                        ;       Child Loop BB9_89 Depth 3
	;; [unrolled: 1-line block ×9, first 2 shown]
	s_and_saveexec_b64 s[22:23], s[0:1]
	s_cbranch_execz .LBB9_59
; %bb.58:                               ;   in Loop: Header=BB9_57 Depth=2
	s_trap 2
	ds_read_b64 v[14:15], v0
	v_ashrrev_i32_e32 v11, 31, v10
	s_waitcnt lgkmcnt(0)
	v_lshl_add_u64 v[14:15], v[116:117], 1, v[14:15]
	v_lshl_add_u64 v[14:15], v[12:13], 1, v[14:15]
	;; [unrolled: 1-line block ×3, first 2 shown]
	ds_write_b64 v0, v[14:15]
	ds_write_b64 v0, v[108:109]
.LBB9_59:                               ;   in Loop: Header=BB9_57 Depth=2
	s_or_b64 exec, exec, s[22:23]
	v_sub_u32_e32 v2, v118, v10
	v_min_i32_e32 v8, v8, v2
	v_and_b32_e32 v2, 8, v74
	v_cmp_ne_u32_e32 vcc, 0, v2
	s_and_saveexec_b64 s[40:41], vcc
	s_cbranch_execz .LBB9_81
; %bb.60:                               ;   in Loop: Header=BB9_57 Depth=2
	s_waitcnt vmcnt(0) lgkmcnt(0)
	v_lshl_add_u64 v[16:17], v[48:49], 0, 8
	v_lshl_add_u64 v[14:15], v[112:113], 0, 2
	v_cmp_lt_u64_e32 vcc, v[16:17], v[14:15]
	s_and_saveexec_b64 s[42:43], vcc
	s_cbranch_execz .LBB9_72
; %bb.61:                               ;   in Loop: Header=BB9_57 Depth=2
	v_and_b32_e32 v2, 64, v74
	s_mov_b32 s54, 0
	v_cmp_eq_u32_e32 vcc, 0, v2
	s_mov_b64 s[44:45], 0
                                        ; implicit-def: $sgpr46_sgpr47
                                        ; implicit-def: $sgpr56_sgpr57
                                        ; implicit-def: $sgpr58_sgpr59
	s_branch .LBB9_65
.LBB9_62:                               ;   in Loop: Header=BB9_65 Depth=3
	s_waitcnt vmcnt(0) lgkmcnt(0)
	v_lshl_add_u64 v[16:17], v[48:49], 0, 8
	v_cmp_ge_u64_e64 s[22:23], v[16:17], v[14:15]
	s_or_b64 s[48:49], s[48:49], exec
	s_orn2_b64 s[38:39], s[22:23], exec
.LBB9_63:                               ;   in Loop: Header=BB9_65 Depth=3
	s_or_b64 exec, exec, s[52:53]
	s_andn2_b64 s[22:23], s[58:59], exec
	s_and_b64 s[58:59], s[48:49], exec
	s_or_b64 s[58:59], s[22:23], s[58:59]
	s_andn2_b64 s[22:23], s[56:57], exec
	s_and_b64 s[56:57], s[38:39], exec
	s_or_b64 s[56:57], s[22:23], s[56:57]
.LBB9_64:                               ;   in Loop: Header=BB9_65 Depth=3
	s_or_b64 exec, exec, s[60:61]
	s_and_b64 s[22:23], exec, s[56:57]
	s_or_b64 s[44:45], s[22:23], s[44:45]
	s_andn2_b64 s[22:23], s[46:47], exec
	s_and_b64 s[46:47], s[58:59], exec
	s_or_b64 s[46:47], s[22:23], s[46:47]
	s_andn2_b64 exec, exec, s[44:45]
	s_cbranch_execz .LBB9_69
.LBB9_65:                               ;   Parent Loop BB9_47 Depth=1
                                        ;     Parent Loop BB9_57 Depth=2
                                        ; =>    This Inner Loop Header: Depth=3
	s_sleep 1
	s_waitcnt vmcnt(0) lgkmcnt(0)
	flat_load_dwordx2 v[48:49], v[32:33] sc0 sc1
	s_or_b64 s[58:59], s[58:59], exec
	s_or_b64 s[56:57], s[56:57], exec
                                        ; implicit-def: $vgpr2
	s_and_saveexec_b64 s[60:61], vcc
	s_cbranch_execz .LBB9_64
; %bb.66:                               ;   in Loop: Header=BB9_65 Depth=3
	s_cmpk_lt_i32 s54, 0x270f
	s_cselect_b64 s[50:51], -1, 0
	s_cmpk_gt_i32 s54, 0x270e
	s_mov_b64 s[38:39], -1
	s_cbranch_scc0 .LBB9_68
; %bb.67:                               ;   in Loop: Header=BB9_65 Depth=3
	s_trap 2
	ds_read_b64 v[16:17], v0
	s_andn2_b64 s[50:51], s[50:51], exec
	s_mov_b32 s54, 0
	s_mov_b64 s[48:49], 0
	s_waitcnt vmcnt(0) lgkmcnt(0)
	flat_load_dword v2, v[16:17] sc0 sc1
	s_waitcnt vmcnt(0) lgkmcnt(0)
	buffer_inv sc0 sc1
	v_cmp_eq_u32_e64 s[22:23], 0, v2
	s_and_b64 s[22:23], s[22:23], exec
	s_or_b64 s[50:51], s[50:51], s[22:23]
	s_and_saveexec_b64 s[52:53], s[50:51]
	s_cbranch_execz .LBB9_63
	s_branch .LBB9_62
.LBB9_68:                               ;   in Loop: Header=BB9_65 Depth=3
	s_add_i32 s54, s54, 1
	s_mov_b64 s[48:49], -1
                                        ; implicit-def: $vgpr2
	s_and_saveexec_b64 s[52:53], s[50:51]
	s_cbranch_execz .LBB9_63
	s_branch .LBB9_62
.LBB9_69:                               ;   in Loop: Header=BB9_57 Depth=2
	s_or_b64 exec, exec, s[44:45]
	s_xor_b64 s[22:23], s[46:47], -1
	s_and_saveexec_b64 s[44:45], s[22:23]
	s_xor_b64 s[22:23], exec, s[44:45]
	s_cbranch_execz .LBB9_71
; %bb.70:                               ;   in Loop: Header=BB9_57 Depth=2
	v_or_b32_e32 v74, 64, v74
	s_waitcnt lgkmcnt(0)
	ds_write_b32 v0, v2
	s_trap 2
.LBB9_71:                               ;   in Loop: Header=BB9_57 Depth=2
	s_or_b64 exec, exec, s[22:23]
.LBB9_72:                               ;   in Loop: Header=BB9_57 Depth=2
	s_or_b64 exec, exec, s[42:43]
	v_and_b32_e32 v2, 0x100, v74
	v_cmp_ne_u32_e32 vcc, 0, v2
	v_and_b32_e32 v2, 7, v112
	s_mov_b64 s[22:23], -1
	;;#ASMSTART
	s_wakeup
	;;#ASMEND
                                        ; implicit-def: $vgpr16_vgpr17
	s_and_saveexec_b64 s[42:43], vcc
	s_cbranch_execz .LBB9_76
; %bb.73:                               ;   in Loop: Header=BB9_57 Depth=2
	v_mad_u64_u32 v[18:19], s[22:23], v2, 24, v[6:7]
	flat_load_dword v11, v[18:19]
	v_ashrrev_i32_e32 v9, 31, v8
	v_lshlrev_b64 v[16:17], 1, v[8:9]
	flat_store_dwordx2 v[18:19], v[16:17] offset:8
                                        ; implicit-def: $vgpr16_vgpr17
	s_waitcnt vmcnt(0) lgkmcnt(0)
	v_cmp_ne_u32_e32 vcc, 1, v11
	v_cmp_eq_u32_e64 s[22:23], 1, v11
	s_and_saveexec_b64 s[44:45], s[22:23]
	s_cbranch_execz .LBB9_75
; %bb.74:                               ;   in Loop: Header=BB9_57 Depth=2
	flat_load_dword v16, v[18:19] offset:4 sc0 sc1
	s_waitcnt vmcnt(0) lgkmcnt(0)
	v_ashrrev_i32_e32 v17, 31, v16
	v_lshrrev_b64 v[16:17], 1, v[16:17]
.LBB9_75:                               ;   in Loop: Header=BB9_57 Depth=2
	s_or_b64 exec, exec, s[44:45]
	s_orn2_b64 s[22:23], vcc, exec
.LBB9_76:                               ;   in Loop: Header=BB9_57 Depth=2
	s_or_b64 exec, exec, s[42:43]
	s_and_saveexec_b64 s[42:43], s[22:23]
; %bb.77:                               ;   in Loop: Header=BB9_57 Depth=2
	v_mad_i64_i32 v[16:17], s[22:23], v2, v30, 0
; %bb.78:                               ;   in Loop: Header=BB9_57 Depth=2
	s_or_b64 exec, exec, s[42:43]
	v_and_b32_e32 v2, 0x2000, v74
	v_lshl_add_u64 v[16:17], v[16:17], 1, v[34:35]
	v_cmp_ne_u32_e32 vcc, 0, v2
	ds_write_b64 v0, v[16:17] offset:784
	s_and_saveexec_b64 s[22:23], vcc
	s_cbranch_execz .LBB9_80
; %bb.79:                               ;   in Loop: Header=BB9_57 Depth=2
	ds_read_b64 v[16:17], v0 offset:872
	s_waitcnt lgkmcnt(0)
	v_lshl_add_u64 v[16:17], v[16:17], 0, 1
	ds_write_b64 v0, v[16:17] offset:872
.LBB9_80:                               ;   in Loop: Header=BB9_57 Depth=2
	s_or_b64 exec, exec, s[22:23]
	v_mov_b64_e32 v[112:113], v[14:15]
.LBB9_81:                               ;   in Loop: Header=BB9_57 Depth=2
	s_or_b64 exec, exec, s[40:41]
	s_and_saveexec_b64 s[22:23], s[4:5]
	s_cbranch_execz .LBB9_100
; %bb.82:                               ;   in Loop: Header=BB9_57 Depth=2
	s_and_saveexec_b64 s[40:41], s[76:77]
	s_xor_b64 s[40:41], exec, s[40:41]
	s_cbranch_execz .LBB9_97
; %bb.83:                               ;   in Loop: Header=BB9_57 Depth=2
	s_and_saveexec_b64 s[42:43], s[12:13]
	s_cbranch_execz .LBB9_96
; %bb.84:                               ;   in Loop: Header=BB9_57 Depth=2
	s_mov_b64 s[46:47], exec
	v_mbcnt_lo_u32_b32 v2, s46, 0
	v_mbcnt_hi_u32_b32 v2, s47, v2
	v_cmp_eq_u32_e32 vcc, 0, v2
	s_waitcnt lgkmcnt(0)
	s_and_saveexec_b64 s[44:45], vcc
	s_cbranch_execz .LBB9_86
; %bb.85:                               ;   in Loop: Header=BB9_57 Depth=2
	s_bcnt1_i32_b64 s46, s[46:47]
	v_mov_b32_e32 v2, s46
	ds_add_u64 v0, v[2:3]
	s_trap 2
.LBB9_86:                               ;   in Loop: Header=BB9_57 Depth=2
	s_or_b64 exec, exec, s[44:45]
	s_trap 2
	ds_read_b64 v[14:15], v0
	s_waitcnt lgkmcnt(0)
	v_lshl_add_u64 v[38:39], v[38:39], 0, v[52:53]
	v_cmp_lt_u64_e32 vcc, v[14:15], v[38:39]
	s_and_saveexec_b64 s[44:45], vcc
	s_cbranch_execz .LBB9_95
; %bb.87:                               ;   in Loop: Header=BB9_57 Depth=2
	s_mov_b32 s48, 0
	s_mov_b64 s[46:47], 0
                                        ; implicit-def: $sgpr56_sgpr57
                                        ; implicit-def: $sgpr58_sgpr59
	s_branch .LBB9_89
.LBB9_88:                               ;   in Loop: Header=BB9_89 Depth=3
	s_or_b64 exec, exec, s[38:39]
	s_and_b64 s[60:61], exec, vcc
	s_or_b64 s[46:47], s[60:61], s[46:47]
	s_andn2_b64 s[56:57], s[56:57], exec
	s_and_b64 s[60:61], s[58:59], exec
	s_or_b64 s[56:57], s[56:57], s[60:61]
	s_andn2_b64 exec, exec, s[46:47]
	s_cbranch_execz .LBB9_93
.LBB9_89:                               ;   Parent Loop BB9_47 Depth=1
                                        ;     Parent Loop BB9_57 Depth=2
                                        ; =>    This Inner Loop Header: Depth=3
	s_add_i32 s48, s48, 1
	s_cmpk_lg_i32 s48, 0x2710
	s_cselect_b64 s[60:61], -1, 0
	s_and_b64 vcc, exec, s[60:61]
	s_cbranch_vccz .LBB9_91
; %bb.90:                               ;   in Loop: Header=BB9_89 Depth=3
	s_mov_b64 vcc, -1
	s_or_b64 s[58:59], s[58:59], exec
	s_and_saveexec_b64 s[38:39], s[60:61]
	s_cbranch_execz .LBB9_88
	s_branch .LBB9_92
.LBB9_91:                               ;   in Loop: Header=BB9_89 Depth=3
	s_trap 2
	ds_read_b64 v[14:15], v0
	s_andn2_b64 s[60:61], s[60:61], exec
	s_mov_b32 s48, 0
	s_waitcnt vmcnt(0) lgkmcnt(0)
	flat_load_dword v2, v[14:15] sc0 sc1
	s_waitcnt vmcnt(0) lgkmcnt(0)
	buffer_inv sc0 sc1
	v_cmp_eq_u32_e32 vcc, 0, v2
	s_and_b64 vcc, vcc, exec
	s_or_b64 s[60:61], s[60:61], vcc
	s_mov_b64 vcc, -1
	s_or_b64 s[58:59], s[58:59], exec
	s_and_saveexec_b64 s[38:39], s[60:61]
	s_cbranch_execz .LBB9_88
.LBB9_92:                               ;   in Loop: Header=BB9_89 Depth=3
	s_sleep 1
	s_trap 2
	ds_read_b64 v[14:15], v0
	s_waitcnt lgkmcnt(0)
	s_andn2_b64 s[58:59], s[58:59], exec
	v_cmp_ge_u64_e32 vcc, v[14:15], v[38:39]
	s_orn2_b64 vcc, vcc, exec
	s_branch .LBB9_88
.LBB9_93:                               ;   in Loop: Header=BB9_57 Depth=2
	s_or_b64 exec, exec, s[46:47]
	s_and_saveexec_b64 s[46:47], s[56:57]
	s_xor_b64 s[46:47], exec, s[46:47]
	s_cbranch_execz .LBB9_95
; %bb.94:                               ;   in Loop: Header=BB9_57 Depth=2
	ds_write_b32 v0, v77
	s_trap 2
.LBB9_95:                               ;   in Loop: Header=BB9_57 Depth=2
	s_or_b64 exec, exec, s[44:45]
	;;#ASMSTART
	s_wakeup
	;;#ASMEND
.LBB9_96:                               ;   in Loop: Header=BB9_57 Depth=2
	s_or_b64 exec, exec, s[42:43]
.LBB9_97:                               ;   in Loop: Header=BB9_57 Depth=2
	s_andn2_saveexec_b64 s[40:41], s[40:41]
	s_cbranch_execz .LBB9_99
; %bb.98:                               ;   in Loop: Header=BB9_57 Depth=2
	s_waitcnt lgkmcnt(0)
	s_barrier
.LBB9_99:                               ;   in Loop: Header=BB9_57 Depth=2
	s_or_b64 exec, exec, s[40:41]
.LBB9_100:                              ;   in Loop: Header=BB9_57 Depth=2
	s_or_b64 exec, exec, s[22:23]
	s_trap 2
	ds_read_b32 v9, v0
	v_and_b32_e32 v2, 0x4000, v74
	v_cmp_ne_u32_e32 vcc, 0, v2
	s_xor_b64 s[22:23], s[2:3], -1
	s_and_b64 s[40:41], s[22:23], vcc
	s_and_saveexec_b64 s[22:23], s[40:41]
	s_cbranch_execz .LBB9_119
; %bb.101:                              ;   in Loop: Header=BB9_57 Depth=2
	s_and_saveexec_b64 s[40:41], s[76:77]
	s_xor_b64 s[40:41], exec, s[40:41]
	s_cbranch_execz .LBB9_116
; %bb.102:                              ;   in Loop: Header=BB9_57 Depth=2
	s_and_saveexec_b64 s[42:43], s[12:13]
	s_cbranch_execz .LBB9_115
; %bb.103:                              ;   in Loop: Header=BB9_57 Depth=2
	s_mov_b64 s[46:47], exec
	v_mbcnt_lo_u32_b32 v2, s46, 0
	v_mbcnt_hi_u32_b32 v2, s47, v2
	v_cmp_eq_u32_e32 vcc, 0, v2
	s_waitcnt lgkmcnt(0)
	s_and_saveexec_b64 s[44:45], vcc
	s_cbranch_execz .LBB9_105
; %bb.104:                              ;   in Loop: Header=BB9_57 Depth=2
	s_bcnt1_i32_b64 s46, s[46:47]
	v_mov_b32_e32 v2, s46
	ds_add_u64 v0, v[2:3]
	s_trap 2
.LBB9_105:                              ;   in Loop: Header=BB9_57 Depth=2
	s_or_b64 exec, exec, s[44:45]
	s_trap 2
	ds_read_b64 v[14:15], v0
	s_waitcnt lgkmcnt(0)
	v_lshl_add_u64 v[38:39], v[38:39], 0, v[52:53]
	v_cmp_lt_u64_e32 vcc, v[14:15], v[38:39]
	s_and_saveexec_b64 s[44:45], vcc
	s_cbranch_execz .LBB9_114
; %bb.106:                              ;   in Loop: Header=BB9_57 Depth=2
	s_mov_b32 s48, 0
	s_mov_b64 s[46:47], 0
                                        ; implicit-def: $sgpr56_sgpr57
                                        ; implicit-def: $sgpr58_sgpr59
	s_branch .LBB9_108
.LBB9_107:                              ;   in Loop: Header=BB9_108 Depth=3
	s_or_b64 exec, exec, s[38:39]
	s_and_b64 s[60:61], exec, vcc
	s_or_b64 s[46:47], s[60:61], s[46:47]
	s_andn2_b64 s[56:57], s[56:57], exec
	s_and_b64 s[60:61], s[58:59], exec
	s_or_b64 s[56:57], s[56:57], s[60:61]
	s_andn2_b64 exec, exec, s[46:47]
	s_cbranch_execz .LBB9_112
.LBB9_108:                              ;   Parent Loop BB9_47 Depth=1
                                        ;     Parent Loop BB9_57 Depth=2
                                        ; =>    This Inner Loop Header: Depth=3
	s_add_i32 s48, s48, 1
	s_cmpk_lg_i32 s48, 0x2710
	s_cselect_b64 s[60:61], -1, 0
	s_and_b64 vcc, exec, s[60:61]
	s_cbranch_vccz .LBB9_110
; %bb.109:                              ;   in Loop: Header=BB9_108 Depth=3
	s_mov_b64 vcc, -1
	s_or_b64 s[58:59], s[58:59], exec
	s_and_saveexec_b64 s[38:39], s[60:61]
	s_cbranch_execz .LBB9_107
	s_branch .LBB9_111
.LBB9_110:                              ;   in Loop: Header=BB9_108 Depth=3
	s_trap 2
	ds_read_b64 v[14:15], v0
	s_andn2_b64 s[60:61], s[60:61], exec
	s_mov_b32 s48, 0
	s_waitcnt vmcnt(0) lgkmcnt(0)
	flat_load_dword v2, v[14:15] sc0 sc1
	s_waitcnt vmcnt(0) lgkmcnt(0)
	buffer_inv sc0 sc1
	v_cmp_eq_u32_e32 vcc, 0, v2
	s_and_b64 vcc, vcc, exec
	s_or_b64 s[60:61], s[60:61], vcc
	s_mov_b64 vcc, -1
	s_or_b64 s[58:59], s[58:59], exec
	s_and_saveexec_b64 s[38:39], s[60:61]
	s_cbranch_execz .LBB9_107
.LBB9_111:                              ;   in Loop: Header=BB9_108 Depth=3
	s_sleep 1
	s_trap 2
	ds_read_b64 v[14:15], v0
	s_waitcnt lgkmcnt(0)
	s_andn2_b64 s[58:59], s[58:59], exec
	v_cmp_ge_u64_e32 vcc, v[14:15], v[38:39]
	s_orn2_b64 vcc, vcc, exec
	s_branch .LBB9_107
.LBB9_112:                              ;   in Loop: Header=BB9_57 Depth=2
	s_or_b64 exec, exec, s[46:47]
	s_and_saveexec_b64 s[46:47], s[56:57]
	s_xor_b64 s[46:47], exec, s[46:47]
	s_cbranch_execz .LBB9_114
; %bb.113:                              ;   in Loop: Header=BB9_57 Depth=2
	ds_write_b32 v0, v77
	s_trap 2
.LBB9_114:                              ;   in Loop: Header=BB9_57 Depth=2
	s_or_b64 exec, exec, s[44:45]
	;;#ASMSTART
	s_wakeup
	;;#ASMEND
.LBB9_115:                              ;   in Loop: Header=BB9_57 Depth=2
	s_or_b64 exec, exec, s[42:43]
.LBB9_116:                              ;   in Loop: Header=BB9_57 Depth=2
	s_andn2_saveexec_b64 s[40:41], s[40:41]
	s_cbranch_execz .LBB9_118
; %bb.117:                              ;   in Loop: Header=BB9_57 Depth=2
	s_waitcnt lgkmcnt(0)
	s_barrier
.LBB9_118:                              ;   in Loop: Header=BB9_57 Depth=2
	s_or_b64 exec, exec, s[40:41]
.LBB9_119:                              ;   in Loop: Header=BB9_57 Depth=2
	s_or_b64 exec, exec, s[22:23]
	s_trap 2
	ds_read_b64 v[14:15], v0
	s_waitcnt lgkmcnt(0)
	v_cmp_eq_u64_e32 vcc, 0, v[14:15]
	s_cbranch_vccnz .LBB9_127
; %bb.120:                              ;   in Loop: Header=BB9_57 Depth=2
	s_trap 2
	ds_read_b64 v[16:17], v0
	s_waitcnt lgkmcnt(0)
	v_cmp_eq_u64_e32 vcc, 0, v[16:17]
	s_cbranch_vccnz .LBB9_127
; %bb.121:                              ;   in Loop: Header=BB9_57 Depth=2
	s_mov_b64 s[22:23], -1
	s_and_saveexec_b64 s[40:41], s[14:15]
	s_cbranch_execz .LBB9_123
; %bb.122:                              ;   in Loop: Header=BB9_57 Depth=2
	ds_read_b32 v2, v0 offset:720
	s_waitcnt lgkmcnt(0)
	v_and_b32_e32 v2, 15, v2
	v_cmp_eq_u32_e32 vcc, 0, v2
	s_orn2_b64 s[22:23], vcc, exec
.LBB9_123:                              ;   in Loop: Header=BB9_57 Depth=2
	s_or_b64 exec, exec, s[40:41]
	s_and_saveexec_b64 s[40:41], s[16:17]
	s_cbranch_execz .LBB9_125
; %bb.124:                              ;   in Loop: Header=BB9_57 Depth=2
	ds_read_b32 v2, v0 offset:784
	s_waitcnt lgkmcnt(0)
	v_and_b32_e32 v2, 15, v2
	v_cmp_eq_u32_e32 vcc, 0, v2
	s_and_b64 s[42:43], s[22:23], vcc
	s_andn2_b64 s[22:23], s[22:23], exec
	s_and_b64 s[42:43], s[42:43], exec
	s_or_b64 s[22:23], s[22:23], s[42:43]
.LBB9_125:                              ;   in Loop: Header=BB9_57 Depth=2
	s_or_b64 exec, exec, s[40:41]
	v_cmp_eq_u32_e32 vcc, 0, v9
	s_xor_b64 s[22:23], s[22:23], -1
	v_cndmask_b32_e64 v11, 0, 1, s[22:23]
	v_cndmask_b32_e32 v2, 0, v8, vcc
	v_lshlrev_b32_e32 v9, 1, v2
	s_mov_b64 s[42:43], -1
	v_cmp_ne_u32_e32 vcc, 0, v11
	v_mov_b32_e32 v11, 0
	s_cbranch_vccz .LBB9_128
; %bb.126:                              ;   in Loop: Header=BB9_57 Depth=2
	v_mov_b32_e32 v119, v0
	s_and_saveexec_b64 s[22:23], s[42:43]
	s_cbranch_execnz .LBB9_139
	s_branch .LBB9_147
.LBB9_127:                              ;   in Loop: Header=BB9_57 Depth=2
	s_mov_b64 s[22:23], 0
	s_and_saveexec_b64 s[40:41], s[4:5]
	s_cbranch_execnz .LBB9_148
	s_branch .LBB9_166
.LBB9_128:                              ;   in Loop: Header=BB9_57 Depth=2
	v_ashrrev_i32_e32 v11, 31, v9
	v_lshrrev_b32_e32 v11, 21, v11
	v_add_u32_e32 v11, v9, v11
	v_ashrrev_i32_e32 v11, 11, v11
	v_sub_u32_e32 v21, v11, v76
	v_cmp_lt_i32_e32 vcc, 0, v21
	s_and_saveexec_b64 s[22:23], vcc
	s_cbranch_execz .LBB9_132
; %bb.129:                              ;   in Loop: Header=BB9_57 Depth=2
	s_mov_b64 s[40:41], 0
	v_mov_b64_e32 v[18:19], v[68:69]
.LBB9_130:                              ;   Parent Loop BB9_47 Depth=1
                                        ;     Parent Loop BB9_57 Depth=2
                                        ; =>    This Inner Loop Header: Depth=3
	v_lshl_add_u64 v[22:23], v[14:15], 0, v[18:19]
	global_load_dwordx4 v[40:43], v[22:23], off nt
	global_load_dwordx4 v[44:47], v[22:23], off offset:1024 nt
	v_sub_u32_e32 v21, v21, v52
	v_cmp_gt_i32_e32 vcc, 1, v21
	v_lshl_add_u64 v[22:23], v[16:17], 0, v[18:19]
	v_lshl_add_u64 v[18:19], v[18:19], 0, v[70:71]
	s_or_b64 s[40:41], vcc, s[40:41]
	s_waitcnt vmcnt(0)
	global_store_dwordx4 v[22:23], v[40:43], off
	global_store_dwordx4 v[22:23], v[44:47], off offset:1024
	s_andn2_b64 exec, exec, s[40:41]
	s_cbranch_execnz .LBB9_130
; %bb.131:                              ;   in Loop: Header=BB9_57 Depth=2
	s_or_b64 exec, exec, s[40:41]
.LBB9_132:                              ;   in Loop: Header=BB9_57 Depth=2
	s_or_b64 exec, exec, s[22:23]
	v_lshlrev_b32_e32 v20, 11, v11
	v_cmp_ne_u32_e32 vcc, v9, v20
	s_mov_b64 s[42:43], 0
	v_mov_b32_e32 v11, 0
                                        ; implicit-def: $vgpr119
	s_and_saveexec_b64 s[40:41], vcc
	s_cbranch_execz .LBB9_138
; %bb.133:                              ;   in Loop: Header=BB9_57 Depth=2
	v_lshlrev_b32_e32 v11, 6, v21
	v_sub_u32_e32 v11, v75, v11
	v_ashrrev_i32_e32 v18, 31, v11
	v_lshrrev_b32_e32 v18, 26, v18
	v_add_u32_e32 v18, v11, v18
	v_ashrrev_i32_e32 v23, 6, v18
	v_and_b32_e32 v18, 0xffffffc0, v18
	v_sub_u32_e32 v21, v11, v18
	v_sub_u32_e32 v19, v9, v20
	v_lshlrev_b32_e32 v11, 4, v21
	v_lshl_add_u32 v18, v23, 10, v11
	v_ashrrev_i32_e32 v11, 31, v19
	v_lshrrev_b32_e32 v11, 22, v11
	v_add_u32_e32 v11, v19, v11
	v_ashrrev_i32_e32 v40, 10, v11
	v_and_b32_e32 v11, 0xfffffc00, v11
	v_sub_u32_e32 v22, v19, v11
	v_cmp_lt_i32_e32 vcc, 15, v22
	v_sub_u32_e32 v119, v19, v18
	s_nop 0
	v_addc_co_u32_e64 v19, s[22:23], 0, v40, vcc
	v_sub_u32_e32 v23, v19, v23
	v_cmp_lt_i32_e64 s[22:23], 15, v119
	s_and_saveexec_b64 s[42:43], s[22:23]
	s_cbranch_execz .LBB9_137
; %bb.134:                              ;   in Loop: Header=BB9_57 Depth=2
	v_add_u32_e32 v18, v18, v20
	v_ashrrev_i32_e32 v19, 31, v18
	s_mov_b64 s[44:45], 0
.LBB9_135:                              ;   Parent Loop BB9_47 Depth=1
                                        ;     Parent Loop BB9_57 Depth=2
                                        ; =>    This Inner Loop Header: Depth=3
	v_lshl_add_u64 v[40:41], v[14:15], 0, v[18:19]
	global_load_dwordx4 v[40:43], v[40:41], off nt
	v_sub_u32_e32 v119, v119, v80
	v_cmp_gt_i32_e64 s[22:23], 16, v119
	v_lshl_add_u64 v[44:45], v[16:17], 0, v[18:19]
	v_sub_u32_e32 v23, v23, v52
	v_lshl_add_u64 v[18:19], v[18:19], 0, v[80:81]
	s_or_b64 s[44:45], s[22:23], s[44:45]
	s_waitcnt vmcnt(0)
	global_store_dwordx4 v[44:45], v[40:43], off
	s_andn2_b64 exec, exec, s[44:45]
	s_cbranch_execnz .LBB9_135
; %bb.136:                              ;   in Loop: Header=BB9_57 Depth=2
	s_or_b64 exec, exec, s[44:45]
.LBB9_137:                              ;   in Loop: Header=BB9_57 Depth=2
	s_or_b64 exec, exec, s[42:43]
	v_and_b32_e32 v9, 14, v9
	v_sub_u32_e32 v18, v22, v9
	v_cndmask_b32_e32 v18, 0, v18, vcc
	v_cndmask_b32_e32 v9, v22, v9, vcc
	v_cmp_lt_i32_e32 vcc, 0, v23
	v_add3_u32 v11, v11, v20, v18
	s_nop 0
	v_cndmask_b32_e32 v18, 0, v52, vcc
	v_sub_u32_e32 v18, v18, v23
	v_cmp_ne_u32_e32 vcc, 0, v9
	v_lshl_add_u32 v119, v18, 6, v21
	s_and_b64 s[42:43], vcc, exec
.LBB9_138:                              ;   in Loop: Header=BB9_57 Depth=2
	s_or_b64 exec, exec, s[40:41]
	s_and_saveexec_b64 s[22:23], s[42:43]
	s_cbranch_execz .LBB9_147
.LBB9_139:                              ;   in Loop: Header=BB9_57 Depth=2
	v_ashrrev_i32_e32 v18, 31, v119
	v_ashrrev_i32_e32 v19, 31, v9
	v_lshrrev_b32_e32 v18, 26, v18
	v_lshrrev_b32_e32 v19, 23, v19
	v_add_u32_e32 v18, v119, v18
	v_add_u32_e32 v19, v9, v19
	v_ashrrev_i32_e32 v40, 6, v18
	v_ashrrev_i32_e32 v42, 9, v19
	v_sub_u32_e32 v41, v42, v40
	v_cmp_lt_i32_e32 vcc, 0, v41
	s_and_saveexec_b64 s[40:41], vcc
	s_cbranch_execz .LBB9_143
; %bb.140:                              ;   in Loop: Header=BB9_57 Depth=2
	v_and_b32_e32 v18, 0x7fffffc0, v18
	v_sub_u32_e32 v18, v119, v18
	v_lshlrev_b32_e32 v18, 1, v18
	v_lshlrev_b32_e32 v19, 9, v40
	v_add3_u32 v18, v18, v11, v19
	v_ashrrev_i32_e32 v19, 31, v18
	s_mov_b64 s[42:43], 0
	v_mov_b64_e32 v[20:21], v[16:17]
	v_mov_b64_e32 v[22:23], v[14:15]
.LBB9_141:                              ;   Parent Loop BB9_47 Depth=1
                                        ;     Parent Loop BB9_57 Depth=2
                                        ; =>    This Inner Loop Header: Depth=3
	v_lshl_add_u64 v[44:45], v[18:19], 0, v[22:23]
	flat_load_ushort v43, v[44:45] nt
	flat_load_ushort v46, v[44:45] offset:128 nt
	flat_load_ushort v47, v[44:45] offset:256 nt
	;; [unrolled: 1-line block ×3, first 2 shown]
	v_sub_u32_e32 v41, v41, v52
	v_cmp_gt_i32_e32 vcc, 1, v41
	v_lshl_add_u64 v[44:45], v[18:19], 0, v[20:21]
	v_lshl_add_u64 v[22:23], v[22:23], 0, v[82:83]
	;; [unrolled: 1-line block ×3, first 2 shown]
	s_or_b64 s[42:43], vcc, s[42:43]
	s_waitcnt vmcnt(0) lgkmcnt(0)
	flat_store_short v[44:45], v43 nt
	flat_store_short v[44:45], v46 offset:128 nt
	flat_store_short v[44:45], v47 offset:256 nt
	;; [unrolled: 1-line block ×3, first 2 shown]
	s_andn2_b64 exec, exec, s[42:43]
	s_cbranch_execnz .LBB9_141
; %bb.142:                              ;   in Loop: Header=BB9_57 Depth=2
	s_or_b64 exec, exec, s[42:43]
.LBB9_143:                              ;   in Loop: Header=BB9_57 Depth=2
	s_or_b64 exec, exec, s[40:41]
	v_lshlrev_b32_e32 v18, 9, v42
	v_cmp_ne_u32_e32 vcc, v9, v18
	s_and_b64 exec, exec, vcc
	s_cbranch_execz .LBB9_147
; %bb.144:                              ;   in Loop: Header=BB9_57 Depth=2
	v_lshlrev_b32_e32 v19, 6, v40
	v_sub_u32_e32 v19, v119, v19
	v_lshlrev_b32_e32 v20, 6, v41
	v_sub_u32_e32 v19, v19, v20
	v_ashrrev_i32_e32 v20, 31, v19
	v_lshrrev_b32_e32 v20, 26, v20
	v_add_u32_e32 v20, v19, v20
	v_and_b32_e32 v21, 0x7fffffc0, v20
	v_sub_u32_e32 v19, v19, v21
	v_lshlrev_b32_e32 v20, 1, v20
	v_and_b32_e32 v20, 0xffffff80, v20
	v_lshlrev_b32_e32 v19, 1, v19
	v_add3_u32 v18, v20, v19, v18
	v_sub_u32_e32 v9, v9, v18
	v_cmp_lt_i32_e32 vcc, 1, v9
	s_and_b64 exec, exec, vcc
	s_cbranch_execz .LBB9_147
; %bb.145:                              ;   in Loop: Header=BB9_57 Depth=2
	v_add_u32_e32 v18, v18, v11
	v_ashrrev_i32_e32 v19, 31, v18
	s_mov_b64 s[40:41], 0
.LBB9_146:                              ;   Parent Loop BB9_47 Depth=1
                                        ;     Parent Loop BB9_57 Depth=2
                                        ; =>    This Inner Loop Header: Depth=3
	v_lshl_add_u64 v[20:21], v[14:15], 0, v[18:19]
	flat_load_ushort v11, v[20:21] nt
	v_sub_u32_e32 v9, v9, v84
	v_cmp_gt_i32_e32 vcc, 2, v9
	v_lshl_add_u64 v[20:21], v[16:17], 0, v[18:19]
	v_lshl_add_u64 v[18:19], v[18:19], 0, v[84:85]
	s_or_b64 s[40:41], vcc, s[40:41]
	s_waitcnt vmcnt(0) lgkmcnt(0)
	flat_store_short v[20:21], v11 nt
	s_andn2_b64 exec, exec, s[40:41]
	s_cbranch_execnz .LBB9_146
.LBB9_147:                              ;   in Loop: Header=BB9_57 Depth=2
	s_or_b64 exec, exec, s[22:23]
	v_cmp_lt_i32_e64 s[22:23], 0, v2
	s_and_saveexec_b64 s[40:41], s[4:5]
	s_cbranch_execz .LBB9_166
.LBB9_148:                              ;   in Loop: Header=BB9_57 Depth=2
	s_and_saveexec_b64 s[42:43], s[76:77]
	s_xor_b64 s[42:43], exec, s[42:43]
	s_cbranch_execz .LBB9_163
; %bb.149:                              ;   in Loop: Header=BB9_57 Depth=2
	s_and_saveexec_b64 s[44:45], s[12:13]
	s_cbranch_execz .LBB9_162
; %bb.150:                              ;   in Loop: Header=BB9_57 Depth=2
	s_mov_b64 s[56:57], exec
	v_mbcnt_lo_u32_b32 v2, s56, 0
	v_mbcnt_hi_u32_b32 v2, s57, v2
	v_cmp_eq_u32_e32 vcc, 0, v2
	s_waitcnt lgkmcnt(0)
	s_and_saveexec_b64 s[46:47], vcc
	s_cbranch_execz .LBB9_152
; %bb.151:                              ;   in Loop: Header=BB9_57 Depth=2
	s_bcnt1_i32_b64 s56, s[56:57]
	v_mov_b32_e32 v2, s56
	ds_add_u64 v0, v[2:3]
	s_trap 2
.LBB9_152:                              ;   in Loop: Header=BB9_57 Depth=2
	s_or_b64 exec, exec, s[46:47]
	s_trap 2
	ds_read_b64 v[14:15], v0
	s_waitcnt lgkmcnt(0)
	v_lshl_add_u64 v[38:39], v[38:39], 0, v[52:53]
	v_cmp_lt_u64_e32 vcc, v[14:15], v[38:39]
	s_and_saveexec_b64 s[46:47], vcc
	s_cbranch_execz .LBB9_161
; %bb.153:                              ;   in Loop: Header=BB9_57 Depth=2
	s_mov_b32 s50, 0
	s_mov_b64 s[56:57], 0
                                        ; implicit-def: $sgpr58_sgpr59
                                        ; implicit-def: $sgpr60_sgpr61
	s_branch .LBB9_155
.LBB9_154:                              ;   in Loop: Header=BB9_155 Depth=3
	s_or_b64 exec, exec, s[48:49]
	s_and_b64 vcc, exec, vcc
	s_or_b64 s[56:57], vcc, s[56:57]
	s_andn2_b64 s[58:59], s[58:59], exec
	s_and_b64 vcc, s[60:61], exec
	s_or_b64 s[58:59], s[58:59], vcc
	s_andn2_b64 exec, exec, s[56:57]
	s_cbranch_execz .LBB9_159
.LBB9_155:                              ;   Parent Loop BB9_47 Depth=1
                                        ;     Parent Loop BB9_57 Depth=2
                                        ; =>    This Inner Loop Header: Depth=3
	s_add_i32 s50, s50, 1
	s_cmpk_lg_i32 s50, 0x2710
	s_cselect_b64 s[38:39], -1, 0
	s_and_b64 vcc, exec, s[38:39]
	s_cbranch_vccz .LBB9_157
; %bb.156:                              ;   in Loop: Header=BB9_155 Depth=3
	s_mov_b64 vcc, -1
	s_or_b64 s[60:61], s[60:61], exec
	s_and_saveexec_b64 s[48:49], s[38:39]
	s_cbranch_execz .LBB9_154
	s_branch .LBB9_158
.LBB9_157:                              ;   in Loop: Header=BB9_155 Depth=3
	s_trap 2
	ds_read_b64 v[14:15], v0
	s_andn2_b64 s[38:39], s[38:39], exec
	s_mov_b32 s50, 0
	s_waitcnt vmcnt(0) lgkmcnt(0)
	flat_load_dword v2, v[14:15] sc0 sc1
	s_waitcnt vmcnt(0) lgkmcnt(0)
	buffer_inv sc0 sc1
	v_cmp_eq_u32_e32 vcc, 0, v2
	s_and_b64 vcc, vcc, exec
	s_or_b64 s[38:39], s[38:39], vcc
	s_mov_b64 vcc, -1
	s_or_b64 s[60:61], s[60:61], exec
	s_and_saveexec_b64 s[48:49], s[38:39]
	s_cbranch_execz .LBB9_154
.LBB9_158:                              ;   in Loop: Header=BB9_155 Depth=3
	s_sleep 1
	s_trap 2
	ds_read_b64 v[14:15], v0
	s_waitcnt lgkmcnt(0)
	s_andn2_b64 s[60:61], s[60:61], exec
	v_cmp_ge_u64_e32 vcc, v[14:15], v[38:39]
	s_orn2_b64 vcc, vcc, exec
	s_branch .LBB9_154
.LBB9_159:                              ;   in Loop: Header=BB9_57 Depth=2
	s_or_b64 exec, exec, s[56:57]
	s_and_saveexec_b64 s[56:57], s[58:59]
	s_xor_b64 s[56:57], exec, s[56:57]
	s_cbranch_execz .LBB9_161
; %bb.160:                              ;   in Loop: Header=BB9_57 Depth=2
	ds_write_b32 v0, v77
	s_trap 2
.LBB9_161:                              ;   in Loop: Header=BB9_57 Depth=2
	s_or_b64 exec, exec, s[46:47]
	;;#ASMSTART
	s_wakeup
	;;#ASMEND
.LBB9_162:                              ;   in Loop: Header=BB9_57 Depth=2
	s_or_b64 exec, exec, s[44:45]
.LBB9_163:                              ;   in Loop: Header=BB9_57 Depth=2
	s_andn2_saveexec_b64 s[42:43], s[42:43]
	s_cbranch_execz .LBB9_165
; %bb.164:                              ;   in Loop: Header=BB9_57 Depth=2
	s_waitcnt lgkmcnt(0)
	s_barrier
.LBB9_165:                              ;   in Loop: Header=BB9_57 Depth=2
	s_or_b64 exec, exec, s[42:43]
.LBB9_166:                              ;   in Loop: Header=BB9_57 Depth=2
	s_or_b64 exec, exec, s[40:41]
	v_and_b32_e32 v9, 16, v74
	s_and_saveexec_b64 s[40:41], s[20:21]
	s_xor_b64 s[40:41], exec, s[40:41]
	s_cbranch_execz .LBB9_171
; %bb.167:                              ;   in Loop: Header=BB9_57 Depth=2
	v_and_b32_e32 v2, 16, v74
	v_cmp_ne_u32_e32 vcc, 0, v2
	v_and_b32_e32 v9, 16, v74
	s_and_b64 s[42:43], vcc, s[22:23]
	s_and_saveexec_b64 s[22:23], s[42:43]
	s_cbranch_execz .LBB9_169
; %bb.168:                              ;   in Loop: Header=BB9_57 Depth=2
	v_mov_b32_e32 v9, 1
	buffer_wbl2 sc1
	s_waitcnt vmcnt(0) lgkmcnt(0)
	buffer_inv sc1
.LBB9_169:                              ;   in Loop: Header=BB9_57 Depth=2
	s_or_b64 exec, exec, s[22:23]
	s_andn2_saveexec_b64 s[22:23], s[40:41]
	s_cbranch_execnz .LBB9_172
.LBB9_170:                              ;   in Loop: Header=BB9_57 Depth=2
	s_or_b64 exec, exec, s[22:23]
	v_cmp_ne_u32_e32 vcc, 0, v9
	s_and_saveexec_b64 s[22:23], vcc
	s_cbranch_execz .LBB9_56
	s_branch .LBB9_190
.LBB9_171:                              ;   in Loop: Header=BB9_57 Depth=2
	s_andn2_saveexec_b64 s[22:23], s[40:41]
	s_cbranch_execz .LBB9_170
.LBB9_172:                              ;   in Loop: Header=BB9_57 Depth=2
	s_and_saveexec_b64 s[40:41], s[76:77]
	s_xor_b64 s[40:41], exec, s[40:41]
	s_cbranch_execz .LBB9_187
; %bb.173:                              ;   in Loop: Header=BB9_57 Depth=2
	s_and_saveexec_b64 s[42:43], s[12:13]
	s_cbranch_execz .LBB9_186
; %bb.174:                              ;   in Loop: Header=BB9_57 Depth=2
	s_mov_b64 s[46:47], exec
	v_mbcnt_lo_u32_b32 v2, s46, 0
	v_mbcnt_hi_u32_b32 v2, s47, v2
	v_cmp_eq_u32_e32 vcc, 0, v2
	;;#ASMSTART
	s_waitcnt lgkmcnt(0) vmcnt(0)
	;;#ASMEND
	s_and_saveexec_b64 s[44:45], vcc
	s_cbranch_execz .LBB9_176
; %bb.175:                              ;   in Loop: Header=BB9_57 Depth=2
	s_bcnt1_i32_b64 s46, s[46:47]
	v_mov_b32_e32 v2, s46
	s_waitcnt lgkmcnt(0)
	ds_add_u64 v0, v[2:3]
	s_trap 2
.LBB9_176:                              ;   in Loop: Header=BB9_57 Depth=2
	s_or_b64 exec, exec, s[44:45]
	s_trap 2
	ds_read_b64 v[14:15], v0
	s_waitcnt lgkmcnt(0)
	v_lshl_add_u64 v[38:39], v[38:39], 0, v[52:53]
	v_cmp_lt_u64_e32 vcc, v[14:15], v[38:39]
	s_and_saveexec_b64 s[44:45], vcc
	s_cbranch_execz .LBB9_185
; %bb.177:                              ;   in Loop: Header=BB9_57 Depth=2
	s_mov_b32 s48, 0
	s_mov_b64 s[46:47], 0
                                        ; implicit-def: $sgpr56_sgpr57
                                        ; implicit-def: $sgpr58_sgpr59
	s_branch .LBB9_179
.LBB9_178:                              ;   in Loop: Header=BB9_179 Depth=3
	s_or_b64 exec, exec, s[38:39]
	s_and_b64 s[60:61], exec, vcc
	s_or_b64 s[46:47], s[60:61], s[46:47]
	s_andn2_b64 s[56:57], s[56:57], exec
	s_and_b64 s[60:61], s[58:59], exec
	s_or_b64 s[56:57], s[56:57], s[60:61]
	s_andn2_b64 exec, exec, s[46:47]
	s_cbranch_execz .LBB9_183
.LBB9_179:                              ;   Parent Loop BB9_47 Depth=1
                                        ;     Parent Loop BB9_57 Depth=2
                                        ; =>    This Inner Loop Header: Depth=3
	s_add_i32 s48, s48, 1
	s_cmpk_lg_i32 s48, 0x2710
	s_cselect_b64 s[60:61], -1, 0
	s_and_b64 vcc, exec, s[60:61]
	s_cbranch_vccz .LBB9_181
; %bb.180:                              ;   in Loop: Header=BB9_179 Depth=3
	s_mov_b64 vcc, -1
	s_or_b64 s[58:59], s[58:59], exec
	s_and_saveexec_b64 s[38:39], s[60:61]
	s_cbranch_execz .LBB9_178
	s_branch .LBB9_182
.LBB9_181:                              ;   in Loop: Header=BB9_179 Depth=3
	s_trap 2
	ds_read_b64 v[14:15], v0
	s_andn2_b64 s[60:61], s[60:61], exec
	s_mov_b32 s48, 0
	s_waitcnt vmcnt(0) lgkmcnt(0)
	flat_load_dword v2, v[14:15] sc0 sc1
	s_waitcnt vmcnt(0) lgkmcnt(0)
	buffer_inv sc0 sc1
	v_cmp_eq_u32_e32 vcc, 0, v2
	s_and_b64 vcc, vcc, exec
	s_or_b64 s[60:61], s[60:61], vcc
	s_mov_b64 vcc, -1
	s_or_b64 s[58:59], s[58:59], exec
	s_and_saveexec_b64 s[38:39], s[60:61]
	s_cbranch_execz .LBB9_178
.LBB9_182:                              ;   in Loop: Header=BB9_179 Depth=3
	s_sleep 1
	s_trap 2
	ds_read_b64 v[14:15], v0
	s_waitcnt lgkmcnt(0)
	s_andn2_b64 s[58:59], s[58:59], exec
	v_cmp_ge_u64_e32 vcc, v[14:15], v[38:39]
	s_orn2_b64 vcc, vcc, exec
	s_branch .LBB9_178
.LBB9_183:                              ;   in Loop: Header=BB9_57 Depth=2
	s_or_b64 exec, exec, s[46:47]
	s_and_saveexec_b64 s[46:47], s[56:57]
	s_xor_b64 s[46:47], exec, s[46:47]
	s_cbranch_execz .LBB9_185
; %bb.184:                              ;   in Loop: Header=BB9_57 Depth=2
	ds_write_b32 v0, v77
	s_trap 2
.LBB9_185:                              ;   in Loop: Header=BB9_57 Depth=2
	s_or_b64 exec, exec, s[44:45]
	;;#ASMSTART
	s_wakeup
	;;#ASMEND
.LBB9_186:                              ;   in Loop: Header=BB9_57 Depth=2
	s_or_b64 exec, exec, s[42:43]
.LBB9_187:                              ;   in Loop: Header=BB9_57 Depth=2
	s_andn2_saveexec_b64 s[40:41], s[40:41]
	s_cbranch_execz .LBB9_189
; %bb.188:                              ;   in Loop: Header=BB9_57 Depth=2
	;;#ASMSTART
	s_waitcnt lgkmcnt(0) vmcnt(0)
	;;#ASMEND
	s_barrier
.LBB9_189:                              ;   in Loop: Header=BB9_57 Depth=2
	s_or_b64 exec, exec, s[40:41]
	s_or_b64 exec, exec, s[22:23]
	v_cmp_ne_u32_e32 vcc, 0, v9
	s_and_saveexec_b64 s[22:23], vcc
	s_cbranch_execz .LBB9_56
.LBB9_190:                              ;   in Loop: Header=BB9_57 Depth=2
	s_and_saveexec_b64 s[40:41], s[10:11]
	s_cbranch_execz .LBB9_55
; %bb.191:                              ;   in Loop: Header=BB9_57 Depth=2
	flat_store_dword v[36:37], v77 sc0 sc1
	s_branch .LBB9_55
.LBB9_192:                              ;   in Loop: Header=BB9_47 Depth=1
	s_or_b64 exec, exec, s[26:27]
.LBB9_193:                              ;   in Loop: Header=BB9_47 Depth=1
	s_or_b64 exec, exec, s[24:25]
	v_cmp_gt_i32_e32 vcc, 2, v2
	s_and_saveexec_b64 s[24:25], vcc
	s_cbranch_execz .LBB9_265
; %bb.194:                              ;   in Loop: Header=BB9_47 Depth=1
	v_cmp_eq_u32_e64 s[28:29], 0, v2
	s_mov_b64 s[26:27], 0
	s_branch .LBB9_197
.LBB9_195:                              ;   in Loop: Header=BB9_197 Depth=2
	s_or_b64 exec, exec, s[28:29]
	v_lshl_add_u64 v[112:113], v[112:113], 0, 2
	flat_store_dwordx2 v[32:33], v[112:113] sc0 sc1
.LBB9_196:                              ;   in Loop: Header=BB9_197 Depth=2
	s_or_b64 exec, exec, s[22:23]
	v_add_u32_e32 v10, v8, v10
	s_mov_b64 s[28:29], 0
	s_andn2_b64 exec, exec, s[26:27]
	s_cbranch_execz .LBB9_264
.LBB9_197:                              ;   Parent Loop BB9_47 Depth=1
                                        ; =>  This Loop Header: Depth=2
                                        ;       Child Loop BB9_203 Depth 3
                                        ;       Child Loop BB9_227 Depth 3
	;; [unrolled: 1-line block ×3, first 2 shown]
	v_sub_u32_e32 v2, v118, v10
	v_min_i32_e32 v8, v8, v2
	v_and_b32_e32 v2, 8, v74
	v_cmp_ne_u32_e32 vcc, 0, v2
	s_and_saveexec_b64 s[40:41], vcc
	s_cbranch_execz .LBB9_219
; %bb.198:                              ;   in Loop: Header=BB9_197 Depth=2
	s_waitcnt vmcnt(0) lgkmcnt(0)
	v_lshl_add_u64 v[14:15], v[48:49], 0, 8
	v_lshl_add_u64 v[12:13], v[112:113], 0, 2
	v_cmp_lt_u64_e32 vcc, v[14:15], v[12:13]
	s_and_saveexec_b64 s[42:43], vcc
	s_cbranch_execz .LBB9_210
; %bb.199:                              ;   in Loop: Header=BB9_197 Depth=2
	v_and_b32_e32 v2, 64, v74
	s_mov_b32 s74, 0
	v_cmp_eq_u32_e32 vcc, 0, v2
	s_mov_b64 s[44:45], 0
                                        ; implicit-def: $sgpr46_sgpr47
                                        ; implicit-def: $sgpr56_sgpr57
                                        ; implicit-def: $sgpr58_sgpr59
	s_branch .LBB9_203
.LBB9_200:                              ;   in Loop: Header=BB9_203 Depth=3
	s_waitcnt vmcnt(0) lgkmcnt(0)
	v_lshl_add_u64 v[14:15], v[48:49], 0, 8
	v_cmp_ge_u64_e64 s[22:23], v[14:15], v[12:13]
	s_or_b64 s[48:49], s[48:49], exec
	s_orn2_b64 s[38:39], s[22:23], exec
.LBB9_201:                              ;   in Loop: Header=BB9_203 Depth=3
	s_or_b64 exec, exec, s[52:53]
	s_andn2_b64 s[22:23], s[58:59], exec
	s_and_b64 s[58:59], s[48:49], exec
	s_or_b64 s[58:59], s[22:23], s[58:59]
	s_andn2_b64 s[22:23], s[56:57], exec
	s_and_b64 s[56:57], s[38:39], exec
	s_or_b64 s[56:57], s[22:23], s[56:57]
.LBB9_202:                              ;   in Loop: Header=BB9_203 Depth=3
	s_or_b64 exec, exec, s[60:61]
	s_and_b64 s[22:23], exec, s[56:57]
	s_or_b64 s[44:45], s[22:23], s[44:45]
	s_andn2_b64 s[22:23], s[46:47], exec
	s_and_b64 s[46:47], s[58:59], exec
	s_or_b64 s[46:47], s[22:23], s[46:47]
	s_andn2_b64 exec, exec, s[44:45]
	s_cbranch_execz .LBB9_207
.LBB9_203:                              ;   Parent Loop BB9_47 Depth=1
                                        ;     Parent Loop BB9_197 Depth=2
                                        ; =>    This Inner Loop Header: Depth=3
	s_sleep 1
	s_waitcnt vmcnt(0) lgkmcnt(0)
	flat_load_dwordx2 v[48:49], v[32:33] sc0 sc1
	s_or_b64 s[58:59], s[58:59], exec
	s_or_b64 s[56:57], s[56:57], exec
                                        ; implicit-def: $vgpr2
	s_and_saveexec_b64 s[60:61], vcc
	s_cbranch_execz .LBB9_202
; %bb.204:                              ;   in Loop: Header=BB9_203 Depth=3
	s_cmpk_lt_i32 s74, 0x270f
	s_cselect_b64 s[50:51], -1, 0
	s_cmpk_gt_i32 s74, 0x270e
	s_mov_b64 s[38:39], -1
	s_cbranch_scc0 .LBB9_206
; %bb.205:                              ;   in Loop: Header=BB9_203 Depth=3
	s_trap 2
	ds_read_b64 v[14:15], v0
	s_andn2_b64 s[50:51], s[50:51], exec
	s_mov_b32 s74, 0
	s_mov_b64 s[48:49], 0
	s_waitcnt vmcnt(0) lgkmcnt(0)
	flat_load_dword v2, v[14:15] sc0 sc1
	s_waitcnt vmcnt(0) lgkmcnt(0)
	buffer_inv sc0 sc1
	v_cmp_eq_u32_e64 s[22:23], 0, v2
	s_and_b64 s[22:23], s[22:23], exec
	s_or_b64 s[50:51], s[50:51], s[22:23]
	s_and_saveexec_b64 s[52:53], s[50:51]
	s_cbranch_execz .LBB9_201
	s_branch .LBB9_200
.LBB9_206:                              ;   in Loop: Header=BB9_203 Depth=3
	s_add_i32 s74, s74, 1
	s_mov_b64 s[48:49], -1
                                        ; implicit-def: $vgpr2
	s_and_saveexec_b64 s[52:53], s[50:51]
	s_cbranch_execz .LBB9_201
	s_branch .LBB9_200
.LBB9_207:                              ;   in Loop: Header=BB9_197 Depth=2
	s_or_b64 exec, exec, s[44:45]
	s_xor_b64 s[22:23], s[46:47], -1
	s_and_saveexec_b64 s[44:45], s[22:23]
	s_xor_b64 s[22:23], exec, s[44:45]
	s_cbranch_execz .LBB9_209
; %bb.208:                              ;   in Loop: Header=BB9_197 Depth=2
	v_or_b32_e32 v74, 64, v74
	s_waitcnt lgkmcnt(0)
	ds_write_b32 v0, v2
	s_trap 2
.LBB9_209:                              ;   in Loop: Header=BB9_197 Depth=2
	s_or_b64 exec, exec, s[22:23]
.LBB9_210:                              ;   in Loop: Header=BB9_197 Depth=2
	s_or_b64 exec, exec, s[42:43]
	v_and_b32_e32 v2, 0x100, v74
	v_cmp_ne_u32_e32 vcc, 0, v2
	v_and_b32_e32 v2, 7, v112
	s_mov_b64 s[22:23], -1
	;;#ASMSTART
	s_wakeup
	;;#ASMEND
                                        ; implicit-def: $vgpr14_vgpr15
	s_and_saveexec_b64 s[42:43], vcc
	s_cbranch_execz .LBB9_214
; %bb.211:                              ;   in Loop: Header=BB9_197 Depth=2
	v_mad_u64_u32 v[16:17], s[22:23], v2, 24, v[6:7]
	flat_load_dword v11, v[16:17]
	v_ashrrev_i32_e32 v9, 31, v8
	v_lshlrev_b64 v[14:15], 1, v[8:9]
	flat_store_dwordx2 v[16:17], v[14:15] offset:8
                                        ; implicit-def: $vgpr14_vgpr15
	s_waitcnt vmcnt(0) lgkmcnt(0)
	v_cmp_ne_u32_e32 vcc, 1, v11
	v_cmp_eq_u32_e64 s[22:23], 1, v11
	s_and_saveexec_b64 s[44:45], s[22:23]
	s_cbranch_execz .LBB9_213
; %bb.212:                              ;   in Loop: Header=BB9_197 Depth=2
	flat_load_dword v14, v[16:17] offset:4 sc0 sc1
	s_waitcnt vmcnt(0) lgkmcnt(0)
	v_ashrrev_i32_e32 v15, 31, v14
	v_lshrrev_b64 v[14:15], 1, v[14:15]
.LBB9_213:                              ;   in Loop: Header=BB9_197 Depth=2
	s_or_b64 exec, exec, s[44:45]
	s_orn2_b64 s[22:23], vcc, exec
.LBB9_214:                              ;   in Loop: Header=BB9_197 Depth=2
	s_or_b64 exec, exec, s[42:43]
	s_and_saveexec_b64 s[42:43], s[22:23]
; %bb.215:                              ;   in Loop: Header=BB9_197 Depth=2
	v_mad_i64_i32 v[14:15], s[22:23], v2, v30, 0
; %bb.216:                              ;   in Loop: Header=BB9_197 Depth=2
	s_or_b64 exec, exec, s[42:43]
	v_and_b32_e32 v2, 0x2000, v74
	v_lshl_add_u64 v[14:15], v[14:15], 1, v[34:35]
	v_cmp_ne_u32_e32 vcc, 0, v2
	ds_write_b64 v0, v[14:15] offset:784
	s_and_saveexec_b64 s[22:23], vcc
	s_cbranch_execz .LBB9_218
; %bb.217:                              ;   in Loop: Header=BB9_197 Depth=2
	ds_read_b64 v[14:15], v0 offset:872
	s_waitcnt lgkmcnt(0)
	v_lshl_add_u64 v[14:15], v[14:15], 0, 1
	ds_write_b64 v0, v[14:15] offset:872
.LBB9_218:                              ;   in Loop: Header=BB9_197 Depth=2
	s_or_b64 exec, exec, s[22:23]
	v_mov_b64_e32 v[112:113], v[12:13]
.LBB9_219:                              ;   in Loop: Header=BB9_197 Depth=2
	s_or_b64 exec, exec, s[40:41]
	s_xor_b64 s[22:23], s[28:29], -1
	s_and_b64 s[22:23], exec, s[22:23]
	s_or_b64 s[26:27], s[22:23], s[26:27]
	s_and_saveexec_b64 s[22:23], s[4:5]
	s_cbranch_execz .LBB9_238
; %bb.220:                              ;   in Loop: Header=BB9_197 Depth=2
	s_and_saveexec_b64 s[28:29], s[76:77]
	s_xor_b64 s[28:29], exec, s[28:29]
	s_cbranch_execz .LBB9_235
; %bb.221:                              ;   in Loop: Header=BB9_197 Depth=2
	s_and_saveexec_b64 s[40:41], s[12:13]
	s_cbranch_execz .LBB9_234
; %bb.222:                              ;   in Loop: Header=BB9_197 Depth=2
	s_mov_b64 s[44:45], exec
	v_mbcnt_lo_u32_b32 v2, s44, 0
	v_mbcnt_hi_u32_b32 v2, s45, v2
	v_cmp_eq_u32_e32 vcc, 0, v2
	s_waitcnt lgkmcnt(0)
	s_and_saveexec_b64 s[42:43], vcc
	s_cbranch_execz .LBB9_224
; %bb.223:                              ;   in Loop: Header=BB9_197 Depth=2
	s_bcnt1_i32_b64 s44, s[44:45]
	v_mov_b32_e32 v2, s44
	ds_add_u64 v0, v[2:3]
	s_trap 2
.LBB9_224:                              ;   in Loop: Header=BB9_197 Depth=2
	s_or_b64 exec, exec, s[42:43]
	s_trap 2
	ds_read_b64 v[12:13], v0
	s_waitcnt lgkmcnt(0)
	v_lshl_add_u64 v[38:39], v[38:39], 0, v[52:53]
	v_cmp_lt_u64_e32 vcc, v[12:13], v[38:39]
	s_and_saveexec_b64 s[42:43], vcc
	s_cbranch_execz .LBB9_233
; %bb.225:                              ;   in Loop: Header=BB9_197 Depth=2
	s_mov_b32 s74, 0
	s_mov_b64 s[44:45], 0
                                        ; implicit-def: $sgpr46_sgpr47
                                        ; implicit-def: $sgpr56_sgpr57
	s_branch .LBB9_227
.LBB9_226:                              ;   in Loop: Header=BB9_227 Depth=3
	s_or_b64 exec, exec, s[60:61]
	s_and_b64 s[58:59], exec, vcc
	s_or_b64 s[44:45], s[58:59], s[44:45]
	s_andn2_b64 s[46:47], s[46:47], exec
	s_and_b64 s[58:59], s[56:57], exec
	s_or_b64 s[46:47], s[46:47], s[58:59]
	s_andn2_b64 exec, exec, s[44:45]
	s_cbranch_execz .LBB9_231
.LBB9_227:                              ;   Parent Loop BB9_47 Depth=1
                                        ;     Parent Loop BB9_197 Depth=2
                                        ; =>    This Inner Loop Header: Depth=3
	s_add_i32 s74, s74, 1
	s_cmpk_lg_i32 s74, 0x2710
	s_cselect_b64 s[58:59], -1, 0
	s_and_b64 vcc, exec, s[58:59]
	s_cbranch_vccz .LBB9_229
; %bb.228:                              ;   in Loop: Header=BB9_227 Depth=3
	s_mov_b64 vcc, -1
	s_or_b64 s[56:57], s[56:57], exec
	s_and_saveexec_b64 s[60:61], s[58:59]
	s_cbranch_execz .LBB9_226
	s_branch .LBB9_230
.LBB9_229:                              ;   in Loop: Header=BB9_227 Depth=3
	s_trap 2
	ds_read_b64 v[12:13], v0
	s_andn2_b64 s[58:59], s[58:59], exec
	s_mov_b32 s74, 0
	s_waitcnt vmcnt(0) lgkmcnt(0)
	flat_load_dword v2, v[12:13] sc0 sc1
	s_waitcnt vmcnt(0) lgkmcnt(0)
	buffer_inv sc0 sc1
	v_cmp_eq_u32_e32 vcc, 0, v2
	s_and_b64 s[60:61], vcc, exec
	s_or_b64 s[58:59], s[58:59], s[60:61]
	s_mov_b64 vcc, -1
	s_or_b64 s[56:57], s[56:57], exec
	s_and_saveexec_b64 s[60:61], s[58:59]
	s_cbranch_execz .LBB9_226
.LBB9_230:                              ;   in Loop: Header=BB9_227 Depth=3
	s_sleep 1
	s_trap 2
	ds_read_b64 v[12:13], v0
	s_waitcnt lgkmcnt(0)
	s_andn2_b64 s[56:57], s[56:57], exec
	v_cmp_ge_u64_e32 vcc, v[12:13], v[38:39]
	s_orn2_b64 vcc, vcc, exec
	s_branch .LBB9_226
.LBB9_231:                              ;   in Loop: Header=BB9_197 Depth=2
	s_or_b64 exec, exec, s[44:45]
	s_and_saveexec_b64 s[44:45], s[46:47]
	s_xor_b64 s[44:45], exec, s[44:45]
	s_cbranch_execz .LBB9_233
; %bb.232:                              ;   in Loop: Header=BB9_197 Depth=2
	ds_write_b32 v0, v77
	s_trap 2
.LBB9_233:                              ;   in Loop: Header=BB9_197 Depth=2
	s_or_b64 exec, exec, s[42:43]
	;;#ASMSTART
	s_wakeup
	;;#ASMEND
.LBB9_234:                              ;   in Loop: Header=BB9_197 Depth=2
	s_or_b64 exec, exec, s[40:41]
.LBB9_235:                              ;   in Loop: Header=BB9_197 Depth=2
	s_andn2_saveexec_b64 s[28:29], s[28:29]
	s_cbranch_execz .LBB9_237
; %bb.236:                              ;   in Loop: Header=BB9_197 Depth=2
	s_waitcnt lgkmcnt(0)
	s_barrier
.LBB9_237:                              ;   in Loop: Header=BB9_197 Depth=2
	s_or_b64 exec, exec, s[28:29]
.LBB9_238:                              ;   in Loop: Header=BB9_197 Depth=2
	s_or_b64 exec, exec, s[22:23]
	v_and_b32_e32 v9, 16, v74
	s_and_saveexec_b64 s[22:23], s[20:21]
	s_xor_b64 s[22:23], exec, s[22:23]
	s_cbranch_execz .LBB9_243
; %bb.239:                              ;   in Loop: Header=BB9_197 Depth=2
	s_trap 2
	ds_read_b32 v2, v0
	v_cmp_lt_i32_e32 vcc, 0, v8
	v_and_b32_e32 v11, 16, v74
	v_and_b32_e32 v9, 16, v74
	s_waitcnt lgkmcnt(0)
	v_readfirstlane_b32 s28, v2
	s_cmp_eq_u32 s28, 0
	s_cselect_b64 s[28:29], -1, 0
	s_and_b64 s[28:29], vcc, s[28:29]
	v_cmp_ne_u32_e32 vcc, 0, v11
	s_and_b64 s[40:41], vcc, s[28:29]
	s_and_saveexec_b64 s[28:29], s[40:41]
	s_cbranch_execz .LBB9_241
; %bb.240:                              ;   in Loop: Header=BB9_197 Depth=2
	v_mov_b32_e32 v9, 1
	buffer_wbl2 sc1
	s_waitcnt vmcnt(0)
	buffer_inv sc1
.LBB9_241:                              ;   in Loop: Header=BB9_197 Depth=2
	s_or_b64 exec, exec, s[28:29]
	s_andn2_saveexec_b64 s[22:23], s[22:23]
	s_cbranch_execnz .LBB9_244
.LBB9_242:                              ;   in Loop: Header=BB9_197 Depth=2
	s_or_b64 exec, exec, s[22:23]
	v_cmp_ne_u32_e32 vcc, 0, v9
	s_and_saveexec_b64 s[22:23], vcc
	s_cbranch_execz .LBB9_196
	s_branch .LBB9_262
.LBB9_243:                              ;   in Loop: Header=BB9_197 Depth=2
	s_andn2_saveexec_b64 s[22:23], s[22:23]
	s_cbranch_execz .LBB9_242
.LBB9_244:                              ;   in Loop: Header=BB9_197 Depth=2
	s_and_saveexec_b64 s[28:29], s[76:77]
	s_xor_b64 s[28:29], exec, s[28:29]
	s_cbranch_execz .LBB9_259
; %bb.245:                              ;   in Loop: Header=BB9_197 Depth=2
	s_and_saveexec_b64 s[40:41], s[12:13]
	s_cbranch_execz .LBB9_258
; %bb.246:                              ;   in Loop: Header=BB9_197 Depth=2
	s_mov_b64 s[44:45], exec
	v_mbcnt_lo_u32_b32 v2, s44, 0
	v_mbcnt_hi_u32_b32 v2, s45, v2
	v_cmp_eq_u32_e32 vcc, 0, v2
	;;#ASMSTART
	s_waitcnt lgkmcnt(0) vmcnt(0)
	;;#ASMEND
	s_and_saveexec_b64 s[42:43], vcc
	s_cbranch_execz .LBB9_248
; %bb.247:                              ;   in Loop: Header=BB9_197 Depth=2
	s_bcnt1_i32_b64 s44, s[44:45]
	v_mov_b32_e32 v2, s44
	s_waitcnt lgkmcnt(0)
	ds_add_u64 v0, v[2:3]
	s_trap 2
.LBB9_248:                              ;   in Loop: Header=BB9_197 Depth=2
	s_or_b64 exec, exec, s[42:43]
	s_trap 2
	ds_read_b64 v[12:13], v0
	s_waitcnt lgkmcnt(0)
	v_lshl_add_u64 v[38:39], v[38:39], 0, v[52:53]
	v_cmp_lt_u64_e32 vcc, v[12:13], v[38:39]
	s_and_saveexec_b64 s[42:43], vcc
	s_cbranch_execz .LBB9_257
; %bb.249:                              ;   in Loop: Header=BB9_197 Depth=2
	s_mov_b32 s74, 0
	s_mov_b64 s[44:45], 0
                                        ; implicit-def: $sgpr46_sgpr47
                                        ; implicit-def: $sgpr56_sgpr57
	s_branch .LBB9_251
.LBB9_250:                              ;   in Loop: Header=BB9_251 Depth=3
	s_or_b64 exec, exec, s[60:61]
	s_and_b64 s[58:59], exec, vcc
	s_or_b64 s[44:45], s[58:59], s[44:45]
	s_andn2_b64 s[46:47], s[46:47], exec
	s_and_b64 s[58:59], s[56:57], exec
	s_or_b64 s[46:47], s[46:47], s[58:59]
	s_andn2_b64 exec, exec, s[44:45]
	s_cbranch_execz .LBB9_255
.LBB9_251:                              ;   Parent Loop BB9_47 Depth=1
                                        ;     Parent Loop BB9_197 Depth=2
                                        ; =>    This Inner Loop Header: Depth=3
	s_add_i32 s74, s74, 1
	s_cmpk_lg_i32 s74, 0x2710
	s_cselect_b64 s[58:59], -1, 0
	s_and_b64 vcc, exec, s[58:59]
	s_cbranch_vccz .LBB9_253
; %bb.252:                              ;   in Loop: Header=BB9_251 Depth=3
	s_mov_b64 vcc, -1
	s_or_b64 s[56:57], s[56:57], exec
	s_and_saveexec_b64 s[60:61], s[58:59]
	s_cbranch_execz .LBB9_250
	s_branch .LBB9_254
.LBB9_253:                              ;   in Loop: Header=BB9_251 Depth=3
	s_trap 2
	ds_read_b64 v[12:13], v0
	s_andn2_b64 s[58:59], s[58:59], exec
	s_mov_b32 s74, 0
	s_waitcnt vmcnt(0) lgkmcnt(0)
	flat_load_dword v2, v[12:13] sc0 sc1
	s_waitcnt vmcnt(0) lgkmcnt(0)
	buffer_inv sc0 sc1
	v_cmp_eq_u32_e32 vcc, 0, v2
	s_and_b64 s[60:61], vcc, exec
	s_or_b64 s[58:59], s[58:59], s[60:61]
	s_mov_b64 vcc, -1
	s_or_b64 s[56:57], s[56:57], exec
	s_and_saveexec_b64 s[60:61], s[58:59]
	s_cbranch_execz .LBB9_250
.LBB9_254:                              ;   in Loop: Header=BB9_251 Depth=3
	s_sleep 1
	s_trap 2
	ds_read_b64 v[12:13], v0
	s_waitcnt lgkmcnt(0)
	s_andn2_b64 s[56:57], s[56:57], exec
	v_cmp_ge_u64_e32 vcc, v[12:13], v[38:39]
	s_orn2_b64 vcc, vcc, exec
	s_branch .LBB9_250
.LBB9_255:                              ;   in Loop: Header=BB9_197 Depth=2
	s_or_b64 exec, exec, s[44:45]
	s_and_saveexec_b64 s[44:45], s[46:47]
	s_xor_b64 s[44:45], exec, s[44:45]
	s_cbranch_execz .LBB9_257
; %bb.256:                              ;   in Loop: Header=BB9_197 Depth=2
	ds_write_b32 v0, v77
	s_trap 2
.LBB9_257:                              ;   in Loop: Header=BB9_197 Depth=2
	s_or_b64 exec, exec, s[42:43]
	;;#ASMSTART
	s_wakeup
	;;#ASMEND
.LBB9_258:                              ;   in Loop: Header=BB9_197 Depth=2
	s_or_b64 exec, exec, s[40:41]
.LBB9_259:                              ;   in Loop: Header=BB9_197 Depth=2
	s_andn2_saveexec_b64 s[28:29], s[28:29]
	s_cbranch_execz .LBB9_261
; %bb.260:                              ;   in Loop: Header=BB9_197 Depth=2
	;;#ASMSTART
	s_waitcnt lgkmcnt(0) vmcnt(0)
	;;#ASMEND
	s_barrier
.LBB9_261:                              ;   in Loop: Header=BB9_197 Depth=2
	s_or_b64 exec, exec, s[28:29]
	s_or_b64 exec, exec, s[22:23]
	v_cmp_ne_u32_e32 vcc, 0, v9
	s_and_saveexec_b64 s[22:23], vcc
	s_cbranch_execz .LBB9_196
.LBB9_262:                              ;   in Loop: Header=BB9_197 Depth=2
	s_and_saveexec_b64 s[28:29], s[10:11]
	s_cbranch_execz .LBB9_195
; %bb.263:                              ;   in Loop: Header=BB9_197 Depth=2
	flat_store_dword v[36:37], v77 sc0 sc1
	s_branch .LBB9_195
.LBB9_264:                              ;   in Loop: Header=BB9_47 Depth=1
	s_or_b64 exec, exec, s[26:27]
.LBB9_265:                              ;   in Loop: Header=BB9_47 Depth=1
	s_or_b64 exec, exec, s[24:25]
	v_cndmask_b32_e64 v2, 0, 1, s[30:31]
	v_cmp_ne_u32_e64 s[22:23], 1, v2
	s_andn2_b64 vcc, exec, s[30:31]
	s_cbranch_vccnz .LBB9_572
; %bb.266:                              ;   in Loop: Header=BB9_47 Depth=1
	s_mov_b32 s64, 2
	s_branch .LBB9_269
.LBB9_267:                              ;   in Loop: Header=BB9_269 Depth=2
	s_or_b64 exec, exec, s[28:29]
.LBB9_268:                              ;   in Loop: Header=BB9_269 Depth=2
	s_or_b64 exec, exec, s[26:27]
	s_add_i32 s64, s64, 1
	s_cmp_eq_u32 s64, s66
	s_cbranch_scc1 .LBB9_572
.LBB9_269:                              ;   Parent Loop BB9_47 Depth=1
                                        ; =>  This Loop Header: Depth=2
                                        ;       Child Loop BB9_272 Depth 3
                                        ;         Child Loop BB9_280 Depth 4
                                        ;         Child Loop BB9_308 Depth 4
	;; [unrolled: 1-line block ×9, first 2 shown]
                                        ;       Child Loop BB9_500 Depth 3
                                        ;         Child Loop BB9_506 Depth 4
                                        ;         Child Loop BB9_534 Depth 4
	;; [unrolled: 1-line block ×3, first 2 shown]
	s_sub_i32 s24, s81, s64
	s_cmp_ge_i32 s24, s66
	s_cselect_b32 s25, s66, 0
	s_sub_i32 s24, s24, s25
	s_ashr_i32 s25, s24, 31
	v_mul_lo_u32 v2, v102, s25
	v_mul_lo_u32 v8, v103, s24
	v_mad_u64_u32 v[20:21], s[24:25], v102, s24, 0
	v_add3_u32 v21, v21, v2, v8
	v_sub_co_u32_e32 v8, vcc, v114, v20
	v_mov_b32_e32 v18, 0
	s_nop 0
	v_subb_co_u32_e32 v9, vcc, v115, v21, vcc
	v_cmp_lt_i64_e32 vcc, v[102:103], v[8:9]
	s_nop 1
	v_cndmask_b32_e32 v2, v8, v102, vcc
	v_max_i32_e32 v46, 0, v2
	v_add_u32_e32 v8, 31, v46
	v_ashrrev_i32_e32 v9, 31, v8
	v_lshrrev_b32_e32 v9, 27, v9
	v_add_u32_e32 v8, v8, v9
	v_ashrrev_i32_e32 v8, 5, v8
	v_lshlrev_b32_e32 v8, 4, v8
	v_cmp_lt_i32_e32 vcc, 0, v2
	v_max_i32_e32 v16, s84, v8
	s_and_b64 s[24:25], s[36:37], vcc
	v_mov_b32_e32 v2, 0
	s_and_saveexec_b64 s[28:29], s[24:25]
	s_cbranch_execz .LBB9_497
; %bb.270:                              ;   in Loop: Header=BB9_269 Depth=2
	s_mov_b32 s65, 1
	s_mov_b64 s[42:43], -1
	v_mov_b32_e32 v18, 0
	s_mov_b64 s[40:41], 0
	s_branch .LBB9_272
.LBB9_271:                              ;   in Loop: Header=BB9_272 Depth=3
	s_or_b64 exec, exec, s[24:25]
	v_add_u32_e32 v18, v16, v18
	v_cmp_ge_i32_e32 vcc, v18, v46
	s_xor_b64 s[24:25], s[42:43], -1
	s_or_b64 s[24:25], s[24:25], vcc
	s_and_b64 s[24:25], exec, s[24:25]
	s_or_b64 s[40:41], s[24:25], s[40:41]
	s_mov_b64 s[42:43], 0
	v_mov_b32_e32 v2, s65
	s_mov_b32 s65, 2
	s_andn2_b64 exec, exec, s[40:41]
	s_cbranch_execz .LBB9_496
.LBB9_272:                              ;   Parent Loop BB9_47 Depth=1
                                        ;     Parent Loop BB9_269 Depth=2
                                        ; =>    This Loop Header: Depth=3
                                        ;         Child Loop BB9_280 Depth 4
                                        ;         Child Loop BB9_308 Depth 4
	;; [unrolled: 1-line block ×9, first 2 shown]
	s_and_saveexec_b64 s[24:25], s[0:1]
	s_cbranch_execz .LBB9_274
; %bb.273:                              ;   in Loop: Header=BB9_272 Depth=3
	s_trap 2
	ds_read_b64 v[8:9], v0
	v_ashrrev_i32_e32 v19, 31, v18
	s_waitcnt lgkmcnt(0)
	v_lshl_add_u64 v[8:9], v[116:117], 1, v[8:9]
	v_lshl_add_u64 v[8:9], v[20:21], 1, v[8:9]
	;; [unrolled: 1-line block ×3, first 2 shown]
	ds_write_b64 v0, v[8:9]
	ds_write_b64 v0, v[108:109]
.LBB9_274:                              ;   in Loop: Header=BB9_272 Depth=3
	s_or_b64 exec, exec, s[24:25]
	v_sub_u32_e32 v2, v46, v18
	v_min_i32_e32 v16, v16, v2
	v_and_b32_e32 v2, 12, v74
	v_cmp_ne_u32_e32 vcc, 0, v2
	s_and_saveexec_b64 s[26:27], vcc
	s_cbranch_execz .LBB9_300
; %bb.275:                              ;   in Loop: Header=BB9_272 Depth=3
	v_and_b32_e32 v2, 8, v74
	s_waitcnt vmcnt(0) lgkmcnt(0)
	v_lshl_add_u64 v[10:11], v[48:49], 0, v[2:3]
	v_lshl_add_u64 v[8:9], v[112:113], 0, 2
	v_cmp_lt_u64_e32 vcc, v[10:11], v[8:9]
	s_and_saveexec_b64 s[44:45], vcc
	s_cbranch_execz .LBB9_287
; %bb.276:                              ;   in Loop: Header=BB9_272 Depth=3
	v_and_b32_e32 v10, 64, v74
	s_mov_b32 s74, 0
	v_cmp_eq_u32_e32 vcc, 0, v10
	s_mov_b64 s[46:47], 0
                                        ; implicit-def: $sgpr56_sgpr57
                                        ; implicit-def: $sgpr58_sgpr59
                                        ; implicit-def: $sgpr60_sgpr61
	s_branch .LBB9_280
.LBB9_277:                              ;   in Loop: Header=BB9_280 Depth=4
	s_waitcnt vmcnt(0) lgkmcnt(0)
	v_lshl_add_u64 v[12:13], v[48:49], 0, v[2:3]
	v_cmp_ge_u64_e64 s[24:25], v[12:13], v[8:9]
	s_or_b64 s[50:51], s[50:51], exec
	s_orn2_b64 s[48:49], s[24:25], exec
.LBB9_278:                              ;   in Loop: Header=BB9_280 Depth=4
	s_or_b64 exec, exec, s[54:55]
	s_andn2_b64 s[24:25], s[60:61], exec
	s_and_b64 s[60:61], s[50:51], exec
	s_or_b64 s[60:61], s[24:25], s[60:61]
	s_andn2_b64 s[24:25], s[58:59], exec
	s_and_b64 s[58:59], s[48:49], exec
	s_or_b64 s[58:59], s[24:25], s[58:59]
.LBB9_279:                              ;   in Loop: Header=BB9_280 Depth=4
	s_or_b64 exec, exec, s[38:39]
	s_and_b64 s[24:25], exec, s[58:59]
	s_or_b64 s[46:47], s[24:25], s[46:47]
	s_andn2_b64 s[24:25], s[56:57], exec
	s_and_b64 s[56:57], s[60:61], exec
	s_or_b64 s[56:57], s[24:25], s[56:57]
	s_andn2_b64 exec, exec, s[46:47]
	s_cbranch_execz .LBB9_284
.LBB9_280:                              ;   Parent Loop BB9_47 Depth=1
                                        ;     Parent Loop BB9_269 Depth=2
                                        ;       Parent Loop BB9_272 Depth=3
                                        ; =>      This Inner Loop Header: Depth=4
	s_sleep 1
	s_waitcnt vmcnt(0) lgkmcnt(0)
	flat_load_dwordx2 v[48:49], v[32:33] sc0 sc1
	s_or_b64 s[60:61], s[60:61], exec
	s_or_b64 s[58:59], s[58:59], exec
                                        ; implicit-def: $vgpr10
	s_and_saveexec_b64 s[38:39], vcc
	s_cbranch_execz .LBB9_279
; %bb.281:                              ;   in Loop: Header=BB9_280 Depth=4
	s_cmpk_lt_i32 s74, 0x270f
	s_cselect_b64 s[52:53], -1, 0
	s_cmpk_gt_i32 s74, 0x270e
	s_mov_b64 s[48:49], -1
	s_cbranch_scc0 .LBB9_283
; %bb.282:                              ;   in Loop: Header=BB9_280 Depth=4
	s_trap 2
	ds_read_b64 v[10:11], v0
	s_andn2_b64 s[52:53], s[52:53], exec
	s_mov_b32 s74, 0
	s_mov_b64 s[50:51], 0
	s_waitcnt vmcnt(0) lgkmcnt(0)
	flat_load_dword v10, v[10:11] sc0 sc1
	s_waitcnt vmcnt(0) lgkmcnt(0)
	buffer_inv sc0 sc1
	v_cmp_eq_u32_e64 s[24:25], 0, v10
	s_and_b64 s[24:25], s[24:25], exec
	s_or_b64 s[52:53], s[52:53], s[24:25]
	s_and_saveexec_b64 s[54:55], s[52:53]
	s_cbranch_execz .LBB9_278
	s_branch .LBB9_277
.LBB9_283:                              ;   in Loop: Header=BB9_280 Depth=4
	s_add_i32 s74, s74, 1
	s_mov_b64 s[50:51], -1
                                        ; implicit-def: $vgpr10
	s_and_saveexec_b64 s[54:55], s[52:53]
	s_cbranch_execz .LBB9_278
	s_branch .LBB9_277
.LBB9_284:                              ;   in Loop: Header=BB9_272 Depth=3
	s_or_b64 exec, exec, s[46:47]
	s_xor_b64 s[24:25], s[56:57], -1
	s_and_saveexec_b64 s[46:47], s[24:25]
	s_xor_b64 s[24:25], exec, s[46:47]
	s_cbranch_execz .LBB9_286
; %bb.285:                              ;   in Loop: Header=BB9_272 Depth=3
	v_or_b32_e32 v74, 64, v74
	s_waitcnt lgkmcnt(0)
	ds_write_b32 v0, v10
	s_trap 2
.LBB9_286:                              ;   in Loop: Header=BB9_272 Depth=3
	s_or_b64 exec, exec, s[24:25]
.LBB9_287:                              ;   in Loop: Header=BB9_272 Depth=3
	s_or_b64 exec, exec, s[44:45]
	v_and_b32_e32 v10, 0x108, v74
	v_cmp_ne_u32_e32 vcc, s69, v10
	;;#ASMSTART
	s_wakeup
	;;#ASMEND
                                        ; implicit-def: $vgpr10_vgpr11
	s_and_saveexec_b64 s[24:25], vcc
	s_xor_b64 s[24:25], exec, s[24:25]
; %bb.288:                              ;   in Loop: Header=BB9_272 Depth=3
	v_and_b32_e32 v10, 7, v112
	v_mov_b32_e32 v11, v3
                                        ; implicit-def: $vgpr112_vgpr113
; %bb.289:                              ;   in Loop: Header=BB9_272 Depth=3
	s_andn2_saveexec_b64 s[24:25], s[24:25]
	s_cbranch_execz .LBB9_291
; %bb.290:                              ;   in Loop: Header=BB9_272 Depth=3
	v_and_b32_e32 v10, 7, v112
	v_ashrrev_i32_e32 v17, 31, v16
	v_mov_b32_e32 v11, v3
	v_mad_u64_u32 v[12:13], s[44:45], v10, 24, v[6:7]
	v_lshlrev_b64 v[14:15], 1, v[16:17]
	flat_store_dwordx2 v[12:13], v[14:15] offset:8
.LBB9_291:                              ;   in Loop: Header=BB9_272 Depth=3
	s_or_b64 exec, exec, s[24:25]
	v_and_b32_e32 v12, 0x100, v74
	v_cmp_ne_u32_e32 vcc, 0, v12
	s_mov_b64 s[24:25], -1
                                        ; implicit-def: $vgpr12_vgpr13
	s_and_saveexec_b64 s[44:45], vcc
	s_cbranch_execz .LBB9_295
; %bb.292:                              ;   in Loop: Header=BB9_272 Depth=3
	v_mad_u64_u32 v[14:15], s[24:25], v10, 24, v[6:7]
	v_mov_b32_e32 v12, v15
	v_mad_u64_u32 v[12:13], s[24:25], v11, 24, v[12:13]
	v_mov_b32_e32 v15, v12
	flat_load_dword v12, v[14:15]
	s_waitcnt vmcnt(0) lgkmcnt(0)
	v_cmp_ne_u32_e32 vcc, 1, v12
	v_cmp_eq_u32_e64 s[24:25], 1, v12
                                        ; implicit-def: $vgpr12_vgpr13
	s_and_saveexec_b64 s[46:47], s[24:25]
	s_cbranch_execz .LBB9_294
; %bb.293:                              ;   in Loop: Header=BB9_272 Depth=3
	flat_load_dword v12, v[14:15] offset:4 sc0 sc1
	s_waitcnt vmcnt(0) lgkmcnt(0)
	v_ashrrev_i32_e32 v13, 31, v12
	v_lshrrev_b64 v[12:13], 1, v[12:13]
.LBB9_294:                              ;   in Loop: Header=BB9_272 Depth=3
	s_or_b64 exec, exec, s[46:47]
	s_orn2_b64 s[24:25], vcc, exec
.LBB9_295:                              ;   in Loop: Header=BB9_272 Depth=3
	s_or_b64 exec, exec, s[44:45]
	s_and_saveexec_b64 s[44:45], s[24:25]
; %bb.296:                              ;   in Loop: Header=BB9_272 Depth=3
	v_mul_lo_u32 v11, v11, v30
	v_mul_lo_u32 v14, v10, v51
	v_mad_u64_u32 v[12:13], s[24:25], v10, v30, 0
	v_add3_u32 v13, v13, v14, v11
; %bb.297:                              ;   in Loop: Header=BB9_272 Depth=3
	s_or_b64 exec, exec, s[44:45]
	v_cmp_eq_u32_e32 vcc, 0, v2
	v_lshl_add_u64 v[10:11], v[12:13], 1, v[34:35]
	s_nop 0
	v_cndmask_b32_e32 v2, v78, v79, vcc
	v_add_u32_e32 v2, v0, v2
	ds_write_b64 v2, v[10:11] offset:584
	v_and_b32_e32 v2, 0x2000, v74
	v_cmp_ne_u32_e32 vcc, 0, v2
	s_and_saveexec_b64 s[24:25], vcc
	s_cbranch_execz .LBB9_299
; %bb.298:                              ;   in Loop: Header=BB9_272 Depth=3
	ds_read_b64 v[10:11], v0 offset:872
	s_waitcnt lgkmcnt(0)
	v_lshl_add_u64 v[10:11], v[10:11], 0, 1
	ds_write_b64 v0, v[10:11] offset:872
.LBB9_299:                              ;   in Loop: Header=BB9_272 Depth=3
	s_or_b64 exec, exec, s[24:25]
	v_mov_b64_e32 v[112:113], v[8:9]
.LBB9_300:                              ;   in Loop: Header=BB9_272 Depth=3
	s_or_b64 exec, exec, s[26:27]
	s_and_saveexec_b64 s[24:25], s[4:5]
	s_cbranch_execz .LBB9_319
; %bb.301:                              ;   in Loop: Header=BB9_272 Depth=3
	s_and_saveexec_b64 s[26:27], s[76:77]
	s_xor_b64 s[26:27], exec, s[26:27]
	s_cbranch_execz .LBB9_316
; %bb.302:                              ;   in Loop: Header=BB9_272 Depth=3
	s_and_saveexec_b64 s[44:45], s[12:13]
	s_cbranch_execz .LBB9_315
; %bb.303:                              ;   in Loop: Header=BB9_272 Depth=3
	s_mov_b64 s[56:57], exec
	v_mbcnt_lo_u32_b32 v2, s56, 0
	v_mbcnt_hi_u32_b32 v2, s57, v2
	v_cmp_eq_u32_e32 vcc, 0, v2
	s_waitcnt lgkmcnt(0)
	s_and_saveexec_b64 s[46:47], vcc
	s_cbranch_execz .LBB9_305
; %bb.304:                              ;   in Loop: Header=BB9_272 Depth=3
	s_bcnt1_i32_b64 s56, s[56:57]
	v_mov_b32_e32 v2, s56
	ds_add_u64 v0, v[2:3]
	s_trap 2
.LBB9_305:                              ;   in Loop: Header=BB9_272 Depth=3
	s_or_b64 exec, exec, s[46:47]
	s_trap 2
	ds_read_b64 v[8:9], v0
	s_waitcnt lgkmcnt(0)
	v_lshl_add_u64 v[38:39], v[38:39], 0, v[52:53]
	v_cmp_lt_u64_e32 vcc, v[8:9], v[38:39]
	s_and_saveexec_b64 s[46:47], vcc
	s_cbranch_execz .LBB9_314
; %bb.306:                              ;   in Loop: Header=BB9_272 Depth=3
	s_mov_b32 s74, 0
	s_mov_b64 s[56:57], 0
                                        ; implicit-def: $sgpr58_sgpr59
                                        ; implicit-def: $sgpr60_sgpr61
	s_branch .LBB9_308
.LBB9_307:                              ;   in Loop: Header=BB9_308 Depth=4
	s_or_b64 exec, exec, s[48:49]
	s_and_b64 vcc, exec, vcc
	s_or_b64 s[56:57], vcc, s[56:57]
	s_andn2_b64 s[58:59], s[58:59], exec
	s_and_b64 vcc, s[60:61], exec
	s_or_b64 s[58:59], s[58:59], vcc
	s_andn2_b64 exec, exec, s[56:57]
	s_cbranch_execz .LBB9_312
.LBB9_308:                              ;   Parent Loop BB9_47 Depth=1
                                        ;     Parent Loop BB9_269 Depth=2
                                        ;       Parent Loop BB9_272 Depth=3
                                        ; =>      This Inner Loop Header: Depth=4
	s_add_i32 s74, s74, 1
	s_cmpk_lg_i32 s74, 0x2710
	s_cselect_b64 s[38:39], -1, 0
	s_and_b64 vcc, exec, s[38:39]
	s_cbranch_vccz .LBB9_310
; %bb.309:                              ;   in Loop: Header=BB9_308 Depth=4
	s_mov_b64 vcc, -1
	s_or_b64 s[60:61], s[60:61], exec
	s_and_saveexec_b64 s[48:49], s[38:39]
	s_cbranch_execz .LBB9_307
	s_branch .LBB9_311
.LBB9_310:                              ;   in Loop: Header=BB9_308 Depth=4
	s_trap 2
	ds_read_b64 v[8:9], v0
	s_andn2_b64 s[38:39], s[38:39], exec
	s_mov_b32 s74, 0
	s_waitcnt vmcnt(0) lgkmcnt(0)
	flat_load_dword v2, v[8:9] sc0 sc1
	s_waitcnt vmcnt(0) lgkmcnt(0)
	buffer_inv sc0 sc1
	v_cmp_eq_u32_e32 vcc, 0, v2
	s_and_b64 vcc, vcc, exec
	s_or_b64 s[38:39], s[38:39], vcc
	s_mov_b64 vcc, -1
	s_or_b64 s[60:61], s[60:61], exec
	s_and_saveexec_b64 s[48:49], s[38:39]
	s_cbranch_execz .LBB9_307
.LBB9_311:                              ;   in Loop: Header=BB9_308 Depth=4
	s_sleep 1
	s_trap 2
	ds_read_b64 v[8:9], v0
	s_waitcnt lgkmcnt(0)
	s_andn2_b64 s[60:61], s[60:61], exec
	v_cmp_ge_u64_e32 vcc, v[8:9], v[38:39]
	s_orn2_b64 vcc, vcc, exec
	s_branch .LBB9_307
.LBB9_312:                              ;   in Loop: Header=BB9_272 Depth=3
	s_or_b64 exec, exec, s[56:57]
	s_and_saveexec_b64 s[56:57], s[58:59]
	s_xor_b64 s[56:57], exec, s[56:57]
	s_cbranch_execz .LBB9_314
; %bb.313:                              ;   in Loop: Header=BB9_272 Depth=3
	ds_write_b32 v0, v77
	s_trap 2
.LBB9_314:                              ;   in Loop: Header=BB9_272 Depth=3
	s_or_b64 exec, exec, s[46:47]
	;;#ASMSTART
	s_wakeup
	;;#ASMEND
.LBB9_315:                              ;   in Loop: Header=BB9_272 Depth=3
	s_or_b64 exec, exec, s[44:45]
.LBB9_316:                              ;   in Loop: Header=BB9_272 Depth=3
	s_andn2_saveexec_b64 s[26:27], s[26:27]
	s_cbranch_execz .LBB9_318
; %bb.317:                              ;   in Loop: Header=BB9_272 Depth=3
	s_waitcnt lgkmcnt(0)
	s_barrier
.LBB9_318:                              ;   in Loop: Header=BB9_272 Depth=3
	s_or_b64 exec, exec, s[26:27]
.LBB9_319:                              ;   in Loop: Header=BB9_272 Depth=3
	s_or_b64 exec, exec, s[24:25]
	s_trap 2
	ds_read_b32 v8, v0
	v_and_b32_e32 v2, 0x4000, v74
	v_cmp_ne_u32_e32 vcc, 0, v2
	s_xor_b64 s[24:25], s[2:3], -1
	s_and_b64 s[26:27], s[24:25], vcc
	s_and_saveexec_b64 s[24:25], s[26:27]
	s_cbranch_execz .LBB9_338
; %bb.320:                              ;   in Loop: Header=BB9_272 Depth=3
	s_and_saveexec_b64 s[26:27], s[76:77]
	s_xor_b64 s[26:27], exec, s[26:27]
	s_cbranch_execz .LBB9_335
; %bb.321:                              ;   in Loop: Header=BB9_272 Depth=3
	s_and_saveexec_b64 s[44:45], s[12:13]
	s_cbranch_execz .LBB9_334
; %bb.322:                              ;   in Loop: Header=BB9_272 Depth=3
	s_mov_b64 s[56:57], exec
	v_mbcnt_lo_u32_b32 v2, s56, 0
	v_mbcnt_hi_u32_b32 v2, s57, v2
	v_cmp_eq_u32_e32 vcc, 0, v2
	s_waitcnt lgkmcnt(0)
	s_and_saveexec_b64 s[46:47], vcc
	s_cbranch_execz .LBB9_324
; %bb.323:                              ;   in Loop: Header=BB9_272 Depth=3
	s_bcnt1_i32_b64 s56, s[56:57]
	v_mov_b32_e32 v2, s56
	ds_add_u64 v0, v[2:3]
	s_trap 2
.LBB9_324:                              ;   in Loop: Header=BB9_272 Depth=3
	s_or_b64 exec, exec, s[46:47]
	s_trap 2
	ds_read_b64 v[10:11], v0
	s_waitcnt lgkmcnt(0)
	v_lshl_add_u64 v[38:39], v[38:39], 0, v[52:53]
	v_cmp_lt_u64_e32 vcc, v[10:11], v[38:39]
	s_and_saveexec_b64 s[46:47], vcc
	s_cbranch_execz .LBB9_333
; %bb.325:                              ;   in Loop: Header=BB9_272 Depth=3
	s_mov_b32 s74, 0
	s_mov_b64 s[56:57], 0
                                        ; implicit-def: $sgpr58_sgpr59
                                        ; implicit-def: $sgpr60_sgpr61
	s_branch .LBB9_327
.LBB9_326:                              ;   in Loop: Header=BB9_327 Depth=4
	s_or_b64 exec, exec, s[48:49]
	s_and_b64 vcc, exec, vcc
	s_or_b64 s[56:57], vcc, s[56:57]
	s_andn2_b64 s[58:59], s[58:59], exec
	s_and_b64 vcc, s[60:61], exec
	s_or_b64 s[58:59], s[58:59], vcc
	s_andn2_b64 exec, exec, s[56:57]
	s_cbranch_execz .LBB9_331
.LBB9_327:                              ;   Parent Loop BB9_47 Depth=1
                                        ;     Parent Loop BB9_269 Depth=2
                                        ;       Parent Loop BB9_272 Depth=3
                                        ; =>      This Inner Loop Header: Depth=4
	s_add_i32 s74, s74, 1
	s_cmpk_lg_i32 s74, 0x2710
	s_cselect_b64 s[38:39], -1, 0
	s_and_b64 vcc, exec, s[38:39]
	s_cbranch_vccz .LBB9_329
; %bb.328:                              ;   in Loop: Header=BB9_327 Depth=4
	s_mov_b64 vcc, -1
	s_or_b64 s[60:61], s[60:61], exec
	s_and_saveexec_b64 s[48:49], s[38:39]
	s_cbranch_execz .LBB9_326
	s_branch .LBB9_330
.LBB9_329:                              ;   in Loop: Header=BB9_327 Depth=4
	s_trap 2
	ds_read_b64 v[10:11], v0
	s_andn2_b64 s[38:39], s[38:39], exec
	s_mov_b32 s74, 0
	s_waitcnt vmcnt(0) lgkmcnt(0)
	flat_load_dword v2, v[10:11] sc0 sc1
	s_waitcnt vmcnt(0) lgkmcnt(0)
	buffer_inv sc0 sc1
	v_cmp_eq_u32_e32 vcc, 0, v2
	s_and_b64 vcc, vcc, exec
	s_or_b64 s[38:39], s[38:39], vcc
	s_mov_b64 vcc, -1
	s_or_b64 s[60:61], s[60:61], exec
	s_and_saveexec_b64 s[48:49], s[38:39]
	s_cbranch_execz .LBB9_326
.LBB9_330:                              ;   in Loop: Header=BB9_327 Depth=4
	s_sleep 1
	s_trap 2
	ds_read_b64 v[10:11], v0
	s_waitcnt lgkmcnt(0)
	s_andn2_b64 s[60:61], s[60:61], exec
	v_cmp_ge_u64_e32 vcc, v[10:11], v[38:39]
	s_orn2_b64 vcc, vcc, exec
	s_branch .LBB9_326
.LBB9_331:                              ;   in Loop: Header=BB9_272 Depth=3
	s_or_b64 exec, exec, s[56:57]
	s_and_saveexec_b64 s[56:57], s[58:59]
	s_xor_b64 s[56:57], exec, s[56:57]
	s_cbranch_execz .LBB9_333
; %bb.332:                              ;   in Loop: Header=BB9_272 Depth=3
	ds_write_b32 v0, v77
	s_trap 2
.LBB9_333:                              ;   in Loop: Header=BB9_272 Depth=3
	s_or_b64 exec, exec, s[46:47]
	;;#ASMSTART
	s_wakeup
	;;#ASMEND
.LBB9_334:                              ;   in Loop: Header=BB9_272 Depth=3
	s_or_b64 exec, exec, s[44:45]
.LBB9_335:                              ;   in Loop: Header=BB9_272 Depth=3
	s_andn2_saveexec_b64 s[26:27], s[26:27]
	s_cbranch_execz .LBB9_337
; %bb.336:                              ;   in Loop: Header=BB9_272 Depth=3
	s_waitcnt lgkmcnt(0)
	s_barrier
.LBB9_337:                              ;   in Loop: Header=BB9_272 Depth=3
	s_or_b64 exec, exec, s[26:27]
.LBB9_338:                              ;   in Loop: Header=BB9_272 Depth=3
	s_or_b64 exec, exec, s[24:25]
	s_trap 2
	ds_read_b64 v[22:23], v0
	s_waitcnt lgkmcnt(0)
	v_cmp_eq_u64_e32 vcc, 0, v[22:23]
	s_cbranch_vccnz .LBB9_346
; %bb.339:                              ;   in Loop: Header=BB9_272 Depth=3
	s_trap 2
	ds_read_b64 v[118:119], v0
	s_waitcnt lgkmcnt(0)
	v_cmp_eq_u64_e32 vcc, 0, v[118:119]
	s_cbranch_vccnz .LBB9_346
; %bb.340:                              ;   in Loop: Header=BB9_272 Depth=3
	s_trap 2
	ds_read_b64 v[10:11], v0
	s_mov_b64 s[24:25], -1
	s_waitcnt lgkmcnt(0)
	v_readfirstlane_b32 s60, v10
	s_and_saveexec_b64 s[26:27], s[18:19]
	s_cbranch_execz .LBB9_342
; %bb.341:                              ;   in Loop: Header=BB9_272 Depth=3
	ds_read_b32 v2, v0 offset:720
	s_waitcnt lgkmcnt(0)
	v_and_b32_e32 v2, 15, v2
	v_cmp_eq_u32_e32 vcc, 0, v2
	s_orn2_b64 s[24:25], vcc, exec
.LBB9_342:                              ;   in Loop: Header=BB9_272 Depth=3
	s_or_b64 exec, exec, s[26:27]
	s_and_saveexec_b64 s[26:27], s[16:17]
	s_cbranch_execz .LBB9_344
; %bb.343:                              ;   in Loop: Header=BB9_272 Depth=3
	ds_read_b32 v2, v0 offset:784
	s_waitcnt lgkmcnt(0)
	v_and_b32_e32 v2, 15, v2
	v_cmp_eq_u32_e32 vcc, 0, v2
	s_and_b64 s[44:45], s[24:25], vcc
	s_andn2_b64 s[24:25], s[24:25], exec
	s_and_b64 s[44:45], s[44:45], exec
	s_or_b64 s[24:25], s[24:25], s[44:45]
.LBB9_344:                              ;   in Loop: Header=BB9_272 Depth=3
	s_or_b64 exec, exec, s[26:27]
	v_cmp_eq_u32_e32 vcc, 0, v8
	s_xor_b64 s[24:25], s[24:25], -1
	v_cndmask_b32_e64 v8, 0, 1, s[24:25]
	v_cndmask_b32_e32 v2, 0, v16, vcc
	v_lshlrev_b32_e32 v17, 1, v2
	s_mov_b64 s[46:47], -1
	v_cmp_ne_u32_e32 vcc, 0, v8
	v_mov_b32_e32 v14, 0
	s_cbranch_vccz .LBB9_347
; %bb.345:                              ;   in Loop: Header=BB9_272 Depth=3
	v_mov_b32_e32 v15, v0
	s_and_saveexec_b64 s[26:27], s[46:47]
	s_cbranch_execnz .LBB9_422
	s_branch .LBB9_450
.LBB9_346:                              ;   in Loop: Header=BB9_272 Depth=3
	s_mov_b64 s[24:25], 0
	s_and_saveexec_b64 s[26:27], s[4:5]
	s_cbranch_execnz .LBB9_451
	s_branch .LBB9_469
.LBB9_347:                              ;   in Loop: Header=BB9_272 Depth=3
	v_ashrrev_i32_e32 v8, 31, v17
	v_lshrrev_b32_e32 v8, 22, v8
	v_add_u32_e32 v8, v17, v8
	v_and_b32_e32 v47, 0xfffffc00, v8
	v_ashrrev_i32_e32 v9, 10, v8
	v_sub_u32_e32 v57, v17, v47
	v_sub_u32_e32 v8, v9, v76
	v_cmp_lt_i32_e32 vcc, 15, v57
	v_sub_u32_e32 v19, v17, v54
	s_nop 0
	v_addc_co_u32_e64 v56, s[24:25], 0, v8, vcc
	v_cmp_lt_i32_e64 s[24:25], 15, v19
	s_and_saveexec_b64 s[44:45], s[24:25]
	s_cbranch_execz .LBB9_383
; %bb.348:                              ;   in Loop: Header=BB9_272 Depth=3
	s_trap 2
	ds_read_b64 v[8:9], v0
	s_and_b32 s74, s60, 1
	s_cmp_eq_u64 s[74:75], 0
	v_lshl_add_u64 v[40:41], v[22:23], 0, v[54:55]
	v_lshl_add_u64 v[42:43], v[118:119], 0, v[54:55]
	s_waitcnt lgkmcnt(0)
	v_lshl_add_u64 v[44:45], v[8:9], 0, v[54:55]
	s_mov_b64 s[46:47], 0
	s_cselect_b64 s[24:25], -1, 0
	s_branch .LBB9_350
.LBB9_349:                              ;   in Loop: Header=BB9_350 Depth=4
	s_or_b64 exec, exec, s[56:57]
	v_lshrrev_b32_e32 v12, 16, v12
	v_and_or_b32 v9, v9, s80, v12
	v_lshrrev_b32_e32 v12, 16, v58
	v_and_or_b32 v8, v8, s80, v12
	;; [unrolled: 2-line block ×3, first 2 shown]
	v_lshrrev_b32_e32 v12, 16, v14
	v_sub_u32_e32 v19, v19, v80
	v_and_or_b32 v11, v11, s80, v12
	v_cmp_gt_i32_e64 s[26:27], 16, v19
	global_store_dwordx4 v[42:43], v[8:11], off
	v_lshl_add_u64 v[40:41], v[40:41], 0, v[80:81]
	v_lshl_add_u64 v[44:45], v[44:45], 0, v[80:81]
	;; [unrolled: 1-line block ×3, first 2 shown]
	s_or_b64 s[46:47], s[26:27], s[46:47]
	v_sub_u32_e32 v56, v56, v52
	s_andn2_b64 exec, exec, s[46:47]
	s_cbranch_execz .LBB9_382
.LBB9_350:                              ;   Parent Loop BB9_47 Depth=1
                                        ;     Parent Loop BB9_269 Depth=2
                                        ;       Parent Loop BB9_272 Depth=3
                                        ; =>      This Inner Loop Header: Depth=4
	global_load_dwordx4 v[8:11], v[44:45], off nt
	global_load_dwordx4 v[12:15], v[40:41], off nt
	s_waitcnt vmcnt(0)
	v_lshlrev_b32_e32 v58, 16, v8
	v_lshlrev_b32_e32 v59, 16, v12
	v_max_f32_e32 v58, v58, v58
	v_max_f32_e32 v59, v59, v59
	v_min_f32_e32 v60, v59, v58
	v_max_f32_e32 v58, v59, v58
	v_cndmask_b32_e64 v59, v58, v60, s[24:25]
	v_and_b32_e32 v58, 0x7f800000, v59
	v_cmp_ne_u32_e64 s[26:27], s70, v58
                                        ; implicit-def: $vgpr58
	s_and_saveexec_b64 s[56:57], s[26:27]
	s_xor_b64 s[26:27], exec, s[56:57]
; %bb.351:                              ;   in Loop: Header=BB9_350 Depth=4
	v_bfe_u32 v58, v59, 16, 1
	v_add3_u32 v58, v59, v58, s71
                                        ; implicit-def: $vgpr59
; %bb.352:                              ;   in Loop: Header=BB9_350 Depth=4
	s_andn2_saveexec_b64 s[56:57], s[26:27]
; %bb.353:                              ;   in Loop: Header=BB9_350 Depth=4
	v_or_b32_e32 v58, 0x10000, v59
	v_cmp_eq_u32_sdwa s[26:27], v59, v3 src0_sel:WORD_0 src1_sel:DWORD
	s_nop 1
	v_cndmask_b32_e64 v58, v58, v59, s[26:27]
; %bb.354:                              ;   in Loop: Header=BB9_350 Depth=4
	s_or_b64 exec, exec, s[56:57]
	v_and_b32_e32 v8, 0xffff0000, v8
	v_and_b32_e32 v12, 0xffff0000, v12
	v_max_f32_e32 v8, v8, v8
	v_max_f32_e32 v12, v12, v12
	v_min_f32_e32 v59, v12, v8
	v_max_f32_e32 v8, v12, v8
	v_cndmask_b32_e64 v12, v8, v59, s[24:25]
	v_and_b32_e32 v8, 0x7f800000, v12
	v_cmp_ne_u32_e64 s[26:27], s70, v8
                                        ; implicit-def: $vgpr8
	s_and_saveexec_b64 s[56:57], s[26:27]
	s_xor_b64 s[26:27], exec, s[56:57]
; %bb.355:                              ;   in Loop: Header=BB9_350 Depth=4
	v_bfe_u32 v8, v12, 16, 1
	v_add3_u32 v8, v12, v8, s71
                                        ; implicit-def: $vgpr12
; %bb.356:                              ;   in Loop: Header=BB9_350 Depth=4
	s_andn2_saveexec_b64 s[56:57], s[26:27]
; %bb.357:                              ;   in Loop: Header=BB9_350 Depth=4
	v_or_b32_e32 v8, 0x10000, v12
	v_cmp_eq_u32_sdwa s[26:27], v12, v3 src0_sel:WORD_0 src1_sel:DWORD
	s_nop 1
	v_cndmask_b32_e64 v8, v8, v12, s[26:27]
; %bb.358:                              ;   in Loop: Header=BB9_350 Depth=4
	s_or_b64 exec, exec, s[56:57]
	v_lshlrev_b32_e32 v12, 16, v9
	v_lshlrev_b32_e32 v59, 16, v13
	v_max_f32_e32 v12, v12, v12
	v_max_f32_e32 v59, v59, v59
	v_min_f32_e32 v60, v59, v12
	v_max_f32_e32 v12, v59, v12
	v_cndmask_b32_e64 v59, v12, v60, s[24:25]
	v_and_b32_e32 v12, 0x7f800000, v59
	v_cmp_ne_u32_e64 s[26:27], s70, v12
                                        ; implicit-def: $vgpr12
	s_and_saveexec_b64 s[56:57], s[26:27]
	s_xor_b64 s[26:27], exec, s[56:57]
; %bb.359:                              ;   in Loop: Header=BB9_350 Depth=4
	v_bfe_u32 v12, v59, 16, 1
	v_add3_u32 v12, v59, v12, s71
                                        ; implicit-def: $vgpr59
; %bb.360:                              ;   in Loop: Header=BB9_350 Depth=4
	s_andn2_saveexec_b64 s[56:57], s[26:27]
; %bb.361:                              ;   in Loop: Header=BB9_350 Depth=4
	v_or_b32_e32 v12, 0x10000, v59
	v_cmp_eq_u32_sdwa s[26:27], v59, v3 src0_sel:WORD_0 src1_sel:DWORD
	s_nop 1
	v_cndmask_b32_e64 v12, v12, v59, s[26:27]
; %bb.362:                              ;   in Loop: Header=BB9_350 Depth=4
	s_or_b64 exec, exec, s[56:57]
	v_and_b32_e32 v13, 0xffff0000, v13
	v_and_b32_e32 v9, 0xffff0000, v9
	v_max_f32_e32 v9, v9, v9
	v_max_f32_e32 v13, v13, v13
	v_min_f32_e32 v59, v13, v9
	v_max_f32_e32 v9, v13, v9
	v_cndmask_b32_e64 v13, v9, v59, s[24:25]
	v_and_b32_e32 v9, 0x7f800000, v13
	v_cmp_ne_u32_e64 s[26:27], s70, v9
                                        ; implicit-def: $vgpr9
	s_and_saveexec_b64 s[56:57], s[26:27]
	s_xor_b64 s[26:27], exec, s[56:57]
; %bb.363:                              ;   in Loop: Header=BB9_350 Depth=4
	v_bfe_u32 v9, v13, 16, 1
	v_add3_u32 v9, v13, v9, s71
                                        ; implicit-def: $vgpr13
; %bb.364:                              ;   in Loop: Header=BB9_350 Depth=4
	s_andn2_saveexec_b64 s[56:57], s[26:27]
; %bb.365:                              ;   in Loop: Header=BB9_350 Depth=4
	v_or_b32_e32 v9, 0x10000, v13
	v_cmp_eq_u32_sdwa s[26:27], v13, v3 src0_sel:WORD_0 src1_sel:DWORD
	s_nop 1
	v_cndmask_b32_e64 v9, v9, v13, s[26:27]
; %bb.366:                              ;   in Loop: Header=BB9_350 Depth=4
	s_or_b64 exec, exec, s[56:57]
	v_lshlrev_b32_e32 v13, 16, v10
	v_lshlrev_b32_e32 v59, 16, v14
	v_max_f32_e32 v13, v13, v13
	v_max_f32_e32 v59, v59, v59
	v_min_f32_e32 v60, v59, v13
	v_max_f32_e32 v13, v59, v13
	v_cndmask_b32_e64 v59, v13, v60, s[24:25]
	v_and_b32_e32 v13, 0x7f800000, v59
	v_cmp_ne_u32_e64 s[26:27], s70, v13
                                        ; implicit-def: $vgpr13
	s_and_saveexec_b64 s[56:57], s[26:27]
	s_xor_b64 s[26:27], exec, s[56:57]
; %bb.367:                              ;   in Loop: Header=BB9_350 Depth=4
	v_bfe_u32 v13, v59, 16, 1
	v_add3_u32 v13, v59, v13, s71
                                        ; implicit-def: $vgpr59
; %bb.368:                              ;   in Loop: Header=BB9_350 Depth=4
	s_andn2_saveexec_b64 s[56:57], s[26:27]
; %bb.369:                              ;   in Loop: Header=BB9_350 Depth=4
	v_or_b32_e32 v13, 0x10000, v59
	v_cmp_eq_u32_sdwa s[26:27], v59, v3 src0_sel:WORD_0 src1_sel:DWORD
	s_nop 1
	v_cndmask_b32_e64 v13, v13, v59, s[26:27]
; %bb.370:                              ;   in Loop: Header=BB9_350 Depth=4
	s_or_b64 exec, exec, s[56:57]
	v_and_b32_e32 v14, 0xffff0000, v14
	v_and_b32_e32 v10, 0xffff0000, v10
	v_max_f32_e32 v10, v10, v10
	v_max_f32_e32 v14, v14, v14
	v_min_f32_e32 v59, v14, v10
	v_max_f32_e32 v10, v14, v10
	v_cndmask_b32_e64 v14, v10, v59, s[24:25]
	v_and_b32_e32 v10, 0x7f800000, v14
	v_cmp_ne_u32_e64 s[26:27], s70, v10
                                        ; implicit-def: $vgpr10
	s_and_saveexec_b64 s[56:57], s[26:27]
	s_xor_b64 s[26:27], exec, s[56:57]
; %bb.371:                              ;   in Loop: Header=BB9_350 Depth=4
	v_bfe_u32 v10, v14, 16, 1
	v_add3_u32 v10, v14, v10, s71
                                        ; implicit-def: $vgpr14
; %bb.372:                              ;   in Loop: Header=BB9_350 Depth=4
	s_andn2_saveexec_b64 s[56:57], s[26:27]
; %bb.373:                              ;   in Loop: Header=BB9_350 Depth=4
	v_or_b32_e32 v10, 0x10000, v14
	v_cmp_eq_u32_sdwa s[26:27], v14, v3 src0_sel:WORD_0 src1_sel:DWORD
	s_nop 1
	v_cndmask_b32_e64 v10, v10, v14, s[26:27]
; %bb.374:                              ;   in Loop: Header=BB9_350 Depth=4
	s_or_b64 exec, exec, s[56:57]
	v_lshlrev_b32_e32 v14, 16, v11
	v_lshlrev_b32_e32 v59, 16, v15
	v_max_f32_e32 v14, v14, v14
	v_max_f32_e32 v59, v59, v59
	v_min_f32_e32 v60, v59, v14
	v_max_f32_e32 v14, v59, v14
	v_cndmask_b32_e64 v59, v14, v60, s[24:25]
	v_and_b32_e32 v14, 0x7f800000, v59
	v_cmp_ne_u32_e64 s[26:27], s70, v14
                                        ; implicit-def: $vgpr14
	s_and_saveexec_b64 s[56:57], s[26:27]
	s_xor_b64 s[26:27], exec, s[56:57]
; %bb.375:                              ;   in Loop: Header=BB9_350 Depth=4
	v_bfe_u32 v14, v59, 16, 1
	v_add3_u32 v14, v59, v14, s71
                                        ; implicit-def: $vgpr59
; %bb.376:                              ;   in Loop: Header=BB9_350 Depth=4
	s_andn2_saveexec_b64 s[56:57], s[26:27]
; %bb.377:                              ;   in Loop: Header=BB9_350 Depth=4
	v_or_b32_e32 v14, 0x10000, v59
	v_cmp_eq_u32_sdwa s[26:27], v59, v3 src0_sel:WORD_0 src1_sel:DWORD
	s_nop 1
	v_cndmask_b32_e64 v14, v14, v59, s[26:27]
; %bb.378:                              ;   in Loop: Header=BB9_350 Depth=4
	s_or_b64 exec, exec, s[56:57]
	v_and_b32_e32 v15, 0xffff0000, v15
	v_and_b32_e32 v11, 0xffff0000, v11
	v_max_f32_e32 v11, v11, v11
	v_max_f32_e32 v15, v15, v15
	v_min_f32_e32 v59, v15, v11
	v_max_f32_e32 v11, v15, v11
	v_cndmask_b32_e64 v15, v11, v59, s[24:25]
	v_and_b32_e32 v11, 0x7f800000, v15
	v_cmp_ne_u32_e64 s[26:27], s70, v11
                                        ; implicit-def: $vgpr11
	s_and_saveexec_b64 s[56:57], s[26:27]
	s_xor_b64 s[26:27], exec, s[56:57]
; %bb.379:                              ;   in Loop: Header=BB9_350 Depth=4
	v_bfe_u32 v11, v15, 16, 1
	v_add3_u32 v11, v15, v11, s71
                                        ; implicit-def: $vgpr15
; %bb.380:                              ;   in Loop: Header=BB9_350 Depth=4
	s_andn2_saveexec_b64 s[56:57], s[26:27]
	s_cbranch_execz .LBB9_349
; %bb.381:                              ;   in Loop: Header=BB9_350 Depth=4
	v_or_b32_e32 v11, 0x10000, v15
	v_cmp_eq_u32_sdwa s[26:27], v15, v3 src0_sel:WORD_0 src1_sel:DWORD
	s_nop 1
	v_cndmask_b32_e64 v11, v11, v15, s[26:27]
	s_branch .LBB9_349
.LBB9_382:                              ;   in Loop: Header=BB9_272 Depth=3
	s_or_b64 exec, exec, s[46:47]
.LBB9_383:                              ;   in Loop: Header=BB9_272 Depth=3
	s_or_b64 exec, exec, s[44:45]
	v_and_b32_e32 v8, 14, v17
	v_cndmask_b32_e32 v19, v57, v8, vcc
	v_mov_b32_e32 v14, 0
	v_cmp_ne_u32_e64 s[24:25], 0, v19
	s_mov_b64 s[46:47], 0
                                        ; implicit-def: $vgpr17
                                        ; implicit-def: $vgpr15
	s_and_saveexec_b64 s[44:45], s[24:25]
	s_cbranch_execz .LBB9_421
; %bb.384:                              ;   in Loop: Header=BB9_272 Depth=3
	v_sub_u32_e32 v8, v57, v8
	v_cndmask_b32_e32 v8, 0, v8, vcc
	v_cmp_lt_i32_e32 vcc, 0, v56
	v_add_u32_e32 v17, v8, v47
	s_nop 0
	v_cndmask_b32_e32 v8, 0, v52, vcc
	v_sub_u32_e32 v8, v8, v56
	v_lshl_or_b32 v8, v8, 6, v75
	v_ashrrev_i32_e32 v9, 31, v8
	v_lshrrev_b32_e32 v9, 26, v9
	v_add_u32_e32 v9, v8, v9
	v_ashrrev_i32_e32 v10, 6, v9
	v_and_b32_e32 v9, 0xffffffc0, v9
	v_sub_u32_e32 v47, v8, v9
	v_ashrrev_i32_e32 v9, 31, v19
	v_lshrrev_b32_e32 v9, 22, v9
	v_add_u32_e32 v9, v19, v9
	v_and_b32_e32 v56, 0xfffffc00, v9
	v_lshlrev_b32_e32 v8, 4, v47
	v_sub_u32_e32 v57, v19, v56
	v_lshl_add_u32 v8, v10, 10, v8
	v_ashrrev_i32_e32 v11, 10, v9
	v_cmp_lt_i32_e32 vcc, 15, v57
	v_sub_u32_e32 v59, v19, v8
	s_nop 0
	v_addc_co_u32_e64 v9, s[24:25], 0, v11, vcc
	v_sub_u32_e32 v58, v9, v10
	v_cmp_lt_i32_e64 s[24:25], 15, v59
	s_and_saveexec_b64 s[46:47], s[24:25]
	s_cbranch_execz .LBB9_420
; %bb.385:                              ;   in Loop: Header=BB9_272 Depth=3
	s_trap 2
	ds_read_b64 v[10:11], v0
	v_add_u32_e32 v8, v8, v17
	s_and_b32 s74, s60, 1
	v_ashrrev_i32_e32 v9, 31, v8
	s_cmp_eq_u64 s[74:75], 0
	v_lshl_add_u64 v[40:41], v[8:9], 0, v[22:23]
	s_waitcnt lgkmcnt(0)
	v_lshl_add_u64 v[42:43], v[10:11], 0, v[8:9]
	v_lshl_add_u64 v[44:45], v[8:9], 0, v[118:119]
	s_mov_b64 s[56:57], 0
	s_cselect_b64 s[24:25], -1, 0
	s_branch .LBB9_387
.LBB9_386:                              ;   in Loop: Header=BB9_387 Depth=4
	s_or_b64 exec, exec, s[58:59]
	v_lshrrev_b32_e32 v12, 16, v12
	v_and_or_b32 v9, v9, s80, v12
	v_lshrrev_b32_e32 v12, 16, v60
	v_and_or_b32 v8, v8, s80, v12
	;; [unrolled: 2-line block ×3, first 2 shown]
	v_lshrrev_b32_e32 v12, 16, v14
	v_sub_u32_e32 v59, v59, v80
	v_and_or_b32 v11, v11, s80, v12
	v_cmp_gt_i32_e64 s[26:27], 16, v59
	global_store_dwordx4 v[44:45], v[8:11], off
	v_lshl_add_u64 v[40:41], v[40:41], 0, v[80:81]
	v_lshl_add_u64 v[42:43], v[42:43], 0, v[80:81]
	;; [unrolled: 1-line block ×3, first 2 shown]
	s_or_b64 s[56:57], s[26:27], s[56:57]
	v_sub_u32_e32 v58, v58, v52
	s_andn2_b64 exec, exec, s[56:57]
	s_cbranch_execz .LBB9_419
.LBB9_387:                              ;   Parent Loop BB9_47 Depth=1
                                        ;     Parent Loop BB9_269 Depth=2
                                        ;       Parent Loop BB9_272 Depth=3
                                        ; =>      This Inner Loop Header: Depth=4
	global_load_dwordx4 v[8:11], v[42:43], off nt
	global_load_dwordx4 v[12:15], v[40:41], off nt
	s_waitcnt vmcnt(0)
	v_lshlrev_b32_e32 v60, 16, v8
	v_lshlrev_b32_e32 v61, 16, v12
	v_max_f32_e32 v60, v60, v60
	v_max_f32_e32 v61, v61, v61
	v_min_f32_e32 v62, v61, v60
	v_max_f32_e32 v60, v61, v60
	v_cndmask_b32_e64 v61, v60, v62, s[24:25]
	v_and_b32_e32 v60, 0x7f800000, v61
	v_cmp_ne_u32_e64 s[26:27], s70, v60
                                        ; implicit-def: $vgpr60
	s_and_saveexec_b64 s[58:59], s[26:27]
	s_xor_b64 s[26:27], exec, s[58:59]
; %bb.388:                              ;   in Loop: Header=BB9_387 Depth=4
	v_bfe_u32 v60, v61, 16, 1
	v_add3_u32 v60, v61, v60, s71
                                        ; implicit-def: $vgpr61
; %bb.389:                              ;   in Loop: Header=BB9_387 Depth=4
	s_andn2_saveexec_b64 s[58:59], s[26:27]
; %bb.390:                              ;   in Loop: Header=BB9_387 Depth=4
	v_or_b32_e32 v60, 0x10000, v61
	v_cmp_eq_u32_sdwa s[26:27], v61, v3 src0_sel:WORD_0 src1_sel:DWORD
	s_nop 1
	v_cndmask_b32_e64 v60, v60, v61, s[26:27]
; %bb.391:                              ;   in Loop: Header=BB9_387 Depth=4
	s_or_b64 exec, exec, s[58:59]
	v_and_b32_e32 v8, 0xffff0000, v8
	v_and_b32_e32 v12, 0xffff0000, v12
	v_max_f32_e32 v8, v8, v8
	v_max_f32_e32 v12, v12, v12
	v_min_f32_e32 v61, v12, v8
	v_max_f32_e32 v8, v12, v8
	v_cndmask_b32_e64 v12, v8, v61, s[24:25]
	v_and_b32_e32 v8, 0x7f800000, v12
	v_cmp_ne_u32_e64 s[26:27], s70, v8
                                        ; implicit-def: $vgpr8
	s_and_saveexec_b64 s[58:59], s[26:27]
	s_xor_b64 s[26:27], exec, s[58:59]
; %bb.392:                              ;   in Loop: Header=BB9_387 Depth=4
	v_bfe_u32 v8, v12, 16, 1
	v_add3_u32 v8, v12, v8, s71
                                        ; implicit-def: $vgpr12
; %bb.393:                              ;   in Loop: Header=BB9_387 Depth=4
	s_andn2_saveexec_b64 s[58:59], s[26:27]
; %bb.394:                              ;   in Loop: Header=BB9_387 Depth=4
	v_or_b32_e32 v8, 0x10000, v12
	v_cmp_eq_u32_sdwa s[26:27], v12, v3 src0_sel:WORD_0 src1_sel:DWORD
	s_nop 1
	v_cndmask_b32_e64 v8, v8, v12, s[26:27]
; %bb.395:                              ;   in Loop: Header=BB9_387 Depth=4
	s_or_b64 exec, exec, s[58:59]
	v_lshlrev_b32_e32 v12, 16, v9
	v_lshlrev_b32_e32 v61, 16, v13
	v_max_f32_e32 v12, v12, v12
	v_max_f32_e32 v61, v61, v61
	v_min_f32_e32 v62, v61, v12
	v_max_f32_e32 v12, v61, v12
	v_cndmask_b32_e64 v61, v12, v62, s[24:25]
	v_and_b32_e32 v12, 0x7f800000, v61
	v_cmp_ne_u32_e64 s[26:27], s70, v12
                                        ; implicit-def: $vgpr12
	s_and_saveexec_b64 s[58:59], s[26:27]
	s_xor_b64 s[26:27], exec, s[58:59]
; %bb.396:                              ;   in Loop: Header=BB9_387 Depth=4
	v_bfe_u32 v12, v61, 16, 1
	v_add3_u32 v12, v61, v12, s71
                                        ; implicit-def: $vgpr61
; %bb.397:                              ;   in Loop: Header=BB9_387 Depth=4
	s_andn2_saveexec_b64 s[58:59], s[26:27]
; %bb.398:                              ;   in Loop: Header=BB9_387 Depth=4
	v_or_b32_e32 v12, 0x10000, v61
	v_cmp_eq_u32_sdwa s[26:27], v61, v3 src0_sel:WORD_0 src1_sel:DWORD
	s_nop 1
	v_cndmask_b32_e64 v12, v12, v61, s[26:27]
; %bb.399:                              ;   in Loop: Header=BB9_387 Depth=4
	s_or_b64 exec, exec, s[58:59]
	v_and_b32_e32 v13, 0xffff0000, v13
	v_and_b32_e32 v9, 0xffff0000, v9
	v_max_f32_e32 v9, v9, v9
	v_max_f32_e32 v13, v13, v13
	v_min_f32_e32 v61, v13, v9
	v_max_f32_e32 v9, v13, v9
	v_cndmask_b32_e64 v13, v9, v61, s[24:25]
	v_and_b32_e32 v9, 0x7f800000, v13
	v_cmp_ne_u32_e64 s[26:27], s70, v9
                                        ; implicit-def: $vgpr9
	s_and_saveexec_b64 s[58:59], s[26:27]
	s_xor_b64 s[26:27], exec, s[58:59]
; %bb.400:                              ;   in Loop: Header=BB9_387 Depth=4
	v_bfe_u32 v9, v13, 16, 1
	v_add3_u32 v9, v13, v9, s71
                                        ; implicit-def: $vgpr13
; %bb.401:                              ;   in Loop: Header=BB9_387 Depth=4
	s_andn2_saveexec_b64 s[58:59], s[26:27]
; %bb.402:                              ;   in Loop: Header=BB9_387 Depth=4
	v_or_b32_e32 v9, 0x10000, v13
	v_cmp_eq_u32_sdwa s[26:27], v13, v3 src0_sel:WORD_0 src1_sel:DWORD
	s_nop 1
	v_cndmask_b32_e64 v9, v9, v13, s[26:27]
; %bb.403:                              ;   in Loop: Header=BB9_387 Depth=4
	s_or_b64 exec, exec, s[58:59]
	v_lshlrev_b32_e32 v13, 16, v10
	v_lshlrev_b32_e32 v61, 16, v14
	v_max_f32_e32 v13, v13, v13
	v_max_f32_e32 v61, v61, v61
	v_min_f32_e32 v62, v61, v13
	v_max_f32_e32 v13, v61, v13
	v_cndmask_b32_e64 v61, v13, v62, s[24:25]
	v_and_b32_e32 v13, 0x7f800000, v61
	v_cmp_ne_u32_e64 s[26:27], s70, v13
                                        ; implicit-def: $vgpr13
	s_and_saveexec_b64 s[58:59], s[26:27]
	s_xor_b64 s[26:27], exec, s[58:59]
; %bb.404:                              ;   in Loop: Header=BB9_387 Depth=4
	v_bfe_u32 v13, v61, 16, 1
	v_add3_u32 v13, v61, v13, s71
                                        ; implicit-def: $vgpr61
; %bb.405:                              ;   in Loop: Header=BB9_387 Depth=4
	s_andn2_saveexec_b64 s[58:59], s[26:27]
; %bb.406:                              ;   in Loop: Header=BB9_387 Depth=4
	v_or_b32_e32 v13, 0x10000, v61
	v_cmp_eq_u32_sdwa s[26:27], v61, v3 src0_sel:WORD_0 src1_sel:DWORD
	s_nop 1
	v_cndmask_b32_e64 v13, v13, v61, s[26:27]
; %bb.407:                              ;   in Loop: Header=BB9_387 Depth=4
	s_or_b64 exec, exec, s[58:59]
	v_and_b32_e32 v14, 0xffff0000, v14
	v_and_b32_e32 v10, 0xffff0000, v10
	v_max_f32_e32 v10, v10, v10
	v_max_f32_e32 v14, v14, v14
	v_min_f32_e32 v61, v14, v10
	v_max_f32_e32 v10, v14, v10
	v_cndmask_b32_e64 v14, v10, v61, s[24:25]
	v_and_b32_e32 v10, 0x7f800000, v14
	v_cmp_ne_u32_e64 s[26:27], s70, v10
                                        ; implicit-def: $vgpr10
	s_and_saveexec_b64 s[58:59], s[26:27]
	s_xor_b64 s[26:27], exec, s[58:59]
; %bb.408:                              ;   in Loop: Header=BB9_387 Depth=4
	v_bfe_u32 v10, v14, 16, 1
	v_add3_u32 v10, v14, v10, s71
                                        ; implicit-def: $vgpr14
; %bb.409:                              ;   in Loop: Header=BB9_387 Depth=4
	s_andn2_saveexec_b64 s[58:59], s[26:27]
; %bb.410:                              ;   in Loop: Header=BB9_387 Depth=4
	v_or_b32_e32 v10, 0x10000, v14
	v_cmp_eq_u32_sdwa s[26:27], v14, v3 src0_sel:WORD_0 src1_sel:DWORD
	s_nop 1
	v_cndmask_b32_e64 v10, v10, v14, s[26:27]
; %bb.411:                              ;   in Loop: Header=BB9_387 Depth=4
	s_or_b64 exec, exec, s[58:59]
	v_lshlrev_b32_e32 v14, 16, v11
	v_lshlrev_b32_e32 v61, 16, v15
	v_max_f32_e32 v14, v14, v14
	v_max_f32_e32 v61, v61, v61
	v_min_f32_e32 v62, v61, v14
	v_max_f32_e32 v14, v61, v14
	v_cndmask_b32_e64 v61, v14, v62, s[24:25]
	v_and_b32_e32 v14, 0x7f800000, v61
	v_cmp_ne_u32_e64 s[26:27], s70, v14
                                        ; implicit-def: $vgpr14
	s_and_saveexec_b64 s[58:59], s[26:27]
	s_xor_b64 s[26:27], exec, s[58:59]
; %bb.412:                              ;   in Loop: Header=BB9_387 Depth=4
	v_bfe_u32 v14, v61, 16, 1
	v_add3_u32 v14, v61, v14, s71
                                        ; implicit-def: $vgpr61
; %bb.413:                              ;   in Loop: Header=BB9_387 Depth=4
	s_andn2_saveexec_b64 s[58:59], s[26:27]
; %bb.414:                              ;   in Loop: Header=BB9_387 Depth=4
	v_or_b32_e32 v14, 0x10000, v61
	v_cmp_eq_u32_sdwa s[26:27], v61, v3 src0_sel:WORD_0 src1_sel:DWORD
	s_nop 1
	v_cndmask_b32_e64 v14, v14, v61, s[26:27]
; %bb.415:                              ;   in Loop: Header=BB9_387 Depth=4
	s_or_b64 exec, exec, s[58:59]
	v_and_b32_e32 v15, 0xffff0000, v15
	v_and_b32_e32 v11, 0xffff0000, v11
	v_max_f32_e32 v11, v11, v11
	v_max_f32_e32 v15, v15, v15
	v_min_f32_e32 v61, v15, v11
	v_max_f32_e32 v11, v15, v11
	v_cndmask_b32_e64 v15, v11, v61, s[24:25]
	v_and_b32_e32 v11, 0x7f800000, v15
	v_cmp_ne_u32_e64 s[26:27], s70, v11
                                        ; implicit-def: $vgpr11
	s_and_saveexec_b64 s[58:59], s[26:27]
	s_xor_b64 s[26:27], exec, s[58:59]
; %bb.416:                              ;   in Loop: Header=BB9_387 Depth=4
	v_bfe_u32 v11, v15, 16, 1
	v_add3_u32 v11, v15, v11, s71
                                        ; implicit-def: $vgpr15
; %bb.417:                              ;   in Loop: Header=BB9_387 Depth=4
	s_andn2_saveexec_b64 s[58:59], s[26:27]
	s_cbranch_execz .LBB9_386
; %bb.418:                              ;   in Loop: Header=BB9_387 Depth=4
	v_or_b32_e32 v11, 0x10000, v15
	v_cmp_eq_u32_sdwa s[26:27], v15, v3 src0_sel:WORD_0 src1_sel:DWORD
	s_nop 1
	v_cndmask_b32_e64 v11, v11, v15, s[26:27]
	s_branch .LBB9_386
.LBB9_419:                              ;   in Loop: Header=BB9_272 Depth=3
	s_or_b64 exec, exec, s[56:57]
.LBB9_420:                              ;   in Loop: Header=BB9_272 Depth=3
	s_or_b64 exec, exec, s[46:47]
	v_and_b32_e32 v8, 14, v19
	v_sub_u32_e32 v9, v57, v8
	v_cndmask_b32_e32 v9, 0, v9, vcc
	v_add3_u32 v14, v56, v17, v9
	v_cndmask_b32_e32 v17, v57, v8, vcc
	v_cmp_lt_i32_e32 vcc, 0, v58
	s_nop 1
	v_cndmask_b32_e32 v8, 0, v52, vcc
	v_sub_u32_e32 v8, v8, v58
	v_cmp_ne_u32_e32 vcc, 0, v17
	v_lshl_add_u32 v15, v8, 6, v47
	s_and_b64 s[46:47], vcc, exec
.LBB9_421:                              ;   in Loop: Header=BB9_272 Depth=3
	s_or_b64 exec, exec, s[44:45]
	s_and_saveexec_b64 s[26:27], s[46:47]
	s_cbranch_execz .LBB9_450
.LBB9_422:                              ;   in Loop: Header=BB9_272 Depth=3
	v_ashrrev_i32_e32 v8, 31, v15
	v_ashrrev_i32_e32 v9, 31, v17
	v_lshrrev_b32_e32 v8, 26, v8
	v_lshrrev_b32_e32 v9, 23, v9
	v_add_u32_e32 v8, v15, v8
	v_add_u32_e32 v9, v17, v9
	v_ashrrev_i32_e32 v19, 6, v8
	v_ashrrev_i32_e32 v41, 9, v9
	v_sub_u32_e32 v40, v41, v19
	v_cmp_lt_i32_e32 vcc, 0, v40
	s_and_saveexec_b64 s[44:45], vcc
	s_cbranch_execz .LBB9_442
; %bb.423:                              ;   in Loop: Header=BB9_272 Depth=3
	v_and_b32_e32 v8, 0x7fffffc0, v8
	s_trap 2
	ds_read_b64 v[10:11], v0
	v_sub_u32_e32 v8, v15, v8
	v_lshlrev_b32_e32 v8, 1, v8
	v_lshlrev_b32_e32 v9, 9, v19
	v_add3_u32 v12, v8, v14, v9
	s_and_b32 s74, s60, 1
	v_ashrrev_i32_e32 v13, 31, v12
	s_cmp_eq_u64 s[74:75], 0
	v_lshl_add_u64 v[8:9], v[12:13], 0, v[22:23]
	s_waitcnt lgkmcnt(0)
	v_lshl_add_u64 v[10:11], v[10:11], 0, v[12:13]
	v_lshl_add_u64 v[12:13], v[12:13], 0, v[118:119]
	s_mov_b64 s[46:47], 0
	s_cselect_b64 vcc, -1, 0
	s_branch .LBB9_425
.LBB9_424:                              ;   in Loop: Header=BB9_425 Depth=4
	s_or_b64 exec, exec, s[56:57]
	v_sub_u32_e32 v40, v40, v52
	v_cmp_gt_i32_e64 s[24:25], 1, v40
	flat_store_short_d16_hi v[12:13], v42 nt
	flat_store_short_d16_hi v[12:13], v45 offset:128 nt
	flat_store_short_d16_hi v[12:13], v47 offset:256 nt
	flat_store_short_d16_hi v[12:13], v43 offset:384 nt
	v_lshl_add_u64 v[8:9], v[8:9], 0, v[82:83]
	v_lshl_add_u64 v[10:11], v[10:11], 0, v[82:83]
	s_or_b64 s[46:47], s[24:25], s[46:47]
	v_lshl_add_u64 v[12:13], v[12:13], 0, v[82:83]
	s_andn2_b64 exec, exec, s[46:47]
	s_cbranch_execz .LBB9_441
.LBB9_425:                              ;   Parent Loop BB9_47 Depth=1
                                        ;     Parent Loop BB9_269 Depth=2
                                        ;       Parent Loop BB9_272 Depth=3
                                        ; =>      This Inner Loop Header: Depth=4
	flat_load_ushort v47, v[8:9] offset:256 nt
	flat_load_ushort v43, v[8:9] offset:384 nt
	flat_load_ushort v42, v[8:9] nt
	flat_load_ushort v56, v[10:11] offset:256 nt
	flat_load_ushort v44, v[10:11] offset:384 nt
	flat_load_ushort v58, v[10:11] nt
	flat_load_ushort v45, v[8:9] offset:128 nt
	flat_load_ushort v57, v[10:11] offset:128 nt
	s_waitcnt vmcnt(0) lgkmcnt(0)
	v_lshlrev_b32_e32 v42, 16, v42
	v_max_f32_e32 v42, v42, v42
	v_lshlrev_b32_e32 v58, 16, v58
	v_max_f32_e32 v58, v58, v58
	v_min_f32_e32 v59, v42, v58
	v_max_f32_e32 v42, v42, v58
	v_cndmask_b32_e32 v58, v42, v59, vcc
	v_and_b32_e32 v42, 0x7f800000, v58
	v_cmp_ne_u32_e64 s[24:25], s70, v42
                                        ; implicit-def: $vgpr42
	s_and_saveexec_b64 s[56:57], s[24:25]
	s_xor_b64 s[24:25], exec, s[56:57]
; %bb.426:                              ;   in Loop: Header=BB9_425 Depth=4
	v_bfe_u32 v42, v58, 16, 1
	v_add3_u32 v42, v58, v42, s71
                                        ; implicit-def: $vgpr58
; %bb.427:                              ;   in Loop: Header=BB9_425 Depth=4
	s_andn2_saveexec_b64 s[56:57], s[24:25]
; %bb.428:                              ;   in Loop: Header=BB9_425 Depth=4
	v_or_b32_e32 v42, 0x10000, v58
	v_cmp_eq_u32_sdwa s[24:25], v58, v3 src0_sel:WORD_0 src1_sel:DWORD
	s_nop 1
	v_cndmask_b32_e64 v42, v42, v58, s[24:25]
; %bb.429:                              ;   in Loop: Header=BB9_425 Depth=4
	s_or_b64 exec, exec, s[56:57]
	v_lshlrev_b32_e32 v45, 16, v45
	v_lshlrev_b32_e32 v57, 16, v57
	v_max_f32_e32 v57, v57, v57
	v_max_f32_e32 v45, v45, v45
	v_min_f32_e32 v58, v45, v57
	v_max_f32_e32 v45, v45, v57
	v_cndmask_b32_e32 v57, v45, v58, vcc
	v_and_b32_e32 v45, 0x7f800000, v57
	v_cmp_ne_u32_e64 s[24:25], s70, v45
                                        ; implicit-def: $vgpr45
	s_and_saveexec_b64 s[56:57], s[24:25]
	s_xor_b64 s[24:25], exec, s[56:57]
; %bb.430:                              ;   in Loop: Header=BB9_425 Depth=4
	v_bfe_u32 v45, v57, 16, 1
	v_add3_u32 v45, v57, v45, s71
                                        ; implicit-def: $vgpr57
; %bb.431:                              ;   in Loop: Header=BB9_425 Depth=4
	s_andn2_saveexec_b64 s[56:57], s[24:25]
; %bb.432:                              ;   in Loop: Header=BB9_425 Depth=4
	v_or_b32_e32 v45, 0x10000, v57
	v_cmp_eq_u32_sdwa s[24:25], v57, v3 src0_sel:WORD_0 src1_sel:DWORD
	s_nop 1
	v_cndmask_b32_e64 v45, v45, v57, s[24:25]
; %bb.433:                              ;   in Loop: Header=BB9_425 Depth=4
	s_or_b64 exec, exec, s[56:57]
	v_lshlrev_b32_e32 v47, 16, v47
	v_lshlrev_b32_e32 v56, 16, v56
	v_max_f32_e32 v56, v56, v56
	v_max_f32_e32 v47, v47, v47
	v_min_f32_e32 v57, v47, v56
	v_max_f32_e32 v47, v47, v56
	v_cndmask_b32_e32 v56, v47, v57, vcc
	v_and_b32_e32 v47, 0x7f800000, v56
	v_cmp_ne_u32_e64 s[24:25], s70, v47
                                        ; implicit-def: $vgpr47
	s_and_saveexec_b64 s[56:57], s[24:25]
	s_xor_b64 s[24:25], exec, s[56:57]
; %bb.434:                              ;   in Loop: Header=BB9_425 Depth=4
	v_bfe_u32 v47, v56, 16, 1
	v_add3_u32 v47, v56, v47, s71
                                        ; implicit-def: $vgpr56
; %bb.435:                              ;   in Loop: Header=BB9_425 Depth=4
	s_andn2_saveexec_b64 s[56:57], s[24:25]
; %bb.436:                              ;   in Loop: Header=BB9_425 Depth=4
	v_or_b32_e32 v47, 0x10000, v56
	v_cmp_eq_u32_sdwa s[24:25], v56, v3 src0_sel:WORD_0 src1_sel:DWORD
	s_nop 1
	v_cndmask_b32_e64 v47, v47, v56, s[24:25]
; %bb.437:                              ;   in Loop: Header=BB9_425 Depth=4
	s_or_b64 exec, exec, s[56:57]
	v_lshlrev_b32_e32 v43, 16, v43
	v_lshlrev_b32_e32 v44, 16, v44
	v_max_f32_e32 v44, v44, v44
	v_max_f32_e32 v43, v43, v43
	v_min_f32_e32 v56, v43, v44
	v_max_f32_e32 v43, v43, v44
	v_cndmask_b32_e32 v44, v43, v56, vcc
	v_and_b32_e32 v43, 0x7f800000, v44
	v_cmp_ne_u32_e64 s[24:25], s70, v43
                                        ; implicit-def: $vgpr43
	s_and_saveexec_b64 s[56:57], s[24:25]
	s_xor_b64 s[24:25], exec, s[56:57]
; %bb.438:                              ;   in Loop: Header=BB9_425 Depth=4
	v_bfe_u32 v43, v44, 16, 1
	v_add3_u32 v43, v44, v43, s71
                                        ; implicit-def: $vgpr44
; %bb.439:                              ;   in Loop: Header=BB9_425 Depth=4
	s_andn2_saveexec_b64 s[56:57], s[24:25]
	s_cbranch_execz .LBB9_424
; %bb.440:                              ;   in Loop: Header=BB9_425 Depth=4
	v_or_b32_e32 v43, 0x10000, v44
	v_cmp_eq_u32_sdwa s[24:25], v44, v3 src0_sel:WORD_0 src1_sel:DWORD
	s_nop 1
	v_cndmask_b32_e64 v43, v43, v44, s[24:25]
	s_branch .LBB9_424
.LBB9_441:                              ;   in Loop: Header=BB9_272 Depth=3
	s_or_b64 exec, exec, s[46:47]
.LBB9_442:                              ;   in Loop: Header=BB9_272 Depth=3
	s_or_b64 exec, exec, s[44:45]
	v_lshlrev_b32_e32 v8, 9, v41
	v_cmp_ne_u32_e32 vcc, v17, v8
	s_and_b64 exec, exec, vcc
	s_cbranch_execz .LBB9_450
; %bb.443:                              ;   in Loop: Header=BB9_272 Depth=3
	v_lshlrev_b32_e32 v9, 6, v19
	v_sub_u32_e32 v9, v15, v9
	v_lshlrev_b32_e32 v10, 6, v40
	v_sub_u32_e32 v9, v9, v10
	v_ashrrev_i32_e32 v10, 31, v9
	v_lshrrev_b32_e32 v10, 26, v10
	v_add_u32_e32 v10, v9, v10
	v_and_b32_e32 v11, 0x7fffffc0, v10
	v_sub_u32_e32 v9, v9, v11
	v_lshlrev_b32_e32 v10, 1, v10
	v_and_b32_e32 v10, 0xffffff80, v10
	v_lshlrev_b32_e32 v9, 1, v9
	v_add3_u32 v8, v10, v9, v8
	v_sub_u32_e32 v15, v17, v8
	v_cmp_lt_i32_e32 vcc, 1, v15
	s_and_b64 exec, exec, vcc
	s_cbranch_execz .LBB9_450
; %bb.444:                              ;   in Loop: Header=BB9_272 Depth=3
	s_trap 2
	ds_read_b64 v[10:11], v0
	v_add_u32_e32 v12, v8, v14
	s_and_b32 s74, s60, 1
	v_ashrrev_i32_e32 v13, 31, v12
	s_cmp_eq_u64 s[74:75], 0
	v_lshl_add_u64 v[8:9], v[12:13], 0, v[22:23]
	s_waitcnt lgkmcnt(0)
	v_lshl_add_u64 v[10:11], v[10:11], 0, v[12:13]
	v_lshl_add_u64 v[12:13], v[12:13], 0, v[118:119]
	s_mov_b64 s[44:45], 0
	s_cselect_b64 vcc, -1, 0
	s_branch .LBB9_446
.LBB9_445:                              ;   in Loop: Header=BB9_446 Depth=4
	s_or_b64 exec, exec, s[46:47]
	v_sub_u32_e32 v15, v15, v84
	v_cmp_gt_i32_e64 s[24:25], 2, v15
	flat_store_short_d16_hi v[12:13], v17 nt
	v_lshl_add_u64 v[8:9], v[8:9], 0, v[84:85]
	v_lshl_add_u64 v[10:11], v[10:11], 0, v[84:85]
	s_or_b64 s[44:45], s[24:25], s[44:45]
	v_lshl_add_u64 v[12:13], v[12:13], 0, v[84:85]
	s_andn2_b64 exec, exec, s[44:45]
	s_cbranch_execz .LBB9_450
.LBB9_446:                              ;   Parent Loop BB9_47 Depth=1
                                        ;     Parent Loop BB9_269 Depth=2
                                        ;       Parent Loop BB9_272 Depth=3
                                        ; =>      This Inner Loop Header: Depth=4
	flat_load_ushort v14, v[10:11] nt
	flat_load_ushort v17, v[8:9] nt
	s_waitcnt vmcnt(0) lgkmcnt(0)
	v_lshlrev_b32_e32 v14, 16, v14
	v_lshlrev_b32_e32 v17, 16, v17
	v_max_f32_e32 v14, v14, v14
	v_max_f32_e32 v17, v17, v17
	v_min_f32_e32 v19, v17, v14
	v_max_f32_e32 v14, v17, v14
	v_cndmask_b32_e32 v14, v14, v19, vcc
	v_and_b32_e32 v17, 0x7f800000, v14
	v_cmp_ne_u32_e64 s[24:25], s70, v17
                                        ; implicit-def: $vgpr17
	s_and_saveexec_b64 s[46:47], s[24:25]
	s_xor_b64 s[24:25], exec, s[46:47]
; %bb.447:                              ;   in Loop: Header=BB9_446 Depth=4
	v_bfe_u32 v17, v14, 16, 1
	v_add3_u32 v17, v14, v17, s71
                                        ; implicit-def: $vgpr14
; %bb.448:                              ;   in Loop: Header=BB9_446 Depth=4
	s_andn2_saveexec_b64 s[46:47], s[24:25]
	s_cbranch_execz .LBB9_445
; %bb.449:                              ;   in Loop: Header=BB9_446 Depth=4
	v_or_b32_e32 v17, 0x10000, v14
	v_cmp_eq_u32_sdwa s[24:25], v14, v3 src0_sel:WORD_0 src1_sel:DWORD
	s_nop 1
	v_cndmask_b32_e64 v17, v17, v14, s[24:25]
	s_branch .LBB9_445
.LBB9_450:                              ;   in Loop: Header=BB9_272 Depth=3
	s_or_b64 exec, exec, s[26:27]
	v_cmp_lt_i32_e64 s[24:25], 0, v2
	s_and_saveexec_b64 s[26:27], s[4:5]
	s_cbranch_execz .LBB9_469
.LBB9_451:                              ;   in Loop: Header=BB9_272 Depth=3
	s_and_saveexec_b64 s[44:45], s[76:77]
	s_xor_b64 s[44:45], exec, s[44:45]
	s_cbranch_execz .LBB9_466
; %bb.452:                              ;   in Loop: Header=BB9_272 Depth=3
	s_and_saveexec_b64 s[46:47], s[12:13]
	s_cbranch_execz .LBB9_465
; %bb.453:                              ;   in Loop: Header=BB9_272 Depth=3
	s_mov_b64 s[58:59], exec
	v_mbcnt_lo_u32_b32 v2, s58, 0
	v_mbcnt_hi_u32_b32 v2, s59, v2
	v_cmp_eq_u32_e32 vcc, 0, v2
	s_waitcnt lgkmcnt(0)
	s_and_saveexec_b64 s[56:57], vcc
	s_cbranch_execz .LBB9_455
; %bb.454:                              ;   in Loop: Header=BB9_272 Depth=3
	s_bcnt1_i32_b64 s58, s[58:59]
	v_mov_b32_e32 v2, s58
	ds_add_u64 v0, v[2:3]
	s_trap 2
.LBB9_455:                              ;   in Loop: Header=BB9_272 Depth=3
	s_or_b64 exec, exec, s[56:57]
	s_trap 2
	ds_read_b64 v[8:9], v0
	s_waitcnt lgkmcnt(0)
	v_lshl_add_u64 v[38:39], v[38:39], 0, v[52:53]
	v_cmp_lt_u64_e32 vcc, v[8:9], v[38:39]
	s_and_saveexec_b64 s[56:57], vcc
	s_cbranch_execz .LBB9_464
; %bb.456:                              ;   in Loop: Header=BB9_272 Depth=3
	s_mov_b32 s74, 0
	s_mov_b64 s[58:59], 0
                                        ; implicit-def: $sgpr60_sgpr61
                                        ; implicit-def: $sgpr38_sgpr39
	s_branch .LBB9_458
.LBB9_457:                              ;   in Loop: Header=BB9_458 Depth=4
	s_or_b64 exec, exec, s[50:51]
	s_and_b64 vcc, exec, vcc
	s_or_b64 s[58:59], vcc, s[58:59]
	s_andn2_b64 s[60:61], s[60:61], exec
	s_and_b64 vcc, s[38:39], exec
	s_or_b64 s[60:61], s[60:61], vcc
	s_andn2_b64 exec, exec, s[58:59]
	s_cbranch_execz .LBB9_462
.LBB9_458:                              ;   Parent Loop BB9_47 Depth=1
                                        ;     Parent Loop BB9_269 Depth=2
                                        ;       Parent Loop BB9_272 Depth=3
                                        ; =>      This Inner Loop Header: Depth=4
	s_add_i32 s74, s74, 1
	s_cmpk_lg_i32 s74, 0x2710
	s_cselect_b64 s[48:49], -1, 0
	s_and_b64 vcc, exec, s[48:49]
	s_cbranch_vccz .LBB9_460
; %bb.459:                              ;   in Loop: Header=BB9_458 Depth=4
	s_mov_b64 vcc, -1
	s_or_b64 s[38:39], s[38:39], exec
	s_and_saveexec_b64 s[50:51], s[48:49]
	s_cbranch_execz .LBB9_457
	s_branch .LBB9_461
.LBB9_460:                              ;   in Loop: Header=BB9_458 Depth=4
	s_trap 2
	ds_read_b64 v[8:9], v0
	s_andn2_b64 s[48:49], s[48:49], exec
	s_mov_b32 s74, 0
	s_waitcnt vmcnt(0) lgkmcnt(0)
	flat_load_dword v2, v[8:9] sc0 sc1
	s_waitcnt vmcnt(0) lgkmcnt(0)
	buffer_inv sc0 sc1
	v_cmp_eq_u32_e32 vcc, 0, v2
	s_and_b64 vcc, vcc, exec
	s_or_b64 s[48:49], s[48:49], vcc
	s_mov_b64 vcc, -1
	s_or_b64 s[38:39], s[38:39], exec
	s_and_saveexec_b64 s[50:51], s[48:49]
	s_cbranch_execz .LBB9_457
.LBB9_461:                              ;   in Loop: Header=BB9_458 Depth=4
	s_sleep 1
	s_trap 2
	ds_read_b64 v[8:9], v0
	s_waitcnt lgkmcnt(0)
	s_andn2_b64 s[38:39], s[38:39], exec
	v_cmp_ge_u64_e32 vcc, v[8:9], v[38:39]
	s_orn2_b64 vcc, vcc, exec
	s_branch .LBB9_457
.LBB9_462:                              ;   in Loop: Header=BB9_272 Depth=3
	s_or_b64 exec, exec, s[58:59]
	s_and_saveexec_b64 s[58:59], s[60:61]
	s_xor_b64 s[58:59], exec, s[58:59]
	s_cbranch_execz .LBB9_464
; %bb.463:                              ;   in Loop: Header=BB9_272 Depth=3
	ds_write_b32 v0, v77
	s_trap 2
.LBB9_464:                              ;   in Loop: Header=BB9_272 Depth=3
	s_or_b64 exec, exec, s[56:57]
	;;#ASMSTART
	s_wakeup
	;;#ASMEND
.LBB9_465:                              ;   in Loop: Header=BB9_272 Depth=3
	s_or_b64 exec, exec, s[46:47]
.LBB9_466:                              ;   in Loop: Header=BB9_272 Depth=3
	s_andn2_saveexec_b64 s[44:45], s[44:45]
	s_cbranch_execz .LBB9_468
; %bb.467:                              ;   in Loop: Header=BB9_272 Depth=3
	s_waitcnt lgkmcnt(0)
	s_barrier
.LBB9_468:                              ;   in Loop: Header=BB9_272 Depth=3
	s_or_b64 exec, exec, s[44:45]
.LBB9_469:                              ;   in Loop: Header=BB9_272 Depth=3
	s_or_b64 exec, exec, s[26:27]
	v_and_b32_e32 v8, 16, v74
	s_and_saveexec_b64 s[26:27], s[20:21]
	s_xor_b64 s[26:27], exec, s[26:27]
	s_cbranch_execz .LBB9_473
; %bb.470:                              ;   in Loop: Header=BB9_272 Depth=3
	v_and_b32_e32 v2, 16, v74
	v_cmp_ne_u32_e32 vcc, 0, v2
	v_and_b32_e32 v8, 16, v74
	s_and_b64 s[44:45], vcc, s[24:25]
	s_and_saveexec_b64 s[24:25], s[44:45]
	s_cbranch_execz .LBB9_472
; %bb.471:                              ;   in Loop: Header=BB9_272 Depth=3
	v_mov_b32_e32 v8, 1
	buffer_wbl2 sc1
	s_waitcnt vmcnt(0) lgkmcnt(0)
	buffer_inv sc1
.LBB9_472:                              ;   in Loop: Header=BB9_272 Depth=3
	s_or_b64 exec, exec, s[24:25]
.LBB9_473:                              ;   in Loop: Header=BB9_272 Depth=3
	s_andn2_saveexec_b64 s[24:25], s[26:27]
	s_cbranch_execz .LBB9_492
; %bb.474:                              ;   in Loop: Header=BB9_272 Depth=3
	s_and_saveexec_b64 s[26:27], s[76:77]
	s_xor_b64 s[26:27], exec, s[26:27]
	s_cbranch_execz .LBB9_489
; %bb.475:                              ;   in Loop: Header=BB9_272 Depth=3
	s_and_saveexec_b64 s[44:45], s[12:13]
	s_cbranch_execz .LBB9_488
; %bb.476:                              ;   in Loop: Header=BB9_272 Depth=3
	s_mov_b64 s[56:57], exec
	v_mbcnt_lo_u32_b32 v2, s56, 0
	v_mbcnt_hi_u32_b32 v2, s57, v2
	v_cmp_eq_u32_e32 vcc, 0, v2
	;;#ASMSTART
	s_waitcnt lgkmcnt(0) vmcnt(0)
	;;#ASMEND
	s_and_saveexec_b64 s[46:47], vcc
	s_cbranch_execz .LBB9_478
; %bb.477:                              ;   in Loop: Header=BB9_272 Depth=3
	s_bcnt1_i32_b64 s56, s[56:57]
	v_mov_b32_e32 v2, s56
	s_waitcnt lgkmcnt(0)
	ds_add_u64 v0, v[2:3]
	s_trap 2
.LBB9_478:                              ;   in Loop: Header=BB9_272 Depth=3
	s_or_b64 exec, exec, s[46:47]
	s_trap 2
	ds_read_b64 v[10:11], v0
	s_waitcnt lgkmcnt(0)
	v_lshl_add_u64 v[38:39], v[38:39], 0, v[52:53]
	v_cmp_lt_u64_e32 vcc, v[10:11], v[38:39]
	s_and_saveexec_b64 s[46:47], vcc
	s_cbranch_execz .LBB9_487
; %bb.479:                              ;   in Loop: Header=BB9_272 Depth=3
	s_mov_b32 s74, 0
	s_mov_b64 s[56:57], 0
                                        ; implicit-def: $sgpr58_sgpr59
                                        ; implicit-def: $sgpr60_sgpr61
	s_branch .LBB9_481
.LBB9_480:                              ;   in Loop: Header=BB9_481 Depth=4
	s_or_b64 exec, exec, s[48:49]
	s_and_b64 vcc, exec, vcc
	s_or_b64 s[56:57], vcc, s[56:57]
	s_andn2_b64 s[58:59], s[58:59], exec
	s_and_b64 vcc, s[60:61], exec
	s_or_b64 s[58:59], s[58:59], vcc
	s_andn2_b64 exec, exec, s[56:57]
	s_cbranch_execz .LBB9_485
.LBB9_481:                              ;   Parent Loop BB9_47 Depth=1
                                        ;     Parent Loop BB9_269 Depth=2
                                        ;       Parent Loop BB9_272 Depth=3
                                        ; =>      This Inner Loop Header: Depth=4
	s_add_i32 s74, s74, 1
	s_cmpk_lg_i32 s74, 0x2710
	s_cselect_b64 s[38:39], -1, 0
	s_and_b64 vcc, exec, s[38:39]
	s_cbranch_vccz .LBB9_483
; %bb.482:                              ;   in Loop: Header=BB9_481 Depth=4
	s_mov_b64 vcc, -1
	s_or_b64 s[60:61], s[60:61], exec
	s_and_saveexec_b64 s[48:49], s[38:39]
	s_cbranch_execz .LBB9_480
	s_branch .LBB9_484
.LBB9_483:                              ;   in Loop: Header=BB9_481 Depth=4
	s_trap 2
	ds_read_b64 v[10:11], v0
	s_andn2_b64 s[38:39], s[38:39], exec
	s_mov_b32 s74, 0
	s_waitcnt vmcnt(0) lgkmcnt(0)
	flat_load_dword v2, v[10:11] sc0 sc1
	s_waitcnt vmcnt(0) lgkmcnt(0)
	buffer_inv sc0 sc1
	v_cmp_eq_u32_e32 vcc, 0, v2
	s_and_b64 vcc, vcc, exec
	s_or_b64 s[38:39], s[38:39], vcc
	s_mov_b64 vcc, -1
	s_or_b64 s[60:61], s[60:61], exec
	s_and_saveexec_b64 s[48:49], s[38:39]
	s_cbranch_execz .LBB9_480
.LBB9_484:                              ;   in Loop: Header=BB9_481 Depth=4
	s_sleep 1
	s_trap 2
	ds_read_b64 v[10:11], v0
	s_waitcnt lgkmcnt(0)
	s_andn2_b64 s[60:61], s[60:61], exec
	v_cmp_ge_u64_e32 vcc, v[10:11], v[38:39]
	s_orn2_b64 vcc, vcc, exec
	s_branch .LBB9_480
.LBB9_485:                              ;   in Loop: Header=BB9_272 Depth=3
	s_or_b64 exec, exec, s[56:57]
	s_and_saveexec_b64 s[56:57], s[58:59]
	s_xor_b64 s[56:57], exec, s[56:57]
	s_cbranch_execz .LBB9_487
; %bb.486:                              ;   in Loop: Header=BB9_272 Depth=3
	ds_write_b32 v0, v77
	s_trap 2
.LBB9_487:                              ;   in Loop: Header=BB9_272 Depth=3
	s_or_b64 exec, exec, s[46:47]
	;;#ASMSTART
	s_wakeup
	;;#ASMEND
.LBB9_488:                              ;   in Loop: Header=BB9_272 Depth=3
	s_or_b64 exec, exec, s[44:45]
.LBB9_489:                              ;   in Loop: Header=BB9_272 Depth=3
	s_andn2_saveexec_b64 s[26:27], s[26:27]
	s_cbranch_execz .LBB9_491
; %bb.490:                              ;   in Loop: Header=BB9_272 Depth=3
	;;#ASMSTART
	s_waitcnt lgkmcnt(0) vmcnt(0)
	;;#ASMEND
	s_barrier
.LBB9_491:                              ;   in Loop: Header=BB9_272 Depth=3
	s_or_b64 exec, exec, s[26:27]
.LBB9_492:                              ;   in Loop: Header=BB9_272 Depth=3
	s_or_b64 exec, exec, s[24:25]
	v_cmp_ne_u32_e32 vcc, 0, v8
	s_xor_b64 s[24:25], s[6:7], -1
	s_and_b64 s[26:27], vcc, s[24:25]
	s_and_saveexec_b64 s[24:25], s[26:27]
	s_cbranch_execz .LBB9_494
; %bb.493:                              ;   in Loop: Header=BB9_272 Depth=3
	flat_store_dword v[36:37], v77 sc0 sc1
.LBB9_494:                              ;   in Loop: Header=BB9_272 Depth=3
	s_or_b64 exec, exec, s[24:25]
	v_and_b32_e32 v2, 48, v74
	v_cmp_ne_u32_e32 vcc, 0, v2
	s_and_saveexec_b64 s[24:25], vcc
	s_cbranch_execz .LBB9_271
; %bb.495:                              ;   in Loop: Header=BB9_272 Depth=3
	v_lshl_add_u64 v[112:113], v[112:113], 0, 2
	flat_store_dwordx2 v[32:33], v[112:113] sc0 sc1
	s_branch .LBB9_271
.LBB9_496:                              ;   in Loop: Header=BB9_269 Depth=2
	s_or_b64 exec, exec, s[40:41]
.LBB9_497:                              ;   in Loop: Header=BB9_269 Depth=2
	s_or_b64 exec, exec, s[28:29]
	v_cmp_gt_i32_e32 vcc, 2, v2
	s_and_saveexec_b64 s[26:27], vcc
	s_cbranch_execz .LBB9_268
; %bb.498:                              ;   in Loop: Header=BB9_269 Depth=2
	v_cmp_eq_u32_e64 s[40:41], 0, v2
	s_mov_b64 s[28:29], 0
	s_branch .LBB9_500
.LBB9_499:                              ;   in Loop: Header=BB9_500 Depth=3
	s_or_b64 exec, exec, s[24:25]
	v_add_u32_e32 v18, v16, v18
	s_mov_b64 s[40:41], 0
	s_andn2_b64 exec, exec, s[28:29]
	s_cbranch_execz .LBB9_267
.LBB9_500:                              ;   Parent Loop BB9_47 Depth=1
                                        ;     Parent Loop BB9_269 Depth=2
                                        ; =>    This Loop Header: Depth=3
                                        ;         Child Loop BB9_506 Depth 4
                                        ;         Child Loop BB9_534 Depth 4
	;; [unrolled: 1-line block ×3, first 2 shown]
	v_sub_u32_e32 v2, v46, v18
	v_min_i32_e32 v16, v16, v2
	v_and_b32_e32 v2, 12, v74
	v_cmp_ne_u32_e32 vcc, 0, v2
	s_and_saveexec_b64 s[42:43], vcc
	s_cbranch_execz .LBB9_526
; %bb.501:                              ;   in Loop: Header=BB9_500 Depth=3
	v_and_b32_e32 v2, 8, v74
	s_waitcnt vmcnt(0) lgkmcnt(0)
	v_lshl_add_u64 v[10:11], v[48:49], 0, v[2:3]
	v_lshl_add_u64 v[8:9], v[112:113], 0, 2
	v_cmp_lt_u64_e32 vcc, v[10:11], v[8:9]
	s_and_saveexec_b64 s[44:45], vcc
	s_cbranch_execz .LBB9_513
; %bb.502:                              ;   in Loop: Header=BB9_500 Depth=3
	v_and_b32_e32 v10, 64, v74
	s_mov_b32 s74, 0
	v_cmp_eq_u32_e32 vcc, 0, v10
	s_mov_b64 s[46:47], 0
                                        ; implicit-def: $sgpr56_sgpr57
                                        ; implicit-def: $sgpr58_sgpr59
                                        ; implicit-def: $sgpr60_sgpr61
	s_branch .LBB9_506
.LBB9_503:                              ;   in Loop: Header=BB9_506 Depth=4
	s_waitcnt vmcnt(0) lgkmcnt(0)
	v_lshl_add_u64 v[12:13], v[48:49], 0, v[2:3]
	v_cmp_ge_u64_e64 s[24:25], v[12:13], v[8:9]
	s_or_b64 s[50:51], s[50:51], exec
	s_orn2_b64 s[48:49], s[24:25], exec
.LBB9_504:                              ;   in Loop: Header=BB9_506 Depth=4
	s_or_b64 exec, exec, s[54:55]
	s_andn2_b64 s[24:25], s[60:61], exec
	s_and_b64 s[60:61], s[50:51], exec
	s_or_b64 s[60:61], s[24:25], s[60:61]
	s_andn2_b64 s[24:25], s[58:59], exec
	s_and_b64 s[58:59], s[48:49], exec
	s_or_b64 s[58:59], s[24:25], s[58:59]
.LBB9_505:                              ;   in Loop: Header=BB9_506 Depth=4
	s_or_b64 exec, exec, s[38:39]
	s_and_b64 s[24:25], exec, s[58:59]
	s_or_b64 s[46:47], s[24:25], s[46:47]
	s_andn2_b64 s[24:25], s[56:57], exec
	s_and_b64 s[56:57], s[60:61], exec
	s_or_b64 s[56:57], s[24:25], s[56:57]
	s_andn2_b64 exec, exec, s[46:47]
	s_cbranch_execz .LBB9_510
.LBB9_506:                              ;   Parent Loop BB9_47 Depth=1
                                        ;     Parent Loop BB9_269 Depth=2
                                        ;       Parent Loop BB9_500 Depth=3
                                        ; =>      This Inner Loop Header: Depth=4
	s_sleep 1
	s_waitcnt vmcnt(0) lgkmcnt(0)
	flat_load_dwordx2 v[48:49], v[32:33] sc0 sc1
	s_or_b64 s[60:61], s[60:61], exec
	s_or_b64 s[58:59], s[58:59], exec
                                        ; implicit-def: $vgpr10
	s_and_saveexec_b64 s[38:39], vcc
	s_cbranch_execz .LBB9_505
; %bb.507:                              ;   in Loop: Header=BB9_506 Depth=4
	s_cmpk_lt_i32 s74, 0x270f
	s_cselect_b64 s[52:53], -1, 0
	s_cmpk_gt_i32 s74, 0x270e
	s_mov_b64 s[48:49], -1
	s_cbranch_scc0 .LBB9_509
; %bb.508:                              ;   in Loop: Header=BB9_506 Depth=4
	s_trap 2
	ds_read_b64 v[10:11], v0
	s_andn2_b64 s[52:53], s[52:53], exec
	s_mov_b32 s74, 0
	s_mov_b64 s[50:51], 0
	s_waitcnt vmcnt(0) lgkmcnt(0)
	flat_load_dword v10, v[10:11] sc0 sc1
	s_waitcnt vmcnt(0) lgkmcnt(0)
	buffer_inv sc0 sc1
	v_cmp_eq_u32_e64 s[24:25], 0, v10
	s_and_b64 s[24:25], s[24:25], exec
	s_or_b64 s[52:53], s[52:53], s[24:25]
	s_and_saveexec_b64 s[54:55], s[52:53]
	s_cbranch_execz .LBB9_504
	s_branch .LBB9_503
.LBB9_509:                              ;   in Loop: Header=BB9_506 Depth=4
	s_add_i32 s74, s74, 1
	s_mov_b64 s[50:51], -1
                                        ; implicit-def: $vgpr10
	s_and_saveexec_b64 s[54:55], s[52:53]
	s_cbranch_execz .LBB9_504
	s_branch .LBB9_503
.LBB9_510:                              ;   in Loop: Header=BB9_500 Depth=3
	s_or_b64 exec, exec, s[46:47]
	s_xor_b64 s[24:25], s[56:57], -1
	s_and_saveexec_b64 s[46:47], s[24:25]
	s_xor_b64 s[24:25], exec, s[46:47]
	s_cbranch_execz .LBB9_512
; %bb.511:                              ;   in Loop: Header=BB9_500 Depth=3
	v_or_b32_e32 v74, 64, v74
	s_waitcnt lgkmcnt(0)
	ds_write_b32 v0, v10
	s_trap 2
.LBB9_512:                              ;   in Loop: Header=BB9_500 Depth=3
	s_or_b64 exec, exec, s[24:25]
.LBB9_513:                              ;   in Loop: Header=BB9_500 Depth=3
	s_or_b64 exec, exec, s[44:45]
	v_and_b32_e32 v10, 0x108, v74
	v_cmp_ne_u32_e32 vcc, s69, v10
	;;#ASMSTART
	s_wakeup
	;;#ASMEND
                                        ; implicit-def: $vgpr10_vgpr11
	s_and_saveexec_b64 s[24:25], vcc
	s_xor_b64 s[24:25], exec, s[24:25]
; %bb.514:                              ;   in Loop: Header=BB9_500 Depth=3
	v_and_b32_e32 v10, 7, v112
	v_mov_b32_e32 v11, v3
                                        ; implicit-def: $vgpr112_vgpr113
; %bb.515:                              ;   in Loop: Header=BB9_500 Depth=3
	s_andn2_saveexec_b64 s[24:25], s[24:25]
	s_cbranch_execz .LBB9_517
; %bb.516:                              ;   in Loop: Header=BB9_500 Depth=3
	v_and_b32_e32 v10, 7, v112
	v_ashrrev_i32_e32 v17, 31, v16
	v_mov_b32_e32 v11, v3
	v_mad_u64_u32 v[12:13], s[44:45], v10, 24, v[6:7]
	v_lshlrev_b64 v[14:15], 1, v[16:17]
	flat_store_dwordx2 v[12:13], v[14:15] offset:8
.LBB9_517:                              ;   in Loop: Header=BB9_500 Depth=3
	s_or_b64 exec, exec, s[24:25]
	v_and_b32_e32 v12, 0x100, v74
	v_cmp_ne_u32_e32 vcc, 0, v12
	s_mov_b64 s[24:25], -1
                                        ; implicit-def: $vgpr12_vgpr13
	s_and_saveexec_b64 s[44:45], vcc
	s_cbranch_execz .LBB9_521
; %bb.518:                              ;   in Loop: Header=BB9_500 Depth=3
	v_mad_u64_u32 v[14:15], s[24:25], v10, 24, v[6:7]
	v_mov_b32_e32 v12, v15
	v_mad_u64_u32 v[12:13], s[24:25], v11, 24, v[12:13]
	v_mov_b32_e32 v15, v12
	flat_load_dword v12, v[14:15]
	s_waitcnt vmcnt(0) lgkmcnt(0)
	v_cmp_ne_u32_e32 vcc, 1, v12
	v_cmp_eq_u32_e64 s[24:25], 1, v12
                                        ; implicit-def: $vgpr12_vgpr13
	s_and_saveexec_b64 s[46:47], s[24:25]
	s_cbranch_execz .LBB9_520
; %bb.519:                              ;   in Loop: Header=BB9_500 Depth=3
	flat_load_dword v12, v[14:15] offset:4 sc0 sc1
	s_waitcnt vmcnt(0) lgkmcnt(0)
	v_ashrrev_i32_e32 v13, 31, v12
	v_lshrrev_b64 v[12:13], 1, v[12:13]
.LBB9_520:                              ;   in Loop: Header=BB9_500 Depth=3
	s_or_b64 exec, exec, s[46:47]
	s_orn2_b64 s[24:25], vcc, exec
.LBB9_521:                              ;   in Loop: Header=BB9_500 Depth=3
	s_or_b64 exec, exec, s[44:45]
	s_and_saveexec_b64 s[44:45], s[24:25]
; %bb.522:                              ;   in Loop: Header=BB9_500 Depth=3
	v_mul_lo_u32 v11, v11, v30
	v_mul_lo_u32 v14, v10, v51
	v_mad_u64_u32 v[12:13], s[24:25], v10, v30, 0
	v_add3_u32 v13, v13, v14, v11
; %bb.523:                              ;   in Loop: Header=BB9_500 Depth=3
	s_or_b64 exec, exec, s[44:45]
	v_cmp_eq_u32_e32 vcc, 0, v2
	v_lshl_add_u64 v[10:11], v[12:13], 1, v[34:35]
	s_nop 0
	v_cndmask_b32_e32 v2, v78, v79, vcc
	v_add_u32_e32 v2, v0, v2
	ds_write_b64 v2, v[10:11] offset:584
	v_and_b32_e32 v2, 0x2000, v74
	v_cmp_ne_u32_e32 vcc, 0, v2
	s_and_saveexec_b64 s[24:25], vcc
	s_cbranch_execz .LBB9_525
; %bb.524:                              ;   in Loop: Header=BB9_500 Depth=3
	ds_read_b64 v[10:11], v0 offset:872
	s_waitcnt lgkmcnt(0)
	v_lshl_add_u64 v[10:11], v[10:11], 0, 1
	ds_write_b64 v0, v[10:11] offset:872
.LBB9_525:                              ;   in Loop: Header=BB9_500 Depth=3
	s_or_b64 exec, exec, s[24:25]
	v_mov_b64_e32 v[112:113], v[8:9]
.LBB9_526:                              ;   in Loop: Header=BB9_500 Depth=3
	s_or_b64 exec, exec, s[42:43]
	s_xor_b64 s[24:25], s[40:41], -1
	s_and_b64 s[24:25], exec, s[24:25]
	s_or_b64 s[28:29], s[24:25], s[28:29]
	s_and_saveexec_b64 s[24:25], s[4:5]
	s_cbranch_execz .LBB9_545
; %bb.527:                              ;   in Loop: Header=BB9_500 Depth=3
	s_and_saveexec_b64 s[40:41], s[76:77]
	s_xor_b64 s[40:41], exec, s[40:41]
	s_cbranch_execz .LBB9_542
; %bb.528:                              ;   in Loop: Header=BB9_500 Depth=3
	s_and_saveexec_b64 s[42:43], s[12:13]
	s_cbranch_execz .LBB9_541
; %bb.529:                              ;   in Loop: Header=BB9_500 Depth=3
	s_mov_b64 s[46:47], exec
	v_mbcnt_lo_u32_b32 v2, s46, 0
	v_mbcnt_hi_u32_b32 v2, s47, v2
	v_cmp_eq_u32_e32 vcc, 0, v2
	s_waitcnt lgkmcnt(0)
	s_and_saveexec_b64 s[44:45], vcc
	s_cbranch_execz .LBB9_531
; %bb.530:                              ;   in Loop: Header=BB9_500 Depth=3
	s_bcnt1_i32_b64 s46, s[46:47]
	v_mov_b32_e32 v2, s46
	ds_add_u64 v0, v[2:3]
	s_trap 2
.LBB9_531:                              ;   in Loop: Header=BB9_500 Depth=3
	s_or_b64 exec, exec, s[44:45]
	s_trap 2
	ds_read_b64 v[8:9], v0
	s_waitcnt lgkmcnt(0)
	v_lshl_add_u64 v[38:39], v[38:39], 0, v[52:53]
	v_cmp_lt_u64_e32 vcc, v[8:9], v[38:39]
	s_and_saveexec_b64 s[44:45], vcc
	s_cbranch_execz .LBB9_540
; %bb.532:                              ;   in Loop: Header=BB9_500 Depth=3
	s_mov_b32 s74, 0
	s_mov_b64 s[46:47], 0
                                        ; implicit-def: $sgpr56_sgpr57
                                        ; implicit-def: $sgpr58_sgpr59
	s_branch .LBB9_534
.LBB9_533:                              ;   in Loop: Header=BB9_534 Depth=4
	s_or_b64 exec, exec, s[38:39]
	s_and_b64 s[60:61], exec, vcc
	s_or_b64 s[46:47], s[60:61], s[46:47]
	s_andn2_b64 s[56:57], s[56:57], exec
	s_and_b64 s[60:61], s[58:59], exec
	s_or_b64 s[56:57], s[56:57], s[60:61]
	s_andn2_b64 exec, exec, s[46:47]
	s_cbranch_execz .LBB9_538
.LBB9_534:                              ;   Parent Loop BB9_47 Depth=1
                                        ;     Parent Loop BB9_269 Depth=2
                                        ;       Parent Loop BB9_500 Depth=3
                                        ; =>      This Inner Loop Header: Depth=4
	s_add_i32 s74, s74, 1
	s_cmpk_lg_i32 s74, 0x2710
	s_cselect_b64 s[60:61], -1, 0
	s_and_b64 vcc, exec, s[60:61]
	s_cbranch_vccz .LBB9_536
; %bb.535:                              ;   in Loop: Header=BB9_534 Depth=4
	s_mov_b64 vcc, -1
	s_or_b64 s[58:59], s[58:59], exec
	s_and_saveexec_b64 s[38:39], s[60:61]
	s_cbranch_execz .LBB9_533
	s_branch .LBB9_537
.LBB9_536:                              ;   in Loop: Header=BB9_534 Depth=4
	s_trap 2
	ds_read_b64 v[8:9], v0
	s_andn2_b64 s[60:61], s[60:61], exec
	s_mov_b32 s74, 0
	s_waitcnt vmcnt(0) lgkmcnt(0)
	flat_load_dword v2, v[8:9] sc0 sc1
	s_waitcnt vmcnt(0) lgkmcnt(0)
	buffer_inv sc0 sc1
	v_cmp_eq_u32_e32 vcc, 0, v2
	s_and_b64 vcc, vcc, exec
	s_or_b64 s[60:61], s[60:61], vcc
	s_mov_b64 vcc, -1
	s_or_b64 s[58:59], s[58:59], exec
	s_and_saveexec_b64 s[38:39], s[60:61]
	s_cbranch_execz .LBB9_533
.LBB9_537:                              ;   in Loop: Header=BB9_534 Depth=4
	s_sleep 1
	s_trap 2
	ds_read_b64 v[8:9], v0
	s_waitcnt lgkmcnt(0)
	s_andn2_b64 s[58:59], s[58:59], exec
	v_cmp_ge_u64_e32 vcc, v[8:9], v[38:39]
	s_orn2_b64 vcc, vcc, exec
	s_branch .LBB9_533
.LBB9_538:                              ;   in Loop: Header=BB9_500 Depth=3
	s_or_b64 exec, exec, s[46:47]
	s_and_saveexec_b64 s[46:47], s[56:57]
	s_xor_b64 s[46:47], exec, s[46:47]
	s_cbranch_execz .LBB9_540
; %bb.539:                              ;   in Loop: Header=BB9_500 Depth=3
	ds_write_b32 v0, v77
	s_trap 2
.LBB9_540:                              ;   in Loop: Header=BB9_500 Depth=3
	s_or_b64 exec, exec, s[44:45]
	;;#ASMSTART
	s_wakeup
	;;#ASMEND
.LBB9_541:                              ;   in Loop: Header=BB9_500 Depth=3
	s_or_b64 exec, exec, s[42:43]
.LBB9_542:                              ;   in Loop: Header=BB9_500 Depth=3
	s_andn2_saveexec_b64 s[40:41], s[40:41]
	s_cbranch_execz .LBB9_544
; %bb.543:                              ;   in Loop: Header=BB9_500 Depth=3
	s_waitcnt lgkmcnt(0)
	s_barrier
.LBB9_544:                              ;   in Loop: Header=BB9_500 Depth=3
	s_or_b64 exec, exec, s[40:41]
.LBB9_545:                              ;   in Loop: Header=BB9_500 Depth=3
	s_or_b64 exec, exec, s[24:25]
                                        ; implicit-def: $vgpr2
	s_and_saveexec_b64 s[24:25], s[34:35]
	s_xor_b64 s[24:25], exec, s[24:25]
	s_cbranch_execz .LBB9_557
; %bb.546:                              ;   in Loop: Header=BB9_500 Depth=3
	s_and_saveexec_b64 s[40:41], s[76:77]
	s_xor_b64 s[40:41], exec, s[40:41]
	s_cbranch_execz .LBB9_562
; %bb.547:                              ;   in Loop: Header=BB9_500 Depth=3
	s_and_saveexec_b64 s[42:43], s[12:13]
	s_cbranch_execz .LBB9_561
; %bb.548:                              ;   in Loop: Header=BB9_500 Depth=3
	s_mov_b64 s[46:47], exec
	v_mbcnt_lo_u32_b32 v2, s46, 0
	v_mbcnt_hi_u32_b32 v2, s47, v2
	v_cmp_eq_u32_e32 vcc, 0, v2
	;;#ASMSTART
	s_waitcnt lgkmcnt(0) vmcnt(0)
	;;#ASMEND
	s_and_saveexec_b64 s[44:45], vcc
	s_cbranch_execz .LBB9_550
; %bb.549:                              ;   in Loop: Header=BB9_500 Depth=3
	s_bcnt1_i32_b64 s46, s[46:47]
	v_mov_b32_e32 v2, s46
	s_waitcnt lgkmcnt(0)
	ds_add_u64 v0, v[2:3]
	s_trap 2
.LBB9_550:                              ;   in Loop: Header=BB9_500 Depth=3
	s_or_b64 exec, exec, s[44:45]
	s_trap 2
	ds_read_b64 v[8:9], v0
	s_waitcnt lgkmcnt(0)
	v_lshl_add_u64 v[38:39], v[38:39], 0, v[52:53]
	v_cmp_lt_u64_e32 vcc, v[8:9], v[38:39]
	s_and_saveexec_b64 s[44:45], vcc
	s_cbranch_execz .LBB9_560
; %bb.551:                              ;   in Loop: Header=BB9_500 Depth=3
	s_mov_b32 s74, 0
	s_mov_b64 s[46:47], 0
                                        ; implicit-def: $sgpr56_sgpr57
                                        ; implicit-def: $sgpr58_sgpr59
	s_branch .LBB9_553
.LBB9_552:                              ;   in Loop: Header=BB9_553 Depth=4
	s_or_b64 exec, exec, s[38:39]
	s_and_b64 s[60:61], exec, vcc
	s_or_b64 s[46:47], s[60:61], s[46:47]
	s_andn2_b64 s[56:57], s[56:57], exec
	s_and_b64 s[60:61], s[58:59], exec
	s_or_b64 s[56:57], s[56:57], s[60:61]
	s_andn2_b64 exec, exec, s[46:47]
	s_cbranch_execz .LBB9_558
.LBB9_553:                              ;   Parent Loop BB9_47 Depth=1
                                        ;     Parent Loop BB9_269 Depth=2
                                        ;       Parent Loop BB9_500 Depth=3
                                        ; =>      This Inner Loop Header: Depth=4
	s_add_i32 s74, s74, 1
	s_cmpk_lg_i32 s74, 0x2710
	s_cselect_b64 s[60:61], -1, 0
	s_and_b64 vcc, exec, s[60:61]
	s_cbranch_vccz .LBB9_555
; %bb.554:                              ;   in Loop: Header=BB9_553 Depth=4
	s_mov_b64 vcc, -1
	s_or_b64 s[58:59], s[58:59], exec
	s_and_saveexec_b64 s[38:39], s[60:61]
	s_cbranch_execz .LBB9_552
	s_branch .LBB9_556
.LBB9_555:                              ;   in Loop: Header=BB9_553 Depth=4
	s_trap 2
	ds_read_b64 v[8:9], v0
	s_andn2_b64 s[60:61], s[60:61], exec
	s_mov_b32 s74, 0
	s_waitcnt vmcnt(0) lgkmcnt(0)
	flat_load_dword v2, v[8:9] sc0 sc1
	s_waitcnt vmcnt(0) lgkmcnt(0)
	buffer_inv sc0 sc1
	v_cmp_eq_u32_e32 vcc, 0, v2
	s_and_b64 vcc, vcc, exec
	s_or_b64 s[60:61], s[60:61], vcc
	s_mov_b64 vcc, -1
	s_or_b64 s[58:59], s[58:59], exec
	s_and_saveexec_b64 s[38:39], s[60:61]
	s_cbranch_execz .LBB9_552
.LBB9_556:                              ;   in Loop: Header=BB9_553 Depth=4
	s_sleep 1
	s_trap 2
	ds_read_b64 v[8:9], v0
	s_waitcnt lgkmcnt(0)
	s_andn2_b64 s[58:59], s[58:59], exec
	v_cmp_ge_u64_e32 vcc, v[8:9], v[38:39]
	s_orn2_b64 vcc, vcc, exec
	s_branch .LBB9_552
.LBB9_557:                              ;   in Loop: Header=BB9_500 Depth=3
	s_andn2_saveexec_b64 s[24:25], s[24:25]
	s_cbranch_execnz .LBB9_565
	s_branch .LBB9_568
.LBB9_558:                              ;   in Loop: Header=BB9_500 Depth=3
	s_or_b64 exec, exec, s[46:47]
	s_and_saveexec_b64 s[46:47], s[56:57]
	s_xor_b64 s[46:47], exec, s[46:47]
	s_cbranch_execz .LBB9_560
; %bb.559:                              ;   in Loop: Header=BB9_500 Depth=3
	ds_write_b32 v0, v77
	s_trap 2
.LBB9_560:                              ;   in Loop: Header=BB9_500 Depth=3
	s_or_b64 exec, exec, s[44:45]
	;;#ASMSTART
	s_wakeup
	;;#ASMEND
.LBB9_561:                              ;   in Loop: Header=BB9_500 Depth=3
	s_or_b64 exec, exec, s[42:43]
.LBB9_562:                              ;   in Loop: Header=BB9_500 Depth=3
	s_andn2_saveexec_b64 s[40:41], s[40:41]
	s_cbranch_execz .LBB9_564
; %bb.563:                              ;   in Loop: Header=BB9_500 Depth=3
	;;#ASMSTART
	s_waitcnt lgkmcnt(0) vmcnt(0)
	;;#ASMEND
	s_barrier
.LBB9_564:                              ;   in Loop: Header=BB9_500 Depth=3
	s_or_b64 exec, exec, s[40:41]
	v_and_b32_e32 v2, 16, v74
	s_andn2_saveexec_b64 s[24:25], s[24:25]
	s_cbranch_execz .LBB9_568
.LBB9_565:                              ;   in Loop: Header=BB9_500 Depth=3
	s_trap 2
	ds_read_b32 v8, v0
	v_cmp_lt_i32_e32 vcc, 0, v16
	v_and_b32_e32 v9, 16, v74
	v_and_b32_e32 v2, 16, v74
	s_waitcnt lgkmcnt(0)
	v_readfirstlane_b32 s40, v8
	s_cmp_eq_u32 s40, 0
	s_cselect_b64 s[40:41], -1, 0
	s_and_b64 s[40:41], vcc, s[40:41]
	v_cmp_ne_u32_e32 vcc, 0, v9
	s_and_b64 s[42:43], vcc, s[40:41]
	s_and_saveexec_b64 s[40:41], s[42:43]
	s_cbranch_execz .LBB9_567
; %bb.566:                              ;   in Loop: Header=BB9_500 Depth=3
	v_mov_b32_e32 v2, 1
	buffer_wbl2 sc1
	s_waitcnt vmcnt(0)
	buffer_inv sc1
.LBB9_567:                              ;   in Loop: Header=BB9_500 Depth=3
	s_or_b64 exec, exec, s[40:41]
.LBB9_568:                              ;   in Loop: Header=BB9_500 Depth=3
	s_or_b64 exec, exec, s[24:25]
	v_cmp_ne_u32_e32 vcc, 0, v2
	s_xor_b64 s[24:25], s[6:7], -1
	s_and_b64 s[40:41], vcc, s[24:25]
	s_and_saveexec_b64 s[24:25], s[40:41]
	s_cbranch_execz .LBB9_570
; %bb.569:                              ;   in Loop: Header=BB9_500 Depth=3
	flat_store_dword v[36:37], v77 sc0 sc1
.LBB9_570:                              ;   in Loop: Header=BB9_500 Depth=3
	s_or_b64 exec, exec, s[24:25]
	v_and_b32_e32 v2, 48, v74
	v_cmp_ne_u32_e32 vcc, 0, v2
	s_and_saveexec_b64 s[24:25], vcc
	s_cbranch_execz .LBB9_499
; %bb.571:                              ;   in Loop: Header=BB9_500 Depth=3
	v_lshl_add_u64 v[112:113], v[112:113], 0, 2
	flat_store_dwordx2 v[32:33], v[112:113] sc0 sc1
	s_branch .LBB9_499
.LBB9_572:                              ;   in Loop: Header=BB9_47 Depth=1
	v_mul_lo_u32 v2, v103, s66
	v_mul_lo_u32 v10, v102, s67
	v_mad_u64_u32 v[8:9], s[24:25], v102, s66, 0
	v_add3_u32 v9, v9, v10, v2
	v_sub_co_u32_e32 v10, vcc, v114, v8
	v_mov_b32_e32 v2, 0
	s_nop 0
	v_subb_co_u32_e32 v11, vcc, v115, v9, vcc
	v_cmp_lt_i64_e32 vcc, v[102:103], v[10:11]
	v_mov_b32_e32 v22, 0
	s_nop 0
	v_cndmask_b32_e32 v10, v10, v102, vcc
	v_max_i32_e32 v90, 0, v10
	v_add_u32_e32 v11, 31, v90
	v_ashrrev_i32_e32 v12, 31, v11
	v_lshrrev_b32_e32 v12, 27, v12
	v_add_u32_e32 v11, v11, v12
	v_ashrrev_i32_e32 v11, 5, v11
	v_lshlrev_b32_e32 v11, 4, v11
	v_cmp_lt_i32_e32 vcc, 0, v10
	v_max_i32_e32 v20, s84, v11
	s_and_b64 s[24:25], s[36:37], vcc
	s_and_saveexec_b64 s[38:39], s[24:25]
	s_cbranch_execz .LBB9_950
; %bb.573:                              ;   in Loop: Header=BB9_47 Depth=1
	v_lshl_add_u64 v[8:9], v[8:9], 0, v[116:117]
	s_mov_b32 s97, 1
	s_mov_b64 s[50:51], -1
	v_mov_b32_e32 v22, 0
	s_mov_b64 s[48:49], 0
	v_lshlrev_b64 v[118:119], 1, v[8:9]
	s_branch .LBB9_575
.LBB9_574:                              ;   in Loop: Header=BB9_575 Depth=2
	s_or_b64 exec, exec, s[24:25]
	v_add_u32_e32 v22, v20, v22
	v_cmp_ge_i32_e32 vcc, v22, v90
	s_xor_b64 s[24:25], s[50:51], -1
	s_or_b64 s[24:25], s[24:25], vcc
	s_and_b64 s[24:25], exec, s[24:25]
	s_or_b64 s[48:49], s[24:25], s[48:49]
	s_mov_b64 s[50:51], 0
	v_mov_b32_e32 v2, s97
	s_mov_b32 s97, 2
	s_andn2_b64 exec, exec, s[48:49]
	s_cbranch_execz .LBB9_1025
.LBB9_575:                              ;   Parent Loop BB9_47 Depth=1
                                        ; =>  This Loop Header: Depth=2
                                        ;       Child Loop BB9_583 Depth 3
                                        ;       Child Loop BB9_611 Depth 3
	;; [unrolled: 1-line block ×8, first 2 shown]
                                        ;         Child Loop BB9_688 Depth 4
                                        ;       Child Loop BB9_694 Depth 3
                                        ;         Child Loop BB9_727 Depth 4
                                        ;       Child Loop BB9_735 Depth 3
                                        ;       Child Loop BB9_771 Depth 3
                                        ;         Child Loop BB9_776 Depth 4
                                        ;       Child Loop BB9_912 Depth 3
                                        ;       Child Loop BB9_935 Depth 3
	s_and_saveexec_b64 s[24:25], s[0:1]
	s_cbranch_execz .LBB9_577
; %bb.576:                              ;   in Loop: Header=BB9_575 Depth=2
	s_trap 2
	ds_read2_b64 v[8:11], v0 offset1:1
	ds_read_b64 v[12:13], v0
	v_ashrrev_i32_e32 v23, 31, v22
	v_lshlrev_b64 v[14:15], 1, v[22:23]
	s_waitcnt lgkmcnt(0)
	v_lshl_add_u64 v[8:9], v[8:9], 0, v[118:119]
	v_lshl_add_u64 v[8:9], v[8:9], 0, v[14:15]
	ds_write_b64 v0, v[8:9]
	v_lshl_add_u64 v[8:9], v[10:11], 0, v[118:119]
	v_lshl_add_u64 v[8:9], v[8:9], 0, v[14:15]
	ds_write_b64 v0, v[8:9]
	v_lshl_add_u64 v[8:9], v[12:13], 0, v[118:119]
	v_lshl_add_u64 v[8:9], v[8:9], 0, v[14:15]
	v_cmp_ne_u64_e32 vcc, 0, v[12:13]
	s_nop 1
	v_cndmask_b32_e32 v9, 0, v9, vcc
	v_cndmask_b32_e32 v8, 0, v8, vcc
	ds_write_b64 v0, v[8:9]
.LBB9_577:                              ;   in Loop: Header=BB9_575 Depth=2
	s_or_b64 exec, exec, s[24:25]
	v_sub_u32_e32 v2, v90, v22
	v_min_i32_e32 v20, v20, v2
	v_and_b32_e32 v2, 12, v74
	v_cmp_ne_u32_e32 vcc, 0, v2
	s_and_saveexec_b64 s[26:27], vcc
	s_cbranch_execz .LBB9_603
; %bb.578:                              ;   in Loop: Header=BB9_575 Depth=2
	v_and_b32_e32 v2, 8, v74
	s_waitcnt vmcnt(0) lgkmcnt(0)
	v_lshl_add_u64 v[10:11], v[48:49], 0, v[2:3]
	v_lshl_add_u64 v[8:9], v[112:113], 0, 2
	v_cmp_lt_u64_e32 vcc, v[10:11], v[8:9]
	s_and_saveexec_b64 s[28:29], vcc
	s_cbranch_execz .LBB9_590
; %bb.579:                              ;   in Loop: Header=BB9_575 Depth=2
	v_and_b32_e32 v10, 64, v74
	s_mov_b32 s74, 0
	v_cmp_eq_u32_e32 vcc, 0, v10
	s_mov_b64 s[40:41], 0
                                        ; implicit-def: $sgpr42_sgpr43
                                        ; implicit-def: $sgpr44_sgpr45
                                        ; implicit-def: $sgpr46_sgpr47
	s_branch .LBB9_583
.LBB9_580:                              ;   in Loop: Header=BB9_583 Depth=3
	s_waitcnt vmcnt(0) lgkmcnt(0)
	v_lshl_add_u64 v[12:13], v[48:49], 0, v[2:3]
	v_cmp_ge_u64_e64 s[24:25], v[12:13], v[8:9]
	s_or_b64 s[60:61], s[60:61], exec
	s_orn2_b64 s[58:59], s[24:25], exec
.LBB9_581:                              ;   in Loop: Header=BB9_583 Depth=3
	s_or_b64 exec, exec, s[54:55]
	s_andn2_b64 s[24:25], s[46:47], exec
	s_and_b64 s[46:47], s[60:61], exec
	s_or_b64 s[46:47], s[24:25], s[46:47]
	s_andn2_b64 s[24:25], s[44:45], exec
	s_and_b64 s[44:45], s[58:59], exec
	s_or_b64 s[44:45], s[24:25], s[44:45]
.LBB9_582:                              ;   in Loop: Header=BB9_583 Depth=3
	s_or_b64 exec, exec, s[56:57]
	s_and_b64 s[24:25], exec, s[44:45]
	s_or_b64 s[40:41], s[24:25], s[40:41]
	s_andn2_b64 s[24:25], s[42:43], exec
	s_and_b64 s[42:43], s[46:47], exec
	s_or_b64 s[42:43], s[24:25], s[42:43]
	s_andn2_b64 exec, exec, s[40:41]
	s_cbranch_execz .LBB9_587
.LBB9_583:                              ;   Parent Loop BB9_47 Depth=1
                                        ;     Parent Loop BB9_575 Depth=2
                                        ; =>    This Inner Loop Header: Depth=3
	s_sleep 1
	s_waitcnt vmcnt(0) lgkmcnt(0)
	flat_load_dwordx2 v[48:49], v[32:33] sc0 sc1
	s_or_b64 s[46:47], s[46:47], exec
	s_or_b64 s[44:45], s[44:45], exec
                                        ; implicit-def: $vgpr10
	s_and_saveexec_b64 s[56:57], vcc
	s_cbranch_execz .LBB9_582
; %bb.584:                              ;   in Loop: Header=BB9_583 Depth=3
	s_cmpk_lt_i32 s74, 0x270f
	s_cselect_b64 s[52:53], -1, 0
	s_cmpk_gt_i32 s74, 0x270e
	s_mov_b64 s[58:59], -1
	s_cbranch_scc0 .LBB9_586
; %bb.585:                              ;   in Loop: Header=BB9_583 Depth=3
	s_trap 2
	ds_read_b64 v[10:11], v0
	s_andn2_b64 s[52:53], s[52:53], exec
	s_mov_b32 s74, 0
	s_mov_b64 s[60:61], 0
	s_waitcnt vmcnt(0) lgkmcnt(0)
	flat_load_dword v10, v[10:11] sc0 sc1
	s_waitcnt vmcnt(0) lgkmcnt(0)
	buffer_inv sc0 sc1
	v_cmp_eq_u32_e64 s[24:25], 0, v10
	s_and_b64 s[24:25], s[24:25], exec
	s_or_b64 s[52:53], s[52:53], s[24:25]
	s_and_saveexec_b64 s[54:55], s[52:53]
	s_cbranch_execz .LBB9_581
	s_branch .LBB9_580
.LBB9_586:                              ;   in Loop: Header=BB9_583 Depth=3
	s_add_i32 s74, s74, 1
	s_mov_b64 s[60:61], -1
                                        ; implicit-def: $vgpr10
	s_and_saveexec_b64 s[54:55], s[52:53]
	s_cbranch_execz .LBB9_581
	s_branch .LBB9_580
.LBB9_587:                              ;   in Loop: Header=BB9_575 Depth=2
	s_or_b64 exec, exec, s[40:41]
	s_xor_b64 s[24:25], s[42:43], -1
	s_and_saveexec_b64 s[40:41], s[24:25]
	s_xor_b64 s[24:25], exec, s[40:41]
	s_cbranch_execz .LBB9_589
; %bb.588:                              ;   in Loop: Header=BB9_575 Depth=2
	v_or_b32_e32 v74, 64, v74
	s_waitcnt lgkmcnt(0)
	ds_write_b32 v0, v10
	s_trap 2
.LBB9_589:                              ;   in Loop: Header=BB9_575 Depth=2
	s_or_b64 exec, exec, s[24:25]
.LBB9_590:                              ;   in Loop: Header=BB9_575 Depth=2
	s_or_b64 exec, exec, s[28:29]
	v_and_b32_e32 v10, 0x108, v74
	v_cmp_ne_u32_e32 vcc, s69, v10
	;;#ASMSTART
	s_wakeup
	;;#ASMEND
                                        ; implicit-def: $vgpr10_vgpr11
	s_and_saveexec_b64 s[24:25], vcc
	s_xor_b64 s[24:25], exec, s[24:25]
; %bb.591:                              ;   in Loop: Header=BB9_575 Depth=2
	v_and_b32_e32 v10, 7, v112
	v_mov_b32_e32 v11, v3
                                        ; implicit-def: $vgpr112_vgpr113
; %bb.592:                              ;   in Loop: Header=BB9_575 Depth=2
	s_andn2_saveexec_b64 s[24:25], s[24:25]
	s_cbranch_execz .LBB9_594
; %bb.593:                              ;   in Loop: Header=BB9_575 Depth=2
	v_and_b32_e32 v10, 7, v112
	v_ashrrev_i32_e32 v21, 31, v20
	v_mov_b32_e32 v11, v3
	v_mad_u64_u32 v[12:13], s[28:29], v10, 24, v[6:7]
	v_lshlrev_b64 v[14:15], 1, v[20:21]
	flat_store_dwordx2 v[12:13], v[14:15] offset:8
.LBB9_594:                              ;   in Loop: Header=BB9_575 Depth=2
	s_or_b64 exec, exec, s[24:25]
	v_and_b32_e32 v12, 0x100, v74
	v_cmp_ne_u32_e32 vcc, 0, v12
	s_mov_b64 s[24:25], -1
                                        ; implicit-def: $vgpr12_vgpr13
	s_and_saveexec_b64 s[28:29], vcc
	s_cbranch_execz .LBB9_598
; %bb.595:                              ;   in Loop: Header=BB9_575 Depth=2
	v_mad_u64_u32 v[14:15], s[24:25], v10, 24, v[6:7]
	v_mov_b32_e32 v12, v15
	v_mad_u64_u32 v[12:13], s[24:25], v11, 24, v[12:13]
	v_mov_b32_e32 v15, v12
	flat_load_dword v12, v[14:15]
	s_waitcnt vmcnt(0) lgkmcnt(0)
	v_cmp_ne_u32_e32 vcc, 1, v12
	v_cmp_eq_u32_e64 s[24:25], 1, v12
                                        ; implicit-def: $vgpr12_vgpr13
	s_and_saveexec_b64 s[40:41], s[24:25]
	s_cbranch_execz .LBB9_597
; %bb.596:                              ;   in Loop: Header=BB9_575 Depth=2
	flat_load_dword v12, v[14:15] offset:4 sc0 sc1
	s_waitcnt vmcnt(0) lgkmcnt(0)
	v_ashrrev_i32_e32 v13, 31, v12
	v_lshrrev_b64 v[12:13], 1, v[12:13]
.LBB9_597:                              ;   in Loop: Header=BB9_575 Depth=2
	s_or_b64 exec, exec, s[40:41]
	s_orn2_b64 s[24:25], vcc, exec
.LBB9_598:                              ;   in Loop: Header=BB9_575 Depth=2
	s_or_b64 exec, exec, s[28:29]
	s_and_saveexec_b64 s[28:29], s[24:25]
; %bb.599:                              ;   in Loop: Header=BB9_575 Depth=2
	v_mul_lo_u32 v11, v11, v30
	v_mul_lo_u32 v14, v10, v51
	v_mad_u64_u32 v[12:13], s[24:25], v10, v30, 0
	v_add3_u32 v13, v13, v14, v11
; %bb.600:                              ;   in Loop: Header=BB9_575 Depth=2
	s_or_b64 exec, exec, s[28:29]
	v_cmp_eq_u32_e32 vcc, 0, v2
	v_lshl_add_u64 v[10:11], v[12:13], 1, v[34:35]
	s_nop 0
	v_cndmask_b32_e32 v2, v88, v79, vcc
	v_add_u32_e32 v2, v0, v2
	ds_write_b64 v2, v[10:11] offset:584
	v_and_b32_e32 v2, 0x2000, v74
	v_cmp_ne_u32_e32 vcc, 0, v2
	s_and_saveexec_b64 s[24:25], vcc
	s_cbranch_execz .LBB9_602
; %bb.601:                              ;   in Loop: Header=BB9_575 Depth=2
	ds_read_b64 v[10:11], v0 offset:872
	s_waitcnt lgkmcnt(0)
	v_lshl_add_u64 v[10:11], v[10:11], 0, 1
	ds_write_b64 v0, v[10:11] offset:872
.LBB9_602:                              ;   in Loop: Header=BB9_575 Depth=2
	s_or_b64 exec, exec, s[24:25]
	v_mov_b64_e32 v[112:113], v[8:9]
.LBB9_603:                              ;   in Loop: Header=BB9_575 Depth=2
	s_or_b64 exec, exec, s[26:27]
	s_and_saveexec_b64 s[24:25], s[4:5]
	s_cbranch_execz .LBB9_622
; %bb.604:                              ;   in Loop: Header=BB9_575 Depth=2
	s_and_saveexec_b64 s[26:27], s[76:77]
	s_xor_b64 s[26:27], exec, s[26:27]
	s_cbranch_execz .LBB9_619
; %bb.605:                              ;   in Loop: Header=BB9_575 Depth=2
	s_and_saveexec_b64 s[28:29], s[12:13]
	s_cbranch_execz .LBB9_618
; %bb.606:                              ;   in Loop: Header=BB9_575 Depth=2
	s_mov_b64 s[42:43], exec
	v_mbcnt_lo_u32_b32 v2, s42, 0
	v_mbcnt_hi_u32_b32 v2, s43, v2
	v_cmp_eq_u32_e32 vcc, 0, v2
	s_waitcnt lgkmcnt(0)
	s_and_saveexec_b64 s[40:41], vcc
	s_cbranch_execz .LBB9_608
; %bb.607:                              ;   in Loop: Header=BB9_575 Depth=2
	s_bcnt1_i32_b64 s42, s[42:43]
	v_mov_b32_e32 v2, s42
	ds_add_u64 v0, v[2:3]
	s_trap 2
.LBB9_608:                              ;   in Loop: Header=BB9_575 Depth=2
	s_or_b64 exec, exec, s[40:41]
	s_trap 2
	ds_read_b64 v[8:9], v0
	s_waitcnt lgkmcnt(0)
	v_lshl_add_u64 v[38:39], v[38:39], 0, v[52:53]
	v_cmp_lt_u64_e32 vcc, v[8:9], v[38:39]
	s_and_saveexec_b64 s[40:41], vcc
	s_cbranch_execz .LBB9_617
; %bb.609:                              ;   in Loop: Header=BB9_575 Depth=2
	s_mov_b32 s74, 0
	s_mov_b64 s[42:43], 0
                                        ; implicit-def: $sgpr44_sgpr45
                                        ; implicit-def: $sgpr46_sgpr47
	s_branch .LBB9_611
.LBB9_610:                              ;   in Loop: Header=BB9_611 Depth=3
	s_or_b64 exec, exec, s[58:59]
	s_and_b64 s[56:57], exec, s[60:61]
	s_or_b64 s[42:43], s[56:57], s[42:43]
	s_andn2_b64 s[44:45], s[44:45], exec
	s_and_b64 s[56:57], s[46:47], exec
	s_or_b64 s[44:45], s[44:45], s[56:57]
	s_andn2_b64 exec, exec, s[42:43]
	s_cbranch_execz .LBB9_615
.LBB9_611:                              ;   Parent Loop BB9_47 Depth=1
                                        ;     Parent Loop BB9_575 Depth=2
                                        ; =>    This Inner Loop Header: Depth=3
	s_add_i32 s74, s74, 1
	s_cmpk_lg_i32 s74, 0x2710
	s_cselect_b64 s[56:57], -1, 0
	s_and_b64 vcc, exec, s[56:57]
	s_cbranch_vccz .LBB9_613
; %bb.612:                              ;   in Loop: Header=BB9_611 Depth=3
	s_mov_b64 s[60:61], -1
	s_or_b64 s[46:47], s[46:47], exec
	s_and_saveexec_b64 s[58:59], s[56:57]
	s_cbranch_execz .LBB9_610
	s_branch .LBB9_614
.LBB9_613:                              ;   in Loop: Header=BB9_611 Depth=3
	s_trap 2
	ds_read_b64 v[8:9], v0
	s_andn2_b64 s[56:57], s[56:57], exec
	s_mov_b32 s74, 0
	s_waitcnt vmcnt(0) lgkmcnt(0)
	flat_load_dword v2, v[8:9] sc0 sc1
	s_waitcnt vmcnt(0) lgkmcnt(0)
	buffer_inv sc0 sc1
	v_cmp_eq_u32_e32 vcc, 0, v2
	s_and_b64 s[58:59], vcc, exec
	s_or_b64 s[56:57], s[56:57], s[58:59]
	s_mov_b64 s[60:61], -1
	s_or_b64 s[46:47], s[46:47], exec
	s_and_saveexec_b64 s[58:59], s[56:57]
	s_cbranch_execz .LBB9_610
.LBB9_614:                              ;   in Loop: Header=BB9_611 Depth=3
	s_sleep 1
	s_trap 2
	ds_read_b64 v[8:9], v0
	s_waitcnt lgkmcnt(0)
	s_andn2_b64 s[46:47], s[46:47], exec
	v_cmp_ge_u64_e32 vcc, v[8:9], v[38:39]
	s_orn2_b64 s[60:61], vcc, exec
	s_branch .LBB9_610
.LBB9_615:                              ;   in Loop: Header=BB9_575 Depth=2
	s_or_b64 exec, exec, s[42:43]
	s_and_saveexec_b64 s[42:43], s[44:45]
	s_xor_b64 s[42:43], exec, s[42:43]
	s_cbranch_execz .LBB9_617
; %bb.616:                              ;   in Loop: Header=BB9_575 Depth=2
	ds_write_b32 v0, v77
	s_trap 2
.LBB9_617:                              ;   in Loop: Header=BB9_575 Depth=2
	s_or_b64 exec, exec, s[40:41]
	;;#ASMSTART
	s_wakeup
	;;#ASMEND
.LBB9_618:                              ;   in Loop: Header=BB9_575 Depth=2
	s_or_b64 exec, exec, s[28:29]
.LBB9_619:                              ;   in Loop: Header=BB9_575 Depth=2
	s_andn2_saveexec_b64 s[26:27], s[26:27]
	s_cbranch_execz .LBB9_621
; %bb.620:                              ;   in Loop: Header=BB9_575 Depth=2
	s_waitcnt lgkmcnt(0)
	s_barrier
.LBB9_621:                              ;   in Loop: Header=BB9_575 Depth=2
	s_or_b64 exec, exec, s[26:27]
.LBB9_622:                              ;   in Loop: Header=BB9_575 Depth=2
	s_or_b64 exec, exec, s[24:25]
	s_trap 2
	ds_read_b32 v8, v0
	v_and_b32_e32 v2, 0x4000, v74
	v_cmp_ne_u32_e32 vcc, 0, v2
	s_xor_b64 s[24:25], s[2:3], -1
	s_and_b64 s[26:27], s[24:25], vcc
	s_and_saveexec_b64 s[24:25], s[26:27]
	s_cbranch_execz .LBB9_641
; %bb.623:                              ;   in Loop: Header=BB9_575 Depth=2
	s_and_saveexec_b64 s[26:27], s[76:77]
	s_xor_b64 s[26:27], exec, s[26:27]
	s_cbranch_execz .LBB9_638
; %bb.624:                              ;   in Loop: Header=BB9_575 Depth=2
	s_and_saveexec_b64 s[28:29], s[12:13]
	s_cbranch_execz .LBB9_637
; %bb.625:                              ;   in Loop: Header=BB9_575 Depth=2
	s_mov_b64 s[42:43], exec
	v_mbcnt_lo_u32_b32 v2, s42, 0
	v_mbcnt_hi_u32_b32 v2, s43, v2
	v_cmp_eq_u32_e32 vcc, 0, v2
	s_waitcnt lgkmcnt(0)
	s_and_saveexec_b64 s[40:41], vcc
	s_cbranch_execz .LBB9_627
; %bb.626:                              ;   in Loop: Header=BB9_575 Depth=2
	s_bcnt1_i32_b64 s42, s[42:43]
	v_mov_b32_e32 v2, s42
	ds_add_u64 v0, v[2:3]
	s_trap 2
.LBB9_627:                              ;   in Loop: Header=BB9_575 Depth=2
	s_or_b64 exec, exec, s[40:41]
	s_trap 2
	ds_read_b64 v[10:11], v0
	s_waitcnt lgkmcnt(0)
	v_lshl_add_u64 v[38:39], v[38:39], 0, v[52:53]
	v_cmp_lt_u64_e32 vcc, v[10:11], v[38:39]
	s_and_saveexec_b64 s[40:41], vcc
	s_cbranch_execz .LBB9_636
; %bb.628:                              ;   in Loop: Header=BB9_575 Depth=2
	s_mov_b32 s74, 0
	s_mov_b64 s[42:43], 0
                                        ; implicit-def: $sgpr44_sgpr45
                                        ; implicit-def: $sgpr46_sgpr47
	s_branch .LBB9_630
.LBB9_629:                              ;   in Loop: Header=BB9_630 Depth=3
	s_or_b64 exec, exec, s[58:59]
	s_and_b64 s[56:57], exec, s[60:61]
	s_or_b64 s[42:43], s[56:57], s[42:43]
	s_andn2_b64 s[44:45], s[44:45], exec
	s_and_b64 s[56:57], s[46:47], exec
	s_or_b64 s[44:45], s[44:45], s[56:57]
	s_andn2_b64 exec, exec, s[42:43]
	s_cbranch_execz .LBB9_634
.LBB9_630:                              ;   Parent Loop BB9_47 Depth=1
                                        ;     Parent Loop BB9_575 Depth=2
                                        ; =>    This Inner Loop Header: Depth=3
	s_add_i32 s74, s74, 1
	s_cmpk_lg_i32 s74, 0x2710
	s_cselect_b64 s[56:57], -1, 0
	s_and_b64 vcc, exec, s[56:57]
	s_cbranch_vccz .LBB9_632
; %bb.631:                              ;   in Loop: Header=BB9_630 Depth=3
	s_mov_b64 s[60:61], -1
	s_or_b64 s[46:47], s[46:47], exec
	s_and_saveexec_b64 s[58:59], s[56:57]
	s_cbranch_execz .LBB9_629
	s_branch .LBB9_633
.LBB9_632:                              ;   in Loop: Header=BB9_630 Depth=3
	s_trap 2
	ds_read_b64 v[10:11], v0
	s_andn2_b64 s[56:57], s[56:57], exec
	s_mov_b32 s74, 0
	s_waitcnt vmcnt(0) lgkmcnt(0)
	flat_load_dword v2, v[10:11] sc0 sc1
	s_waitcnt vmcnt(0) lgkmcnt(0)
	buffer_inv sc0 sc1
	v_cmp_eq_u32_e32 vcc, 0, v2
	s_and_b64 s[58:59], vcc, exec
	s_or_b64 s[56:57], s[56:57], s[58:59]
	s_mov_b64 s[60:61], -1
	s_or_b64 s[46:47], s[46:47], exec
	s_and_saveexec_b64 s[58:59], s[56:57]
	s_cbranch_execz .LBB9_629
.LBB9_633:                              ;   in Loop: Header=BB9_630 Depth=3
	s_sleep 1
	s_trap 2
	ds_read_b64 v[10:11], v0
	s_waitcnt lgkmcnt(0)
	s_andn2_b64 s[46:47], s[46:47], exec
	v_cmp_ge_u64_e32 vcc, v[10:11], v[38:39]
	s_orn2_b64 s[60:61], vcc, exec
	s_branch .LBB9_629
.LBB9_634:                              ;   in Loop: Header=BB9_575 Depth=2
	s_or_b64 exec, exec, s[42:43]
	s_and_saveexec_b64 s[42:43], s[44:45]
	s_xor_b64 s[42:43], exec, s[42:43]
	s_cbranch_execz .LBB9_636
; %bb.635:                              ;   in Loop: Header=BB9_575 Depth=2
	ds_write_b32 v0, v77
	s_trap 2
.LBB9_636:                              ;   in Loop: Header=BB9_575 Depth=2
	s_or_b64 exec, exec, s[40:41]
	;;#ASMSTART
	s_wakeup
	;;#ASMEND
.LBB9_637:                              ;   in Loop: Header=BB9_575 Depth=2
	s_or_b64 exec, exec, s[28:29]
.LBB9_638:                              ;   in Loop: Header=BB9_575 Depth=2
	s_andn2_saveexec_b64 s[26:27], s[26:27]
	s_cbranch_execz .LBB9_640
; %bb.639:                              ;   in Loop: Header=BB9_575 Depth=2
	s_waitcnt lgkmcnt(0)
	s_barrier
.LBB9_640:                              ;   in Loop: Header=BB9_575 Depth=2
	s_or_b64 exec, exec, s[26:27]
.LBB9_641:                              ;   in Loop: Header=BB9_575 Depth=2
	s_or_b64 exec, exec, s[24:25]
	s_trap 2
	ds_read_b64 v[42:43], v0
	s_waitcnt lgkmcnt(0)
	v_cmp_eq_u64_e32 vcc, 0, v[42:43]
	s_cbranch_vccnz .LBB9_650
; %bb.642:                              ;   in Loop: Header=BB9_575 Depth=2
	s_trap 2
	ds_read_b64 v[40:41], v0
	s_waitcnt lgkmcnt(0)
	v_cmp_eq_u64_e32 vcc, 0, v[40:41]
	s_cbranch_vccnz .LBB9_650
; %bb.643:                              ;   in Loop: Header=BB9_575 Depth=2
	s_trap 2
	ds_read_b64 v[44:45], v0
	v_cmp_eq_u32_e32 vcc, 0, v8
	s_waitcnt lgkmcnt(0)
	v_readfirstlane_b32 s98, v44
	v_cndmask_b32_e32 v21, 0, v20, vcc
	v_cmp_ne_u64_e32 vcc, 0, v[44:45]
	s_cbranch_vccz .LBB9_651
; %bb.644:                              ;   in Loop: Header=BB9_575 Depth=2
	s_trap 2
	ds_read_b64 v[46:47], v0
	s_mov_b64 s[24:25], -1
	s_and_saveexec_b64 s[26:27], s[18:19]
	s_cbranch_execz .LBB9_646
; %bb.645:                              ;   in Loop: Header=BB9_575 Depth=2
	ds_read_b32 v2, v0 offset:720
	s_waitcnt lgkmcnt(0)
	v_and_b32_e32 v2, 15, v2
	v_cmp_eq_u32_e32 vcc, 0, v2
	s_orn2_b64 s[24:25], vcc, exec
.LBB9_646:                              ;   in Loop: Header=BB9_575 Depth=2
	s_or_b64 exec, exec, s[26:27]
	s_and_saveexec_b64 s[26:27], s[18:19]
	s_cbranch_execz .LBB9_648
; %bb.647:                              ;   in Loop: Header=BB9_575 Depth=2
	ds_read_b32 v2, v0 offset:784
	s_waitcnt lgkmcnt(0)
	v_and_b32_e32 v2, 15, v2
	v_cmp_eq_u32_e32 vcc, 0, v2
	s_and_b64 s[28:29], s[24:25], vcc
	s_andn2_b64 s[24:25], s[24:25], exec
	s_and_b64 s[28:29], s[28:29], exec
	s_or_b64 s[24:25], s[24:25], s[28:29]
.LBB9_648:                              ;   in Loop: Header=BB9_575 Depth=2
	s_or_b64 exec, exec, s[26:27]
	s_xor_b64 s[24:25], s[24:25], -1
	v_cndmask_b32_e64 v8, 0, 1, s[24:25]
	v_lshlrev_b32_e32 v23, 1, v21
	s_mov_b64 s[26:27], -1
	v_mov_b32_e32 v2, 0
	v_cmp_ne_u32_e32 vcc, 0, v8
	s_cbranch_vccz .LBB9_653
; %bb.649:                              ;   in Loop: Header=BB9_575 Depth=2
	v_mov_b32_e32 v18, v0
	s_and_saveexec_b64 s[40:41], s[26:27]
	s_cbranch_execnz .LBB9_732
	s_branch .LBB9_778
.LBB9_650:                              ;   in Loop: Header=BB9_575 Depth=2
	s_mov_b64 s[24:25], 0
	s_and_saveexec_b64 s[26:27], s[4:5]
	s_cbranch_execz .LBB9_923
	s_branch .LBB9_905
.LBB9_651:                              ;   in Loop: Header=BB9_575 Depth=2
	s_cbranch_execnz .LBB9_779
.LBB9_652:                              ;   in Loop: Header=BB9_575 Depth=2
	v_cmp_lt_i32_e64 s[24:25], 0, v21
	s_and_saveexec_b64 s[26:27], s[4:5]
	s_cbranch_execnz .LBB9_905
	s_branch .LBB9_923
.LBB9_653:                              ;   in Loop: Header=BB9_575 Depth=2
	v_ashrrev_i32_e32 v2, 31, v23
	v_lshrrev_b32_e32 v2, 22, v2
	v_add_u32_e32 v2, v23, v2
	v_and_b32_e32 v92, 0xfffffc00, v2
	v_ashrrev_i32_e32 v8, 10, v2
	v_sub_u32_e32 v94, v23, v92
	v_sub_u32_e32 v2, v8, v76
	v_cmp_lt_i32_e64 s[24:25], 15, v94
	v_sub_u32_e32 v91, v23, v54
	s_nop 0
	v_addc_co_u32_e64 v93, vcc, 0, v2, s[24:25]
	v_cmp_lt_i32_e32 vcc, 15, v91
	s_and_saveexec_b64 s[52:53], vcc
	s_cbranch_execz .LBB9_691
; %bb.654:                              ;   in Loop: Header=BB9_575 Depth=2
	s_trap 2
	ds_read_b64 v[8:9], v0
	s_and_b32 s74, s98, 1
	s_cmp_eq_u64 s[74:75], 0
	s_waitcnt lgkmcnt(0)
	v_lshl_add_u64 v[56:57], v[46:47], 0, v[54:55]
	v_lshl_add_u64 v[58:59], v[40:41], 0, v[54:55]
	;; [unrolled: 1-line block ×5, first 2 shown]
	s_mov_b64 s[54:55], 0
	s_cselect_b64 s[26:27], -1, 0
.LBB9_655:                              ;   Parent Loop BB9_47 Depth=1
                                        ;     Parent Loop BB9_575 Depth=2
                                        ; =>    This Loop Header: Depth=3
                                        ;         Child Loop BB9_688 Depth 4
	global_load_dwordx4 v[12:15], v[72:73], off nt
	global_load_dwordx4 v[16:19], v[62:63], off nt
	;; [unrolled: 1-line block ×3, first 2 shown]
	s_waitcnt vmcnt(0)
	v_lshlrev_b32_e32 v2, 16, v12
	v_lshlrev_b32_e32 v95, 16, v16
	v_max_f32_e32 v2, v2, v2
	v_max_f32_e32 v95, v95, v95
	v_min_f32_e32 v104, v95, v2
	v_max_f32_e32 v2, v95, v2
	v_cndmask_b32_e64 v2, v2, v104, s[26:27]
	v_and_b32_e32 v95, 0x7f800000, v2
	v_cmp_ne_u32_e32 vcc, s70, v95
                                        ; implicit-def: $vgpr95
	s_and_saveexec_b64 s[28:29], vcc
	s_xor_b64 s[28:29], exec, s[28:29]
; %bb.656:                              ;   in Loop: Header=BB9_655 Depth=3
	v_bfe_u32 v95, v2, 16, 1
	v_add3_u32 v95, v2, v95, s71
                                        ; implicit-def: $vgpr2
; %bb.657:                              ;   in Loop: Header=BB9_655 Depth=3
	s_andn2_saveexec_b64 s[28:29], s[28:29]
; %bb.658:                              ;   in Loop: Header=BB9_655 Depth=3
	v_or_b32_e32 v95, 0x10000, v2
	v_cmp_eq_u32_sdwa vcc, v2, v3 src0_sel:WORD_0 src1_sel:DWORD
	s_nop 1
	v_cndmask_b32_e32 v95, v95, v2, vcc
; %bb.659:                              ;   in Loop: Header=BB9_655 Depth=3
	s_or_b64 exec, exec, s[28:29]
	v_and_b32_e32 v2, 0xffff0000, v12
	v_and_b32_e32 v12, 0xffff0000, v16
	v_max_f32_e32 v2, v2, v2
	v_max_f32_e32 v12, v12, v12
	v_min_f32_e32 v16, v12, v2
	v_max_f32_e32 v2, v12, v2
	v_cndmask_b32_e64 v12, v2, v16, s[26:27]
	v_and_b32_e32 v2, 0x7f800000, v12
	v_cmp_ne_u32_e32 vcc, s70, v2
                                        ; implicit-def: $vgpr2
	s_and_saveexec_b64 s[28:29], vcc
	s_xor_b64 s[28:29], exec, s[28:29]
; %bb.660:                              ;   in Loop: Header=BB9_655 Depth=3
	v_bfe_u32 v2, v12, 16, 1
	v_add3_u32 v2, v12, v2, s71
                                        ; implicit-def: $vgpr12
; %bb.661:                              ;   in Loop: Header=BB9_655 Depth=3
	s_andn2_saveexec_b64 s[28:29], s[28:29]
; %bb.662:                              ;   in Loop: Header=BB9_655 Depth=3
	v_or_b32_e32 v2, 0x10000, v12
	v_cmp_eq_u32_sdwa vcc, v12, v3 src0_sel:WORD_0 src1_sel:DWORD
	s_nop 1
	v_cndmask_b32_e32 v2, v2, v12, vcc
; %bb.663:                              ;   in Loop: Header=BB9_655 Depth=3
	s_or_b64 exec, exec, s[28:29]
	v_lshlrev_b32_e32 v12, 16, v13
	v_lshlrev_b32_e32 v16, 16, v17
	v_max_f32_e32 v12, v12, v12
	v_max_f32_e32 v16, v16, v16
	v_min_f32_e32 v104, v16, v12
	v_max_f32_e32 v12, v16, v12
	v_cndmask_b32_e64 v12, v12, v104, s[26:27]
	v_and_b32_e32 v16, 0x7f800000, v12
	v_cmp_ne_u32_e32 vcc, s70, v16
                                        ; implicit-def: $vgpr16
	s_and_saveexec_b64 s[28:29], vcc
	s_xor_b64 s[28:29], exec, s[28:29]
; %bb.664:                              ;   in Loop: Header=BB9_655 Depth=3
	v_bfe_u32 v16, v12, 16, 1
	v_add3_u32 v16, v12, v16, s71
                                        ; implicit-def: $vgpr12
; %bb.665:                              ;   in Loop: Header=BB9_655 Depth=3
	s_andn2_saveexec_b64 s[28:29], s[28:29]
; %bb.666:                              ;   in Loop: Header=BB9_655 Depth=3
	v_or_b32_e32 v16, 0x10000, v12
	v_cmp_eq_u32_sdwa vcc, v12, v3 src0_sel:WORD_0 src1_sel:DWORD
	s_nop 1
	v_cndmask_b32_e32 v16, v16, v12, vcc
; %bb.667:                              ;   in Loop: Header=BB9_655 Depth=3
	s_or_b64 exec, exec, s[28:29]
	v_and_b32_e32 v12, 0xffff0000, v17
	v_and_b32_e32 v13, 0xffff0000, v13
	v_max_f32_e32 v13, v13, v13
	v_max_f32_e32 v12, v12, v12
	v_min_f32_e32 v17, v12, v13
	v_max_f32_e32 v12, v12, v13
	v_cndmask_b32_e64 v13, v12, v17, s[26:27]
	v_and_b32_e32 v12, 0x7f800000, v13
	v_cmp_ne_u32_e32 vcc, s70, v12
                                        ; implicit-def: $vgpr12
	s_and_saveexec_b64 s[28:29], vcc
	s_xor_b64 s[28:29], exec, s[28:29]
; %bb.668:                              ;   in Loop: Header=BB9_655 Depth=3
	v_bfe_u32 v12, v13, 16, 1
	v_add3_u32 v12, v13, v12, s71
                                        ; implicit-def: $vgpr13
; %bb.669:                              ;   in Loop: Header=BB9_655 Depth=3
	s_andn2_saveexec_b64 s[28:29], s[28:29]
; %bb.670:                              ;   in Loop: Header=BB9_655 Depth=3
	v_or_b32_e32 v12, 0x10000, v13
	v_cmp_eq_u32_sdwa vcc, v13, v3 src0_sel:WORD_0 src1_sel:DWORD
	s_nop 1
	v_cndmask_b32_e32 v12, v12, v13, vcc
; %bb.671:                              ;   in Loop: Header=BB9_655 Depth=3
	s_or_b64 exec, exec, s[28:29]
	v_lshlrev_b32_e32 v13, 16, v14
	v_lshlrev_b32_e32 v17, 16, v18
	v_max_f32_e32 v13, v13, v13
	v_max_f32_e32 v17, v17, v17
	v_min_f32_e32 v104, v17, v13
	v_max_f32_e32 v13, v17, v13
	v_cndmask_b32_e64 v13, v13, v104, s[26:27]
	v_and_b32_e32 v17, 0x7f800000, v13
	v_cmp_ne_u32_e32 vcc, s70, v17
                                        ; implicit-def: $vgpr17
	s_and_saveexec_b64 s[28:29], vcc
	s_xor_b64 s[28:29], exec, s[28:29]
; %bb.672:                              ;   in Loop: Header=BB9_655 Depth=3
	v_bfe_u32 v17, v13, 16, 1
	v_add3_u32 v17, v13, v17, s71
                                        ; implicit-def: $vgpr13
; %bb.673:                              ;   in Loop: Header=BB9_655 Depth=3
	s_andn2_saveexec_b64 s[28:29], s[28:29]
; %bb.674:                              ;   in Loop: Header=BB9_655 Depth=3
	v_or_b32_e32 v17, 0x10000, v13
	v_cmp_eq_u32_sdwa vcc, v13, v3 src0_sel:WORD_0 src1_sel:DWORD
	s_nop 1
	v_cndmask_b32_e32 v17, v17, v13, vcc
; %bb.675:                              ;   in Loop: Header=BB9_655 Depth=3
	s_or_b64 exec, exec, s[28:29]
	v_and_b32_e32 v13, 0xffff0000, v18
	v_and_b32_e32 v14, 0xffff0000, v14
	v_max_f32_e32 v14, v14, v14
	v_max_f32_e32 v13, v13, v13
	v_min_f32_e32 v18, v13, v14
	v_max_f32_e32 v13, v13, v14
	v_cndmask_b32_e64 v13, v13, v18, s[26:27]
	v_and_b32_e32 v14, 0x7f800000, v13
	v_cmp_ne_u32_e32 vcc, s70, v14
                                        ; implicit-def: $vgpr18
	s_and_saveexec_b64 s[28:29], vcc
	s_xor_b64 s[28:29], exec, s[28:29]
; %bb.676:                              ;   in Loop: Header=BB9_655 Depth=3
	v_bfe_u32 v14, v13, 16, 1
	v_add3_u32 v18, v13, v14, s71
                                        ; implicit-def: $vgpr13
; %bb.677:                              ;   in Loop: Header=BB9_655 Depth=3
	s_andn2_saveexec_b64 s[28:29], s[28:29]
; %bb.678:                              ;   in Loop: Header=BB9_655 Depth=3
	v_or_b32_e32 v14, 0x10000, v13
	v_cmp_eq_u32_sdwa vcc, v13, v3 src0_sel:WORD_0 src1_sel:DWORD
	s_nop 1
	v_cndmask_b32_e32 v18, v14, v13, vcc
; %bb.679:                              ;   in Loop: Header=BB9_655 Depth=3
	s_or_b64 exec, exec, s[28:29]
	v_lshlrev_b32_e32 v13, 16, v15
	v_lshlrev_b32_e32 v14, 16, v19
	v_max_f32_e32 v13, v13, v13
	v_max_f32_e32 v14, v14, v14
	v_min_f32_e32 v104, v14, v13
	v_max_f32_e32 v13, v14, v13
	v_cndmask_b32_e64 v13, v13, v104, s[26:27]
	v_and_b32_e32 v14, 0x7f800000, v13
	v_cmp_ne_u32_e32 vcc, s70, v14
                                        ; implicit-def: $vgpr14
	s_and_saveexec_b64 s[28:29], vcc
	s_xor_b64 s[28:29], exec, s[28:29]
; %bb.680:                              ;   in Loop: Header=BB9_655 Depth=3
	v_bfe_u32 v14, v13, 16, 1
	v_add3_u32 v14, v13, v14, s71
                                        ; implicit-def: $vgpr13
; %bb.681:                              ;   in Loop: Header=BB9_655 Depth=3
	s_andn2_saveexec_b64 s[28:29], s[28:29]
; %bb.682:                              ;   in Loop: Header=BB9_655 Depth=3
	v_or_b32_e32 v14, 0x10000, v13
	v_cmp_eq_u32_sdwa vcc, v13, v3 src0_sel:WORD_0 src1_sel:DWORD
	s_nop 1
	v_cndmask_b32_e32 v14, v14, v13, vcc
; %bb.683:                              ;   in Loop: Header=BB9_655 Depth=3
	s_or_b64 exec, exec, s[28:29]
	v_and_b32_e32 v13, 0xffff0000, v19
	v_and_b32_e32 v15, 0xffff0000, v15
	v_max_f32_e32 v15, v15, v15
	v_max_f32_e32 v13, v13, v13
	v_min_f32_e32 v19, v13, v15
	v_max_f32_e32 v13, v13, v15
	v_cndmask_b32_e64 v13, v13, v19, s[26:27]
	v_and_b32_e32 v15, 0x7f800000, v13
	v_cmp_ne_u32_e32 vcc, s70, v15
                                        ; implicit-def: $vgpr15
	s_and_saveexec_b64 s[28:29], vcc
	s_xor_b64 s[28:29], exec, s[28:29]
; %bb.684:                              ;   in Loop: Header=BB9_655 Depth=3
	v_bfe_u32 v15, v13, 16, 1
	v_add3_u32 v15, v13, v15, s71
                                        ; implicit-def: $vgpr13
; %bb.685:                              ;   in Loop: Header=BB9_655 Depth=3
	s_andn2_saveexec_b64 s[28:29], s[28:29]
; %bb.686:                              ;   in Loop: Header=BB9_655 Depth=3
	v_or_b32_e32 v15, 0x10000, v13
	v_cmp_eq_u32_sdwa vcc, v13, v3 src0_sel:WORD_0 src1_sel:DWORD
	s_nop 1
	v_cndmask_b32_e32 v15, v15, v13, vcc
; %bb.687:                              ;   in Loop: Header=BB9_655 Depth=3
	s_or_b64 exec, exec, s[28:29]
	v_and_b32_e32 v104, 0xffff0000, v2
	v_or_b32_sdwa v2, v104, v95 dst_sel:DWORD dst_unused:UNUSED_PAD src0_sel:DWORD src1_sel:WORD_1
	v_and_b32_e32 v106, 0xffff0000, v8
	v_and_b32_e32 v95, 0xffff0000, v95
	v_lshlrev_b32_e32 v8, 16, v8
	v_max_f32_e32 v95, v95, v95
	v_max_f32_e32 v8, v8, v8
	v_min_f32_e32 v107, v95, v8
	v_max_f32_e32 v8, v95, v8
	v_cndmask_b32_e64 v8, v8, v107, s[26:27]
	v_and_b32_e32 v95, 0x7f800000, v8
	v_cmp_eq_u32_e32 vcc, s70, v95
	v_bfe_u32 v95, v8, 16, 1
	v_cmp_eq_u32_sdwa s[28:29], v8, v3 src0_sel:WORD_0 src1_sel:DWORD
	v_or_b32_e32 v107, 0x10000, v8
	v_max_f32_e32 v104, v104, v104
	v_max_f32_e32 v106, v106, v106
	v_add3_u32 v95, v8, v95, s71
	v_cndmask_b32_e64 v8, v107, v8, s[28:29]
	v_min_f32_e32 v107, v104, v106
	v_max_f32_e32 v104, v104, v106
	v_cndmask_b32_e64 v104, v104, v107, s[26:27]
	v_and_b32_e32 v106, 0x7f800000, v104
	v_and_b32_e32 v19, 0xffff0000, v12
	v_cmp_eq_u32_e64 s[28:29], s70, v106
	v_bfe_u32 v106, v104, 16, 1
	v_cmp_eq_u32_sdwa s[40:41], v104, v3 src0_sel:WORD_0 src1_sel:DWORD
	v_or_b32_e32 v107, 0x10000, v104
	v_or_b32_sdwa v13, v19, v16 dst_sel:DWORD dst_unused:UNUSED_PAD src0_sel:DWORD src1_sel:WORD_1
	v_add3_u32 v106, v104, v106, s71
	v_cndmask_b32_e64 v104, v107, v104, s[40:41]
	v_and_b32_e32 v107, 0xffff0000, v9
	v_and_b32_e32 v16, 0xffff0000, v16
	v_lshlrev_b32_e32 v9, 16, v9
	v_max_f32_e32 v16, v16, v16
	v_max_f32_e32 v9, v9, v9
	v_min_f32_e32 v110, v16, v9
	v_max_f32_e32 v9, v16, v9
	v_cndmask_b32_e64 v9, v9, v110, s[26:27]
	v_and_b32_e32 v16, 0x7f800000, v9
	v_cmp_eq_u32_e64 s[40:41], s70, v16
	v_bfe_u32 v16, v9, 16, 1
	v_cmp_eq_u32_sdwa s[42:43], v9, v3 src0_sel:WORD_0 src1_sel:DWORD
	v_or_b32_e32 v110, 0x10000, v9
	v_max_f32_e32 v19, v19, v19
	v_max_f32_e32 v107, v107, v107
	v_add3_u32 v16, v9, v16, s71
	v_cndmask_b32_e64 v9, v110, v9, s[42:43]
	v_min_f32_e32 v110, v19, v107
	v_max_f32_e32 v19, v19, v107
	v_cndmask_b32_e64 v19, v19, v110, s[26:27]
	v_and_b32_e32 v107, 0x7f800000, v19
	v_and_b32_e32 v18, 0xffff0000, v18
	v_cmp_eq_u32_e64 s[42:43], s70, v107
	v_bfe_u32 v107, v19, 16, 1
	v_cmp_eq_u32_sdwa s[44:45], v19, v3 src0_sel:WORD_0 src1_sel:DWORD
	v_or_b32_e32 v110, 0x10000, v19
	v_or_b32_sdwa v12, v18, v17 dst_sel:DWORD dst_unused:UNUSED_PAD src0_sel:DWORD src1_sel:WORD_1
	v_add3_u32 v107, v19, v107, s71
	v_cndmask_b32_e64 v19, v110, v19, s[44:45]
	v_and_b32_e32 v110, 0xffff0000, v10
	v_and_b32_e32 v17, 0xffff0000, v17
	v_lshlrev_b32_e32 v10, 16, v10
	v_max_f32_e32 v17, v17, v17
	v_max_f32_e32 v10, v10, v10
	v_min_f32_e32 v111, v17, v10
	v_max_f32_e32 v10, v17, v10
	v_cndmask_b32_e64 v10, v10, v111, s[26:27]
	v_and_b32_e32 v17, 0x7f800000, v10
	v_cmp_eq_u32_e64 s[44:45], s70, v17
	;; [unrolled: 29-line block ×3, first 2 shown]
	v_bfe_u32 v14, v11, 16, 1
	v_cmp_eq_u32_sdwa s[58:59], v11, v3 src0_sel:WORD_0 src1_sel:DWORD
	v_or_b32_e32 v120, 0x10000, v11
	v_max_f32_e32 v105, v105, v105
	v_max_f32_e32 v111, v111, v111
	v_add3_u32 v14, v11, v14, s71
	v_cndmask_b32_e64 v11, v120, v11, s[58:59]
	v_min_f32_e32 v120, v105, v111
	v_max_f32_e32 v105, v105, v111
	v_cndmask_b32_e64 v105, v105, v120, s[26:27]
	v_and_b32_e32 v111, 0x7f800000, v105
	v_cmp_eq_u32_e64 s[58:59], s70, v111
	v_bfe_u32 v111, v105, 16, 1
	v_cmp_eq_u32_sdwa s[60:61], v105, v3 src0_sel:WORD_0 src1_sel:DWORD
	v_or_b32_e32 v120, 0x10000, v105
	v_add3_u32 v111, v105, v111, s71
	v_cndmask_b32_e64 v105, v120, v105, s[60:61]
	v_cndmask_b32_e32 v8, v95, v8, vcc
	v_cndmask_b32_e64 v9, v16, v9, s[40:41]
	v_cndmask_b32_e64 v10, v17, v10, s[44:45]
	;; [unrolled: 1-line block ×7, first 2 shown]
	v_lshrrev_b32_e32 v9, 16, v9
	v_lshrrev_b32_e32 v8, 16, v8
	v_lshrrev_b32_e32 v10, 16, v10
	v_lshrrev_b32_e32 v11, 16, v11
	v_and_or_b32 v9, v16, s80, v9
	v_and_or_b32 v8, v95, s80, v8
	;; [unrolled: 1-line block ×4, first 2 shown]
	s_mov_b64 s[44:45], 0
	s_mov_b64 s[42:43], -1
.LBB9_688:                              ;   Parent Loop BB9_47 Depth=1
                                        ;     Parent Loop BB9_575 Depth=2
                                        ;       Parent Loop BB9_655 Depth=3
                                        ; =>      This Inner Loop Header: Depth=4
	v_cndmask_b32_e64 v14, 0, 1, s[42:43]
	s_cmp_eq_u32 s44, 1
	v_cmp_ne_u32_e32 vcc, 1, v14
	s_cselect_b64 s[28:29], -1, 0
	v_cndmask_b32_e64 v17, v13, v9, s[42:43]
	v_cndmask_b32_e64 v16, v2, v8, s[42:43]
	;; [unrolled: 1-line block ×4, first 2 shown]
	v_cndmask_b32_e32 v105, v59, v61, vcc
	v_cndmask_b32_e64 v107, v59, v61, s[28:29]
	s_cmp_eq_u32 s44, 0
	v_cndmask_b32_e32 v104, v58, v60, vcc
	v_cndmask_b32_e64 v106, v58, v60, s[28:29]
	global_store_dwordx4 v[104:105], v[16:19], off
	s_cselect_b64 vcc, -1, 0
	s_and_b64 s[40:41], exec, s[42:43]
	v_lshl_add_u64 v[16:17], v[106:107], 0, s[88:89]
	s_mov_b64 s[44:45], 1
	s_mov_b64 s[42:43], 0
	v_cndmask_b32_e64 v61, v61, v17, s[28:29]
	v_cndmask_b32_e64 v60, v60, v16, s[28:29]
	v_cndmask_b32_e32 v59, v59, v17, vcc
	v_cndmask_b32_e32 v58, v58, v16, vcc
	s_mov_b64 vcc, s[40:41]
	s_cbranch_vccnz .LBB9_688
; %bb.689:                              ;   in Loop: Header=BB9_655 Depth=3
	v_sub_u32_e32 v91, v91, v80
	v_cmp_gt_i32_e32 vcc, 16, v91
	v_lshl_add_u64 v[62:63], v[62:63], 0, v[98:99]
	v_lshl_add_u64 v[72:73], v[72:73], 0, v[98:99]
	;; [unrolled: 1-line block ×5, first 2 shown]
	s_or_b64 s[54:55], vcc, s[54:55]
	v_sub_u32_e32 v93, v93, v52
	s_andn2_b64 exec, exec, s[54:55]
	s_cbranch_execnz .LBB9_655
; %bb.690:                              ;   in Loop: Header=BB9_575 Depth=2
	s_or_b64 exec, exec, s[54:55]
.LBB9_691:                              ;   in Loop: Header=BB9_575 Depth=2
	s_or_b64 exec, exec, s[52:53]
	v_and_b32_e32 v8, 14, v23
	v_cndmask_b32_e64 v91, v94, v8, s[24:25]
	v_mov_b32_e32 v2, 0
	v_cmp_ne_u32_e32 vcc, 0, v91
	s_mov_b64 s[26:27], 0
                                        ; implicit-def: $vgpr23
                                        ; implicit-def: $vgpr18
	s_and_saveexec_b64 s[52:53], vcc
	s_cbranch_execz .LBB9_731
; %bb.692:                              ;   in Loop: Header=BB9_575 Depth=2
	v_sub_u32_e32 v2, v94, v8
	v_cndmask_b32_e64 v2, 0, v2, s[24:25]
	v_cmp_lt_i32_e32 vcc, 0, v93
	v_add_u32_e32 v23, v2, v92
	s_nop 0
	v_cndmask_b32_e32 v2, 0, v52, vcc
	v_sub_u32_e32 v2, v2, v93
	v_lshl_or_b32 v2, v2, 6, v75
	v_ashrrev_i32_e32 v8, 31, v2
	v_lshrrev_b32_e32 v8, 26, v8
	v_add_u32_e32 v8, v2, v8
	v_ashrrev_i32_e32 v9, 6, v8
	v_and_b32_e32 v8, 0xffffffc0, v8
	v_sub_u32_e32 v92, v2, v8
	v_ashrrev_i32_e32 v8, 31, v91
	v_lshrrev_b32_e32 v8, 22, v8
	v_add_u32_e32 v8, v91, v8
	v_and_b32_e32 v93, 0xfffffc00, v8
	v_lshlrev_b32_e32 v2, 4, v92
	v_sub_u32_e32 v94, v91, v93
	v_lshl_add_u32 v2, v9, 10, v2
	v_ashrrev_i32_e32 v10, 10, v8
	v_cmp_lt_i32_e64 s[24:25], 15, v94
	v_sub_u32_e32 v104, v91, v2
	s_nop 0
	v_addc_co_u32_e64 v8, vcc, 0, v10, s[24:25]
	v_sub_u32_e32 v95, v8, v9
	v_cmp_lt_i32_e32 vcc, 15, v104
	s_and_saveexec_b64 s[54:55], vcc
	s_cbranch_execz .LBB9_730
; %bb.693:                              ;   in Loop: Header=BB9_575 Depth=2
	s_trap 2
	ds_read_b64 v[10:11], v0
	v_add_u32_e32 v8, v2, v23
	s_and_b32 s74, s98, 1
	v_ashrrev_i32_e32 v9, 31, v8
	s_cmp_eq_u64 s[74:75], 0
	s_waitcnt lgkmcnt(0)
	v_lshl_add_u64 v[56:57], v[8:9], 0, v[46:47]
	v_lshl_add_u64 v[58:59], v[8:9], 0, v[40:41]
	;; [unrolled: 1-line block ×5, first 2 shown]
	s_mov_b64 s[64:65], 0
	s_cselect_b64 s[26:27], -1, 0
.LBB9_694:                              ;   Parent Loop BB9_47 Depth=1
                                        ;     Parent Loop BB9_575 Depth=2
                                        ; =>    This Loop Header: Depth=3
                                        ;         Child Loop BB9_727 Depth 4
	global_load_dwordx4 v[12:15], v[72:73], off nt
	global_load_dwordx4 v[16:19], v[62:63], off nt
	;; [unrolled: 1-line block ×3, first 2 shown]
	s_waitcnt vmcnt(0)
	v_lshlrev_b32_e32 v2, 16, v12
	v_lshlrev_b32_e32 v105, 16, v16
	v_max_f32_e32 v2, v2, v2
	v_max_f32_e32 v105, v105, v105
	v_min_f32_e32 v106, v105, v2
	v_max_f32_e32 v2, v105, v2
	v_cndmask_b32_e64 v2, v2, v106, s[26:27]
	v_and_b32_e32 v105, 0x7f800000, v2
	v_cmp_ne_u32_e32 vcc, s70, v105
                                        ; implicit-def: $vgpr105
	s_and_saveexec_b64 s[28:29], vcc
	s_xor_b64 s[28:29], exec, s[28:29]
; %bb.695:                              ;   in Loop: Header=BB9_694 Depth=3
	v_bfe_u32 v105, v2, 16, 1
	v_add3_u32 v105, v2, v105, s71
                                        ; implicit-def: $vgpr2
; %bb.696:                              ;   in Loop: Header=BB9_694 Depth=3
	s_andn2_saveexec_b64 s[28:29], s[28:29]
; %bb.697:                              ;   in Loop: Header=BB9_694 Depth=3
	v_or_b32_e32 v105, 0x10000, v2
	v_cmp_eq_u32_sdwa vcc, v2, v3 src0_sel:WORD_0 src1_sel:DWORD
	s_nop 1
	v_cndmask_b32_e32 v105, v105, v2, vcc
; %bb.698:                              ;   in Loop: Header=BB9_694 Depth=3
	s_or_b64 exec, exec, s[28:29]
	v_and_b32_e32 v2, 0xffff0000, v12
	v_and_b32_e32 v12, 0xffff0000, v16
	v_max_f32_e32 v2, v2, v2
	v_max_f32_e32 v12, v12, v12
	v_min_f32_e32 v16, v12, v2
	v_max_f32_e32 v2, v12, v2
	v_cndmask_b32_e64 v12, v2, v16, s[26:27]
	v_and_b32_e32 v2, 0x7f800000, v12
	v_cmp_ne_u32_e32 vcc, s70, v2
                                        ; implicit-def: $vgpr2
	s_and_saveexec_b64 s[28:29], vcc
	s_xor_b64 s[28:29], exec, s[28:29]
; %bb.699:                              ;   in Loop: Header=BB9_694 Depth=3
	v_bfe_u32 v2, v12, 16, 1
	v_add3_u32 v2, v12, v2, s71
                                        ; implicit-def: $vgpr12
; %bb.700:                              ;   in Loop: Header=BB9_694 Depth=3
	s_andn2_saveexec_b64 s[28:29], s[28:29]
; %bb.701:                              ;   in Loop: Header=BB9_694 Depth=3
	v_or_b32_e32 v2, 0x10000, v12
	v_cmp_eq_u32_sdwa vcc, v12, v3 src0_sel:WORD_0 src1_sel:DWORD
	s_nop 1
	v_cndmask_b32_e32 v2, v2, v12, vcc
; %bb.702:                              ;   in Loop: Header=BB9_694 Depth=3
	s_or_b64 exec, exec, s[28:29]
	v_lshlrev_b32_e32 v12, 16, v13
	v_lshlrev_b32_e32 v16, 16, v17
	v_max_f32_e32 v12, v12, v12
	v_max_f32_e32 v16, v16, v16
	v_min_f32_e32 v106, v16, v12
	v_max_f32_e32 v12, v16, v12
	v_cndmask_b32_e64 v12, v12, v106, s[26:27]
	v_and_b32_e32 v16, 0x7f800000, v12
	v_cmp_ne_u32_e32 vcc, s70, v16
                                        ; implicit-def: $vgpr16
	s_and_saveexec_b64 s[28:29], vcc
	s_xor_b64 s[28:29], exec, s[28:29]
; %bb.703:                              ;   in Loop: Header=BB9_694 Depth=3
	v_bfe_u32 v16, v12, 16, 1
	v_add3_u32 v16, v12, v16, s71
                                        ; implicit-def: $vgpr12
; %bb.704:                              ;   in Loop: Header=BB9_694 Depth=3
	s_andn2_saveexec_b64 s[28:29], s[28:29]
; %bb.705:                              ;   in Loop: Header=BB9_694 Depth=3
	v_or_b32_e32 v16, 0x10000, v12
	v_cmp_eq_u32_sdwa vcc, v12, v3 src0_sel:WORD_0 src1_sel:DWORD
	s_nop 1
	v_cndmask_b32_e32 v16, v16, v12, vcc
; %bb.706:                              ;   in Loop: Header=BB9_694 Depth=3
	s_or_b64 exec, exec, s[28:29]
	v_and_b32_e32 v12, 0xffff0000, v17
	v_and_b32_e32 v13, 0xffff0000, v13
	v_max_f32_e32 v13, v13, v13
	v_max_f32_e32 v12, v12, v12
	v_min_f32_e32 v17, v12, v13
	v_max_f32_e32 v12, v12, v13
	v_cndmask_b32_e64 v13, v12, v17, s[26:27]
	v_and_b32_e32 v12, 0x7f800000, v13
	v_cmp_ne_u32_e32 vcc, s70, v12
                                        ; implicit-def: $vgpr12
	s_and_saveexec_b64 s[28:29], vcc
	s_xor_b64 s[28:29], exec, s[28:29]
; %bb.707:                              ;   in Loop: Header=BB9_694 Depth=3
	v_bfe_u32 v12, v13, 16, 1
	v_add3_u32 v12, v13, v12, s71
                                        ; implicit-def: $vgpr13
; %bb.708:                              ;   in Loop: Header=BB9_694 Depth=3
	s_andn2_saveexec_b64 s[28:29], s[28:29]
; %bb.709:                              ;   in Loop: Header=BB9_694 Depth=3
	v_or_b32_e32 v12, 0x10000, v13
	v_cmp_eq_u32_sdwa vcc, v13, v3 src0_sel:WORD_0 src1_sel:DWORD
	s_nop 1
	v_cndmask_b32_e32 v12, v12, v13, vcc
; %bb.710:                              ;   in Loop: Header=BB9_694 Depth=3
	s_or_b64 exec, exec, s[28:29]
	v_lshlrev_b32_e32 v13, 16, v14
	v_lshlrev_b32_e32 v17, 16, v18
	v_max_f32_e32 v13, v13, v13
	v_max_f32_e32 v17, v17, v17
	v_min_f32_e32 v106, v17, v13
	v_max_f32_e32 v13, v17, v13
	v_cndmask_b32_e64 v13, v13, v106, s[26:27]
	v_and_b32_e32 v17, 0x7f800000, v13
	v_cmp_ne_u32_e32 vcc, s70, v17
                                        ; implicit-def: $vgpr17
	s_and_saveexec_b64 s[28:29], vcc
	s_xor_b64 s[28:29], exec, s[28:29]
; %bb.711:                              ;   in Loop: Header=BB9_694 Depth=3
	v_bfe_u32 v17, v13, 16, 1
	v_add3_u32 v17, v13, v17, s71
                                        ; implicit-def: $vgpr13
; %bb.712:                              ;   in Loop: Header=BB9_694 Depth=3
	s_andn2_saveexec_b64 s[28:29], s[28:29]
; %bb.713:                              ;   in Loop: Header=BB9_694 Depth=3
	v_or_b32_e32 v17, 0x10000, v13
	v_cmp_eq_u32_sdwa vcc, v13, v3 src0_sel:WORD_0 src1_sel:DWORD
	s_nop 1
	v_cndmask_b32_e32 v17, v17, v13, vcc
; %bb.714:                              ;   in Loop: Header=BB9_694 Depth=3
	s_or_b64 exec, exec, s[28:29]
	v_and_b32_e32 v13, 0xffff0000, v18
	v_and_b32_e32 v14, 0xffff0000, v14
	v_max_f32_e32 v14, v14, v14
	v_max_f32_e32 v13, v13, v13
	v_min_f32_e32 v18, v13, v14
	v_max_f32_e32 v13, v13, v14
	v_cndmask_b32_e64 v13, v13, v18, s[26:27]
	v_and_b32_e32 v14, 0x7f800000, v13
	v_cmp_ne_u32_e32 vcc, s70, v14
                                        ; implicit-def: $vgpr18
	s_and_saveexec_b64 s[28:29], vcc
	s_xor_b64 s[28:29], exec, s[28:29]
; %bb.715:                              ;   in Loop: Header=BB9_694 Depth=3
	v_bfe_u32 v14, v13, 16, 1
	v_add3_u32 v18, v13, v14, s71
                                        ; implicit-def: $vgpr13
; %bb.716:                              ;   in Loop: Header=BB9_694 Depth=3
	s_andn2_saveexec_b64 s[28:29], s[28:29]
; %bb.717:                              ;   in Loop: Header=BB9_694 Depth=3
	v_or_b32_e32 v14, 0x10000, v13
	v_cmp_eq_u32_sdwa vcc, v13, v3 src0_sel:WORD_0 src1_sel:DWORD
	s_nop 1
	v_cndmask_b32_e32 v18, v14, v13, vcc
; %bb.718:                              ;   in Loop: Header=BB9_694 Depth=3
	s_or_b64 exec, exec, s[28:29]
	v_lshlrev_b32_e32 v13, 16, v15
	v_lshlrev_b32_e32 v14, 16, v19
	v_max_f32_e32 v13, v13, v13
	v_max_f32_e32 v14, v14, v14
	v_min_f32_e32 v106, v14, v13
	v_max_f32_e32 v13, v14, v13
	v_cndmask_b32_e64 v13, v13, v106, s[26:27]
	v_and_b32_e32 v14, 0x7f800000, v13
	v_cmp_ne_u32_e32 vcc, s70, v14
                                        ; implicit-def: $vgpr14
	s_and_saveexec_b64 s[28:29], vcc
	s_xor_b64 s[28:29], exec, s[28:29]
; %bb.719:                              ;   in Loop: Header=BB9_694 Depth=3
	v_bfe_u32 v14, v13, 16, 1
	v_add3_u32 v14, v13, v14, s71
                                        ; implicit-def: $vgpr13
; %bb.720:                              ;   in Loop: Header=BB9_694 Depth=3
	s_andn2_saveexec_b64 s[28:29], s[28:29]
; %bb.721:                              ;   in Loop: Header=BB9_694 Depth=3
	v_or_b32_e32 v14, 0x10000, v13
	v_cmp_eq_u32_sdwa vcc, v13, v3 src0_sel:WORD_0 src1_sel:DWORD
	s_nop 1
	v_cndmask_b32_e32 v14, v14, v13, vcc
; %bb.722:                              ;   in Loop: Header=BB9_694 Depth=3
	s_or_b64 exec, exec, s[28:29]
	v_and_b32_e32 v13, 0xffff0000, v19
	v_and_b32_e32 v15, 0xffff0000, v15
	v_max_f32_e32 v15, v15, v15
	v_max_f32_e32 v13, v13, v13
	v_min_f32_e32 v19, v13, v15
	v_max_f32_e32 v13, v13, v15
	v_cndmask_b32_e64 v13, v13, v19, s[26:27]
	v_and_b32_e32 v15, 0x7f800000, v13
	v_cmp_ne_u32_e32 vcc, s70, v15
                                        ; implicit-def: $vgpr15
	s_and_saveexec_b64 s[28:29], vcc
	s_xor_b64 s[28:29], exec, s[28:29]
; %bb.723:                              ;   in Loop: Header=BB9_694 Depth=3
	v_bfe_u32 v15, v13, 16, 1
	v_add3_u32 v15, v13, v15, s71
                                        ; implicit-def: $vgpr13
; %bb.724:                              ;   in Loop: Header=BB9_694 Depth=3
	s_andn2_saveexec_b64 s[28:29], s[28:29]
; %bb.725:                              ;   in Loop: Header=BB9_694 Depth=3
	v_or_b32_e32 v15, 0x10000, v13
	v_cmp_eq_u32_sdwa vcc, v13, v3 src0_sel:WORD_0 src1_sel:DWORD
	s_nop 1
	v_cndmask_b32_e32 v15, v15, v13, vcc
; %bb.726:                              ;   in Loop: Header=BB9_694 Depth=3
	s_or_b64 exec, exec, s[28:29]
	v_and_b32_e32 v106, 0xffff0000, v2
	v_or_b32_sdwa v2, v106, v105 dst_sel:DWORD dst_unused:UNUSED_PAD src0_sel:DWORD src1_sel:WORD_1
	v_and_b32_e32 v110, 0xffff0000, v8
	v_and_b32_e32 v105, 0xffff0000, v105
	v_lshlrev_b32_e32 v8, 16, v8
	v_max_f32_e32 v105, v105, v105
	v_max_f32_e32 v8, v8, v8
	v_min_f32_e32 v111, v105, v8
	v_max_f32_e32 v8, v105, v8
	v_cndmask_b32_e64 v8, v8, v111, s[26:27]
	v_and_b32_e32 v105, 0x7f800000, v8
	v_cmp_eq_u32_e32 vcc, s70, v105
	v_bfe_u32 v105, v8, 16, 1
	v_cmp_eq_u32_sdwa s[28:29], v8, v3 src0_sel:WORD_0 src1_sel:DWORD
	v_or_b32_e32 v111, 0x10000, v8
	v_max_f32_e32 v106, v106, v106
	v_max_f32_e32 v110, v110, v110
	v_add3_u32 v105, v8, v105, s71
	v_cndmask_b32_e64 v8, v111, v8, s[28:29]
	v_min_f32_e32 v111, v106, v110
	v_max_f32_e32 v106, v106, v110
	v_cndmask_b32_e64 v106, v106, v111, s[26:27]
	v_and_b32_e32 v110, 0x7f800000, v106
	v_and_b32_e32 v19, 0xffff0000, v12
	v_cmp_eq_u32_e64 s[28:29], s70, v110
	v_bfe_u32 v110, v106, 16, 1
	v_cmp_eq_u32_sdwa s[40:41], v106, v3 src0_sel:WORD_0 src1_sel:DWORD
	v_or_b32_e32 v111, 0x10000, v106
	v_or_b32_sdwa v13, v19, v16 dst_sel:DWORD dst_unused:UNUSED_PAD src0_sel:DWORD src1_sel:WORD_1
	v_add3_u32 v110, v106, v110, s71
	v_cndmask_b32_e64 v106, v111, v106, s[40:41]
	v_and_b32_e32 v111, 0xffff0000, v9
	v_and_b32_e32 v16, 0xffff0000, v16
	v_lshlrev_b32_e32 v9, 16, v9
	v_max_f32_e32 v16, v16, v16
	v_max_f32_e32 v9, v9, v9
	v_min_f32_e32 v120, v16, v9
	v_max_f32_e32 v9, v16, v9
	v_cndmask_b32_e64 v9, v9, v120, s[26:27]
	v_and_b32_e32 v16, 0x7f800000, v9
	v_cmp_eq_u32_e64 s[40:41], s70, v16
	v_bfe_u32 v16, v9, 16, 1
	v_cmp_eq_u32_sdwa s[42:43], v9, v3 src0_sel:WORD_0 src1_sel:DWORD
	v_or_b32_e32 v120, 0x10000, v9
	v_max_f32_e32 v19, v19, v19
	v_max_f32_e32 v111, v111, v111
	v_add3_u32 v16, v9, v16, s71
	v_cndmask_b32_e64 v9, v120, v9, s[42:43]
	v_min_f32_e32 v120, v19, v111
	v_max_f32_e32 v19, v19, v111
	v_cndmask_b32_e64 v19, v19, v120, s[26:27]
	v_and_b32_e32 v111, 0x7f800000, v19
	v_and_b32_e32 v18, 0xffff0000, v18
	v_cmp_eq_u32_e64 s[42:43], s70, v111
	v_bfe_u32 v111, v19, 16, 1
	v_cmp_eq_u32_sdwa s[44:45], v19, v3 src0_sel:WORD_0 src1_sel:DWORD
	v_or_b32_e32 v120, 0x10000, v19
	v_or_b32_sdwa v12, v18, v17 dst_sel:DWORD dst_unused:UNUSED_PAD src0_sel:DWORD src1_sel:WORD_1
	v_add3_u32 v111, v19, v111, s71
	v_cndmask_b32_e64 v19, v120, v19, s[44:45]
	v_and_b32_e32 v120, 0xffff0000, v10
	v_and_b32_e32 v17, 0xffff0000, v17
	v_lshlrev_b32_e32 v10, 16, v10
	v_max_f32_e32 v17, v17, v17
	v_max_f32_e32 v10, v10, v10
	v_min_f32_e32 v121, v17, v10
	v_max_f32_e32 v10, v17, v10
	v_cndmask_b32_e64 v10, v10, v121, s[26:27]
	v_and_b32_e32 v17, 0x7f800000, v10
	v_cmp_eq_u32_e64 s[44:45], s70, v17
	;; [unrolled: 29-line block ×3, first 2 shown]
	v_bfe_u32 v14, v11, 16, 1
	v_cmp_eq_u32_sdwa s[58:59], v11, v3 src0_sel:WORD_0 src1_sel:DWORD
	v_or_b32_e32 v122, 0x10000, v11
	v_max_f32_e32 v107, v107, v107
	v_max_f32_e32 v121, v121, v121
	v_add3_u32 v14, v11, v14, s71
	v_cndmask_b32_e64 v11, v122, v11, s[58:59]
	v_min_f32_e32 v122, v107, v121
	v_max_f32_e32 v107, v107, v121
	v_cndmask_b32_e64 v107, v107, v122, s[26:27]
	v_and_b32_e32 v121, 0x7f800000, v107
	v_cmp_eq_u32_e64 s[58:59], s70, v121
	v_bfe_u32 v121, v107, 16, 1
	v_cmp_eq_u32_sdwa s[60:61], v107, v3 src0_sel:WORD_0 src1_sel:DWORD
	v_or_b32_e32 v122, 0x10000, v107
	v_add3_u32 v121, v107, v121, s71
	v_cndmask_b32_e64 v107, v122, v107, s[60:61]
	v_cndmask_b32_e32 v8, v105, v8, vcc
	v_cndmask_b32_e64 v9, v16, v9, s[40:41]
	v_cndmask_b32_e64 v10, v17, v10, s[44:45]
	;; [unrolled: 1-line block ×7, first 2 shown]
	v_lshrrev_b32_e32 v9, 16, v9
	v_lshrrev_b32_e32 v8, 16, v8
	;; [unrolled: 1-line block ×4, first 2 shown]
	v_and_or_b32 v9, v16, s80, v9
	v_and_or_b32 v8, v105, s80, v8
	;; [unrolled: 1-line block ×4, first 2 shown]
	s_mov_b64 s[44:45], 0
	s_mov_b64 s[42:43], -1
.LBB9_727:                              ;   Parent Loop BB9_47 Depth=1
                                        ;     Parent Loop BB9_575 Depth=2
                                        ;       Parent Loop BB9_694 Depth=3
                                        ; =>      This Inner Loop Header: Depth=4
	v_cndmask_b32_e64 v14, 0, 1, s[42:43]
	s_cmp_eq_u32 s44, 1
	v_cmp_ne_u32_e32 vcc, 1, v14
	s_cselect_b64 s[28:29], -1, 0
	v_cndmask_b32_e64 v17, v13, v9, s[42:43]
	v_cndmask_b32_e64 v16, v2, v8, s[42:43]
	;; [unrolled: 1-line block ×4, first 2 shown]
	v_cndmask_b32_e32 v107, v59, v61, vcc
	v_cndmask_b32_e64 v111, v59, v61, s[28:29]
	s_cmp_eq_u32 s44, 0
	v_cndmask_b32_e32 v106, v58, v60, vcc
	v_cndmask_b32_e64 v110, v58, v60, s[28:29]
	global_store_dwordx4 v[106:107], v[16:19], off
	s_cselect_b64 vcc, -1, 0
	s_and_b64 s[40:41], exec, s[42:43]
	v_lshl_add_u64 v[16:17], v[110:111], 0, s[88:89]
	s_mov_b64 s[44:45], 1
	s_mov_b64 s[42:43], 0
	v_cndmask_b32_e64 v61, v61, v17, s[28:29]
	v_cndmask_b32_e64 v60, v60, v16, s[28:29]
	v_cndmask_b32_e32 v59, v59, v17, vcc
	v_cndmask_b32_e32 v58, v58, v16, vcc
	s_mov_b64 vcc, s[40:41]
	s_cbranch_vccnz .LBB9_727
; %bb.728:                              ;   in Loop: Header=BB9_694 Depth=3
	v_sub_u32_e32 v104, v104, v80
	v_cmp_gt_i32_e32 vcc, 16, v104
	v_lshl_add_u64 v[62:63], v[62:63], 0, v[98:99]
	v_lshl_add_u64 v[72:73], v[72:73], 0, v[98:99]
	;; [unrolled: 1-line block ×5, first 2 shown]
	s_or_b64 s[64:65], vcc, s[64:65]
	v_sub_u32_e32 v95, v95, v52
	s_andn2_b64 exec, exec, s[64:65]
	s_cbranch_execnz .LBB9_694
; %bb.729:                              ;   in Loop: Header=BB9_575 Depth=2
	s_or_b64 exec, exec, s[64:65]
.LBB9_730:                              ;   in Loop: Header=BB9_575 Depth=2
	s_or_b64 exec, exec, s[54:55]
	v_and_b32_e32 v8, 14, v91
	v_sub_u32_e32 v2, v94, v8
	v_cndmask_b32_e64 v2, 0, v2, s[24:25]
	v_cmp_lt_i32_e32 vcc, 0, v95
	v_add3_u32 v2, v93, v23, v2
	v_cndmask_b32_e64 v23, v94, v8, s[24:25]
	v_cndmask_b32_e32 v8, 0, v52, vcc
	v_sub_u32_e32 v8, v8, v95
	v_cmp_ne_u32_e32 vcc, 0, v23
	v_lshl_add_u32 v18, v8, 6, v92
	s_and_b64 s[26:27], vcc, exec
.LBB9_731:                              ;   in Loop: Header=BB9_575 Depth=2
	s_or_b64 exec, exec, s[52:53]
	s_and_saveexec_b64 s[40:41], s[26:27]
	s_cbranch_execz .LBB9_778
.LBB9_732:                              ;   in Loop: Header=BB9_575 Depth=2
	v_ashrrev_i32_e32 v8, 31, v18
	v_ashrrev_i32_e32 v9, 31, v23
	v_lshrrev_b32_e32 v8, 26, v8
	v_lshrrev_b32_e32 v9, 23, v9
	v_add_u32_e32 v8, v18, v8
	v_add_u32_e32 v9, v23, v9
	v_ashrrev_i32_e32 v19, 6, v8
	v_ashrrev_i32_e32 v57, 9, v9
	v_sub_u32_e32 v56, v57, v19
	v_cmp_lt_i32_e32 vcc, 0, v56
	s_and_saveexec_b64 s[26:27], vcc
	s_cbranch_execz .LBB9_768
; %bb.733:                              ;   in Loop: Header=BB9_575 Depth=2
	v_and_b32_e32 v8, 0x7fffffc0, v8
	s_trap 2
	ds_read_b64 v[58:59], v0
	v_sub_u32_e32 v8, v18, v8
	v_lshlrev_b32_e32 v8, 1, v8
	v_lshlrev_b32_e32 v9, 9, v19
	v_add3_u32 v16, v8, v2, v9
	s_and_b32 s74, s98, 1
	v_ashrrev_i32_e32 v17, 31, v16
	s_cmp_eq_u64 s[74:75], 0
	s_waitcnt lgkmcnt(0)
	v_lshl_add_u64 v[8:9], v[16:17], 0, v[46:47]
	v_lshl_add_u64 v[10:11], v[16:17], 0, v[40:41]
	;; [unrolled: 1-line block ×5, first 2 shown]
	s_mov_b64 s[28:29], 0
	s_cselect_b64 vcc, -1, 0
	s_branch .LBB9_735
.LBB9_734:                              ;   in Loop: Header=BB9_735 Depth=3
	s_or_b64 exec, exec, s[42:43]
	v_sub_u32_e32 v56, v56, v52
	v_cmp_gt_i32_e64 s[24:25], 1, v56
	flat_store_short_d16_hi v[10:11], v61 offset:384 nt
	flat_store_short_d16_hi v[12:13], v58 nt
	flat_store_short_d16_hi v[12:13], v60 offset:128 nt
	flat_store_short_d16_hi v[12:13], v62 offset:256 nt
	;; [unrolled: 1-line block ×3, first 2 shown]
	v_lshl_add_u64 v[14:15], v[14:15], 0, v[82:83]
	v_lshl_add_u64 v[16:17], v[16:17], 0, v[82:83]
	v_lshl_add_u64 v[10:11], v[10:11], 0, v[82:83]
	v_lshl_add_u64 v[12:13], v[12:13], 0, v[82:83]
	s_or_b64 s[28:29], s[24:25], s[28:29]
	v_lshl_add_u64 v[8:9], v[8:9], 0, v[82:83]
	s_andn2_b64 exec, exec, s[28:29]
	s_cbranch_execz .LBB9_767
.LBB9_735:                              ;   Parent Loop BB9_47 Depth=1
                                        ;     Parent Loop BB9_575 Depth=2
                                        ; =>    This Inner Loop Header: Depth=3
	flat_load_ushort v62, v[14:15] offset:256 nt
	flat_load_ushort v72, v[14:15] offset:384 nt
	flat_load_ushort v58, v[14:15] nt
	flat_load_ushort v92, v[16:17] offset:256 nt
	flat_load_ushort v91, v[16:17] offset:384 nt
	flat_load_ushort v94, v[16:17] nt
	;; [unrolled: 3-line block ×3, first 2 shown]
	flat_load_ushort v63, v[8:9] offset:128 nt
	flat_load_ushort v61, v[8:9] offset:256 nt
	;; [unrolled: 1-line block ×3, first 2 shown]
	s_waitcnt vmcnt(0) lgkmcnt(0)
	v_lshlrev_b32_e32 v58, 16, v58
	v_max_f32_e32 v58, v58, v58
	v_lshlrev_b32_e32 v94, 16, v94
	v_max_f32_e32 v94, v94, v94
	v_min_f32_e32 v95, v58, v94
	v_max_f32_e32 v58, v58, v94
	v_cndmask_b32_e32 v94, v58, v95, vcc
	v_and_b32_e32 v58, 0x7f800000, v94
	v_cmp_ne_u32_e64 s[24:25], s70, v58
                                        ; implicit-def: $vgpr58
	s_and_saveexec_b64 s[42:43], s[24:25]
	s_xor_b64 s[24:25], exec, s[42:43]
; %bb.736:                              ;   in Loop: Header=BB9_735 Depth=3
	v_bfe_u32 v58, v94, 16, 1
	v_add3_u32 v58, v94, v58, s71
                                        ; implicit-def: $vgpr94
; %bb.737:                              ;   in Loop: Header=BB9_735 Depth=3
	s_andn2_saveexec_b64 s[42:43], s[24:25]
; %bb.738:                              ;   in Loop: Header=BB9_735 Depth=3
	v_or_b32_e32 v58, 0x10000, v94
	v_cmp_eq_u32_sdwa s[24:25], v94, v3 src0_sel:WORD_0 src1_sel:DWORD
	s_nop 1
	v_cndmask_b32_e64 v58, v58, v94, s[24:25]
; %bb.739:                              ;   in Loop: Header=BB9_735 Depth=3
	s_or_b64 exec, exec, s[42:43]
	v_lshlrev_b32_e32 v60, 16, v60
	v_lshlrev_b32_e32 v93, 16, v93
	v_max_f32_e32 v93, v93, v93
	v_max_f32_e32 v60, v60, v60
	v_min_f32_e32 v94, v60, v93
	v_max_f32_e32 v60, v60, v93
	v_cndmask_b32_e32 v93, v60, v94, vcc
	v_and_b32_e32 v60, 0x7f800000, v93
	v_cmp_ne_u32_e64 s[24:25], s70, v60
                                        ; implicit-def: $vgpr60
	s_and_saveexec_b64 s[42:43], s[24:25]
	s_xor_b64 s[24:25], exec, s[42:43]
; %bb.740:                              ;   in Loop: Header=BB9_735 Depth=3
	v_bfe_u32 v60, v93, 16, 1
	v_add3_u32 v60, v93, v60, s71
                                        ; implicit-def: $vgpr93
; %bb.741:                              ;   in Loop: Header=BB9_735 Depth=3
	s_andn2_saveexec_b64 s[42:43], s[24:25]
; %bb.742:                              ;   in Loop: Header=BB9_735 Depth=3
	v_or_b32_e32 v60, 0x10000, v93
	v_cmp_eq_u32_sdwa s[24:25], v93, v3 src0_sel:WORD_0 src1_sel:DWORD
	s_nop 1
	v_cndmask_b32_e64 v60, v60, v93, s[24:25]
; %bb.743:                              ;   in Loop: Header=BB9_735 Depth=3
	s_or_b64 exec, exec, s[42:43]
	v_lshlrev_b32_e32 v62, 16, v62
	v_lshlrev_b32_e32 v92, 16, v92
	v_max_f32_e32 v92, v92, v92
	v_max_f32_e32 v62, v62, v62
	v_min_f32_e32 v93, v62, v92
	v_max_f32_e32 v62, v62, v92
	v_cndmask_b32_e32 v92, v62, v93, vcc
	v_and_b32_e32 v62, 0x7f800000, v92
	v_cmp_ne_u32_e64 s[24:25], s70, v62
                                        ; implicit-def: $vgpr62
	s_and_saveexec_b64 s[42:43], s[24:25]
	s_xor_b64 s[24:25], exec, s[42:43]
; %bb.744:                              ;   in Loop: Header=BB9_735 Depth=3
	v_bfe_u32 v62, v92, 16, 1
	v_add3_u32 v62, v92, v62, s71
                                        ; implicit-def: $vgpr92
; %bb.745:                              ;   in Loop: Header=BB9_735 Depth=3
	s_andn2_saveexec_b64 s[42:43], s[24:25]
; %bb.746:                              ;   in Loop: Header=BB9_735 Depth=3
	v_or_b32_e32 v62, 0x10000, v92
	v_cmp_eq_u32_sdwa s[24:25], v92, v3 src0_sel:WORD_0 src1_sel:DWORD
	s_nop 1
	v_cndmask_b32_e64 v62, v62, v92, s[24:25]
; %bb.747:                              ;   in Loop: Header=BB9_735 Depth=3
	s_or_b64 exec, exec, s[42:43]
	v_lshlrev_b32_e32 v72, 16, v72
	v_lshlrev_b32_e32 v91, 16, v91
	v_max_f32_e32 v91, v91, v91
	v_max_f32_e32 v72, v72, v72
	v_min_f32_e32 v92, v72, v91
	v_max_f32_e32 v72, v72, v91
	v_cndmask_b32_e32 v91, v72, v92, vcc
	v_and_b32_e32 v72, 0x7f800000, v91
	v_cmp_ne_u32_e64 s[24:25], s70, v72
                                        ; implicit-def: $vgpr72
	s_and_saveexec_b64 s[42:43], s[24:25]
	s_xor_b64 s[24:25], exec, s[42:43]
; %bb.748:                              ;   in Loop: Header=BB9_735 Depth=3
	v_bfe_u32 v72, v91, 16, 1
	v_add3_u32 v72, v91, v72, s71
                                        ; implicit-def: $vgpr91
; %bb.749:                              ;   in Loop: Header=BB9_735 Depth=3
	s_andn2_saveexec_b64 s[42:43], s[24:25]
; %bb.750:                              ;   in Loop: Header=BB9_735 Depth=3
	v_or_b32_e32 v72, 0x10000, v91
	v_cmp_eq_u32_sdwa s[24:25], v91, v3 src0_sel:WORD_0 src1_sel:DWORD
	s_nop 1
	v_cndmask_b32_e64 v72, v72, v91, s[24:25]
; %bb.751:                              ;   in Loop: Header=BB9_735 Depth=3
	s_or_b64 exec, exec, s[42:43]
	v_and_b32_e32 v91, 0xffff0000, v58
	v_lshlrev_b32_e32 v73, 16, v73
	v_max_f32_e32 v91, v91, v91
	v_max_f32_e32 v73, v73, v73
	v_min_f32_e32 v92, v91, v73
	v_max_f32_e32 v73, v91, v73
	v_cndmask_b32_e32 v73, v73, v92, vcc
	v_and_b32_e32 v91, 0x7f800000, v73
	v_cmp_ne_u32_e64 s[24:25], s70, v91
                                        ; implicit-def: $vgpr91
	s_and_saveexec_b64 s[42:43], s[24:25]
	s_xor_b64 s[24:25], exec, s[42:43]
; %bb.752:                              ;   in Loop: Header=BB9_735 Depth=3
	v_bfe_u32 v91, v73, 16, 1
	v_add3_u32 v91, v73, v91, s71
                                        ; implicit-def: $vgpr73
; %bb.753:                              ;   in Loop: Header=BB9_735 Depth=3
	s_andn2_saveexec_b64 s[42:43], s[24:25]
; %bb.754:                              ;   in Loop: Header=BB9_735 Depth=3
	v_or_b32_e32 v91, 0x10000, v73
	v_cmp_eq_u32_sdwa s[24:25], v73, v3 src0_sel:WORD_0 src1_sel:DWORD
	s_nop 1
	v_cndmask_b32_e64 v91, v91, v73, s[24:25]
; %bb.755:                              ;   in Loop: Header=BB9_735 Depth=3
	s_or_b64 exec, exec, s[42:43]
	v_and_b32_e32 v73, 0xffff0000, v60
	v_lshlrev_b32_e32 v63, 16, v63
	v_max_f32_e32 v73, v73, v73
	v_max_f32_e32 v63, v63, v63
	flat_store_short_d16_hi v[10:11], v91 nt
	v_min_f32_e32 v91, v73, v63
	v_max_f32_e32 v63, v73, v63
	v_cndmask_b32_e32 v63, v63, v91, vcc
	v_and_b32_e32 v73, 0x7f800000, v63
	v_cmp_ne_u32_e64 s[24:25], s70, v73
                                        ; implicit-def: $vgpr73
	s_and_saveexec_b64 s[42:43], s[24:25]
	s_xor_b64 s[24:25], exec, s[42:43]
; %bb.756:                              ;   in Loop: Header=BB9_735 Depth=3
	v_bfe_u32 v73, v63, 16, 1
	v_add3_u32 v73, v63, v73, s71
                                        ; implicit-def: $vgpr63
; %bb.757:                              ;   in Loop: Header=BB9_735 Depth=3
	s_andn2_saveexec_b64 s[42:43], s[24:25]
; %bb.758:                              ;   in Loop: Header=BB9_735 Depth=3
	v_or_b32_e32 v73, 0x10000, v63
	v_cmp_eq_u32_sdwa s[24:25], v63, v3 src0_sel:WORD_0 src1_sel:DWORD
	s_nop 1
	v_cndmask_b32_e64 v73, v73, v63, s[24:25]
; %bb.759:                              ;   in Loop: Header=BB9_735 Depth=3
	s_or_b64 exec, exec, s[42:43]
	v_and_b32_e32 v63, 0xffff0000, v62
	v_lshlrev_b32_e32 v61, 16, v61
	v_max_f32_e32 v63, v63, v63
	v_max_f32_e32 v61, v61, v61
	flat_store_short_d16_hi v[10:11], v73 offset:128 nt
	v_min_f32_e32 v73, v63, v61
	v_max_f32_e32 v61, v63, v61
	v_cndmask_b32_e32 v61, v61, v73, vcc
	v_and_b32_e32 v63, 0x7f800000, v61
	v_cmp_ne_u32_e64 s[24:25], s70, v63
                                        ; implicit-def: $vgpr63
	s_and_saveexec_b64 s[42:43], s[24:25]
	s_xor_b64 s[24:25], exec, s[42:43]
; %bb.760:                              ;   in Loop: Header=BB9_735 Depth=3
	v_bfe_u32 v63, v61, 16, 1
	v_add3_u32 v63, v61, v63, s71
                                        ; implicit-def: $vgpr61
; %bb.761:                              ;   in Loop: Header=BB9_735 Depth=3
	s_andn2_saveexec_b64 s[42:43], s[24:25]
; %bb.762:                              ;   in Loop: Header=BB9_735 Depth=3
	v_or_b32_e32 v63, 0x10000, v61
	v_cmp_eq_u32_sdwa s[24:25], v61, v3 src0_sel:WORD_0 src1_sel:DWORD
	s_nop 1
	v_cndmask_b32_e64 v63, v63, v61, s[24:25]
; %bb.763:                              ;   in Loop: Header=BB9_735 Depth=3
	s_or_b64 exec, exec, s[42:43]
	v_and_b32_e32 v61, 0xffff0000, v72
	v_lshlrev_b32_e32 v59, 16, v59
	v_max_f32_e32 v61, v61, v61
	v_max_f32_e32 v59, v59, v59
	flat_store_short_d16_hi v[10:11], v63 offset:256 nt
	v_min_f32_e32 v63, v61, v59
	v_max_f32_e32 v59, v61, v59
	v_cndmask_b32_e32 v59, v59, v63, vcc
	v_and_b32_e32 v61, 0x7f800000, v59
	v_cmp_ne_u32_e64 s[24:25], s70, v61
                                        ; implicit-def: $vgpr61
	s_and_saveexec_b64 s[42:43], s[24:25]
	s_xor_b64 s[24:25], exec, s[42:43]
; %bb.764:                              ;   in Loop: Header=BB9_735 Depth=3
	v_bfe_u32 v61, v59, 16, 1
	v_add3_u32 v61, v59, v61, s71
                                        ; implicit-def: $vgpr59
; %bb.765:                              ;   in Loop: Header=BB9_735 Depth=3
	s_andn2_saveexec_b64 s[42:43], s[24:25]
	s_cbranch_execz .LBB9_734
; %bb.766:                              ;   in Loop: Header=BB9_735 Depth=3
	v_or_b32_e32 v61, 0x10000, v59
	v_cmp_eq_u32_sdwa s[24:25], v59, v3 src0_sel:WORD_0 src1_sel:DWORD
	s_nop 1
	v_cndmask_b32_e64 v61, v61, v59, s[24:25]
	s_branch .LBB9_734
.LBB9_767:                              ;   in Loop: Header=BB9_575 Depth=2
	s_or_b64 exec, exec, s[28:29]
.LBB9_768:                              ;   in Loop: Header=BB9_575 Depth=2
	s_or_b64 exec, exec, s[26:27]
	v_lshlrev_b32_e32 v8, 9, v57
	v_cmp_ne_u32_e32 vcc, v23, v8
	s_and_b64 exec, exec, vcc
	s_cbranch_execz .LBB9_778
; %bb.769:                              ;   in Loop: Header=BB9_575 Depth=2
	v_lshlrev_b32_e32 v9, 6, v19
	v_sub_u32_e32 v9, v18, v9
	v_lshlrev_b32_e32 v10, 6, v56
	v_sub_u32_e32 v9, v9, v10
	v_ashrrev_i32_e32 v10, 31, v9
	v_lshrrev_b32_e32 v10, 26, v10
	v_add_u32_e32 v10, v9, v10
	v_and_b32_e32 v11, 0x7fffffc0, v10
	v_sub_u32_e32 v9, v9, v11
	v_lshlrev_b32_e32 v10, 1, v10
	v_and_b32_e32 v10, 0xffffff80, v10
	v_lshlrev_b32_e32 v9, 1, v9
	v_add3_u32 v8, v10, v9, v8
	v_sub_u32_e32 v18, v23, v8
	v_cmp_lt_i32_e32 vcc, 1, v18
	s_and_b64 exec, exec, vcc
	s_cbranch_execz .LBB9_778
; %bb.770:                              ;   in Loop: Header=BB9_575 Depth=2
	s_trap 2
	ds_read_b64 v[56:57], v0
	v_add_u32_e32 v16, v8, v2
	s_and_b32 s74, s98, 1
	v_ashrrev_i32_e32 v17, 31, v16
	s_cmp_eq_u64 s[74:75], 0
	s_waitcnt lgkmcnt(0)
	v_lshl_add_u64 v[8:9], v[16:17], 0, v[46:47]
	v_lshl_add_u64 v[10:11], v[16:17], 0, v[40:41]
	;; [unrolled: 1-line block ×5, first 2 shown]
	s_mov_b64 s[42:43], 0
	s_cselect_b64 s[24:25], -1, 0
.LBB9_771:                              ;   Parent Loop BB9_47 Depth=1
                                        ;     Parent Loop BB9_575 Depth=2
                                        ; =>    This Loop Header: Depth=3
                                        ;         Child Loop BB9_776 Depth 4
	flat_load_ushort v2, v[16:17] nt
	flat_load_ushort v23, v[14:15] nt
	;; [unrolled: 1-line block ×3, first 2 shown]
	s_waitcnt vmcnt(0) lgkmcnt(0)
	v_lshlrev_b32_e32 v2, 16, v2
	v_lshlrev_b32_e32 v23, 16, v23
	v_max_f32_e32 v2, v2, v2
	v_max_f32_e32 v23, v23, v23
	v_min_f32_e32 v44, v23, v2
	v_max_f32_e32 v2, v23, v2
	v_cndmask_b32_e64 v23, v2, v44, s[24:25]
	v_and_b32_e32 v2, 0x7f800000, v23
	v_cmp_ne_u32_e32 vcc, s70, v2
                                        ; implicit-def: $vgpr2
	s_and_saveexec_b64 s[26:27], vcc
	s_xor_b64 s[26:27], exec, s[26:27]
; %bb.772:                              ;   in Loop: Header=BB9_771 Depth=3
	v_bfe_u32 v2, v23, 16, 1
	v_add3_u32 v2, v23, v2, s71
                                        ; implicit-def: $vgpr23
; %bb.773:                              ;   in Loop: Header=BB9_771 Depth=3
	s_andn2_saveexec_b64 s[26:27], s[26:27]
; %bb.774:                              ;   in Loop: Header=BB9_771 Depth=3
	v_or_b32_e32 v2, 0x10000, v23
	v_cmp_eq_u32_sdwa vcc, v23, v3 src0_sel:WORD_0 src1_sel:DWORD
	s_nop 1
	v_cndmask_b32_e32 v2, v2, v23, vcc
; %bb.775:                              ;   in Loop: Header=BB9_771 Depth=3
	s_or_b64 exec, exec, s[26:27]
	v_and_b32_e32 v23, 0xffff0000, v2
	v_lshlrev_b32_e32 v19, 16, v19
	v_max_f32_e32 v23, v23, v23
	v_max_f32_e32 v19, v19, v19
	v_min_f32_e32 v44, v23, v19
	v_max_f32_e32 v19, v23, v19
	v_cndmask_b32_e64 v19, v19, v44, s[24:25]
	v_and_b32_e32 v23, 0x7f800000, v19
	v_bfe_u32 v44, v19, 16, 1
	v_or_b32_e32 v45, 0x10000, v19
	v_cmp_eq_u32_sdwa vcc, v19, v3 src0_sel:WORD_0 src1_sel:DWORD
	v_add3_u32 v44, v19, v44, s71
	s_mov_b64 s[46:47], 0
	v_cndmask_b32_e32 v19, v45, v19, vcc
	v_cmp_eq_u32_e32 vcc, s70, v23
	s_mov_b64 s[44:45], -1
	s_nop 0
	v_cndmask_b32_e32 v19, v44, v19, vcc
.LBB9_776:                              ;   Parent Loop BB9_47 Depth=1
                                        ;     Parent Loop BB9_575 Depth=2
                                        ;       Parent Loop BB9_771 Depth=3
                                        ; =>      This Inner Loop Header: Depth=4
	v_cndmask_b32_e64 v44, 0, 1, s[44:45]
	s_cmp_eq_u32 s46, 1
	v_cmp_ne_u32_e32 vcc, 1, v44
	s_cselect_b64 s[26:27], -1, 0
	v_cndmask_b32_e64 v23, v2, v19, s[44:45]
	v_cndmask_b32_e32 v45, v11, v13, vcc
	v_cndmask_b32_e64 v47, v11, v13, s[26:27]
	s_cmp_eq_u32 s46, 0
	v_cndmask_b32_e32 v44, v10, v12, vcc
	v_cndmask_b32_e64 v46, v10, v12, s[26:27]
	flat_store_short_d16_hi v[44:45], v23 nt
	v_lshl_add_u64 v[44:45], v[46:47], 0, s[90:91]
	s_cselect_b64 vcc, -1, 0
	s_and_b64 s[28:29], exec, s[44:45]
	s_mov_b64 s[46:47], 1
	s_mov_b64 s[44:45], 0
	v_cndmask_b32_e64 v13, v13, v45, s[26:27]
	v_cndmask_b32_e64 v12, v12, v44, s[26:27]
	v_cndmask_b32_e32 v11, v11, v45, vcc
	v_cndmask_b32_e32 v10, v10, v44, vcc
	s_mov_b64 vcc, s[28:29]
	s_cbranch_vccnz .LBB9_776
; %bb.777:                              ;   in Loop: Header=BB9_771 Depth=3
	v_sub_u32_e32 v18, v18, v84
	v_cmp_gt_i32_e32 vcc, 2, v18
	v_lshl_add_u64 v[14:15], v[14:15], 0, v[100:101]
	v_lshl_add_u64 v[16:17], v[16:17], 0, v[100:101]
	;; [unrolled: 1-line block ×4, first 2 shown]
	s_or_b64 s[42:43], vcc, s[42:43]
	v_lshl_add_u64 v[8:9], v[8:9], 0, v[100:101]
	s_andn2_b64 exec, exec, s[42:43]
	s_cbranch_execnz .LBB9_771
.LBB9_778:                              ;   in Loop: Header=BB9_575 Depth=2
	s_or_b64 exec, exec, s[40:41]
	s_branch .LBB9_652
.LBB9_779:                              ;   in Loop: Header=BB9_575 Depth=2
	s_mov_b64 s[24:25], -1
	s_and_saveexec_b64 s[26:27], s[18:19]
	s_cbranch_execz .LBB9_781
; %bb.780:                              ;   in Loop: Header=BB9_575 Depth=2
	ds_read_b32 v2, v0 offset:720
	s_waitcnt lgkmcnt(0)
	v_and_b32_e32 v2, 15, v2
	v_cmp_eq_u32_e32 vcc, 0, v2
	s_orn2_b64 s[24:25], vcc, exec
.LBB9_781:                              ;   in Loop: Header=BB9_575 Depth=2
	s_or_b64 exec, exec, s[26:27]
	s_and_saveexec_b64 s[26:27], s[14:15]
	s_cbranch_execz .LBB9_783
; %bb.782:                              ;   in Loop: Header=BB9_575 Depth=2
	ds_read_b32 v2, v0 offset:784
	s_waitcnt lgkmcnt(0)
	v_and_b32_e32 v2, 15, v2
	v_cmp_eq_u32_e32 vcc, 0, v2
	s_and_b64 s[28:29], s[24:25], vcc
	s_andn2_b64 s[24:25], s[24:25], exec
	s_and_b64 s[28:29], s[28:29], exec
	s_or_b64 s[24:25], s[24:25], s[28:29]
.LBB9_783:                              ;   in Loop: Header=BB9_575 Depth=2
	s_or_b64 exec, exec, s[26:27]
	s_xor_b64 s[24:25], s[24:25], -1
	v_cndmask_b32_e64 v8, 0, 1, s[24:25]
	v_lshlrev_b32_e32 v2, 1, v21
	s_mov_b64 s[40:41], -1
	v_mov_b32_e32 v16, 0
	v_cmp_ne_u32_e32 vcc, 0, v8
	s_cbranch_vccz .LBB9_785
; %bb.784:                              ;   in Loop: Header=BB9_575 Depth=2
	v_mov_b32_e32 v17, v0
	s_and_saveexec_b64 s[26:27], s[40:41]
	s_cbranch_execnz .LBB9_860
	s_branch .LBB9_904
.LBB9_785:                              ;   in Loop: Header=BB9_575 Depth=2
	v_ashrrev_i32_e32 v8, 31, v2
	v_lshrrev_b32_e32 v8, 22, v8
	v_add_u32_e32 v8, v2, v8
	v_and_b32_e32 v58, 0xfffffc00, v8
	v_ashrrev_i32_e32 v9, 10, v8
	v_sub_u32_e32 v60, v2, v58
	v_sub_u32_e32 v8, v9, v76
	v_cmp_lt_i32_e32 vcc, 15, v60
	v_sub_u32_e32 v23, v2, v54
	s_nop 0
	v_addc_co_u32_e64 v59, s[24:25], 0, v8, vcc
	v_cmp_lt_i32_e64 s[24:25], 15, v23
	s_and_saveexec_b64 s[28:29], s[24:25]
	s_cbranch_execz .LBB9_821
; %bb.786:                              ;   in Loop: Header=BB9_575 Depth=2
	s_trap 2
	ds_read_b64 v[8:9], v0
	s_and_b32 s74, s98, 1
	s_cmp_eq_u64 s[74:75], 0
	v_lshl_add_u64 v[44:45], v[42:43], 0, v[54:55]
	s_mov_b64 s[40:41], 0
	s_waitcnt lgkmcnt(0)
	v_lshl_add_u64 v[46:47], v[8:9], 0, v[54:55]
	s_cselect_b64 s[24:25], -1, 0
	v_mov_b64_e32 v[56:57], v[54:55]
	s_branch .LBB9_788
.LBB9_787:                              ;   in Loop: Header=BB9_788 Depth=3
	s_or_b64 exec, exec, s[42:43]
	v_and_b32_e32 v19, 0xffff0000, v62
	v_and_b32_e32 v61, 0xffff0000, v61
	v_and_b32_e32 v62, 0xffff0000, v63
	v_and_b32_e32 v63, 0xffff0000, v8
	v_lshlrev_b32_e32 v8, 16, v8
	v_max_f32_e32 v61, v61, v61
	v_max_f32_e32 v8, v8, v8
	v_min_f32_e32 v72, v61, v8
	v_max_f32_e32 v8, v61, v8
	v_and_b32_e32 v16, 0xffff0000, v16
	v_cndmask_b32_e64 v8, v8, v72, s[24:25]
	v_bfe_u32 v72, v8, 16, 1
	v_or_b32_e32 v73, 0x10000, v8
	v_cmp_eq_u32_sdwa s[26:27], v8, v3 src0_sel:WORD_0 src1_sel:DWORD
	v_max_f32_e32 v16, v16, v16
	v_max_f32_e32 v63, v63, v63
	v_and_b32_e32 v61, 0x7f800000, v8
	v_add3_u32 v72, v8, v72, s71
	v_cndmask_b32_e64 v8, v73, v8, s[26:27]
	v_min_f32_e32 v73, v16, v63
	v_max_f32_e32 v16, v16, v63
	v_cndmask_b32_e64 v16, v16, v73, s[24:25]
	v_bfe_u32 v73, v16, 16, 1
	v_or_b32_e32 v91, 0x10000, v16
	v_cmp_eq_u32_sdwa s[26:27], v16, v3 src0_sel:WORD_0 src1_sel:DWORD
	v_and_b32_e32 v63, 0x7f800000, v16
	v_add3_u32 v73, v16, v73, s71
	v_cndmask_b32_e64 v16, v91, v16, s[26:27]
	v_and_b32_e32 v91, 0xffff0000, v9
	v_lshlrev_b32_e32 v9, 16, v9
	v_max_f32_e32 v19, v19, v19
	v_max_f32_e32 v9, v9, v9
	v_min_f32_e32 v92, v19, v9
	v_max_f32_e32 v9, v19, v9
	v_and_b32_e32 v17, 0xffff0000, v17
	v_cndmask_b32_e64 v9, v9, v92, s[24:25]
	v_bfe_u32 v92, v9, 16, 1
	v_or_b32_e32 v93, 0x10000, v9
	v_cmp_eq_u32_sdwa s[26:27], v9, v3 src0_sel:WORD_0 src1_sel:DWORD
	v_max_f32_e32 v17, v17, v17
	v_max_f32_e32 v91, v91, v91
	v_and_b32_e32 v19, 0x7f800000, v9
	v_add3_u32 v92, v9, v92, s71
	v_cndmask_b32_e64 v9, v93, v9, s[26:27]
	v_min_f32_e32 v93, v17, v91
	v_max_f32_e32 v17, v17, v91
	v_cndmask_b32_e64 v17, v17, v93, s[24:25]
	v_bfe_u32 v93, v17, 16, 1
	v_or_b32_e32 v94, 0x10000, v17
	v_cmp_eq_u32_sdwa s[26:27], v17, v3 src0_sel:WORD_0 src1_sel:DWORD
	v_and_b32_e32 v91, 0x7f800000, v17
	v_add3_u32 v93, v17, v93, s71
	v_cndmask_b32_e64 v17, v94, v17, s[26:27]
	v_and_b32_e32 v94, 0xffff0000, v10
	v_lshlrev_b32_e32 v10, 16, v10
	v_max_f32_e32 v62, v62, v62
	v_max_f32_e32 v10, v10, v10
	v_min_f32_e32 v95, v62, v10
	v_max_f32_e32 v10, v62, v10
	v_and_b32_e32 v14, 0xffff0000, v14
	v_cndmask_b32_e64 v10, v10, v95, s[24:25]
	v_bfe_u32 v95, v10, 16, 1
	v_or_b32_e32 v104, 0x10000, v10
	v_cmp_eq_u32_sdwa s[26:27], v10, v3 src0_sel:WORD_0 src1_sel:DWORD
	v_max_f32_e32 v14, v14, v14
	v_max_f32_e32 v94, v94, v94
	v_and_b32_e32 v62, 0x7f800000, v10
	v_add3_u32 v95, v10, v95, s71
	v_cndmask_b32_e64 v10, v104, v10, s[26:27]
	v_min_f32_e32 v104, v14, v94
	v_max_f32_e32 v14, v14, v94
	v_cndmask_b32_e64 v14, v14, v104, s[24:25]
	v_bfe_u32 v104, v14, 16, 1
	v_or_b32_e32 v105, 0x10000, v14
	v_cmp_eq_u32_sdwa s[26:27], v14, v3 src0_sel:WORD_0 src1_sel:DWORD
	v_and_b32_e32 v18, 0xffff0000, v18
	v_and_b32_e32 v94, 0x7f800000, v14
	v_add3_u32 v104, v14, v104, s71
	v_cndmask_b32_e64 v14, v105, v14, s[26:27]
	v_and_b32_e32 v105, 0xffff0000, v11
	v_lshlrev_b32_e32 v11, 16, v11
	v_max_f32_e32 v18, v18, v18
	v_max_f32_e32 v11, v11, v11
	v_min_f32_e32 v106, v18, v11
	v_max_f32_e32 v11, v18, v11
	v_and_b32_e32 v15, 0xffff0000, v15
	v_cndmask_b32_e64 v11, v11, v106, s[24:25]
	v_bfe_u32 v106, v11, 16, 1
	v_or_b32_e32 v107, 0x10000, v11
	v_cmp_eq_u32_sdwa s[26:27], v11, v3 src0_sel:WORD_0 src1_sel:DWORD
	v_max_f32_e32 v15, v15, v15
	v_max_f32_e32 v105, v105, v105
	v_and_b32_e32 v18, 0x7f800000, v11
	v_add3_u32 v106, v11, v106, s71
	v_cndmask_b32_e64 v11, v107, v11, s[26:27]
	v_min_f32_e32 v107, v15, v105
	v_max_f32_e32 v15, v15, v105
	v_cndmask_b32_e64 v15, v15, v107, s[24:25]
	v_bfe_u32 v107, v15, 16, 1
	v_or_b32_e32 v110, 0x10000, v15
	v_cmp_eq_u32_sdwa s[26:27], v15, v3 src0_sel:WORD_0 src1_sel:DWORD
	v_and_b32_e32 v105, 0x7f800000, v15
	v_add3_u32 v107, v15, v107, s71
	v_cndmask_b32_e64 v15, v110, v15, s[26:27]
	v_cmp_eq_u32_e64 s[26:27], s70, v61
	v_sub_u32_e32 v23, v23, v80
	v_lshl_add_u64 v[12:13], v[40:41], 0, v[56:57]
	v_cndmask_b32_e64 v8, v72, v8, s[26:27]
	v_cmp_eq_u32_e64 s[26:27], s70, v63
	v_lshrrev_b32_e32 v8, 16, v8
	v_lshl_add_u64 v[44:45], v[44:45], 0, v[80:81]
	v_cndmask_b32_e64 v16, v73, v16, s[26:27]
	v_cmp_eq_u32_e64 s[26:27], s70, v19
	v_and_or_b32 v8, v16, s80, v8
	v_lshl_add_u64 v[46:47], v[46:47], 0, v[80:81]
	v_cndmask_b32_e64 v9, v92, v9, s[26:27]
	v_cmp_eq_u32_e64 s[26:27], s70, v91
	v_lshrrev_b32_e32 v9, 16, v9
	v_lshl_add_u64 v[56:57], v[56:57], 0, v[80:81]
	v_cndmask_b32_e64 v17, v93, v17, s[26:27]
	v_cmp_eq_u32_e64 s[26:27], s70, v62
	v_and_or_b32 v9, v17, s80, v9
	v_sub_u32_e32 v59, v59, v52
	v_cndmask_b32_e64 v10, v95, v10, s[26:27]
	v_cmp_eq_u32_e64 s[26:27], s70, v94
	v_lshrrev_b32_e32 v10, 16, v10
	s_nop 0
	v_cndmask_b32_e64 v14, v104, v14, s[26:27]
	v_cmp_eq_u32_e64 s[26:27], s70, v18
	v_and_or_b32 v10, v14, s80, v10
	s_nop 0
	v_cndmask_b32_e64 v11, v106, v11, s[26:27]
	v_cmp_eq_u32_e64 s[26:27], s70, v105
	v_lshrrev_b32_e32 v11, 16, v11
	s_nop 0
	v_cndmask_b32_e64 v15, v107, v15, s[26:27]
	v_cmp_gt_i32_e64 s[26:27], 16, v23
	v_and_or_b32 v11, v15, s80, v11
	s_or_b64 s[40:41], s[26:27], s[40:41]
	global_store_dwordx4 v[12:13], v[8:11], off
	s_andn2_b64 exec, exec, s[40:41]
	s_cbranch_execz .LBB9_820
.LBB9_788:                              ;   Parent Loop BB9_47 Depth=1
                                        ;     Parent Loop BB9_575 Depth=2
                                        ; =>    This Inner Loop Header: Depth=3
	global_load_dwordx4 v[12:15], v[46:47], off nt
	global_load_dwordx4 v[16:19], v[44:45], off nt
	;; [unrolled: 1-line block ×3, first 2 shown]
	s_waitcnt vmcnt(0)
	v_lshlrev_b32_e32 v61, 16, v12
	v_lshlrev_b32_e32 v62, 16, v16
	v_max_f32_e32 v61, v61, v61
	v_max_f32_e32 v62, v62, v62
	v_min_f32_e32 v63, v62, v61
	v_max_f32_e32 v61, v62, v61
	v_cndmask_b32_e64 v62, v61, v63, s[24:25]
	v_and_b32_e32 v61, 0x7f800000, v62
	v_cmp_ne_u32_e64 s[26:27], s70, v61
                                        ; implicit-def: $vgpr61
	s_and_saveexec_b64 s[42:43], s[26:27]
	s_xor_b64 s[26:27], exec, s[42:43]
; %bb.789:                              ;   in Loop: Header=BB9_788 Depth=3
	v_bfe_u32 v61, v62, 16, 1
	v_add3_u32 v61, v62, v61, s71
                                        ; implicit-def: $vgpr62
; %bb.790:                              ;   in Loop: Header=BB9_788 Depth=3
	s_andn2_saveexec_b64 s[42:43], s[26:27]
; %bb.791:                              ;   in Loop: Header=BB9_788 Depth=3
	v_or_b32_e32 v61, 0x10000, v62
	v_cmp_eq_u32_sdwa s[26:27], v62, v3 src0_sel:WORD_0 src1_sel:DWORD
	s_nop 1
	v_cndmask_b32_e64 v61, v61, v62, s[26:27]
; %bb.792:                              ;   in Loop: Header=BB9_788 Depth=3
	s_or_b64 exec, exec, s[42:43]
	v_and_b32_e32 v12, 0xffff0000, v12
	v_and_b32_e32 v16, 0xffff0000, v16
	v_max_f32_e32 v12, v12, v12
	v_max_f32_e32 v16, v16, v16
	v_min_f32_e32 v62, v16, v12
	v_max_f32_e32 v12, v16, v12
	v_cndmask_b32_e64 v12, v12, v62, s[24:25]
	v_and_b32_e32 v16, 0x7f800000, v12
	v_cmp_ne_u32_e64 s[26:27], s70, v16
                                        ; implicit-def: $vgpr16
	s_and_saveexec_b64 s[42:43], s[26:27]
	s_xor_b64 s[26:27], exec, s[42:43]
; %bb.793:                              ;   in Loop: Header=BB9_788 Depth=3
	v_bfe_u32 v16, v12, 16, 1
	v_add3_u32 v16, v12, v16, s71
                                        ; implicit-def: $vgpr12
; %bb.794:                              ;   in Loop: Header=BB9_788 Depth=3
	s_andn2_saveexec_b64 s[42:43], s[26:27]
; %bb.795:                              ;   in Loop: Header=BB9_788 Depth=3
	v_or_b32_e32 v16, 0x10000, v12
	v_cmp_eq_u32_sdwa s[26:27], v12, v3 src0_sel:WORD_0 src1_sel:DWORD
	s_nop 1
	v_cndmask_b32_e64 v16, v16, v12, s[26:27]
; %bb.796:                              ;   in Loop: Header=BB9_788 Depth=3
	s_or_b64 exec, exec, s[42:43]
	v_lshlrev_b32_e32 v12, 16, v13
	v_lshlrev_b32_e32 v62, 16, v17
	v_max_f32_e32 v12, v12, v12
	v_max_f32_e32 v62, v62, v62
	v_min_f32_e32 v63, v62, v12
	v_max_f32_e32 v12, v62, v12
	v_cndmask_b32_e64 v12, v12, v63, s[24:25]
	v_and_b32_e32 v62, 0x7f800000, v12
	v_cmp_ne_u32_e64 s[26:27], s70, v62
                                        ; implicit-def: $vgpr62
	s_and_saveexec_b64 s[42:43], s[26:27]
	s_xor_b64 s[26:27], exec, s[42:43]
; %bb.797:                              ;   in Loop: Header=BB9_788 Depth=3
	v_bfe_u32 v62, v12, 16, 1
	v_add3_u32 v62, v12, v62, s71
                                        ; implicit-def: $vgpr12
; %bb.798:                              ;   in Loop: Header=BB9_788 Depth=3
	s_andn2_saveexec_b64 s[42:43], s[26:27]
; %bb.799:                              ;   in Loop: Header=BB9_788 Depth=3
	v_or_b32_e32 v62, 0x10000, v12
	v_cmp_eq_u32_sdwa s[26:27], v12, v3 src0_sel:WORD_0 src1_sel:DWORD
	s_nop 1
	v_cndmask_b32_e64 v62, v62, v12, s[26:27]
; %bb.800:                              ;   in Loop: Header=BB9_788 Depth=3
	s_or_b64 exec, exec, s[42:43]
	v_and_b32_e32 v12, 0xffff0000, v17
	v_and_b32_e32 v13, 0xffff0000, v13
	v_max_f32_e32 v13, v13, v13
	v_max_f32_e32 v12, v12, v12
	v_min_f32_e32 v17, v12, v13
	v_max_f32_e32 v12, v12, v13
	v_cndmask_b32_e64 v12, v12, v17, s[24:25]
	v_and_b32_e32 v13, 0x7f800000, v12
	v_cmp_ne_u32_e64 s[26:27], s70, v13
                                        ; implicit-def: $vgpr17
	s_and_saveexec_b64 s[42:43], s[26:27]
	s_xor_b64 s[26:27], exec, s[42:43]
; %bb.801:                              ;   in Loop: Header=BB9_788 Depth=3
	v_bfe_u32 v13, v12, 16, 1
	v_add3_u32 v17, v12, v13, s71
                                        ; implicit-def: $vgpr12
; %bb.802:                              ;   in Loop: Header=BB9_788 Depth=3
	s_andn2_saveexec_b64 s[42:43], s[26:27]
; %bb.803:                              ;   in Loop: Header=BB9_788 Depth=3
	v_or_b32_e32 v13, 0x10000, v12
	v_cmp_eq_u32_sdwa s[26:27], v12, v3 src0_sel:WORD_0 src1_sel:DWORD
	s_nop 1
	v_cndmask_b32_e64 v17, v13, v12, s[26:27]
; %bb.804:                              ;   in Loop: Header=BB9_788 Depth=3
	s_or_b64 exec, exec, s[42:43]
	v_lshlrev_b32_e32 v12, 16, v14
	v_lshlrev_b32_e32 v13, 16, v18
	v_max_f32_e32 v12, v12, v12
	v_max_f32_e32 v13, v13, v13
	v_min_f32_e32 v63, v13, v12
	v_max_f32_e32 v12, v13, v12
	v_cndmask_b32_e64 v12, v12, v63, s[24:25]
	v_and_b32_e32 v13, 0x7f800000, v12
	v_cmp_ne_u32_e64 s[26:27], s70, v13
                                        ; implicit-def: $vgpr63
	s_and_saveexec_b64 s[42:43], s[26:27]
	s_xor_b64 s[26:27], exec, s[42:43]
; %bb.805:                              ;   in Loop: Header=BB9_788 Depth=3
	v_bfe_u32 v13, v12, 16, 1
	v_add3_u32 v63, v12, v13, s71
                                        ; implicit-def: $vgpr12
; %bb.806:                              ;   in Loop: Header=BB9_788 Depth=3
	s_andn2_saveexec_b64 s[42:43], s[26:27]
; %bb.807:                              ;   in Loop: Header=BB9_788 Depth=3
	v_or_b32_e32 v13, 0x10000, v12
	v_cmp_eq_u32_sdwa s[26:27], v12, v3 src0_sel:WORD_0 src1_sel:DWORD
	s_nop 1
	v_cndmask_b32_e64 v63, v13, v12, s[26:27]
; %bb.808:                              ;   in Loop: Header=BB9_788 Depth=3
	s_or_b64 exec, exec, s[42:43]
	v_and_b32_e32 v12, 0xffff0000, v18
	v_and_b32_e32 v13, 0xffff0000, v14
	v_max_f32_e32 v13, v13, v13
	v_max_f32_e32 v12, v12, v12
	v_min_f32_e32 v14, v12, v13
	v_max_f32_e32 v12, v12, v13
	v_cndmask_b32_e64 v12, v12, v14, s[24:25]
	v_and_b32_e32 v13, 0x7f800000, v12
	v_cmp_ne_u32_e64 s[26:27], s70, v13
                                        ; implicit-def: $vgpr14
	s_and_saveexec_b64 s[42:43], s[26:27]
	s_xor_b64 s[26:27], exec, s[42:43]
; %bb.809:                              ;   in Loop: Header=BB9_788 Depth=3
	v_bfe_u32 v13, v12, 16, 1
	v_add3_u32 v14, v12, v13, s71
                                        ; implicit-def: $vgpr12
; %bb.810:                              ;   in Loop: Header=BB9_788 Depth=3
	s_andn2_saveexec_b64 s[42:43], s[26:27]
; %bb.811:                              ;   in Loop: Header=BB9_788 Depth=3
	v_or_b32_e32 v13, 0x10000, v12
	v_cmp_eq_u32_sdwa s[26:27], v12, v3 src0_sel:WORD_0 src1_sel:DWORD
	s_nop 1
	v_cndmask_b32_e64 v14, v13, v12, s[26:27]
; %bb.812:                              ;   in Loop: Header=BB9_788 Depth=3
	s_or_b64 exec, exec, s[42:43]
	v_lshlrev_b32_e32 v12, 16, v15
	v_lshlrev_b32_e32 v13, 16, v19
	v_max_f32_e32 v12, v12, v12
	v_max_f32_e32 v13, v13, v13
	v_min_f32_e32 v18, v13, v12
	v_max_f32_e32 v12, v13, v12
	v_cndmask_b32_e64 v12, v12, v18, s[24:25]
	v_and_b32_e32 v13, 0x7f800000, v12
	v_cmp_ne_u32_e64 s[26:27], s70, v13
                                        ; implicit-def: $vgpr18
	s_and_saveexec_b64 s[42:43], s[26:27]
	s_xor_b64 s[26:27], exec, s[42:43]
; %bb.813:                              ;   in Loop: Header=BB9_788 Depth=3
	v_bfe_u32 v13, v12, 16, 1
	v_add3_u32 v18, v12, v13, s71
                                        ; implicit-def: $vgpr12
; %bb.814:                              ;   in Loop: Header=BB9_788 Depth=3
	s_andn2_saveexec_b64 s[42:43], s[26:27]
; %bb.815:                              ;   in Loop: Header=BB9_788 Depth=3
	v_or_b32_e32 v13, 0x10000, v12
	v_cmp_eq_u32_sdwa s[26:27], v12, v3 src0_sel:WORD_0 src1_sel:DWORD
	s_nop 1
	v_cndmask_b32_e64 v18, v13, v12, s[26:27]
; %bb.816:                              ;   in Loop: Header=BB9_788 Depth=3
	s_or_b64 exec, exec, s[42:43]
	v_and_b32_e32 v12, 0xffff0000, v19
	v_and_b32_e32 v13, 0xffff0000, v15
	v_max_f32_e32 v13, v13, v13
	v_max_f32_e32 v12, v12, v12
	v_min_f32_e32 v15, v12, v13
	v_max_f32_e32 v12, v12, v13
	v_cndmask_b32_e64 v12, v12, v15, s[24:25]
	v_and_b32_e32 v13, 0x7f800000, v12
	v_cmp_ne_u32_e64 s[26:27], s70, v13
                                        ; implicit-def: $vgpr15
	s_and_saveexec_b64 s[42:43], s[26:27]
	s_xor_b64 s[26:27], exec, s[42:43]
; %bb.817:                              ;   in Loop: Header=BB9_788 Depth=3
	v_bfe_u32 v13, v12, 16, 1
	v_add3_u32 v15, v12, v13, s71
                                        ; implicit-def: $vgpr12
; %bb.818:                              ;   in Loop: Header=BB9_788 Depth=3
	s_andn2_saveexec_b64 s[42:43], s[26:27]
	s_cbranch_execz .LBB9_787
; %bb.819:                              ;   in Loop: Header=BB9_788 Depth=3
	v_or_b32_e32 v13, 0x10000, v12
	v_cmp_eq_u32_sdwa s[26:27], v12, v3 src0_sel:WORD_0 src1_sel:DWORD
	s_nop 1
	v_cndmask_b32_e64 v15, v13, v12, s[26:27]
	s_branch .LBB9_787
.LBB9_820:                              ;   in Loop: Header=BB9_575 Depth=2
	s_or_b64 exec, exec, s[40:41]
.LBB9_821:                              ;   in Loop: Header=BB9_575 Depth=2
	s_or_b64 exec, exec, s[28:29]
	v_and_b32_e32 v8, 14, v2
	v_cndmask_b32_e32 v23, v60, v8, vcc
	v_mov_b32_e32 v16, 0
	v_cmp_ne_u32_e64 s[24:25], 0, v23
	s_mov_b64 s[40:41], 0
                                        ; implicit-def: $vgpr2
                                        ; implicit-def: $vgpr17
	s_and_saveexec_b64 s[28:29], s[24:25]
	s_cbranch_execz .LBB9_859
; %bb.822:                              ;   in Loop: Header=BB9_575 Depth=2
	v_sub_u32_e32 v2, v60, v8
	v_cndmask_b32_e32 v2, 0, v2, vcc
	v_cmp_lt_i32_e32 vcc, 0, v59
	v_add_u32_e32 v2, v2, v58
	s_nop 0
	v_cndmask_b32_e32 v8, 0, v52, vcc
	v_sub_u32_e32 v8, v8, v59
	v_lshl_or_b32 v8, v8, 6, v75
	v_ashrrev_i32_e32 v9, 31, v8
	v_lshrrev_b32_e32 v9, 26, v9
	v_add_u32_e32 v9, v8, v9
	v_ashrrev_i32_e32 v10, 6, v9
	v_and_b32_e32 v9, 0xffffffc0, v9
	v_sub_u32_e32 v58, v8, v9
	v_ashrrev_i32_e32 v9, 31, v23
	v_lshrrev_b32_e32 v9, 22, v9
	v_add_u32_e32 v9, v23, v9
	v_and_b32_e32 v59, 0xfffffc00, v9
	v_lshlrev_b32_e32 v8, 4, v58
	v_sub_u32_e32 v60, v23, v59
	v_lshl_add_u32 v8, v10, 10, v8
	v_ashrrev_i32_e32 v11, 10, v9
	v_cmp_lt_i32_e32 vcc, 15, v60
	v_sub_u32_e32 v62, v23, v8
	s_nop 0
	v_addc_co_u32_e64 v9, s[24:25], 0, v11, vcc
	v_sub_u32_e32 v61, v9, v10
	v_cmp_lt_i32_e64 s[24:25], 15, v62
	s_and_saveexec_b64 s[40:41], s[24:25]
	s_cbranch_execz .LBB9_858
; %bb.823:                              ;   in Loop: Header=BB9_575 Depth=2
	s_trap 2
	ds_read_b64 v[10:11], v0
	v_add_u32_e32 v44, v8, v2
	s_and_b32 s74, s98, 1
	v_ashrrev_i32_e32 v45, 31, v44
	s_cmp_eq_u64 s[74:75], 0
	s_waitcnt lgkmcnt(0)
	v_lshl_add_u64 v[46:47], v[44:45], 0, v[42:43]
	v_lshl_add_u64 v[56:57], v[10:11], 0, v[44:45]
	s_mov_b64 s[42:43], 0
	s_cselect_b64 s[24:25], -1, 0
	s_branch .LBB9_825
.LBB9_824:                              ;   in Loop: Header=BB9_825 Depth=3
	s_or_b64 exec, exec, s[44:45]
	v_and_b32_e32 v19, 0xffff0000, v72
	v_and_b32_e32 v63, 0xffff0000, v63
	;; [unrolled: 1-line block ×4, first 2 shown]
	v_lshlrev_b32_e32 v8, 16, v8
	v_max_f32_e32 v63, v63, v63
	v_max_f32_e32 v8, v8, v8
	v_min_f32_e32 v91, v63, v8
	v_max_f32_e32 v8, v63, v8
	v_and_b32_e32 v16, 0xffff0000, v16
	v_cndmask_b32_e64 v8, v8, v91, s[24:25]
	v_bfe_u32 v91, v8, 16, 1
	v_or_b32_e32 v92, 0x10000, v8
	v_cmp_eq_u32_sdwa s[26:27], v8, v3 src0_sel:WORD_0 src1_sel:DWORD
	v_max_f32_e32 v16, v16, v16
	v_max_f32_e32 v73, v73, v73
	v_and_b32_e32 v63, 0x7f800000, v8
	v_add3_u32 v91, v8, v91, s71
	v_cndmask_b32_e64 v8, v92, v8, s[26:27]
	v_min_f32_e32 v92, v16, v73
	v_max_f32_e32 v16, v16, v73
	v_cndmask_b32_e64 v16, v16, v92, s[24:25]
	v_bfe_u32 v92, v16, 16, 1
	v_or_b32_e32 v93, 0x10000, v16
	v_cmp_eq_u32_sdwa s[26:27], v16, v3 src0_sel:WORD_0 src1_sel:DWORD
	v_and_b32_e32 v73, 0x7f800000, v16
	v_add3_u32 v92, v16, v92, s71
	v_cndmask_b32_e64 v16, v93, v16, s[26:27]
	v_and_b32_e32 v93, 0xffff0000, v9
	v_lshlrev_b32_e32 v9, 16, v9
	v_max_f32_e32 v19, v19, v19
	v_max_f32_e32 v9, v9, v9
	v_min_f32_e32 v94, v19, v9
	v_max_f32_e32 v9, v19, v9
	v_and_b32_e32 v17, 0xffff0000, v17
	v_cndmask_b32_e64 v9, v9, v94, s[24:25]
	v_bfe_u32 v94, v9, 16, 1
	v_or_b32_e32 v95, 0x10000, v9
	v_cmp_eq_u32_sdwa s[26:27], v9, v3 src0_sel:WORD_0 src1_sel:DWORD
	v_max_f32_e32 v17, v17, v17
	v_max_f32_e32 v93, v93, v93
	v_and_b32_e32 v19, 0x7f800000, v9
	v_add3_u32 v94, v9, v94, s71
	v_cndmask_b32_e64 v9, v95, v9, s[26:27]
	v_min_f32_e32 v95, v17, v93
	v_max_f32_e32 v17, v17, v93
	v_cndmask_b32_e64 v17, v17, v95, s[24:25]
	v_bfe_u32 v95, v17, 16, 1
	v_or_b32_e32 v104, 0x10000, v17
	v_cmp_eq_u32_sdwa s[26:27], v17, v3 src0_sel:WORD_0 src1_sel:DWORD
	v_and_b32_e32 v93, 0x7f800000, v17
	v_add3_u32 v95, v17, v95, s71
	v_cndmask_b32_e64 v17, v104, v17, s[26:27]
	v_and_b32_e32 v104, 0xffff0000, v10
	v_lshlrev_b32_e32 v10, 16, v10
	v_max_f32_e32 v72, v72, v72
	v_max_f32_e32 v10, v10, v10
	v_min_f32_e32 v105, v72, v10
	v_max_f32_e32 v10, v72, v10
	v_and_b32_e32 v14, 0xffff0000, v14
	v_cndmask_b32_e64 v10, v10, v105, s[24:25]
	v_bfe_u32 v105, v10, 16, 1
	v_or_b32_e32 v106, 0x10000, v10
	v_cmp_eq_u32_sdwa s[26:27], v10, v3 src0_sel:WORD_0 src1_sel:DWORD
	v_max_f32_e32 v14, v14, v14
	v_max_f32_e32 v104, v104, v104
	v_and_b32_e32 v72, 0x7f800000, v10
	v_add3_u32 v105, v10, v105, s71
	v_cndmask_b32_e64 v10, v106, v10, s[26:27]
	v_min_f32_e32 v106, v14, v104
	v_max_f32_e32 v14, v14, v104
	v_cndmask_b32_e64 v14, v14, v106, s[24:25]
	v_bfe_u32 v106, v14, 16, 1
	v_or_b32_e32 v107, 0x10000, v14
	v_cmp_eq_u32_sdwa s[26:27], v14, v3 src0_sel:WORD_0 src1_sel:DWORD
	v_and_b32_e32 v18, 0xffff0000, v18
	v_and_b32_e32 v104, 0x7f800000, v14
	v_add3_u32 v106, v14, v106, s71
	v_cndmask_b32_e64 v14, v107, v14, s[26:27]
	v_and_b32_e32 v107, 0xffff0000, v11
	v_lshlrev_b32_e32 v11, 16, v11
	v_max_f32_e32 v18, v18, v18
	v_max_f32_e32 v11, v11, v11
	v_min_f32_e32 v110, v18, v11
	v_max_f32_e32 v11, v18, v11
	v_and_b32_e32 v15, 0xffff0000, v15
	v_cndmask_b32_e64 v11, v11, v110, s[24:25]
	v_bfe_u32 v110, v11, 16, 1
	v_or_b32_e32 v111, 0x10000, v11
	v_cmp_eq_u32_sdwa s[26:27], v11, v3 src0_sel:WORD_0 src1_sel:DWORD
	v_max_f32_e32 v15, v15, v15
	v_max_f32_e32 v107, v107, v107
	v_and_b32_e32 v18, 0x7f800000, v11
	v_add3_u32 v110, v11, v110, s71
	v_cndmask_b32_e64 v11, v111, v11, s[26:27]
	v_min_f32_e32 v111, v15, v107
	v_max_f32_e32 v15, v15, v107
	v_cndmask_b32_e64 v15, v15, v111, s[24:25]
	v_bfe_u32 v111, v15, 16, 1
	v_or_b32_e32 v120, 0x10000, v15
	v_cmp_eq_u32_sdwa s[26:27], v15, v3 src0_sel:WORD_0 src1_sel:DWORD
	v_and_b32_e32 v107, 0x7f800000, v15
	v_add3_u32 v111, v15, v111, s71
	v_cndmask_b32_e64 v15, v120, v15, s[26:27]
	v_cmp_eq_u32_e64 s[26:27], s70, v63
	v_sub_u32_e32 v62, v62, v80
	v_lshl_add_u64 v[12:13], v[40:41], 0, v[44:45]
	v_cndmask_b32_e64 v8, v91, v8, s[26:27]
	v_cmp_eq_u32_e64 s[26:27], s70, v73
	v_lshrrev_b32_e32 v8, 16, v8
	v_lshl_add_u64 v[46:47], v[46:47], 0, v[80:81]
	v_cndmask_b32_e64 v16, v92, v16, s[26:27]
	v_cmp_eq_u32_e64 s[26:27], s70, v19
	v_and_or_b32 v8, v16, s80, v8
	v_lshl_add_u64 v[56:57], v[56:57], 0, v[80:81]
	v_cndmask_b32_e64 v9, v94, v9, s[26:27]
	v_cmp_eq_u32_e64 s[26:27], s70, v93
	v_lshrrev_b32_e32 v9, 16, v9
	v_lshl_add_u64 v[44:45], v[44:45], 0, v[80:81]
	v_cndmask_b32_e64 v17, v95, v17, s[26:27]
	v_cmp_eq_u32_e64 s[26:27], s70, v72
	v_and_or_b32 v9, v17, s80, v9
	v_sub_u32_e32 v61, v61, v52
	v_cndmask_b32_e64 v10, v105, v10, s[26:27]
	v_cmp_eq_u32_e64 s[26:27], s70, v104
	v_lshrrev_b32_e32 v10, 16, v10
	s_nop 0
	v_cndmask_b32_e64 v14, v106, v14, s[26:27]
	v_cmp_eq_u32_e64 s[26:27], s70, v18
	v_and_or_b32 v10, v14, s80, v10
	s_nop 0
	v_cndmask_b32_e64 v11, v110, v11, s[26:27]
	v_cmp_eq_u32_e64 s[26:27], s70, v107
	v_lshrrev_b32_e32 v11, 16, v11
	s_nop 0
	v_cndmask_b32_e64 v15, v111, v15, s[26:27]
	v_cmp_gt_i32_e64 s[26:27], 16, v62
	v_and_or_b32 v11, v15, s80, v11
	s_or_b64 s[42:43], s[26:27], s[42:43]
	global_store_dwordx4 v[12:13], v[8:11], off
	s_andn2_b64 exec, exec, s[42:43]
	s_cbranch_execz .LBB9_857
.LBB9_825:                              ;   Parent Loop BB9_47 Depth=1
                                        ;     Parent Loop BB9_575 Depth=2
                                        ; =>    This Inner Loop Header: Depth=3
	global_load_dwordx4 v[12:15], v[56:57], off nt
	global_load_dwordx4 v[16:19], v[46:47], off nt
	;; [unrolled: 1-line block ×3, first 2 shown]
	s_waitcnt vmcnt(0)
	v_lshlrev_b32_e32 v63, 16, v12
	v_lshlrev_b32_e32 v72, 16, v16
	v_max_f32_e32 v63, v63, v63
	v_max_f32_e32 v72, v72, v72
	v_min_f32_e32 v73, v72, v63
	v_max_f32_e32 v63, v72, v63
	v_cndmask_b32_e64 v72, v63, v73, s[24:25]
	v_and_b32_e32 v63, 0x7f800000, v72
	v_cmp_ne_u32_e64 s[26:27], s70, v63
                                        ; implicit-def: $vgpr63
	s_and_saveexec_b64 s[44:45], s[26:27]
	s_xor_b64 s[26:27], exec, s[44:45]
; %bb.826:                              ;   in Loop: Header=BB9_825 Depth=3
	v_bfe_u32 v63, v72, 16, 1
	v_add3_u32 v63, v72, v63, s71
                                        ; implicit-def: $vgpr72
; %bb.827:                              ;   in Loop: Header=BB9_825 Depth=3
	s_andn2_saveexec_b64 s[44:45], s[26:27]
; %bb.828:                              ;   in Loop: Header=BB9_825 Depth=3
	v_or_b32_e32 v63, 0x10000, v72
	v_cmp_eq_u32_sdwa s[26:27], v72, v3 src0_sel:WORD_0 src1_sel:DWORD
	s_nop 1
	v_cndmask_b32_e64 v63, v63, v72, s[26:27]
; %bb.829:                              ;   in Loop: Header=BB9_825 Depth=3
	s_or_b64 exec, exec, s[44:45]
	v_and_b32_e32 v12, 0xffff0000, v12
	v_and_b32_e32 v16, 0xffff0000, v16
	v_max_f32_e32 v12, v12, v12
	v_max_f32_e32 v16, v16, v16
	v_min_f32_e32 v72, v16, v12
	v_max_f32_e32 v12, v16, v12
	v_cndmask_b32_e64 v12, v12, v72, s[24:25]
	v_and_b32_e32 v16, 0x7f800000, v12
	v_cmp_ne_u32_e64 s[26:27], s70, v16
                                        ; implicit-def: $vgpr16
	s_and_saveexec_b64 s[44:45], s[26:27]
	s_xor_b64 s[26:27], exec, s[44:45]
; %bb.830:                              ;   in Loop: Header=BB9_825 Depth=3
	v_bfe_u32 v16, v12, 16, 1
	v_add3_u32 v16, v12, v16, s71
                                        ; implicit-def: $vgpr12
; %bb.831:                              ;   in Loop: Header=BB9_825 Depth=3
	s_andn2_saveexec_b64 s[44:45], s[26:27]
; %bb.832:                              ;   in Loop: Header=BB9_825 Depth=3
	v_or_b32_e32 v16, 0x10000, v12
	v_cmp_eq_u32_sdwa s[26:27], v12, v3 src0_sel:WORD_0 src1_sel:DWORD
	s_nop 1
	v_cndmask_b32_e64 v16, v16, v12, s[26:27]
; %bb.833:                              ;   in Loop: Header=BB9_825 Depth=3
	s_or_b64 exec, exec, s[44:45]
	v_lshlrev_b32_e32 v12, 16, v13
	v_lshlrev_b32_e32 v72, 16, v17
	v_max_f32_e32 v12, v12, v12
	v_max_f32_e32 v72, v72, v72
	v_min_f32_e32 v73, v72, v12
	v_max_f32_e32 v12, v72, v12
	v_cndmask_b32_e64 v12, v12, v73, s[24:25]
	v_and_b32_e32 v72, 0x7f800000, v12
	v_cmp_ne_u32_e64 s[26:27], s70, v72
                                        ; implicit-def: $vgpr72
	s_and_saveexec_b64 s[44:45], s[26:27]
	s_xor_b64 s[26:27], exec, s[44:45]
; %bb.834:                              ;   in Loop: Header=BB9_825 Depth=3
	v_bfe_u32 v72, v12, 16, 1
	v_add3_u32 v72, v12, v72, s71
                                        ; implicit-def: $vgpr12
; %bb.835:                              ;   in Loop: Header=BB9_825 Depth=3
	s_andn2_saveexec_b64 s[44:45], s[26:27]
; %bb.836:                              ;   in Loop: Header=BB9_825 Depth=3
	v_or_b32_e32 v72, 0x10000, v12
	v_cmp_eq_u32_sdwa s[26:27], v12, v3 src0_sel:WORD_0 src1_sel:DWORD
	s_nop 1
	v_cndmask_b32_e64 v72, v72, v12, s[26:27]
; %bb.837:                              ;   in Loop: Header=BB9_825 Depth=3
	s_or_b64 exec, exec, s[44:45]
	v_and_b32_e32 v12, 0xffff0000, v17
	v_and_b32_e32 v13, 0xffff0000, v13
	v_max_f32_e32 v13, v13, v13
	v_max_f32_e32 v12, v12, v12
	v_min_f32_e32 v17, v12, v13
	v_max_f32_e32 v12, v12, v13
	v_cndmask_b32_e64 v12, v12, v17, s[24:25]
	v_and_b32_e32 v13, 0x7f800000, v12
	v_cmp_ne_u32_e64 s[26:27], s70, v13
                                        ; implicit-def: $vgpr17
	s_and_saveexec_b64 s[44:45], s[26:27]
	s_xor_b64 s[26:27], exec, s[44:45]
; %bb.838:                              ;   in Loop: Header=BB9_825 Depth=3
	v_bfe_u32 v13, v12, 16, 1
	v_add3_u32 v17, v12, v13, s71
                                        ; implicit-def: $vgpr12
; %bb.839:                              ;   in Loop: Header=BB9_825 Depth=3
	s_andn2_saveexec_b64 s[44:45], s[26:27]
; %bb.840:                              ;   in Loop: Header=BB9_825 Depth=3
	v_or_b32_e32 v13, 0x10000, v12
	v_cmp_eq_u32_sdwa s[26:27], v12, v3 src0_sel:WORD_0 src1_sel:DWORD
	s_nop 1
	v_cndmask_b32_e64 v17, v13, v12, s[26:27]
; %bb.841:                              ;   in Loop: Header=BB9_825 Depth=3
	s_or_b64 exec, exec, s[44:45]
	v_lshlrev_b32_e32 v12, 16, v14
	v_lshlrev_b32_e32 v13, 16, v18
	v_max_f32_e32 v12, v12, v12
	v_max_f32_e32 v13, v13, v13
	v_min_f32_e32 v73, v13, v12
	v_max_f32_e32 v12, v13, v12
	v_cndmask_b32_e64 v12, v12, v73, s[24:25]
	v_and_b32_e32 v13, 0x7f800000, v12
	v_cmp_ne_u32_e64 s[26:27], s70, v13
                                        ; implicit-def: $vgpr73
	s_and_saveexec_b64 s[44:45], s[26:27]
	s_xor_b64 s[26:27], exec, s[44:45]
; %bb.842:                              ;   in Loop: Header=BB9_825 Depth=3
	v_bfe_u32 v13, v12, 16, 1
	v_add3_u32 v73, v12, v13, s71
                                        ; implicit-def: $vgpr12
; %bb.843:                              ;   in Loop: Header=BB9_825 Depth=3
	s_andn2_saveexec_b64 s[44:45], s[26:27]
; %bb.844:                              ;   in Loop: Header=BB9_825 Depth=3
	v_or_b32_e32 v13, 0x10000, v12
	v_cmp_eq_u32_sdwa s[26:27], v12, v3 src0_sel:WORD_0 src1_sel:DWORD
	s_nop 1
	v_cndmask_b32_e64 v73, v13, v12, s[26:27]
; %bb.845:                              ;   in Loop: Header=BB9_825 Depth=3
	s_or_b64 exec, exec, s[44:45]
	v_and_b32_e32 v12, 0xffff0000, v18
	v_and_b32_e32 v13, 0xffff0000, v14
	v_max_f32_e32 v13, v13, v13
	v_max_f32_e32 v12, v12, v12
	v_min_f32_e32 v14, v12, v13
	v_max_f32_e32 v12, v12, v13
	v_cndmask_b32_e64 v12, v12, v14, s[24:25]
	v_and_b32_e32 v13, 0x7f800000, v12
	v_cmp_ne_u32_e64 s[26:27], s70, v13
                                        ; implicit-def: $vgpr14
	s_and_saveexec_b64 s[44:45], s[26:27]
	s_xor_b64 s[26:27], exec, s[44:45]
; %bb.846:                              ;   in Loop: Header=BB9_825 Depth=3
	v_bfe_u32 v13, v12, 16, 1
	v_add3_u32 v14, v12, v13, s71
                                        ; implicit-def: $vgpr12
; %bb.847:                              ;   in Loop: Header=BB9_825 Depth=3
	s_andn2_saveexec_b64 s[44:45], s[26:27]
; %bb.848:                              ;   in Loop: Header=BB9_825 Depth=3
	v_or_b32_e32 v13, 0x10000, v12
	v_cmp_eq_u32_sdwa s[26:27], v12, v3 src0_sel:WORD_0 src1_sel:DWORD
	s_nop 1
	v_cndmask_b32_e64 v14, v13, v12, s[26:27]
; %bb.849:                              ;   in Loop: Header=BB9_825 Depth=3
	s_or_b64 exec, exec, s[44:45]
	v_lshlrev_b32_e32 v12, 16, v15
	v_lshlrev_b32_e32 v13, 16, v19
	v_max_f32_e32 v12, v12, v12
	v_max_f32_e32 v13, v13, v13
	v_min_f32_e32 v18, v13, v12
	v_max_f32_e32 v12, v13, v12
	v_cndmask_b32_e64 v12, v12, v18, s[24:25]
	v_and_b32_e32 v13, 0x7f800000, v12
	v_cmp_ne_u32_e64 s[26:27], s70, v13
                                        ; implicit-def: $vgpr18
	s_and_saveexec_b64 s[44:45], s[26:27]
	s_xor_b64 s[26:27], exec, s[44:45]
; %bb.850:                              ;   in Loop: Header=BB9_825 Depth=3
	v_bfe_u32 v13, v12, 16, 1
	v_add3_u32 v18, v12, v13, s71
                                        ; implicit-def: $vgpr12
; %bb.851:                              ;   in Loop: Header=BB9_825 Depth=3
	s_andn2_saveexec_b64 s[44:45], s[26:27]
; %bb.852:                              ;   in Loop: Header=BB9_825 Depth=3
	v_or_b32_e32 v13, 0x10000, v12
	v_cmp_eq_u32_sdwa s[26:27], v12, v3 src0_sel:WORD_0 src1_sel:DWORD
	s_nop 1
	v_cndmask_b32_e64 v18, v13, v12, s[26:27]
; %bb.853:                              ;   in Loop: Header=BB9_825 Depth=3
	s_or_b64 exec, exec, s[44:45]
	v_and_b32_e32 v12, 0xffff0000, v19
	v_and_b32_e32 v13, 0xffff0000, v15
	v_max_f32_e32 v13, v13, v13
	v_max_f32_e32 v12, v12, v12
	v_min_f32_e32 v15, v12, v13
	v_max_f32_e32 v12, v12, v13
	v_cndmask_b32_e64 v12, v12, v15, s[24:25]
	v_and_b32_e32 v13, 0x7f800000, v12
	v_cmp_ne_u32_e64 s[26:27], s70, v13
                                        ; implicit-def: $vgpr15
	s_and_saveexec_b64 s[44:45], s[26:27]
	s_xor_b64 s[26:27], exec, s[44:45]
; %bb.854:                              ;   in Loop: Header=BB9_825 Depth=3
	v_bfe_u32 v13, v12, 16, 1
	v_add3_u32 v15, v12, v13, s71
                                        ; implicit-def: $vgpr12
; %bb.855:                              ;   in Loop: Header=BB9_825 Depth=3
	s_andn2_saveexec_b64 s[44:45], s[26:27]
	s_cbranch_execz .LBB9_824
; %bb.856:                              ;   in Loop: Header=BB9_825 Depth=3
	v_or_b32_e32 v13, 0x10000, v12
	v_cmp_eq_u32_sdwa s[26:27], v12, v3 src0_sel:WORD_0 src1_sel:DWORD
	s_nop 1
	v_cndmask_b32_e64 v15, v13, v12, s[26:27]
	s_branch .LBB9_824
.LBB9_857:                              ;   in Loop: Header=BB9_575 Depth=2
	s_or_b64 exec, exec, s[42:43]
.LBB9_858:                              ;   in Loop: Header=BB9_575 Depth=2
	s_or_b64 exec, exec, s[40:41]
	v_and_b32_e32 v8, 14, v23
	v_sub_u32_e32 v9, v60, v8
	v_cndmask_b32_e32 v9, 0, v9, vcc
	v_add3_u32 v16, v59, v2, v9
	v_cndmask_b32_e32 v2, v60, v8, vcc
	v_cmp_lt_i32_e32 vcc, 0, v61
	s_nop 1
	v_cndmask_b32_e32 v8, 0, v52, vcc
	v_sub_u32_e32 v8, v8, v61
	v_cmp_ne_u32_e32 vcc, 0, v2
	v_lshl_add_u32 v17, v8, 6, v58
	s_and_b64 s[40:41], vcc, exec
.LBB9_859:                              ;   in Loop: Header=BB9_575 Depth=2
	s_or_b64 exec, exec, s[28:29]
	s_and_saveexec_b64 s[26:27], s[40:41]
	s_cbranch_execz .LBB9_904
.LBB9_860:                              ;   in Loop: Header=BB9_575 Depth=2
	v_ashrrev_i32_e32 v8, 31, v17
	v_ashrrev_i32_e32 v9, 31, v2
	v_lshrrev_b32_e32 v8, 26, v8
	v_lshrrev_b32_e32 v9, 23, v9
	v_add_u32_e32 v8, v17, v8
	v_add_u32_e32 v9, v2, v9
	v_ashrrev_i32_e32 v18, 6, v8
	v_ashrrev_i32_e32 v23, 9, v9
	v_sub_u32_e32 v19, v23, v18
	v_cmp_lt_i32_e32 vcc, 0, v19
	s_and_saveexec_b64 s[28:29], vcc
	s_cbranch_execz .LBB9_896
; %bb.861:                              ;   in Loop: Header=BB9_575 Depth=2
	v_and_b32_e32 v8, 0x7fffffc0, v8
	s_trap 2
	ds_read_b64 v[10:11], v0
	v_sub_u32_e32 v8, v17, v8
	v_lshlrev_b32_e32 v8, 1, v8
	v_lshlrev_b32_e32 v9, 9, v18
	v_add3_u32 v12, v8, v16, v9
	s_and_b32 s74, s98, 1
	v_ashrrev_i32_e32 v13, 31, v12
	s_cmp_eq_u64 s[74:75], 0
	v_lshl_add_u64 v[8:9], v[12:13], 0, v[42:43]
	s_waitcnt lgkmcnt(0)
	v_lshl_add_u64 v[10:11], v[10:11], 0, v[12:13]
	s_mov_b64 s[40:41], 0
	s_cselect_b64 s[24:25], -1, 0
	v_lshl_add_u64 v[12:13], v[12:13], 0, s[92:93]
	s_branch .LBB9_863
.LBB9_862:                              ;   in Loop: Header=BB9_863 Depth=3
	s_or_b64 exec, exec, s[42:43]
	v_sub_u32_e32 v19, v19, v52
	v_cmp_gt_i32_e32 vcc, 1, v19
	v_lshl_add_u64 v[8:9], v[8:9], 0, v[82:83]
	v_lshl_add_u64 v[10:11], v[10:11], 0, v[82:83]
	s_or_b64 s[40:41], vcc, s[40:41]
	v_lshl_add_u64 v[12:13], v[12:13], 0, v[82:83]
	flat_store_short_d16_hi v[14:15], v45 nt
	s_andn2_b64 exec, exec, s[40:41]
	s_cbranch_execz .LBB9_895
.LBB9_863:                              ;   Parent Loop BB9_47 Depth=1
                                        ;     Parent Loop BB9_575 Depth=2
                                        ; =>    This Inner Loop Header: Depth=3
	v_add_co_u32_e32 v14, vcc, 0xfffffe80, v12
	s_nop 1
	v_addc_co_u32_e32 v15, vcc, -1, v13, vcc
	flat_load_ushort v14, v[14:15] nt
	s_nop 0
	flat_load_ushort v57, v[8:9] offset:128 nt
	flat_load_ushort v56, v[8:9] offset:256 nt
	;; [unrolled: 1-line block ×3, first 2 shown]
	flat_load_ushort v15, v[8:9] nt
	flat_load_ushort v60, v[10:11] offset:128 nt
	flat_load_ushort v59, v[10:11] offset:256 nt
	;; [unrolled: 1-line block ×3, first 2 shown]
	flat_load_ushort v61, v[10:11] nt
	v_add_co_u32_e32 v62, vcc, 0xffffff00, v12
	s_waitcnt vmcnt(0) lgkmcnt(0)
	v_lshlrev_b32_e32 v15, 16, v15
	v_addc_co_u32_e32 v63, vcc, -1, v13, vcc
	v_add_co_u32_e32 v44, vcc, s68, v12
	v_lshlrev_b32_e32 v61, 16, v61
	s_nop 0
	v_addc_co_u32_e32 v45, vcc, -1, v13, vcc
	flat_load_ushort v45, v[44:45] nt
	s_nop 0
	flat_load_ushort v44, v[12:13] nt
	flat_load_ushort v46, v[62:63] nt
	v_max_f32_e32 v61, v61, v61
	v_max_f32_e32 v15, v15, v15
	v_min_f32_e32 v62, v15, v61
	v_max_f32_e32 v15, v15, v61
	v_cndmask_b32_e64 v61, v15, v62, s[24:25]
	v_and_b32_e32 v15, 0x7f800000, v61
	v_cmp_ne_u32_e32 vcc, s70, v15
                                        ; implicit-def: $vgpr15
	s_and_saveexec_b64 s[42:43], vcc
	s_xor_b64 s[42:43], exec, s[42:43]
; %bb.864:                              ;   in Loop: Header=BB9_863 Depth=3
	v_bfe_u32 v15, v61, 16, 1
	v_add3_u32 v15, v61, v15, s71
                                        ; implicit-def: $vgpr61
; %bb.865:                              ;   in Loop: Header=BB9_863 Depth=3
	s_andn2_saveexec_b64 s[42:43], s[42:43]
; %bb.866:                              ;   in Loop: Header=BB9_863 Depth=3
	v_or_b32_e32 v15, 0x10000, v61
	v_cmp_eq_u32_sdwa vcc, v61, v3 src0_sel:WORD_0 src1_sel:DWORD
	s_nop 1
	v_cndmask_b32_e32 v15, v15, v61, vcc
; %bb.867:                              ;   in Loop: Header=BB9_863 Depth=3
	s_or_b64 exec, exec, s[42:43]
	v_lshlrev_b32_e32 v57, 16, v57
	v_lshlrev_b32_e32 v60, 16, v60
	v_max_f32_e32 v60, v60, v60
	v_max_f32_e32 v57, v57, v57
	v_min_f32_e32 v61, v57, v60
	v_max_f32_e32 v57, v57, v60
	v_cndmask_b32_e64 v60, v57, v61, s[24:25]
	v_and_b32_e32 v57, 0x7f800000, v60
	v_cmp_ne_u32_e32 vcc, s70, v57
                                        ; implicit-def: $vgpr57
	s_and_saveexec_b64 s[42:43], vcc
	s_xor_b64 s[42:43], exec, s[42:43]
; %bb.868:                              ;   in Loop: Header=BB9_863 Depth=3
	v_bfe_u32 v57, v60, 16, 1
	v_add3_u32 v57, v60, v57, s71
                                        ; implicit-def: $vgpr60
; %bb.869:                              ;   in Loop: Header=BB9_863 Depth=3
	s_andn2_saveexec_b64 s[42:43], s[42:43]
; %bb.870:                              ;   in Loop: Header=BB9_863 Depth=3
	v_or_b32_e32 v57, 0x10000, v60
	v_cmp_eq_u32_sdwa vcc, v60, v3 src0_sel:WORD_0 src1_sel:DWORD
	s_nop 1
	v_cndmask_b32_e32 v57, v57, v60, vcc
; %bb.871:                              ;   in Loop: Header=BB9_863 Depth=3
	s_or_b64 exec, exec, s[42:43]
	v_lshlrev_b32_e32 v56, 16, v56
	v_lshlrev_b32_e32 v59, 16, v59
	v_max_f32_e32 v59, v59, v59
	v_max_f32_e32 v56, v56, v56
	v_min_f32_e32 v60, v56, v59
	v_max_f32_e32 v56, v56, v59
	v_cndmask_b32_e64 v59, v56, v60, s[24:25]
	v_and_b32_e32 v56, 0x7f800000, v59
	v_cmp_ne_u32_e32 vcc, s70, v56
                                        ; implicit-def: $vgpr56
	s_and_saveexec_b64 s[42:43], vcc
	s_xor_b64 s[42:43], exec, s[42:43]
; %bb.872:                              ;   in Loop: Header=BB9_863 Depth=3
	v_bfe_u32 v56, v59, 16, 1
	v_add3_u32 v56, v59, v56, s71
                                        ; implicit-def: $vgpr59
; %bb.873:                              ;   in Loop: Header=BB9_863 Depth=3
	s_andn2_saveexec_b64 s[42:43], s[42:43]
; %bb.874:                              ;   in Loop: Header=BB9_863 Depth=3
	v_or_b32_e32 v56, 0x10000, v59
	v_cmp_eq_u32_sdwa vcc, v59, v3 src0_sel:WORD_0 src1_sel:DWORD
	s_nop 1
	v_cndmask_b32_e32 v56, v56, v59, vcc
; %bb.875:                              ;   in Loop: Header=BB9_863 Depth=3
	s_or_b64 exec, exec, s[42:43]
	v_lshlrev_b32_e32 v47, 16, v47
	v_lshlrev_b32_e32 v58, 16, v58
	v_max_f32_e32 v58, v58, v58
	v_max_f32_e32 v47, v47, v47
	v_min_f32_e32 v59, v47, v58
	v_max_f32_e32 v47, v47, v58
	v_cndmask_b32_e64 v58, v47, v59, s[24:25]
	v_and_b32_e32 v47, 0x7f800000, v58
	v_cmp_ne_u32_e32 vcc, s70, v47
                                        ; implicit-def: $vgpr47
	s_and_saveexec_b64 s[42:43], vcc
	s_xor_b64 s[42:43], exec, s[42:43]
; %bb.876:                              ;   in Loop: Header=BB9_863 Depth=3
	v_bfe_u32 v47, v58, 16, 1
	v_add3_u32 v47, v58, v47, s71
                                        ; implicit-def: $vgpr58
; %bb.877:                              ;   in Loop: Header=BB9_863 Depth=3
	s_andn2_saveexec_b64 s[42:43], s[42:43]
; %bb.878:                              ;   in Loop: Header=BB9_863 Depth=3
	v_or_b32_e32 v47, 0x10000, v58
	v_cmp_eq_u32_sdwa vcc, v58, v3 src0_sel:WORD_0 src1_sel:DWORD
	s_nop 1
	v_cndmask_b32_e32 v47, v47, v58, vcc
; %bb.879:                              ;   in Loop: Header=BB9_863 Depth=3
	s_or_b64 exec, exec, s[42:43]
	v_and_b32_e32 v15, 0xffff0000, v15
	v_lshlrev_b32_e32 v14, 16, v14
	v_max_f32_e32 v15, v15, v15
	v_max_f32_e32 v14, v14, v14
	v_min_f32_e32 v58, v15, v14
	v_max_f32_e32 v14, v15, v14
	v_cndmask_b32_e64 v14, v14, v58, s[24:25]
	v_and_b32_e32 v15, 0x7f800000, v14
	v_cmp_ne_u32_e32 vcc, s70, v15
                                        ; implicit-def: $vgpr58
	s_and_saveexec_b64 s[42:43], vcc
	s_xor_b64 s[42:43], exec, s[42:43]
; %bb.880:                              ;   in Loop: Header=BB9_863 Depth=3
	v_bfe_u32 v15, v14, 16, 1
	v_add3_u32 v58, v14, v15, s71
                                        ; implicit-def: $vgpr14
; %bb.881:                              ;   in Loop: Header=BB9_863 Depth=3
	s_andn2_saveexec_b64 s[42:43], s[42:43]
; %bb.882:                              ;   in Loop: Header=BB9_863 Depth=3
	v_or_b32_e32 v15, 0x10000, v14
	v_cmp_eq_u32_sdwa vcc, v14, v3 src0_sel:WORD_0 src1_sel:DWORD
	s_nop 1
	v_cndmask_b32_e32 v58, v15, v14, vcc
; %bb.883:                              ;   in Loop: Header=BB9_863 Depth=3
	s_or_b64 exec, exec, s[42:43]
	v_lshl_add_u64 v[14:15], v[40:41], 0, v[12:13]
	v_and_b32_e32 v57, 0xffff0000, v57
	v_add_co_u32_e32 v60, vcc, 0xfffffe80, v14
	s_waitcnt vmcnt(0) lgkmcnt(0)
	v_lshlrev_b32_e32 v46, 16, v46
	v_addc_co_u32_e32 v61, vcc, -1, v15, vcc
	v_max_f32_e32 v57, v57, v57
	v_max_f32_e32 v46, v46, v46
	flat_store_short_d16_hi v[60:61], v58 nt
	v_min_f32_e32 v58, v57, v46
	v_max_f32_e32 v46, v57, v46
	v_cndmask_b32_e64 v57, v46, v58, s[24:25]
	v_and_b32_e32 v46, 0x7f800000, v57
	v_cmp_ne_u32_e32 vcc, s70, v46
                                        ; implicit-def: $vgpr46
	s_and_saveexec_b64 s[42:43], vcc
	s_xor_b64 s[42:43], exec, s[42:43]
; %bb.884:                              ;   in Loop: Header=BB9_863 Depth=3
	v_bfe_u32 v46, v57, 16, 1
	v_add3_u32 v46, v57, v46, s71
                                        ; implicit-def: $vgpr57
; %bb.885:                              ;   in Loop: Header=BB9_863 Depth=3
	s_andn2_saveexec_b64 s[42:43], s[42:43]
; %bb.886:                              ;   in Loop: Header=BB9_863 Depth=3
	v_or_b32_e32 v46, 0x10000, v57
	v_cmp_eq_u32_sdwa vcc, v57, v3 src0_sel:WORD_0 src1_sel:DWORD
	s_nop 1
	v_cndmask_b32_e32 v46, v46, v57, vcc
; %bb.887:                              ;   in Loop: Header=BB9_863 Depth=3
	s_or_b64 exec, exec, s[42:43]
	v_and_b32_e32 v58, 0xffff0000, v56
	v_add_co_u32_e32 v56, vcc, 0xffffff00, v14
	v_lshlrev_b32_e32 v45, 16, v45
	s_nop 0
	v_addc_co_u32_e32 v57, vcc, -1, v15, vcc
	flat_store_short_d16_hi v[56:57], v46 nt
	v_max_f32_e32 v46, v58, v58
	v_max_f32_e32 v45, v45, v45
	v_min_f32_e32 v56, v46, v45
	v_max_f32_e32 v45, v46, v45
	v_cndmask_b32_e64 v46, v45, v56, s[24:25]
	v_and_b32_e32 v45, 0x7f800000, v46
	v_cmp_ne_u32_e32 vcc, s70, v45
                                        ; implicit-def: $vgpr45
	s_and_saveexec_b64 s[42:43], vcc
	s_xor_b64 s[42:43], exec, s[42:43]
; %bb.888:                              ;   in Loop: Header=BB9_863 Depth=3
	v_bfe_u32 v45, v46, 16, 1
	v_add3_u32 v45, v46, v45, s71
                                        ; implicit-def: $vgpr46
; %bb.889:                              ;   in Loop: Header=BB9_863 Depth=3
	s_andn2_saveexec_b64 s[42:43], s[42:43]
; %bb.890:                              ;   in Loop: Header=BB9_863 Depth=3
	v_or_b32_e32 v45, 0x10000, v46
	v_cmp_eq_u32_sdwa vcc, v46, v3 src0_sel:WORD_0 src1_sel:DWORD
	s_nop 1
	v_cndmask_b32_e32 v45, v45, v46, vcc
; %bb.891:                              ;   in Loop: Header=BB9_863 Depth=3
	s_or_b64 exec, exec, s[42:43]
	v_add_co_u32_e32 v46, vcc, 0xffffff80, v14
	v_and_b32_e32 v56, 0xffff0000, v47
	s_nop 0
	v_addc_co_u32_e32 v47, vcc, -1, v15, vcc
	v_lshlrev_b32_e32 v44, 16, v44
	flat_store_short_d16_hi v[46:47], v45 nt
	v_max_f32_e32 v45, v56, v56
	v_max_f32_e32 v44, v44, v44
	v_min_f32_e32 v46, v45, v44
	v_max_f32_e32 v44, v45, v44
	v_cndmask_b32_e64 v44, v44, v46, s[24:25]
	v_and_b32_e32 v45, 0x7f800000, v44
	v_cmp_ne_u32_e32 vcc, s70, v45
                                        ; implicit-def: $vgpr45
	s_and_saveexec_b64 s[42:43], vcc
	s_xor_b64 s[42:43], exec, s[42:43]
; %bb.892:                              ;   in Loop: Header=BB9_863 Depth=3
	v_bfe_u32 v45, v44, 16, 1
	v_add3_u32 v45, v44, v45, s71
                                        ; implicit-def: $vgpr44
; %bb.893:                              ;   in Loop: Header=BB9_863 Depth=3
	s_andn2_saveexec_b64 s[42:43], s[42:43]
	s_cbranch_execz .LBB9_862
; %bb.894:                              ;   in Loop: Header=BB9_863 Depth=3
	v_or_b32_e32 v45, 0x10000, v44
	v_cmp_eq_u32_sdwa vcc, v44, v3 src0_sel:WORD_0 src1_sel:DWORD
	s_nop 1
	v_cndmask_b32_e32 v45, v45, v44, vcc
	s_branch .LBB9_862
.LBB9_895:                              ;   in Loop: Header=BB9_575 Depth=2
	s_or_b64 exec, exec, s[40:41]
.LBB9_896:                              ;   in Loop: Header=BB9_575 Depth=2
	s_or_b64 exec, exec, s[28:29]
	v_lshlrev_b32_e32 v8, 9, v23
	v_cmp_ne_u32_e32 vcc, v2, v8
	s_and_b64 exec, exec, vcc
	s_cbranch_execz .LBB9_904
; %bb.897:                              ;   in Loop: Header=BB9_575 Depth=2
	v_lshlrev_b32_e32 v9, 6, v18
	v_sub_u32_e32 v9, v17, v9
	v_lshlrev_b32_e32 v10, 6, v19
	v_sub_u32_e32 v9, v9, v10
	v_ashrrev_i32_e32 v10, 31, v9
	v_lshrrev_b32_e32 v10, 26, v10
	v_add_u32_e32 v10, v9, v10
	v_and_b32_e32 v11, 0x7fffffc0, v10
	v_sub_u32_e32 v9, v9, v11
	v_lshlrev_b32_e32 v10, 1, v10
	v_and_b32_e32 v10, 0xffffff80, v10
	v_lshlrev_b32_e32 v9, 1, v9
	v_add3_u32 v8, v10, v9, v8
	v_sub_u32_e32 v2, v2, v8
	v_cmp_lt_i32_e32 vcc, 1, v2
	s_and_b64 exec, exec, vcc
	s_cbranch_execz .LBB9_904
; %bb.898:                              ;   in Loop: Header=BB9_575 Depth=2
	s_trap 2
	ds_read_b64 v[12:13], v0
	v_add_u32_e32 v8, v8, v16
	s_and_b32 s74, s98, 1
	v_ashrrev_i32_e32 v9, 31, v8
	s_cmp_eq_u64 s[74:75], 0
	v_lshl_add_u64 v[10:11], v[8:9], 0, v[42:43]
	s_waitcnt lgkmcnt(0)
	v_lshl_add_u64 v[12:13], v[12:13], 0, v[8:9]
	s_mov_b64 s[28:29], 0
	s_cselect_b64 vcc, -1, 0
	s_branch .LBB9_900
.LBB9_899:                              ;   in Loop: Header=BB9_900 Depth=3
	s_or_b64 exec, exec, s[40:41]
	v_and_b32_e32 v15, 0xffff0000, v16
	v_lshlrev_b32_e32 v14, 16, v14
	v_max_f32_e32 v15, v15, v15
	v_max_f32_e32 v14, v14, v14
	v_min_f32_e32 v16, v15, v14
	v_max_f32_e32 v14, v15, v14
	v_cndmask_b32_e32 v14, v14, v16, vcc
	v_and_b32_e32 v15, 0x7f800000, v14
	v_bfe_u32 v16, v14, 16, 1
	v_or_b32_e32 v17, 0x10000, v14
	v_cmp_eq_u32_sdwa s[24:25], v14, v3 src0_sel:WORD_0 src1_sel:DWORD
	v_add3_u32 v16, v14, v16, s71
	v_sub_u32_e32 v2, v2, v84
	v_cndmask_b32_e64 v14, v17, v14, s[24:25]
	v_cmp_eq_u32_e64 s[24:25], s70, v15
	v_lshl_add_u64 v[18:19], v[40:41], 0, v[8:9]
	v_lshl_add_u64 v[10:11], v[10:11], 0, v[84:85]
	v_cndmask_b32_e64 v14, v16, v14, s[24:25]
	v_cmp_gt_i32_e64 s[24:25], 2, v2
	v_lshl_add_u64 v[12:13], v[12:13], 0, v[84:85]
	s_or_b64 s[28:29], s[24:25], s[28:29]
	v_lshl_add_u64 v[8:9], v[8:9], 0, v[84:85]
	flat_store_short_d16_hi v[18:19], v14 nt
	s_andn2_b64 exec, exec, s[28:29]
	s_cbranch_execz .LBB9_904
.LBB9_900:                              ;   Parent Loop BB9_47 Depth=1
                                        ;     Parent Loop BB9_575 Depth=2
                                        ; =>    This Inner Loop Header: Depth=3
	flat_load_ushort v15, v[12:13] nt
	flat_load_ushort v16, v[10:11] nt
	;; [unrolled: 1-line block ×3, first 2 shown]
	s_waitcnt vmcnt(0) lgkmcnt(0)
	v_lshlrev_b32_e32 v15, 16, v15
	v_lshlrev_b32_e32 v16, 16, v16
	v_max_f32_e32 v15, v15, v15
	v_max_f32_e32 v16, v16, v16
	v_min_f32_e32 v17, v16, v15
	v_max_f32_e32 v15, v16, v15
	v_cndmask_b32_e32 v15, v15, v17, vcc
	v_and_b32_e32 v16, 0x7f800000, v15
	v_cmp_ne_u32_e64 s[24:25], s70, v16
                                        ; implicit-def: $vgpr16
	s_and_saveexec_b64 s[40:41], s[24:25]
	s_xor_b64 s[24:25], exec, s[40:41]
; %bb.901:                              ;   in Loop: Header=BB9_900 Depth=3
	v_bfe_u32 v16, v15, 16, 1
	v_add3_u32 v16, v15, v16, s71
                                        ; implicit-def: $vgpr15
; %bb.902:                              ;   in Loop: Header=BB9_900 Depth=3
	s_andn2_saveexec_b64 s[40:41], s[24:25]
	s_cbranch_execz .LBB9_899
; %bb.903:                              ;   in Loop: Header=BB9_900 Depth=3
	v_or_b32_e32 v16, 0x10000, v15
	v_cmp_eq_u32_sdwa s[24:25], v15, v3 src0_sel:WORD_0 src1_sel:DWORD
	s_nop 1
	v_cndmask_b32_e64 v16, v16, v15, s[24:25]
	s_branch .LBB9_899
.LBB9_904:                              ;   in Loop: Header=BB9_575 Depth=2
	s_or_b64 exec, exec, s[26:27]
	v_cmp_lt_i32_e64 s[24:25], 0, v21
	s_and_saveexec_b64 s[26:27], s[4:5]
	s_cbranch_execz .LBB9_923
.LBB9_905:                              ;   in Loop: Header=BB9_575 Depth=2
	s_and_saveexec_b64 s[28:29], s[76:77]
	s_xor_b64 s[28:29], exec, s[28:29]
	s_cbranch_execz .LBB9_920
; %bb.906:                              ;   in Loop: Header=BB9_575 Depth=2
	s_and_saveexec_b64 s[40:41], s[12:13]
	s_cbranch_execz .LBB9_919
; %bb.907:                              ;   in Loop: Header=BB9_575 Depth=2
	s_mov_b64 s[44:45], exec
	v_mbcnt_lo_u32_b32 v2, s44, 0
	v_mbcnt_hi_u32_b32 v2, s45, v2
	v_cmp_eq_u32_e32 vcc, 0, v2
	s_waitcnt lgkmcnt(0)
	s_and_saveexec_b64 s[42:43], vcc
	s_cbranch_execz .LBB9_909
; %bb.908:                              ;   in Loop: Header=BB9_575 Depth=2
	s_bcnt1_i32_b64 s44, s[44:45]
	v_mov_b32_e32 v2, s44
	ds_add_u64 v0, v[2:3]
	s_trap 2
.LBB9_909:                              ;   in Loop: Header=BB9_575 Depth=2
	s_or_b64 exec, exec, s[42:43]
	s_trap 2
	ds_read_b64 v[8:9], v0
	s_waitcnt lgkmcnt(0)
	v_lshl_add_u64 v[38:39], v[38:39], 0, v[52:53]
	v_cmp_lt_u64_e32 vcc, v[8:9], v[38:39]
	s_and_saveexec_b64 s[42:43], vcc
	s_cbranch_execz .LBB9_918
; %bb.910:                              ;   in Loop: Header=BB9_575 Depth=2
	s_mov_b32 s74, 0
	s_mov_b64 s[44:45], 0
                                        ; implicit-def: $sgpr46_sgpr47
                                        ; implicit-def: $sgpr56_sgpr57
	s_branch .LBB9_912
.LBB9_911:                              ;   in Loop: Header=BB9_912 Depth=3
	s_or_b64 exec, exec, s[60:61]
	s_and_b64 s[58:59], exec, vcc
	s_or_b64 s[44:45], s[58:59], s[44:45]
	s_andn2_b64 s[46:47], s[46:47], exec
	s_and_b64 s[58:59], s[56:57], exec
	s_or_b64 s[46:47], s[46:47], s[58:59]
	s_andn2_b64 exec, exec, s[44:45]
	s_cbranch_execz .LBB9_916
.LBB9_912:                              ;   Parent Loop BB9_47 Depth=1
                                        ;     Parent Loop BB9_575 Depth=2
                                        ; =>    This Inner Loop Header: Depth=3
	s_add_i32 s74, s74, 1
	s_cmpk_lg_i32 s74, 0x2710
	s_cselect_b64 s[58:59], -1, 0
	s_and_b64 vcc, exec, s[58:59]
	s_cbranch_vccz .LBB9_914
; %bb.913:                              ;   in Loop: Header=BB9_912 Depth=3
	s_mov_b64 vcc, -1
	s_or_b64 s[56:57], s[56:57], exec
	s_and_saveexec_b64 s[60:61], s[58:59]
	s_cbranch_execz .LBB9_911
	s_branch .LBB9_915
.LBB9_914:                              ;   in Loop: Header=BB9_912 Depth=3
	s_trap 2
	ds_read_b64 v[8:9], v0
	s_andn2_b64 s[58:59], s[58:59], exec
	s_mov_b32 s74, 0
	s_waitcnt vmcnt(0) lgkmcnt(0)
	flat_load_dword v2, v[8:9] sc0 sc1
	s_waitcnt vmcnt(0) lgkmcnt(0)
	buffer_inv sc0 sc1
	v_cmp_eq_u32_e32 vcc, 0, v2
	s_and_b64 s[60:61], vcc, exec
	s_or_b64 s[58:59], s[58:59], s[60:61]
	s_mov_b64 vcc, -1
	s_or_b64 s[56:57], s[56:57], exec
	s_and_saveexec_b64 s[60:61], s[58:59]
	s_cbranch_execz .LBB9_911
.LBB9_915:                              ;   in Loop: Header=BB9_912 Depth=3
	s_sleep 1
	s_trap 2
	ds_read_b64 v[8:9], v0
	s_waitcnt lgkmcnt(0)
	s_andn2_b64 s[56:57], s[56:57], exec
	v_cmp_ge_u64_e32 vcc, v[8:9], v[38:39]
	s_orn2_b64 vcc, vcc, exec
	s_branch .LBB9_911
.LBB9_916:                              ;   in Loop: Header=BB9_575 Depth=2
	s_or_b64 exec, exec, s[44:45]
	s_and_saveexec_b64 s[44:45], s[46:47]
	s_xor_b64 s[44:45], exec, s[44:45]
	s_cbranch_execz .LBB9_918
; %bb.917:                              ;   in Loop: Header=BB9_575 Depth=2
	ds_write_b32 v0, v77
	s_trap 2
.LBB9_918:                              ;   in Loop: Header=BB9_575 Depth=2
	s_or_b64 exec, exec, s[42:43]
	;;#ASMSTART
	s_wakeup
	;;#ASMEND
.LBB9_919:                              ;   in Loop: Header=BB9_575 Depth=2
	s_or_b64 exec, exec, s[40:41]
.LBB9_920:                              ;   in Loop: Header=BB9_575 Depth=2
	s_andn2_saveexec_b64 s[28:29], s[28:29]
	s_cbranch_execz .LBB9_922
; %bb.921:                              ;   in Loop: Header=BB9_575 Depth=2
	s_waitcnt lgkmcnt(0)
	s_barrier
.LBB9_922:                              ;   in Loop: Header=BB9_575 Depth=2
	s_or_b64 exec, exec, s[28:29]
.LBB9_923:                              ;   in Loop: Header=BB9_575 Depth=2
	s_or_b64 exec, exec, s[26:27]
	v_and_b32_e32 v8, 16, v74
	s_and_saveexec_b64 s[26:27], s[20:21]
	s_xor_b64 s[26:27], exec, s[26:27]
	s_cbranch_execz .LBB9_927
; %bb.924:                              ;   in Loop: Header=BB9_575 Depth=2
	v_and_b32_e32 v2, 16, v74
	v_cmp_ne_u32_e32 vcc, 0, v2
	v_and_b32_e32 v8, 16, v74
	s_and_b64 s[28:29], vcc, s[24:25]
	s_and_saveexec_b64 s[24:25], s[28:29]
	s_cbranch_execz .LBB9_926
; %bb.925:                              ;   in Loop: Header=BB9_575 Depth=2
	v_mov_b32_e32 v8, 1
	buffer_wbl2 sc1
	s_waitcnt vmcnt(0) lgkmcnt(0)
	buffer_inv sc1
.LBB9_926:                              ;   in Loop: Header=BB9_575 Depth=2
	s_or_b64 exec, exec, s[24:25]
.LBB9_927:                              ;   in Loop: Header=BB9_575 Depth=2
	s_andn2_saveexec_b64 s[24:25], s[26:27]
	s_cbranch_execz .LBB9_946
; %bb.928:                              ;   in Loop: Header=BB9_575 Depth=2
	s_and_saveexec_b64 s[26:27], s[76:77]
	s_xor_b64 s[26:27], exec, s[26:27]
	s_cbranch_execz .LBB9_943
; %bb.929:                              ;   in Loop: Header=BB9_575 Depth=2
	s_and_saveexec_b64 s[28:29], s[12:13]
	s_cbranch_execz .LBB9_942
; %bb.930:                              ;   in Loop: Header=BB9_575 Depth=2
	s_mov_b64 s[42:43], exec
	v_mbcnt_lo_u32_b32 v2, s42, 0
	v_mbcnt_hi_u32_b32 v2, s43, v2
	v_cmp_eq_u32_e32 vcc, 0, v2
	;;#ASMSTART
	s_waitcnt lgkmcnt(0) vmcnt(0)
	;;#ASMEND
	s_and_saveexec_b64 s[40:41], vcc
	s_cbranch_execz .LBB9_932
; %bb.931:                              ;   in Loop: Header=BB9_575 Depth=2
	s_bcnt1_i32_b64 s42, s[42:43]
	v_mov_b32_e32 v2, s42
	s_waitcnt lgkmcnt(0)
	ds_add_u64 v0, v[2:3]
	s_trap 2
.LBB9_932:                              ;   in Loop: Header=BB9_575 Depth=2
	s_or_b64 exec, exec, s[40:41]
	s_trap 2
	ds_read_b64 v[10:11], v0
	s_waitcnt lgkmcnt(0)
	v_lshl_add_u64 v[38:39], v[38:39], 0, v[52:53]
	v_cmp_lt_u64_e32 vcc, v[10:11], v[38:39]
	s_and_saveexec_b64 s[40:41], vcc
	s_cbranch_execz .LBB9_941
; %bb.933:                              ;   in Loop: Header=BB9_575 Depth=2
	s_mov_b32 s74, 0
	s_mov_b64 s[42:43], 0
                                        ; implicit-def: $sgpr44_sgpr45
                                        ; implicit-def: $sgpr46_sgpr47
	s_branch .LBB9_935
.LBB9_934:                              ;   in Loop: Header=BB9_935 Depth=3
	s_or_b64 exec, exec, s[58:59]
	s_and_b64 s[56:57], exec, s[60:61]
	s_or_b64 s[42:43], s[56:57], s[42:43]
	s_andn2_b64 s[44:45], s[44:45], exec
	s_and_b64 s[56:57], s[46:47], exec
	s_or_b64 s[44:45], s[44:45], s[56:57]
	s_andn2_b64 exec, exec, s[42:43]
	s_cbranch_execz .LBB9_939
.LBB9_935:                              ;   Parent Loop BB9_47 Depth=1
                                        ;     Parent Loop BB9_575 Depth=2
                                        ; =>    This Inner Loop Header: Depth=3
	s_add_i32 s74, s74, 1
	s_cmpk_lg_i32 s74, 0x2710
	s_cselect_b64 s[56:57], -1, 0
	s_and_b64 vcc, exec, s[56:57]
	s_cbranch_vccz .LBB9_937
; %bb.936:                              ;   in Loop: Header=BB9_935 Depth=3
	s_mov_b64 s[60:61], -1
	s_or_b64 s[46:47], s[46:47], exec
	s_and_saveexec_b64 s[58:59], s[56:57]
	s_cbranch_execz .LBB9_934
	s_branch .LBB9_938
.LBB9_937:                              ;   in Loop: Header=BB9_935 Depth=3
	s_trap 2
	ds_read_b64 v[10:11], v0
	s_andn2_b64 s[56:57], s[56:57], exec
	s_mov_b32 s74, 0
	s_waitcnt vmcnt(0) lgkmcnt(0)
	flat_load_dword v2, v[10:11] sc0 sc1
	s_waitcnt vmcnt(0) lgkmcnt(0)
	buffer_inv sc0 sc1
	v_cmp_eq_u32_e32 vcc, 0, v2
	s_and_b64 s[58:59], vcc, exec
	s_or_b64 s[56:57], s[56:57], s[58:59]
	s_mov_b64 s[60:61], -1
	s_or_b64 s[46:47], s[46:47], exec
	s_and_saveexec_b64 s[58:59], s[56:57]
	s_cbranch_execz .LBB9_934
.LBB9_938:                              ;   in Loop: Header=BB9_935 Depth=3
	s_sleep 1
	s_trap 2
	ds_read_b64 v[10:11], v0
	s_waitcnt lgkmcnt(0)
	s_andn2_b64 s[46:47], s[46:47], exec
	v_cmp_ge_u64_e32 vcc, v[10:11], v[38:39]
	s_orn2_b64 s[60:61], vcc, exec
	s_branch .LBB9_934
.LBB9_939:                              ;   in Loop: Header=BB9_575 Depth=2
	s_or_b64 exec, exec, s[42:43]
	s_and_saveexec_b64 s[42:43], s[44:45]
	s_xor_b64 s[42:43], exec, s[42:43]
	s_cbranch_execz .LBB9_941
; %bb.940:                              ;   in Loop: Header=BB9_575 Depth=2
	ds_write_b32 v0, v77
	s_trap 2
.LBB9_941:                              ;   in Loop: Header=BB9_575 Depth=2
	s_or_b64 exec, exec, s[40:41]
	;;#ASMSTART
	s_wakeup
	;;#ASMEND
.LBB9_942:                              ;   in Loop: Header=BB9_575 Depth=2
	s_or_b64 exec, exec, s[28:29]
.LBB9_943:                              ;   in Loop: Header=BB9_575 Depth=2
	s_andn2_saveexec_b64 s[26:27], s[26:27]
	s_cbranch_execz .LBB9_945
; %bb.944:                              ;   in Loop: Header=BB9_575 Depth=2
	;;#ASMSTART
	s_waitcnt lgkmcnt(0) vmcnt(0)
	;;#ASMEND
	s_barrier
.LBB9_945:                              ;   in Loop: Header=BB9_575 Depth=2
	s_or_b64 exec, exec, s[26:27]
.LBB9_946:                              ;   in Loop: Header=BB9_575 Depth=2
	s_or_b64 exec, exec, s[24:25]
	v_cmp_ne_u32_e32 vcc, 0, v8
	s_xor_b64 s[24:25], s[6:7], -1
	s_and_b64 s[26:27], vcc, s[24:25]
	s_and_saveexec_b64 s[24:25], s[26:27]
	s_cbranch_execz .LBB9_948
; %bb.947:                              ;   in Loop: Header=BB9_575 Depth=2
	flat_store_dword v[36:37], v77 sc0 sc1
.LBB9_948:                              ;   in Loop: Header=BB9_575 Depth=2
	s_or_b64 exec, exec, s[24:25]
	v_and_b32_e32 v2, 48, v74
	v_cmp_ne_u32_e32 vcc, 0, v2
	s_and_saveexec_b64 s[24:25], vcc
	s_cbranch_execz .LBB9_574
; %bb.949:                              ;   in Loop: Header=BB9_575 Depth=2
	v_lshl_add_u64 v[112:113], v[112:113], 0, 2
	flat_store_dwordx2 v[32:33], v[112:113] sc0 sc1
	s_branch .LBB9_574
.LBB9_950:                              ;   in Loop: Header=BB9_47 Depth=1
	s_or_b64 exec, exec, s[38:39]
	v_cmp_gt_i32_e32 vcc, 2, v2
	s_and_saveexec_b64 s[26:27], vcc
	s_cbranch_execz .LBB9_1026
.LBB9_951:                              ;   in Loop: Header=BB9_47 Depth=1
	v_cmp_eq_u32_e64 s[40:41], 0, v2
	s_mov_b64 s[28:29], 0
	s_branch .LBB9_953
.LBB9_952:                              ;   in Loop: Header=BB9_953 Depth=2
	s_or_b64 exec, exec, s[24:25]
	v_add_u32_e32 v22, v20, v22
	s_mov_b64 s[40:41], 0
	s_andn2_b64 exec, exec, s[28:29]
	s_cbranch_execz .LBB9_1027
.LBB9_953:                              ;   Parent Loop BB9_47 Depth=1
                                        ; =>  This Loop Header: Depth=2
                                        ;       Child Loop BB9_959 Depth 3
                                        ;       Child Loop BB9_987 Depth 3
	;; [unrolled: 1-line block ×3, first 2 shown]
	v_sub_u32_e32 v2, v90, v22
	v_min_i32_e32 v20, v20, v2
	v_and_b32_e32 v2, 12, v74
	v_cmp_ne_u32_e32 vcc, 0, v2
	s_and_saveexec_b64 s[42:43], vcc
	s_cbranch_execz .LBB9_979
; %bb.954:                              ;   in Loop: Header=BB9_953 Depth=2
	v_and_b32_e32 v2, 8, v74
	s_waitcnt vmcnt(0) lgkmcnt(0)
	v_lshl_add_u64 v[10:11], v[48:49], 0, v[2:3]
	v_lshl_add_u64 v[8:9], v[112:113], 0, 2
	v_cmp_lt_u64_e32 vcc, v[10:11], v[8:9]
	s_and_saveexec_b64 s[44:45], vcc
	s_cbranch_execz .LBB9_966
; %bb.955:                              ;   in Loop: Header=BB9_953 Depth=2
	v_and_b32_e32 v10, 64, v74
	s_mov_b32 s74, 0
	v_cmp_eq_u32_e32 vcc, 0, v10
	s_mov_b64 s[46:47], 0
                                        ; implicit-def: $sgpr56_sgpr57
                                        ; implicit-def: $sgpr58_sgpr59
                                        ; implicit-def: $sgpr60_sgpr61
	s_branch .LBB9_959
.LBB9_956:                              ;   in Loop: Header=BB9_959 Depth=3
	s_waitcnt vmcnt(0) lgkmcnt(0)
	v_lshl_add_u64 v[12:13], v[48:49], 0, v[2:3]
	v_cmp_ge_u64_e64 s[24:25], v[12:13], v[8:9]
	s_or_b64 s[50:51], s[50:51], exec
	s_orn2_b64 s[48:49], s[24:25], exec
.LBB9_957:                              ;   in Loop: Header=BB9_959 Depth=3
	s_or_b64 exec, exec, s[54:55]
	s_andn2_b64 s[24:25], s[60:61], exec
	s_and_b64 s[60:61], s[50:51], exec
	s_or_b64 s[60:61], s[24:25], s[60:61]
	s_andn2_b64 s[24:25], s[58:59], exec
	s_and_b64 s[58:59], s[48:49], exec
	s_or_b64 s[58:59], s[24:25], s[58:59]
.LBB9_958:                              ;   in Loop: Header=BB9_959 Depth=3
	s_or_b64 exec, exec, s[38:39]
	s_and_b64 s[24:25], exec, s[58:59]
	s_or_b64 s[46:47], s[24:25], s[46:47]
	s_andn2_b64 s[24:25], s[56:57], exec
	s_and_b64 s[56:57], s[60:61], exec
	s_or_b64 s[56:57], s[24:25], s[56:57]
	s_andn2_b64 exec, exec, s[46:47]
	s_cbranch_execz .LBB9_963
.LBB9_959:                              ;   Parent Loop BB9_47 Depth=1
                                        ;     Parent Loop BB9_953 Depth=2
                                        ; =>    This Inner Loop Header: Depth=3
	s_sleep 1
	s_waitcnt vmcnt(0) lgkmcnt(0)
	flat_load_dwordx2 v[48:49], v[32:33] sc0 sc1
	s_or_b64 s[60:61], s[60:61], exec
	s_or_b64 s[58:59], s[58:59], exec
                                        ; implicit-def: $vgpr10
	s_and_saveexec_b64 s[38:39], vcc
	s_cbranch_execz .LBB9_958
; %bb.960:                              ;   in Loop: Header=BB9_959 Depth=3
	s_cmpk_lt_i32 s74, 0x270f
	s_cselect_b64 s[52:53], -1, 0
	s_cmpk_gt_i32 s74, 0x270e
	s_mov_b64 s[48:49], -1
	s_cbranch_scc0 .LBB9_962
; %bb.961:                              ;   in Loop: Header=BB9_959 Depth=3
	s_trap 2
	ds_read_b64 v[10:11], v0
	s_andn2_b64 s[52:53], s[52:53], exec
	s_mov_b32 s74, 0
	s_mov_b64 s[50:51], 0
	s_waitcnt vmcnt(0) lgkmcnt(0)
	flat_load_dword v10, v[10:11] sc0 sc1
	s_waitcnt vmcnt(0) lgkmcnt(0)
	buffer_inv sc0 sc1
	v_cmp_eq_u32_e64 s[24:25], 0, v10
	s_and_b64 s[24:25], s[24:25], exec
	s_or_b64 s[52:53], s[52:53], s[24:25]
	s_and_saveexec_b64 s[54:55], s[52:53]
	s_cbranch_execz .LBB9_957
	s_branch .LBB9_956
.LBB9_962:                              ;   in Loop: Header=BB9_959 Depth=3
	s_add_i32 s74, s74, 1
	s_mov_b64 s[50:51], -1
                                        ; implicit-def: $vgpr10
	s_and_saveexec_b64 s[54:55], s[52:53]
	s_cbranch_execz .LBB9_957
	s_branch .LBB9_956
.LBB9_963:                              ;   in Loop: Header=BB9_953 Depth=2
	s_or_b64 exec, exec, s[46:47]
	s_xor_b64 s[24:25], s[56:57], -1
	s_and_saveexec_b64 s[46:47], s[24:25]
	s_xor_b64 s[24:25], exec, s[46:47]
	s_cbranch_execz .LBB9_965
; %bb.964:                              ;   in Loop: Header=BB9_953 Depth=2
	v_or_b32_e32 v74, 64, v74
	s_waitcnt lgkmcnt(0)
	ds_write_b32 v0, v10
	s_trap 2
.LBB9_965:                              ;   in Loop: Header=BB9_953 Depth=2
	s_or_b64 exec, exec, s[24:25]
.LBB9_966:                              ;   in Loop: Header=BB9_953 Depth=2
	s_or_b64 exec, exec, s[44:45]
	v_and_b32_e32 v10, 0x108, v74
	v_cmp_ne_u32_e32 vcc, s69, v10
	;;#ASMSTART
	s_wakeup
	;;#ASMEND
                                        ; implicit-def: $vgpr10_vgpr11
	s_and_saveexec_b64 s[24:25], vcc
	s_xor_b64 s[24:25], exec, s[24:25]
; %bb.967:                              ;   in Loop: Header=BB9_953 Depth=2
	v_and_b32_e32 v10, 7, v112
	v_mov_b32_e32 v11, v3
                                        ; implicit-def: $vgpr112_vgpr113
; %bb.968:                              ;   in Loop: Header=BB9_953 Depth=2
	s_andn2_saveexec_b64 s[24:25], s[24:25]
	s_cbranch_execz .LBB9_970
; %bb.969:                              ;   in Loop: Header=BB9_953 Depth=2
	v_and_b32_e32 v10, 7, v112
	v_ashrrev_i32_e32 v21, 31, v20
	v_mov_b32_e32 v11, v3
	v_mad_u64_u32 v[12:13], s[44:45], v10, 24, v[6:7]
	v_lshlrev_b64 v[14:15], 1, v[20:21]
	flat_store_dwordx2 v[12:13], v[14:15] offset:8
.LBB9_970:                              ;   in Loop: Header=BB9_953 Depth=2
	s_or_b64 exec, exec, s[24:25]
	v_and_b32_e32 v12, 0x100, v74
	v_cmp_ne_u32_e32 vcc, 0, v12
	s_mov_b64 s[24:25], -1
                                        ; implicit-def: $vgpr12_vgpr13
	s_and_saveexec_b64 s[44:45], vcc
	s_cbranch_execz .LBB9_974
; %bb.971:                              ;   in Loop: Header=BB9_953 Depth=2
	v_mad_u64_u32 v[14:15], s[24:25], v10, 24, v[6:7]
	v_mov_b32_e32 v12, v15
	v_mad_u64_u32 v[12:13], s[24:25], v11, 24, v[12:13]
	v_mov_b32_e32 v15, v12
	flat_load_dword v12, v[14:15]
	s_waitcnt vmcnt(0) lgkmcnt(0)
	v_cmp_ne_u32_e32 vcc, 1, v12
	v_cmp_eq_u32_e64 s[24:25], 1, v12
                                        ; implicit-def: $vgpr12_vgpr13
	s_and_saveexec_b64 s[46:47], s[24:25]
	s_cbranch_execz .LBB9_973
; %bb.972:                              ;   in Loop: Header=BB9_953 Depth=2
	flat_load_dword v12, v[14:15] offset:4 sc0 sc1
	s_waitcnt vmcnt(0) lgkmcnt(0)
	v_ashrrev_i32_e32 v13, 31, v12
	v_lshrrev_b64 v[12:13], 1, v[12:13]
.LBB9_973:                              ;   in Loop: Header=BB9_953 Depth=2
	s_or_b64 exec, exec, s[46:47]
	s_orn2_b64 s[24:25], vcc, exec
.LBB9_974:                              ;   in Loop: Header=BB9_953 Depth=2
	s_or_b64 exec, exec, s[44:45]
	s_and_saveexec_b64 s[44:45], s[24:25]
; %bb.975:                              ;   in Loop: Header=BB9_953 Depth=2
	v_mul_lo_u32 v11, v11, v30
	v_mul_lo_u32 v14, v10, v51
	v_mad_u64_u32 v[12:13], s[24:25], v10, v30, 0
	v_add3_u32 v13, v13, v14, v11
; %bb.976:                              ;   in Loop: Header=BB9_953 Depth=2
	s_or_b64 exec, exec, s[44:45]
	v_cmp_eq_u32_e32 vcc, 0, v2
	v_lshl_add_u64 v[10:11], v[12:13], 1, v[34:35]
	s_nop 0
	v_cndmask_b32_e32 v2, v88, v79, vcc
	v_add_u32_e32 v2, v0, v2
	ds_write_b64 v2, v[10:11] offset:584
	v_and_b32_e32 v2, 0x2000, v74
	v_cmp_ne_u32_e32 vcc, 0, v2
	s_and_saveexec_b64 s[24:25], vcc
	s_cbranch_execz .LBB9_978
; %bb.977:                              ;   in Loop: Header=BB9_953 Depth=2
	ds_read_b64 v[10:11], v0 offset:872
	s_waitcnt lgkmcnt(0)
	v_lshl_add_u64 v[10:11], v[10:11], 0, 1
	ds_write_b64 v0, v[10:11] offset:872
.LBB9_978:                              ;   in Loop: Header=BB9_953 Depth=2
	s_or_b64 exec, exec, s[24:25]
	v_mov_b64_e32 v[112:113], v[8:9]
.LBB9_979:                              ;   in Loop: Header=BB9_953 Depth=2
	s_or_b64 exec, exec, s[42:43]
	s_xor_b64 s[24:25], s[40:41], -1
	s_and_b64 s[24:25], exec, s[24:25]
	s_or_b64 s[28:29], s[24:25], s[28:29]
	s_and_saveexec_b64 s[24:25], s[4:5]
	s_cbranch_execz .LBB9_998
; %bb.980:                              ;   in Loop: Header=BB9_953 Depth=2
	s_and_saveexec_b64 s[40:41], s[76:77]
	s_xor_b64 s[40:41], exec, s[40:41]
	s_cbranch_execz .LBB9_995
; %bb.981:                              ;   in Loop: Header=BB9_953 Depth=2
	s_and_saveexec_b64 s[42:43], s[12:13]
	s_cbranch_execz .LBB9_994
; %bb.982:                              ;   in Loop: Header=BB9_953 Depth=2
	s_mov_b64 s[46:47], exec
	v_mbcnt_lo_u32_b32 v2, s46, 0
	v_mbcnt_hi_u32_b32 v2, s47, v2
	v_cmp_eq_u32_e32 vcc, 0, v2
	s_waitcnt lgkmcnt(0)
	s_and_saveexec_b64 s[44:45], vcc
	s_cbranch_execz .LBB9_984
; %bb.983:                              ;   in Loop: Header=BB9_953 Depth=2
	s_bcnt1_i32_b64 s46, s[46:47]
	v_mov_b32_e32 v2, s46
	ds_add_u64 v0, v[2:3]
	s_trap 2
.LBB9_984:                              ;   in Loop: Header=BB9_953 Depth=2
	s_or_b64 exec, exec, s[44:45]
	s_trap 2
	ds_read_b64 v[8:9], v0
	s_waitcnt lgkmcnt(0)
	v_lshl_add_u64 v[38:39], v[38:39], 0, v[52:53]
	v_cmp_lt_u64_e32 vcc, v[8:9], v[38:39]
	s_and_saveexec_b64 s[44:45], vcc
	s_cbranch_execz .LBB9_993
; %bb.985:                              ;   in Loop: Header=BB9_953 Depth=2
	s_mov_b32 s74, 0
	s_mov_b64 s[46:47], 0
                                        ; implicit-def: $sgpr56_sgpr57
                                        ; implicit-def: $sgpr58_sgpr59
	s_branch .LBB9_987
.LBB9_986:                              ;   in Loop: Header=BB9_987 Depth=3
	s_or_b64 exec, exec, s[38:39]
	s_and_b64 s[60:61], exec, vcc
	s_or_b64 s[46:47], s[60:61], s[46:47]
	s_andn2_b64 s[56:57], s[56:57], exec
	s_and_b64 s[60:61], s[58:59], exec
	s_or_b64 s[56:57], s[56:57], s[60:61]
	s_andn2_b64 exec, exec, s[46:47]
	s_cbranch_execz .LBB9_991
.LBB9_987:                              ;   Parent Loop BB9_47 Depth=1
                                        ;     Parent Loop BB9_953 Depth=2
                                        ; =>    This Inner Loop Header: Depth=3
	s_add_i32 s74, s74, 1
	s_cmpk_lg_i32 s74, 0x2710
	s_cselect_b64 s[60:61], -1, 0
	s_and_b64 vcc, exec, s[60:61]
	s_cbranch_vccz .LBB9_989
; %bb.988:                              ;   in Loop: Header=BB9_987 Depth=3
	s_mov_b64 vcc, -1
	s_or_b64 s[58:59], s[58:59], exec
	s_and_saveexec_b64 s[38:39], s[60:61]
	s_cbranch_execz .LBB9_986
	s_branch .LBB9_990
.LBB9_989:                              ;   in Loop: Header=BB9_987 Depth=3
	s_trap 2
	ds_read_b64 v[8:9], v0
	s_andn2_b64 s[60:61], s[60:61], exec
	s_mov_b32 s74, 0
	s_waitcnt vmcnt(0) lgkmcnt(0)
	flat_load_dword v2, v[8:9] sc0 sc1
	s_waitcnt vmcnt(0) lgkmcnt(0)
	buffer_inv sc0 sc1
	v_cmp_eq_u32_e32 vcc, 0, v2
	s_and_b64 vcc, vcc, exec
	s_or_b64 s[60:61], s[60:61], vcc
	s_mov_b64 vcc, -1
	s_or_b64 s[58:59], s[58:59], exec
	s_and_saveexec_b64 s[38:39], s[60:61]
	s_cbranch_execz .LBB9_986
.LBB9_990:                              ;   in Loop: Header=BB9_987 Depth=3
	s_sleep 1
	s_trap 2
	ds_read_b64 v[8:9], v0
	s_waitcnt lgkmcnt(0)
	s_andn2_b64 s[58:59], s[58:59], exec
	v_cmp_ge_u64_e32 vcc, v[8:9], v[38:39]
	s_orn2_b64 vcc, vcc, exec
	s_branch .LBB9_986
.LBB9_991:                              ;   in Loop: Header=BB9_953 Depth=2
	s_or_b64 exec, exec, s[46:47]
	s_and_saveexec_b64 s[46:47], s[56:57]
	s_xor_b64 s[46:47], exec, s[46:47]
	s_cbranch_execz .LBB9_993
; %bb.992:                              ;   in Loop: Header=BB9_953 Depth=2
	ds_write_b32 v0, v77
	s_trap 2
.LBB9_993:                              ;   in Loop: Header=BB9_953 Depth=2
	s_or_b64 exec, exec, s[44:45]
	;;#ASMSTART
	s_wakeup
	;;#ASMEND
.LBB9_994:                              ;   in Loop: Header=BB9_953 Depth=2
	s_or_b64 exec, exec, s[42:43]
.LBB9_995:                              ;   in Loop: Header=BB9_953 Depth=2
	s_andn2_saveexec_b64 s[40:41], s[40:41]
	s_cbranch_execz .LBB9_997
; %bb.996:                              ;   in Loop: Header=BB9_953 Depth=2
	s_waitcnt lgkmcnt(0)
	s_barrier
.LBB9_997:                              ;   in Loop: Header=BB9_953 Depth=2
	s_or_b64 exec, exec, s[40:41]
.LBB9_998:                              ;   in Loop: Header=BB9_953 Depth=2
	s_or_b64 exec, exec, s[24:25]
	v_and_b32_e32 v8, 16, v74
	s_and_saveexec_b64 s[24:25], s[20:21]
	s_xor_b64 s[24:25], exec, s[24:25]
	s_cbranch_execz .LBB9_1002
; %bb.999:                              ;   in Loop: Header=BB9_953 Depth=2
	s_trap 2
	ds_read_b32 v2, v0
	v_cmp_lt_i32_e32 vcc, 0, v20
	v_and_b32_e32 v9, 16, v74
	v_and_b32_e32 v8, 16, v74
	s_waitcnt lgkmcnt(0)
	v_readfirstlane_b32 s40, v2
	s_cmp_eq_u32 s40, 0
	s_cselect_b64 s[40:41], -1, 0
	s_and_b64 s[40:41], vcc, s[40:41]
	v_cmp_ne_u32_e32 vcc, 0, v9
	s_and_b64 s[42:43], vcc, s[40:41]
	s_and_saveexec_b64 s[40:41], s[42:43]
	s_cbranch_execz .LBB9_1001
; %bb.1000:                             ;   in Loop: Header=BB9_953 Depth=2
	v_mov_b32_e32 v8, 1
	buffer_wbl2 sc1
	s_waitcnt vmcnt(0)
	buffer_inv sc1
.LBB9_1001:                             ;   in Loop: Header=BB9_953 Depth=2
	s_or_b64 exec, exec, s[40:41]
.LBB9_1002:                             ;   in Loop: Header=BB9_953 Depth=2
	s_andn2_saveexec_b64 s[24:25], s[24:25]
	s_cbranch_execz .LBB9_1021
; %bb.1003:                             ;   in Loop: Header=BB9_953 Depth=2
	s_and_saveexec_b64 s[40:41], s[76:77]
	s_xor_b64 s[40:41], exec, s[40:41]
	s_cbranch_execz .LBB9_1018
; %bb.1004:                             ;   in Loop: Header=BB9_953 Depth=2
	s_and_saveexec_b64 s[42:43], s[12:13]
	s_cbranch_execz .LBB9_1017
; %bb.1005:                             ;   in Loop: Header=BB9_953 Depth=2
	s_mov_b64 s[46:47], exec
	v_mbcnt_lo_u32_b32 v2, s46, 0
	v_mbcnt_hi_u32_b32 v2, s47, v2
	v_cmp_eq_u32_e32 vcc, 0, v2
	;;#ASMSTART
	s_waitcnt lgkmcnt(0) vmcnt(0)
	;;#ASMEND
	s_and_saveexec_b64 s[44:45], vcc
	s_cbranch_execz .LBB9_1007
; %bb.1006:                             ;   in Loop: Header=BB9_953 Depth=2
	s_bcnt1_i32_b64 s46, s[46:47]
	v_mov_b32_e32 v2, s46
	s_waitcnt lgkmcnt(0)
	ds_add_u64 v0, v[2:3]
	s_trap 2
.LBB9_1007:                             ;   in Loop: Header=BB9_953 Depth=2
	s_or_b64 exec, exec, s[44:45]
	s_trap 2
	ds_read_b64 v[10:11], v0
	s_waitcnt lgkmcnt(0)
	v_lshl_add_u64 v[38:39], v[38:39], 0, v[52:53]
	v_cmp_lt_u64_e32 vcc, v[10:11], v[38:39]
	s_and_saveexec_b64 s[44:45], vcc
	s_cbranch_execz .LBB9_1016
; %bb.1008:                             ;   in Loop: Header=BB9_953 Depth=2
	s_mov_b32 s74, 0
	s_mov_b64 s[46:47], 0
                                        ; implicit-def: $sgpr56_sgpr57
                                        ; implicit-def: $sgpr58_sgpr59
	s_branch .LBB9_1010
.LBB9_1009:                             ;   in Loop: Header=BB9_1010 Depth=3
	s_or_b64 exec, exec, s[38:39]
	s_and_b64 s[60:61], exec, vcc
	s_or_b64 s[46:47], s[60:61], s[46:47]
	s_andn2_b64 s[56:57], s[56:57], exec
	s_and_b64 s[60:61], s[58:59], exec
	s_or_b64 s[56:57], s[56:57], s[60:61]
	s_andn2_b64 exec, exec, s[46:47]
	s_cbranch_execz .LBB9_1014
.LBB9_1010:                             ;   Parent Loop BB9_47 Depth=1
                                        ;     Parent Loop BB9_953 Depth=2
                                        ; =>    This Inner Loop Header: Depth=3
	s_add_i32 s74, s74, 1
	s_cmpk_lg_i32 s74, 0x2710
	s_cselect_b64 s[60:61], -1, 0
	s_and_b64 vcc, exec, s[60:61]
	s_cbranch_vccz .LBB9_1012
; %bb.1011:                             ;   in Loop: Header=BB9_1010 Depth=3
	s_mov_b64 vcc, -1
	s_or_b64 s[58:59], s[58:59], exec
	s_and_saveexec_b64 s[38:39], s[60:61]
	s_cbranch_execz .LBB9_1009
	s_branch .LBB9_1013
.LBB9_1012:                             ;   in Loop: Header=BB9_1010 Depth=3
	s_trap 2
	ds_read_b64 v[10:11], v0
	s_andn2_b64 s[60:61], s[60:61], exec
	s_mov_b32 s74, 0
	s_waitcnt vmcnt(0) lgkmcnt(0)
	flat_load_dword v2, v[10:11] sc0 sc1
	s_waitcnt vmcnt(0) lgkmcnt(0)
	buffer_inv sc0 sc1
	v_cmp_eq_u32_e32 vcc, 0, v2
	s_and_b64 vcc, vcc, exec
	s_or_b64 s[60:61], s[60:61], vcc
	s_mov_b64 vcc, -1
	s_or_b64 s[58:59], s[58:59], exec
	s_and_saveexec_b64 s[38:39], s[60:61]
	s_cbranch_execz .LBB9_1009
.LBB9_1013:                             ;   in Loop: Header=BB9_1010 Depth=3
	s_sleep 1
	s_trap 2
	ds_read_b64 v[10:11], v0
	s_waitcnt lgkmcnt(0)
	s_andn2_b64 s[58:59], s[58:59], exec
	v_cmp_ge_u64_e32 vcc, v[10:11], v[38:39]
	s_orn2_b64 vcc, vcc, exec
	s_branch .LBB9_1009
.LBB9_1014:                             ;   in Loop: Header=BB9_953 Depth=2
	s_or_b64 exec, exec, s[46:47]
	s_and_saveexec_b64 s[46:47], s[56:57]
	s_xor_b64 s[46:47], exec, s[46:47]
	s_cbranch_execz .LBB9_1016
; %bb.1015:                             ;   in Loop: Header=BB9_953 Depth=2
	ds_write_b32 v0, v77
	s_trap 2
.LBB9_1016:                             ;   in Loop: Header=BB9_953 Depth=2
	s_or_b64 exec, exec, s[44:45]
	;;#ASMSTART
	s_wakeup
	;;#ASMEND
.LBB9_1017:                             ;   in Loop: Header=BB9_953 Depth=2
	s_or_b64 exec, exec, s[42:43]
.LBB9_1018:                             ;   in Loop: Header=BB9_953 Depth=2
	s_andn2_saveexec_b64 s[40:41], s[40:41]
	s_cbranch_execz .LBB9_1020
; %bb.1019:                             ;   in Loop: Header=BB9_953 Depth=2
	;;#ASMSTART
	s_waitcnt lgkmcnt(0) vmcnt(0)
	;;#ASMEND
	s_barrier
.LBB9_1020:                             ;   in Loop: Header=BB9_953 Depth=2
	s_or_b64 exec, exec, s[40:41]
.LBB9_1021:                             ;   in Loop: Header=BB9_953 Depth=2
	s_or_b64 exec, exec, s[24:25]
	v_cmp_ne_u32_e32 vcc, 0, v8
	s_xor_b64 s[24:25], s[6:7], -1
	s_and_b64 s[40:41], vcc, s[24:25]
	s_and_saveexec_b64 s[24:25], s[40:41]
	s_cbranch_execz .LBB9_1023
; %bb.1022:                             ;   in Loop: Header=BB9_953 Depth=2
	flat_store_dword v[36:37], v77 sc0 sc1
.LBB9_1023:                             ;   in Loop: Header=BB9_953 Depth=2
	s_or_b64 exec, exec, s[24:25]
	v_and_b32_e32 v2, 48, v74
	v_cmp_ne_u32_e32 vcc, 0, v2
	s_and_saveexec_b64 s[24:25], vcc
	s_cbranch_execz .LBB9_952
; %bb.1024:                             ;   in Loop: Header=BB9_953 Depth=2
	v_lshl_add_u64 v[112:113], v[112:113], 0, 2
	flat_store_dwordx2 v[32:33], v[112:113] sc0 sc1
	s_branch .LBB9_952
.LBB9_1025:                             ;   in Loop: Header=BB9_47 Depth=1
	s_or_b64 exec, exec, s[48:49]
	s_or_b64 exec, exec, s[38:39]
	v_cmp_gt_i32_e32 vcc, 2, v2
	s_and_saveexec_b64 s[26:27], vcc
	s_cbranch_execnz .LBB9_951
.LBB9_1026:                             ;   in Loop: Header=BB9_47 Depth=1
	s_or_b64 exec, exec, s[26:27]
	s_and_b64 vcc, exec, s[22:23]
	s_cbranch_vccz .LBB9_1028
	s_branch .LBB9_1382
.LBB9_1027:                             ;   in Loop: Header=BB9_47 Depth=1
	s_or_b64 exec, exec, s[28:29]
	s_or_b64 exec, exec, s[26:27]
	s_and_b64 vcc, exec, s[22:23]
	s_cbranch_vccnz .LBB9_1382
.LBB9_1028:                             ;   in Loop: Header=BB9_47 Depth=1
	s_mov_b32 s64, 1
.LBB9_1029:                             ;   Parent Loop BB9_47 Depth=1
                                        ; =>  This Loop Header: Depth=2
                                        ;       Child Loop BB9_1032 Depth 3
                                        ;         Child Loop BB9_1040 Depth 4
                                        ;         Child Loop BB9_1068 Depth 4
	;; [unrolled: 1-line block ×8, first 2 shown]
                                        ;           Child Loop BB9_1113 Depth 5
                                        ;         Child Loop BB9_1119 Depth 4
                                        ;           Child Loop BB9_1120 Depth 5
                                        ;         Child Loop BB9_1128 Depth 4
                                        ;         Child Loop BB9_1148 Depth 4
                                        ;           Child Loop BB9_1149 Depth 5
                                        ;         Child Loop BB9_1265 Depth 4
                                        ;         Child Loop BB9_1288 Depth 4
                                        ;       Child Loop BB9_1306 Depth 3
                                        ;         Child Loop BB9_1312 Depth 4
                                        ;         Child Loop BB9_1340 Depth 4
	;; [unrolled: 1-line block ×3, first 2 shown]
	s_sub_i32 s22, s81, s64
	s_cmp_ge_i32 s22, s66
	s_cselect_b32 s23, s66, 0
	s_sub_i32 s22, s22, s23
	s_ashr_i32 s23, s22, 31
	v_mul_lo_u32 v2, v102, s23
	v_mul_lo_u32 v10, v103, s22
	v_mad_u64_u32 v[8:9], s[22:23], v102, s22, 0
	v_add3_u32 v9, v9, v2, v10
	v_sub_co_u32_e32 v10, vcc, v114, v8
	v_mov_b32_e32 v40, 0
	s_nop 0
	v_subb_co_u32_e32 v11, vcc, v115, v9, vcc
	v_cmp_lt_i64_e32 vcc, v[102:103], v[10:11]
	s_nop 1
	v_cndmask_b32_e32 v2, v10, v102, vcc
	v_max_i32_e32 v60, 0, v2
	v_add_u32_e32 v10, 31, v60
	v_ashrrev_i32_e32 v11, 31, v10
	v_lshrrev_b32_e32 v11, 27, v11
	v_add_u32_e32 v10, v10, v11
	v_ashrrev_i32_e32 v10, 5, v10
	v_lshlrev_b32_e32 v10, 4, v10
	v_cmp_lt_i32_e32 vcc, 0, v2
	v_max_i32_e32 v118, s84, v10
	s_and_b64 s[22:23], s[36:37], vcc
	v_mov_b32_e32 v2, 0
	s_and_saveexec_b64 s[60:61], s[22:23]
	s_cbranch_execz .LBB9_1303
; %bb.1030:                             ;   in Loop: Header=BB9_1029 Depth=2
	v_lshl_add_u64 v[8:9], v[8:9], 0, v[116:117]
	s_mov_b32 s65, 1
	s_mov_b64 s[48:49], -1
	v_mov_b32_e32 v40, 0
	s_mov_b64 s[38:39], 0
	v_lshlrev_b64 v[42:43], 1, v[8:9]
	s_branch .LBB9_1032
.LBB9_1031:                             ;   in Loop: Header=BB9_1032 Depth=3
	s_or_b64 exec, exec, s[22:23]
	v_add_u32_e32 v40, v118, v40
	v_cmp_ge_i32_e32 vcc, v40, v60
	s_xor_b64 s[22:23], s[48:49], -1
	s_or_b64 s[22:23], s[22:23], vcc
	s_and_b64 s[22:23], exec, s[22:23]
	s_or_b64 s[38:39], s[22:23], s[38:39]
	s_mov_b64 s[48:49], 0
	v_mov_b32_e32 v2, s65
	s_mov_b32 s65, 2
	s_andn2_b64 exec, exec, s[38:39]
	s_cbranch_execz .LBB9_1378
.LBB9_1032:                             ;   Parent Loop BB9_47 Depth=1
                                        ;     Parent Loop BB9_1029 Depth=2
                                        ; =>    This Loop Header: Depth=3
                                        ;         Child Loop BB9_1040 Depth 4
                                        ;         Child Loop BB9_1068 Depth 4
	;; [unrolled: 1-line block ×8, first 2 shown]
                                        ;           Child Loop BB9_1113 Depth 5
                                        ;         Child Loop BB9_1119 Depth 4
                                        ;           Child Loop BB9_1120 Depth 5
                                        ;         Child Loop BB9_1128 Depth 4
                                        ;         Child Loop BB9_1148 Depth 4
                                        ;           Child Loop BB9_1149 Depth 5
                                        ;         Child Loop BB9_1265 Depth 4
                                        ;         Child Loop BB9_1288 Depth 4
	s_and_saveexec_b64 s[22:23], s[0:1]
	s_cbranch_execz .LBB9_1034
; %bb.1033:                             ;   in Loop: Header=BB9_1032 Depth=3
	s_trap 2
	ds_read_b128 v[8:11], v0
	v_ashrrev_i32_e32 v41, 31, v40
	v_lshlrev_b64 v[12:13], 1, v[40:41]
	s_waitcnt lgkmcnt(0)
	v_lshl_add_u64 v[8:9], v[8:9], 0, v[42:43]
	v_lshl_add_u64 v[14:15], v[10:11], 0, v[42:43]
	;; [unrolled: 1-line block ×3, first 2 shown]
	ds_write_b64 v0, v[8:9]
	v_lshl_add_u64 v[8:9], v[14:15], 0, v[12:13]
	v_cmp_ne_u64_e32 vcc, 0, v[10:11]
	s_nop 1
	v_cndmask_b32_e32 v9, 0, v9, vcc
	v_cndmask_b32_e32 v8, 0, v8, vcc
	ds_write_b64 v0, v[8:9]
.LBB9_1034:                             ;   in Loop: Header=BB9_1032 Depth=3
	s_or_b64 exec, exec, s[22:23]
	v_sub_u32_e32 v2, v60, v40
	v_min_i32_e32 v118, v118, v2
	v_and_b32_e32 v2, 12, v74
	v_cmp_ne_u32_e32 vcc, 0, v2
	s_and_saveexec_b64 s[24:25], vcc
	s_cbranch_execz .LBB9_1060
; %bb.1035:                             ;   in Loop: Header=BB9_1032 Depth=3
	v_and_b32_e32 v2, 8, v74
	s_waitcnt vmcnt(0) lgkmcnt(0)
	v_lshl_add_u64 v[10:11], v[48:49], 0, v[2:3]
	v_lshl_add_u64 v[8:9], v[112:113], 0, 2
	v_cmp_lt_u64_e32 vcc, v[10:11], v[8:9]
	s_and_saveexec_b64 s[26:27], vcc
	s_cbranch_execz .LBB9_1047
; %bb.1036:                             ;   in Loop: Header=BB9_1032 Depth=3
	v_and_b32_e32 v10, 64, v74
	s_mov_b32 s74, 0
	v_cmp_eq_u32_e32 vcc, 0, v10
	s_mov_b64 s[28:29], 0
                                        ; implicit-def: $sgpr40_sgpr41
                                        ; implicit-def: $sgpr42_sgpr43
                                        ; implicit-def: $sgpr44_sgpr45
	s_branch .LBB9_1040
.LBB9_1037:                             ;   in Loop: Header=BB9_1040 Depth=4
	s_waitcnt vmcnt(0) lgkmcnt(0)
	v_lshl_add_u64 v[12:13], v[48:49], 0, v[2:3]
	v_cmp_ge_u64_e64 s[22:23], v[12:13], v[8:9]
	s_or_b64 s[58:59], s[58:59], exec
	s_orn2_b64 s[56:57], s[22:23], exec
.LBB9_1038:                             ;   in Loop: Header=BB9_1040 Depth=4
	s_or_b64 exec, exec, s[52:53]
	s_andn2_b64 s[22:23], s[44:45], exec
	s_and_b64 s[44:45], s[58:59], exec
	s_or_b64 s[44:45], s[22:23], s[44:45]
	s_andn2_b64 s[22:23], s[42:43], exec
	s_and_b64 s[42:43], s[56:57], exec
	s_or_b64 s[42:43], s[22:23], s[42:43]
.LBB9_1039:                             ;   in Loop: Header=BB9_1040 Depth=4
	s_or_b64 exec, exec, s[46:47]
	s_and_b64 s[22:23], exec, s[42:43]
	s_or_b64 s[28:29], s[22:23], s[28:29]
	s_andn2_b64 s[22:23], s[40:41], exec
	s_and_b64 s[40:41], s[44:45], exec
	s_or_b64 s[40:41], s[22:23], s[40:41]
	s_andn2_b64 exec, exec, s[28:29]
	s_cbranch_execz .LBB9_1044
.LBB9_1040:                             ;   Parent Loop BB9_47 Depth=1
                                        ;     Parent Loop BB9_1029 Depth=2
                                        ;       Parent Loop BB9_1032 Depth=3
                                        ; =>      This Inner Loop Header: Depth=4
	s_sleep 1
	s_waitcnt vmcnt(0) lgkmcnt(0)
	flat_load_dwordx2 v[48:49], v[32:33] sc0 sc1
	s_or_b64 s[44:45], s[44:45], exec
	s_or_b64 s[42:43], s[42:43], exec
                                        ; implicit-def: $vgpr10
	s_and_saveexec_b64 s[46:47], vcc
	s_cbranch_execz .LBB9_1039
; %bb.1041:                             ;   in Loop: Header=BB9_1040 Depth=4
	s_cmpk_lt_i32 s74, 0x270f
	s_cselect_b64 s[50:51], -1, 0
	s_cmpk_gt_i32 s74, 0x270e
	s_mov_b64 s[56:57], -1
	s_cbranch_scc0 .LBB9_1043
; %bb.1042:                             ;   in Loop: Header=BB9_1040 Depth=4
	s_trap 2
	ds_read_b64 v[10:11], v0
	s_andn2_b64 s[50:51], s[50:51], exec
	s_mov_b32 s74, 0
	s_mov_b64 s[58:59], 0
	s_waitcnt vmcnt(0) lgkmcnt(0)
	flat_load_dword v10, v[10:11] sc0 sc1
	s_waitcnt vmcnt(0) lgkmcnt(0)
	buffer_inv sc0 sc1
	v_cmp_eq_u32_e64 s[22:23], 0, v10
	s_and_b64 s[22:23], s[22:23], exec
	s_or_b64 s[50:51], s[50:51], s[22:23]
	s_and_saveexec_b64 s[52:53], s[50:51]
	s_cbranch_execz .LBB9_1038
	s_branch .LBB9_1037
.LBB9_1043:                             ;   in Loop: Header=BB9_1040 Depth=4
	s_add_i32 s74, s74, 1
	s_mov_b64 s[58:59], -1
                                        ; implicit-def: $vgpr10
	s_and_saveexec_b64 s[52:53], s[50:51]
	s_cbranch_execz .LBB9_1038
	s_branch .LBB9_1037
.LBB9_1044:                             ;   in Loop: Header=BB9_1032 Depth=3
	s_or_b64 exec, exec, s[28:29]
	s_xor_b64 s[22:23], s[40:41], -1
	s_and_saveexec_b64 s[28:29], s[22:23]
	s_xor_b64 s[22:23], exec, s[28:29]
	s_cbranch_execz .LBB9_1046
; %bb.1045:                             ;   in Loop: Header=BB9_1032 Depth=3
	v_or_b32_e32 v74, 64, v74
	s_waitcnt lgkmcnt(0)
	ds_write_b32 v0, v10
	s_trap 2
.LBB9_1046:                             ;   in Loop: Header=BB9_1032 Depth=3
	s_or_b64 exec, exec, s[22:23]
.LBB9_1047:                             ;   in Loop: Header=BB9_1032 Depth=3
	s_or_b64 exec, exec, s[26:27]
	v_and_b32_e32 v10, 0x108, v74
	v_cmp_ne_u32_e32 vcc, s69, v10
	;;#ASMSTART
	s_wakeup
	;;#ASMEND
                                        ; implicit-def: $vgpr10_vgpr11
	s_and_saveexec_b64 s[22:23], vcc
	s_xor_b64 s[22:23], exec, s[22:23]
; %bb.1048:                             ;   in Loop: Header=BB9_1032 Depth=3
	v_and_b32_e32 v10, 7, v112
	v_mov_b32_e32 v11, v3
                                        ; implicit-def: $vgpr112_vgpr113
; %bb.1049:                             ;   in Loop: Header=BB9_1032 Depth=3
	s_andn2_saveexec_b64 s[22:23], s[22:23]
	s_cbranch_execz .LBB9_1051
; %bb.1050:                             ;   in Loop: Header=BB9_1032 Depth=3
	v_and_b32_e32 v10, 7, v112
	v_ashrrev_i32_e32 v119, 31, v118
	v_mov_b32_e32 v11, v3
	v_mad_u64_u32 v[12:13], s[26:27], v10, 24, v[6:7]
	v_lshlrev_b64 v[14:15], 1, v[118:119]
	flat_store_dwordx2 v[12:13], v[14:15] offset:8
.LBB9_1051:                             ;   in Loop: Header=BB9_1032 Depth=3
	s_or_b64 exec, exec, s[22:23]
	v_and_b32_e32 v12, 0x100, v74
	v_cmp_ne_u32_e32 vcc, 0, v12
	s_mov_b64 s[22:23], -1
                                        ; implicit-def: $vgpr12_vgpr13
	s_and_saveexec_b64 s[26:27], vcc
	s_cbranch_execz .LBB9_1055
; %bb.1052:                             ;   in Loop: Header=BB9_1032 Depth=3
	v_mad_u64_u32 v[14:15], s[22:23], v10, 24, v[6:7]
	v_mov_b32_e32 v12, v15
	v_mad_u64_u32 v[12:13], s[22:23], v11, 24, v[12:13]
	v_mov_b32_e32 v15, v12
	flat_load_dword v12, v[14:15]
	s_waitcnt vmcnt(0) lgkmcnt(0)
	v_cmp_ne_u32_e32 vcc, 1, v12
	v_cmp_eq_u32_e64 s[22:23], 1, v12
                                        ; implicit-def: $vgpr12_vgpr13
	s_and_saveexec_b64 s[28:29], s[22:23]
	s_cbranch_execz .LBB9_1054
; %bb.1053:                             ;   in Loop: Header=BB9_1032 Depth=3
	flat_load_dword v12, v[14:15] offset:4 sc0 sc1
	s_waitcnt vmcnt(0) lgkmcnt(0)
	v_ashrrev_i32_e32 v13, 31, v12
	v_lshrrev_b64 v[12:13], 1, v[12:13]
.LBB9_1054:                             ;   in Loop: Header=BB9_1032 Depth=3
	s_or_b64 exec, exec, s[28:29]
	s_orn2_b64 s[22:23], vcc, exec
.LBB9_1055:                             ;   in Loop: Header=BB9_1032 Depth=3
	s_or_b64 exec, exec, s[26:27]
	s_and_saveexec_b64 s[26:27], s[22:23]
; %bb.1056:                             ;   in Loop: Header=BB9_1032 Depth=3
	v_mul_lo_u32 v11, v11, v30
	v_mul_lo_u32 v14, v10, v51
	v_mad_u64_u32 v[12:13], s[22:23], v10, v30, 0
	v_add3_u32 v13, v13, v14, v11
; %bb.1057:                             ;   in Loop: Header=BB9_1032 Depth=3
	s_or_b64 exec, exec, s[26:27]
	v_cmp_eq_u32_e32 vcc, 0, v2
	v_lshl_add_u64 v[10:11], v[12:13], 1, v[34:35]
	s_nop 0
	v_cndmask_b32_e32 v2, v88, v89, vcc
	v_add_u32_e32 v2, v0, v2
	ds_write_b64 v2, v[10:11] offset:584
	v_and_b32_e32 v2, 0x2000, v74
	v_cmp_ne_u32_e32 vcc, 0, v2
	s_and_saveexec_b64 s[22:23], vcc
	s_cbranch_execz .LBB9_1059
; %bb.1058:                             ;   in Loop: Header=BB9_1032 Depth=3
	ds_read_b64 v[10:11], v0 offset:872
	s_waitcnt lgkmcnt(0)
	v_lshl_add_u64 v[10:11], v[10:11], 0, 1
	ds_write_b64 v0, v[10:11] offset:872
.LBB9_1059:                             ;   in Loop: Header=BB9_1032 Depth=3
	s_or_b64 exec, exec, s[22:23]
	v_mov_b64_e32 v[112:113], v[8:9]
.LBB9_1060:                             ;   in Loop: Header=BB9_1032 Depth=3
	s_or_b64 exec, exec, s[24:25]
	s_and_saveexec_b64 s[22:23], s[4:5]
	s_cbranch_execz .LBB9_1079
; %bb.1061:                             ;   in Loop: Header=BB9_1032 Depth=3
	s_and_saveexec_b64 s[24:25], s[76:77]
	s_xor_b64 s[24:25], exec, s[24:25]
	s_cbranch_execz .LBB9_1076
; %bb.1062:                             ;   in Loop: Header=BB9_1032 Depth=3
	s_and_saveexec_b64 s[26:27], s[12:13]
	s_cbranch_execz .LBB9_1075
; %bb.1063:                             ;   in Loop: Header=BB9_1032 Depth=3
	s_mov_b64 s[40:41], exec
	v_mbcnt_lo_u32_b32 v2, s40, 0
	v_mbcnt_hi_u32_b32 v2, s41, v2
	v_cmp_eq_u32_e32 vcc, 0, v2
	s_waitcnt lgkmcnt(0)
	s_and_saveexec_b64 s[28:29], vcc
	s_cbranch_execz .LBB9_1065
; %bb.1064:                             ;   in Loop: Header=BB9_1032 Depth=3
	s_bcnt1_i32_b64 s40, s[40:41]
	v_mov_b32_e32 v2, s40
	ds_add_u64 v0, v[2:3]
	s_trap 2
.LBB9_1065:                             ;   in Loop: Header=BB9_1032 Depth=3
	s_or_b64 exec, exec, s[28:29]
	s_trap 2
	ds_read_b64 v[8:9], v0
	s_waitcnt lgkmcnt(0)
	v_lshl_add_u64 v[38:39], v[38:39], 0, v[52:53]
	v_cmp_lt_u64_e32 vcc, v[8:9], v[38:39]
	s_and_saveexec_b64 s[28:29], vcc
	s_cbranch_execz .LBB9_1074
; %bb.1066:                             ;   in Loop: Header=BB9_1032 Depth=3
	s_mov_b32 s74, 0
	s_mov_b64 s[40:41], 0
                                        ; implicit-def: $sgpr42_sgpr43
                                        ; implicit-def: $sgpr44_sgpr45
	s_branch .LBB9_1068
.LBB9_1067:                             ;   in Loop: Header=BB9_1068 Depth=4
	s_or_b64 exec, exec, s[56:57]
	s_and_b64 s[46:47], exec, s[58:59]
	s_or_b64 s[40:41], s[46:47], s[40:41]
	s_andn2_b64 s[42:43], s[42:43], exec
	s_and_b64 s[46:47], s[44:45], exec
	s_or_b64 s[42:43], s[42:43], s[46:47]
	s_andn2_b64 exec, exec, s[40:41]
	s_cbranch_execz .LBB9_1072
.LBB9_1068:                             ;   Parent Loop BB9_47 Depth=1
                                        ;     Parent Loop BB9_1029 Depth=2
                                        ;       Parent Loop BB9_1032 Depth=3
                                        ; =>      This Inner Loop Header: Depth=4
	s_add_i32 s74, s74, 1
	s_cmpk_lg_i32 s74, 0x2710
	s_cselect_b64 s[46:47], -1, 0
	s_and_b64 vcc, exec, s[46:47]
	s_cbranch_vccz .LBB9_1070
; %bb.1069:                             ;   in Loop: Header=BB9_1068 Depth=4
	s_mov_b64 s[58:59], -1
	s_or_b64 s[44:45], s[44:45], exec
	s_and_saveexec_b64 s[56:57], s[46:47]
	s_cbranch_execz .LBB9_1067
	s_branch .LBB9_1071
.LBB9_1070:                             ;   in Loop: Header=BB9_1068 Depth=4
	s_trap 2
	ds_read_b64 v[8:9], v0
	s_andn2_b64 s[46:47], s[46:47], exec
	s_mov_b32 s74, 0
	s_waitcnt vmcnt(0) lgkmcnt(0)
	flat_load_dword v2, v[8:9] sc0 sc1
	s_waitcnt vmcnt(0) lgkmcnt(0)
	buffer_inv sc0 sc1
	v_cmp_eq_u32_e32 vcc, 0, v2
	s_and_b64 s[56:57], vcc, exec
	s_or_b64 s[46:47], s[46:47], s[56:57]
	s_mov_b64 s[58:59], -1
	s_or_b64 s[44:45], s[44:45], exec
	s_and_saveexec_b64 s[56:57], s[46:47]
	s_cbranch_execz .LBB9_1067
.LBB9_1071:                             ;   in Loop: Header=BB9_1068 Depth=4
	s_sleep 1
	s_trap 2
	ds_read_b64 v[8:9], v0
	s_waitcnt lgkmcnt(0)
	s_andn2_b64 s[44:45], s[44:45], exec
	v_cmp_ge_u64_e32 vcc, v[8:9], v[38:39]
	s_orn2_b64 s[58:59], vcc, exec
	s_branch .LBB9_1067
.LBB9_1072:                             ;   in Loop: Header=BB9_1032 Depth=3
	s_or_b64 exec, exec, s[40:41]
	s_and_saveexec_b64 s[40:41], s[42:43]
	s_xor_b64 s[40:41], exec, s[40:41]
	s_cbranch_execz .LBB9_1074
; %bb.1073:                             ;   in Loop: Header=BB9_1032 Depth=3
	ds_write_b32 v0, v77
	s_trap 2
.LBB9_1074:                             ;   in Loop: Header=BB9_1032 Depth=3
	s_or_b64 exec, exec, s[28:29]
	;;#ASMSTART
	s_wakeup
	;;#ASMEND
.LBB9_1075:                             ;   in Loop: Header=BB9_1032 Depth=3
	s_or_b64 exec, exec, s[26:27]
.LBB9_1076:                             ;   in Loop: Header=BB9_1032 Depth=3
	s_andn2_saveexec_b64 s[24:25], s[24:25]
	s_cbranch_execz .LBB9_1078
; %bb.1077:                             ;   in Loop: Header=BB9_1032 Depth=3
	s_waitcnt lgkmcnt(0)
	s_barrier
.LBB9_1078:                             ;   in Loop: Header=BB9_1032 Depth=3
	s_or_b64 exec, exec, s[24:25]
.LBB9_1079:                             ;   in Loop: Header=BB9_1032 Depth=3
	s_or_b64 exec, exec, s[22:23]
	s_trap 2
	ds_read_b32 v8, v0
	v_and_b32_e32 v2, 0x4000, v74
	v_cmp_ne_u32_e32 vcc, 0, v2
	s_xor_b64 s[22:23], s[2:3], -1
	s_and_b64 s[24:25], s[22:23], vcc
	s_and_saveexec_b64 s[22:23], s[24:25]
	s_cbranch_execz .LBB9_1098
; %bb.1080:                             ;   in Loop: Header=BB9_1032 Depth=3
	s_and_saveexec_b64 s[24:25], s[76:77]
	s_xor_b64 s[24:25], exec, s[24:25]
	s_cbranch_execz .LBB9_1095
; %bb.1081:                             ;   in Loop: Header=BB9_1032 Depth=3
	s_and_saveexec_b64 s[26:27], s[12:13]
	s_cbranch_execz .LBB9_1094
; %bb.1082:                             ;   in Loop: Header=BB9_1032 Depth=3
	s_mov_b64 s[40:41], exec
	v_mbcnt_lo_u32_b32 v2, s40, 0
	v_mbcnt_hi_u32_b32 v2, s41, v2
	v_cmp_eq_u32_e32 vcc, 0, v2
	s_waitcnt lgkmcnt(0)
	s_and_saveexec_b64 s[28:29], vcc
	s_cbranch_execz .LBB9_1084
; %bb.1083:                             ;   in Loop: Header=BB9_1032 Depth=3
	s_bcnt1_i32_b64 s40, s[40:41]
	v_mov_b32_e32 v2, s40
	ds_add_u64 v0, v[2:3]
	s_trap 2
.LBB9_1084:                             ;   in Loop: Header=BB9_1032 Depth=3
	s_or_b64 exec, exec, s[28:29]
	s_trap 2
	ds_read_b64 v[10:11], v0
	s_waitcnt lgkmcnt(0)
	v_lshl_add_u64 v[38:39], v[38:39], 0, v[52:53]
	v_cmp_lt_u64_e32 vcc, v[10:11], v[38:39]
	s_and_saveexec_b64 s[28:29], vcc
	s_cbranch_execz .LBB9_1093
; %bb.1085:                             ;   in Loop: Header=BB9_1032 Depth=3
	s_mov_b32 s74, 0
	s_mov_b64 s[40:41], 0
                                        ; implicit-def: $sgpr42_sgpr43
                                        ; implicit-def: $sgpr44_sgpr45
	s_branch .LBB9_1087
.LBB9_1086:                             ;   in Loop: Header=BB9_1087 Depth=4
	s_or_b64 exec, exec, s[56:57]
	s_and_b64 s[46:47], exec, s[58:59]
	s_or_b64 s[40:41], s[46:47], s[40:41]
	s_andn2_b64 s[42:43], s[42:43], exec
	s_and_b64 s[46:47], s[44:45], exec
	s_or_b64 s[42:43], s[42:43], s[46:47]
	s_andn2_b64 exec, exec, s[40:41]
	s_cbranch_execz .LBB9_1091
.LBB9_1087:                             ;   Parent Loop BB9_47 Depth=1
                                        ;     Parent Loop BB9_1029 Depth=2
                                        ;       Parent Loop BB9_1032 Depth=3
                                        ; =>      This Inner Loop Header: Depth=4
	s_add_i32 s74, s74, 1
	s_cmpk_lg_i32 s74, 0x2710
	s_cselect_b64 s[46:47], -1, 0
	s_and_b64 vcc, exec, s[46:47]
	s_cbranch_vccz .LBB9_1089
; %bb.1088:                             ;   in Loop: Header=BB9_1087 Depth=4
	s_mov_b64 s[58:59], -1
	s_or_b64 s[44:45], s[44:45], exec
	s_and_saveexec_b64 s[56:57], s[46:47]
	s_cbranch_execz .LBB9_1086
	s_branch .LBB9_1090
.LBB9_1089:                             ;   in Loop: Header=BB9_1087 Depth=4
	s_trap 2
	ds_read_b64 v[10:11], v0
	s_andn2_b64 s[46:47], s[46:47], exec
	s_mov_b32 s74, 0
	s_waitcnt vmcnt(0) lgkmcnt(0)
	flat_load_dword v2, v[10:11] sc0 sc1
	s_waitcnt vmcnt(0) lgkmcnt(0)
	buffer_inv sc0 sc1
	v_cmp_eq_u32_e32 vcc, 0, v2
	s_and_b64 s[56:57], vcc, exec
	s_or_b64 s[46:47], s[46:47], s[56:57]
	s_mov_b64 s[58:59], -1
	s_or_b64 s[44:45], s[44:45], exec
	s_and_saveexec_b64 s[56:57], s[46:47]
	s_cbranch_execz .LBB9_1086
.LBB9_1090:                             ;   in Loop: Header=BB9_1087 Depth=4
	s_sleep 1
	s_trap 2
	ds_read_b64 v[10:11], v0
	s_waitcnt lgkmcnt(0)
	s_andn2_b64 s[44:45], s[44:45], exec
	v_cmp_ge_u64_e32 vcc, v[10:11], v[38:39]
	s_orn2_b64 s[58:59], vcc, exec
	s_branch .LBB9_1086
.LBB9_1091:                             ;   in Loop: Header=BB9_1032 Depth=3
	s_or_b64 exec, exec, s[40:41]
	s_and_saveexec_b64 s[40:41], s[42:43]
	s_xor_b64 s[40:41], exec, s[40:41]
	s_cbranch_execz .LBB9_1093
; %bb.1092:                             ;   in Loop: Header=BB9_1032 Depth=3
	ds_write_b32 v0, v77
	s_trap 2
.LBB9_1093:                             ;   in Loop: Header=BB9_1032 Depth=3
	s_or_b64 exec, exec, s[28:29]
	;;#ASMSTART
	s_wakeup
	;;#ASMEND
.LBB9_1094:                             ;   in Loop: Header=BB9_1032 Depth=3
	s_or_b64 exec, exec, s[26:27]
.LBB9_1095:                             ;   in Loop: Header=BB9_1032 Depth=3
	s_andn2_saveexec_b64 s[24:25], s[24:25]
	s_cbranch_execz .LBB9_1097
; %bb.1096:                             ;   in Loop: Header=BB9_1032 Depth=3
	s_waitcnt lgkmcnt(0)
	s_barrier
.LBB9_1097:                             ;   in Loop: Header=BB9_1032 Depth=3
	s_or_b64 exec, exec, s[24:25]
.LBB9_1098:                             ;   in Loop: Header=BB9_1032 Depth=3
	s_or_b64 exec, exec, s[22:23]
	s_trap 2
	ds_read_b64 v[44:45], v0
	s_waitcnt lgkmcnt(0)
	v_cmp_eq_u64_e32 vcc, 0, v[44:45]
	s_cbranch_vccnz .LBB9_1107
; %bb.1099:                             ;   in Loop: Header=BB9_1032 Depth=3
	s_trap 2
	ds_read_b64 v[46:47], v0
	s_waitcnt lgkmcnt(0)
	v_cmp_eq_u64_e32 vcc, 0, v[46:47]
	s_cbranch_vccnz .LBB9_1107
; %bb.1100:                             ;   in Loop: Header=BB9_1032 Depth=3
	s_trap 2
	ds_read_b64 v[16:17], v0
	v_cmp_eq_u32_e32 vcc, 0, v8
	s_waitcnt lgkmcnt(0)
	v_readfirstlane_b32 s97, v16
	v_cndmask_b32_e32 v119, 0, v118, vcc
	v_cmp_ne_u64_e32 vcc, 0, v[16:17]
	s_cbranch_vccz .LBB9_1108
; %bb.1101:                             ;   in Loop: Header=BB9_1032 Depth=3
	s_trap 2
	ds_read_b64 v[18:19], v0
	s_mov_b64 s[22:23], -1
	s_and_saveexec_b64 s[24:25], s[16:17]
	s_cbranch_execz .LBB9_1103
; %bb.1102:                             ;   in Loop: Header=BB9_1032 Depth=3
	ds_read_b32 v2, v0 offset:720
	s_waitcnt lgkmcnt(0)
	v_and_b32_e32 v2, 15, v2
	v_cmp_eq_u32_e32 vcc, 0, v2
	s_orn2_b64 s[22:23], vcc, exec
.LBB9_1103:                             ;   in Loop: Header=BB9_1032 Depth=3
	s_or_b64 exec, exec, s[24:25]
	s_and_saveexec_b64 s[24:25], s[18:19]
	s_cbranch_execz .LBB9_1105
; %bb.1104:                             ;   in Loop: Header=BB9_1032 Depth=3
	ds_read_b32 v2, v0 offset:784
	s_waitcnt lgkmcnt(0)
	v_and_b32_e32 v2, 15, v2
	v_cmp_eq_u32_e32 vcc, 0, v2
	s_and_b64 s[26:27], s[22:23], vcc
	s_andn2_b64 s[22:23], s[22:23], exec
	s_and_b64 s[26:27], s[26:27], exec
	s_or_b64 s[22:23], s[22:23], s[26:27]
.LBB9_1105:                             ;   in Loop: Header=BB9_1032 Depth=3
	s_or_b64 exec, exec, s[24:25]
	s_xor_b64 s[22:23], s[22:23], -1
	v_cndmask_b32_e64 v8, 0, 1, s[22:23]
	v_lshlrev_b32_e32 v41, 1, v119
	s_mov_b64 s[24:25], -1
	v_mov_b32_e32 v2, 0
	v_cmp_ne_u32_e32 vcc, 0, v8
	s_cbranch_vccz .LBB9_1110
; %bb.1106:                             ;   in Loop: Header=BB9_1032 Depth=3
	v_mov_b32_e32 v22, v0
	s_and_saveexec_b64 s[40:41], s[24:25]
	s_cbranch_execnz .LBB9_1125
	s_branch .LBB9_1151
.LBB9_1107:                             ;   in Loop: Header=BB9_1032 Depth=3
	s_mov_b64 s[22:23], 0
	s_and_saveexec_b64 s[24:25], s[4:5]
	s_cbranch_execnz .LBB9_1258
	s_branch .LBB9_1276
.LBB9_1108:                             ;   in Loop: Header=BB9_1032 Depth=3
	s_cbranch_execnz .LBB9_1152
.LBB9_1109:                             ;   in Loop: Header=BB9_1032 Depth=3
	v_cmp_lt_i32_e64 s[22:23], 0, v119
	s_and_saveexec_b64 s[24:25], s[4:5]
	s_cbranch_execnz .LBB9_1258
	s_branch .LBB9_1276
.LBB9_1110:                             ;   in Loop: Header=BB9_1032 Depth=3
	v_ashrrev_i32_e32 v2, 31, v41
	v_lshrrev_b32_e32 v2, 22, v2
	v_add_u32_e32 v2, v41, v2
	v_and_b32_e32 v62, 0xfffffc00, v2
	v_ashrrev_i32_e32 v8, 10, v2
	v_sub_u32_e32 v72, v41, v62
	v_sub_u32_e32 v2, v8, v76
	v_cmp_lt_i32_e64 s[22:23], 15, v72
	v_sub_u32_e32 v61, v41, v54
	s_nop 0
	v_addc_co_u32_e64 v63, vcc, 0, v2, s[22:23]
	v_cmp_lt_i32_e32 vcc, 15, v61
	s_and_saveexec_b64 s[50:51], vcc
	s_cbranch_execz .LBB9_1116
; %bb.1111:                             ;   in Loop: Header=BB9_1032 Depth=3
	s_and_b32 s74, s97, 1
	s_cmp_eq_u64 s[74:75], 0
	v_lshl_add_u64 v[20:21], v[44:45], 0, v[54:55]
	s_waitcnt lgkmcnt(0)
	v_lshl_add_u64 v[22:23], v[18:19], 0, v[54:55]
	v_lshl_add_u64 v[56:57], v[46:47], 0, v[54:55]
	;; [unrolled: 1-line block ×3, first 2 shown]
	s_mov_b64 s[52:53], 0
	s_cselect_b64 s[24:25], -1, 0
.LBB9_1112:                             ;   Parent Loop BB9_47 Depth=1
                                        ;     Parent Loop BB9_1029 Depth=2
                                        ;       Parent Loop BB9_1032 Depth=3
                                        ; =>      This Loop Header: Depth=4
                                        ;           Child Loop BB9_1113 Depth 5
	global_load_dwordx4 v[8:11], v[20:21], off nt
	global_load_dwordx4 v[12:15], v[22:23], off nt
	s_waitcnt vmcnt(0)
	v_lshlrev_b32_e32 v2, 16, v8
	v_and_b32_e32 v90, 0xffff0000, v12
	v_lshlrev_b32_e32 v12, 16, v12
	v_max_f32_e32 v12, v12, v12
	v_max_f32_e32 v2, v2, v2
	v_min_f32_e32 v91, v2, v12
	v_max_f32_e32 v2, v2, v12
	v_cndmask_b32_e64 v12, v2, v91, s[24:25]
	v_and_b32_e32 v73, 0xffff0000, v8
	v_and_b32_e32 v2, 0x7f800000, v12
	v_cmp_eq_u32_e32 vcc, s70, v2
	v_bfe_u32 v2, v12, 16, 1
	v_cmp_eq_u32_sdwa s[26:27], v12, v3 src0_sel:WORD_0 src1_sel:DWORD
	v_or_b32_e32 v91, 0x10000, v12
	v_max_f32_e32 v90, v90, v90
	v_max_f32_e32 v73, v73, v73
	v_add3_u32 v2, v12, v2, s71
	v_cndmask_b32_e64 v12, v91, v12, s[26:27]
	v_min_f32_e32 v91, v73, v90
	v_max_f32_e32 v73, v73, v90
	v_cndmask_b32_e64 v90, v73, v91, s[24:25]
	v_and_b32_e32 v73, 0x7f800000, v90
	v_cmp_eq_u32_e64 s[26:27], s70, v73
	v_bfe_u32 v73, v90, 16, 1
	v_cmp_eq_u32_sdwa s[28:29], v90, v3 src0_sel:WORD_0 src1_sel:DWORD
	v_or_b32_e32 v91, 0x10000, v90
	v_add3_u32 v73, v90, v73, s71
	v_cndmask_b32_e64 v90, v91, v90, s[28:29]
	v_and_b32_e32 v93, 0xffff0000, v13
	v_lshlrev_b32_e32 v91, 16, v9
	v_lshlrev_b32_e32 v13, 16, v13
	v_max_f32_e32 v13, v13, v13
	v_max_f32_e32 v91, v91, v91
	v_min_f32_e32 v94, v91, v13
	v_max_f32_e32 v13, v91, v13
	v_cndmask_b32_e64 v91, v13, v94, s[24:25]
	v_and_b32_e32 v92, 0xffff0000, v9
	v_and_b32_e32 v13, 0x7f800000, v91
	v_cmp_eq_u32_e64 s[28:29], s70, v13
	v_bfe_u32 v13, v91, 16, 1
	v_cmp_eq_u32_sdwa s[40:41], v91, v3 src0_sel:WORD_0 src1_sel:DWORD
	v_or_b32_e32 v94, 0x10000, v91
	v_max_f32_e32 v93, v93, v93
	v_max_f32_e32 v92, v92, v92
	v_add3_u32 v13, v91, v13, s71
	v_cndmask_b32_e64 v91, v94, v91, s[40:41]
	v_min_f32_e32 v94, v92, v93
	v_max_f32_e32 v92, v92, v93
	v_cndmask_b32_e64 v93, v92, v94, s[24:25]
	v_and_b32_e32 v92, 0x7f800000, v93
	v_cmp_eq_u32_e64 s[40:41], s70, v92
	v_bfe_u32 v92, v93, 16, 1
	v_cmp_eq_u32_sdwa s[42:43], v93, v3 src0_sel:WORD_0 src1_sel:DWORD
	v_or_b32_e32 v94, 0x10000, v93
	v_add3_u32 v92, v93, v92, s71
	v_cndmask_b32_e64 v93, v94, v93, s[42:43]
	v_and_b32_e32 v104, 0xffff0000, v14
	v_lshlrev_b32_e32 v94, 16, v10
	v_lshlrev_b32_e32 v14, 16, v14
	v_max_f32_e32 v14, v14, v14
	v_max_f32_e32 v94, v94, v94
	v_min_f32_e32 v105, v94, v14
	v_max_f32_e32 v14, v94, v14
	v_cndmask_b32_e64 v94, v14, v105, s[24:25]
	v_and_b32_e32 v95, 0xffff0000, v10
	v_and_b32_e32 v14, 0x7f800000, v94
	v_cmp_eq_u32_e64 s[42:43], s70, v14
	v_bfe_u32 v14, v94, 16, 1
	v_cmp_eq_u32_sdwa s[44:45], v94, v3 src0_sel:WORD_0 src1_sel:DWORD
	v_or_b32_e32 v105, 0x10000, v94
	v_max_f32_e32 v104, v104, v104
	v_max_f32_e32 v95, v95, v95
	v_add3_u32 v14, v94, v14, s71
	v_cndmask_b32_e64 v94, v105, v94, s[44:45]
	v_min_f32_e32 v105, v95, v104
	v_max_f32_e32 v95, v95, v104
	v_and_b32_e32 v106, 0xffff0000, v15
	v_lshlrev_b32_e32 v107, 16, v11
	v_lshlrev_b32_e32 v15, 16, v15
	v_cndmask_b32_e64 v104, v95, v105, s[24:25]
	v_max_f32_e32 v15, v15, v15
	v_max_f32_e32 v107, v107, v107
	v_and_b32_e32 v95, 0x7f800000, v104
	v_min_f32_e32 v110, v107, v15
	v_max_f32_e32 v15, v107, v15
	v_cmp_eq_u32_e64 s[44:45], s70, v95
	v_bfe_u32 v95, v104, 16, 1
	v_cmp_eq_u32_sdwa s[46:47], v104, v3 src0_sel:WORD_0 src1_sel:DWORD
	v_or_b32_e32 v105, 0x10000, v104
	v_cndmask_b32_e64 v15, v15, v110, s[24:25]
	v_add3_u32 v95, v104, v95, s71
	v_cndmask_b32_e64 v104, v105, v104, s[46:47]
	v_and_b32_e32 v105, 0xffff0000, v11
	v_and_b32_e32 v107, 0x7f800000, v15
	v_cmp_eq_u32_e64 s[46:47], s70, v107
	v_bfe_u32 v107, v15, 16, 1
	v_cmp_eq_u32_sdwa s[56:57], v15, v3 src0_sel:WORD_0 src1_sel:DWORD
	v_or_b32_e32 v110, 0x10000, v15
	v_max_f32_e32 v106, v106, v106
	v_max_f32_e32 v105, v105, v105
	v_add3_u32 v107, v15, v107, s71
	v_cndmask_b32_e64 v15, v110, v15, s[56:57]
	v_min_f32_e32 v110, v105, v106
	v_max_f32_e32 v105, v105, v106
	v_cndmask_b32_e64 v105, v105, v110, s[24:25]
	v_and_b32_e32 v106, 0x7f800000, v105
	v_cmp_eq_u32_e64 s[56:57], s70, v106
	v_bfe_u32 v106, v105, 16, 1
	v_cmp_eq_u32_sdwa s[58:59], v105, v3 src0_sel:WORD_0 src1_sel:DWORD
	v_or_b32_e32 v110, 0x10000, v105
	v_cndmask_b32_e32 v2, v2, v12, vcc
	v_add3_u32 v106, v105, v106, s71
	v_cndmask_b32_e64 v105, v110, v105, s[58:59]
	v_cndmask_b32_e64 v12, v73, v90, s[26:27]
	;; [unrolled: 1-line block ×5, first 2 shown]
	v_lshrrev_b32_e32 v2, 16, v2
	v_cndmask_b32_e64 v73, v92, v93, s[40:41]
	v_cndmask_b32_e64 v90, v95, v104, s[44:45]
	;; [unrolled: 1-line block ×3, first 2 shown]
	v_lshrrev_b32_e32 v13, 16, v13
	v_and_or_b32 v2, v12, s80, v2
	v_lshrrev_b32_e32 v12, 16, v14
	v_lshrrev_b32_e32 v14, 16, v15
	v_and_or_b32 v13, v73, s80, v13
	v_and_or_b32 v12, v90, s80, v12
	v_and_or_b32 v15, v91, s80, v14
	s_mov_b64 s[40:41], -1
	s_mov_b64 s[42:43], 0
.LBB9_1113:                             ;   Parent Loop BB9_47 Depth=1
                                        ;     Parent Loop BB9_1029 Depth=2
                                        ;       Parent Loop BB9_1032 Depth=3
                                        ;         Parent Loop BB9_1112 Depth=4
                                        ; =>        This Inner Loop Header: Depth=5
	v_cndmask_b32_e64 v14, 0, 1, s[40:41]
	s_cmp_eq_u32 s42, 1
	v_cmp_ne_u32_e32 vcc, 1, v14
	s_cselect_b64 s[26:27], -1, 0
	v_cndmask_b32_e64 v91, v9, v13, s[40:41]
	v_cndmask_b32_e64 v90, v8, v2, s[40:41]
	;; [unrolled: 1-line block ×4, first 2 shown]
	v_cndmask_b32_e32 v95, v57, v59, vcc
	v_cndmask_b32_e64 v105, v57, v59, s[26:27]
	s_cmp_eq_u32 s42, 0
	v_cndmask_b32_e32 v94, v56, v58, vcc
	v_cndmask_b32_e64 v104, v56, v58, s[26:27]
	global_store_dwordx4 v[94:95], v[90:93], off
	s_cselect_b64 vcc, -1, 0
	s_and_b64 s[28:29], exec, s[40:41]
	v_lshl_add_u64 v[90:91], v[104:105], 0, s[88:89]
	s_mov_b64 s[42:43], 1
	s_mov_b64 s[40:41], 0
	v_cndmask_b32_e64 v59, v59, v91, s[26:27]
	v_cndmask_b32_e64 v58, v58, v90, s[26:27]
	v_cndmask_b32_e32 v57, v57, v91, vcc
	v_cndmask_b32_e32 v56, v56, v90, vcc
	s_mov_b64 vcc, s[28:29]
	s_cbranch_vccnz .LBB9_1113
; %bb.1114:                             ;   in Loop: Header=BB9_1112 Depth=4
	v_sub_u32_e32 v61, v61, v80
	v_cmp_gt_i32_e32 vcc, 16, v61
	v_lshl_add_u64 v[56:57], v[56:57], 0, v[86:87]
	v_lshl_add_u64 v[58:59], v[58:59], 0, v[86:87]
	;; [unrolled: 1-line block ×4, first 2 shown]
	s_or_b64 s[52:53], vcc, s[52:53]
	v_sub_u32_e32 v63, v63, v52
	s_andn2_b64 exec, exec, s[52:53]
	s_cbranch_execnz .LBB9_1112
; %bb.1115:                             ;   in Loop: Header=BB9_1032 Depth=3
	s_or_b64 exec, exec, s[52:53]
.LBB9_1116:                             ;   in Loop: Header=BB9_1032 Depth=3
	s_or_b64 exec, exec, s[50:51]
	v_and_b32_e32 v8, 14, v41
	v_cndmask_b32_e64 v61, v72, v8, s[22:23]
	v_mov_b32_e32 v2, 0
	v_cmp_ne_u32_e32 vcc, 0, v61
	s_mov_b64 s[24:25], 0
                                        ; implicit-def: $vgpr41
                                        ; implicit-def: $vgpr22
	s_and_saveexec_b64 s[50:51], vcc
	s_cbranch_execz .LBB9_1124
; %bb.1117:                             ;   in Loop: Header=BB9_1032 Depth=3
	v_sub_u32_e32 v2, v72, v8
	v_cndmask_b32_e64 v2, 0, v2, s[22:23]
	v_cmp_lt_i32_e32 vcc, 0, v63
	v_add_u32_e32 v41, v2, v62
	s_nop 0
	v_cndmask_b32_e32 v2, 0, v52, vcc
	v_sub_u32_e32 v2, v2, v63
	v_lshl_or_b32 v2, v2, 6, v75
	v_ashrrev_i32_e32 v8, 31, v2
	v_lshrrev_b32_e32 v8, 26, v8
	v_add_u32_e32 v8, v2, v8
	v_ashrrev_i32_e32 v9, 6, v8
	v_and_b32_e32 v8, 0xffffffc0, v8
	v_sub_u32_e32 v62, v2, v8
	v_ashrrev_i32_e32 v8, 31, v61
	v_lshrrev_b32_e32 v8, 22, v8
	v_add_u32_e32 v8, v61, v8
	v_and_b32_e32 v63, 0xfffffc00, v8
	v_lshlrev_b32_e32 v2, 4, v62
	v_sub_u32_e32 v72, v61, v63
	v_lshl_add_u32 v2, v9, 10, v2
	v_ashrrev_i32_e32 v10, 10, v8
	v_cmp_lt_i32_e64 s[22:23], 15, v72
	v_sub_u32_e32 v90, v61, v2
	s_nop 0
	v_addc_co_u32_e64 v8, vcc, 0, v10, s[22:23]
	v_sub_u32_e32 v73, v8, v9
	v_cmp_lt_i32_e32 vcc, 15, v90
	s_and_saveexec_b64 s[52:53], vcc
	s_cbranch_execz .LBB9_1123
; %bb.1118:                             ;   in Loop: Header=BB9_1032 Depth=3
	v_add_u32_e32 v8, v2, v41
	s_and_b32 s74, s97, 1
	v_ashrrev_i32_e32 v9, 31, v8
	s_cmp_eq_u64 s[74:75], 0
	v_lshl_add_u64 v[20:21], v[8:9], 0, v[44:45]
	s_waitcnt lgkmcnt(0)
	v_lshl_add_u64 v[22:23], v[8:9], 0, v[18:19]
	v_lshl_add_u64 v[56:57], v[8:9], 0, v[46:47]
	;; [unrolled: 1-line block ×3, first 2 shown]
	s_mov_b64 s[54:55], 0
	s_cselect_b64 s[24:25], -1, 0
.LBB9_1119:                             ;   Parent Loop BB9_47 Depth=1
                                        ;     Parent Loop BB9_1029 Depth=2
                                        ;       Parent Loop BB9_1032 Depth=3
                                        ; =>      This Loop Header: Depth=4
                                        ;           Child Loop BB9_1120 Depth 5
	global_load_dwordx4 v[8:11], v[20:21], off nt
	global_load_dwordx4 v[12:15], v[22:23], off nt
	s_waitcnt vmcnt(0)
	v_lshlrev_b32_e32 v2, 16, v8
	v_and_b32_e32 v92, 0xffff0000, v12
	v_lshlrev_b32_e32 v12, 16, v12
	v_max_f32_e32 v12, v12, v12
	v_max_f32_e32 v2, v2, v2
	v_min_f32_e32 v93, v2, v12
	v_max_f32_e32 v2, v2, v12
	v_cndmask_b32_e64 v12, v2, v93, s[24:25]
	v_and_b32_e32 v91, 0xffff0000, v8
	v_and_b32_e32 v2, 0x7f800000, v12
	v_cmp_eq_u32_e32 vcc, s70, v2
	v_bfe_u32 v2, v12, 16, 1
	v_cmp_eq_u32_sdwa s[26:27], v12, v3 src0_sel:WORD_0 src1_sel:DWORD
	v_or_b32_e32 v93, 0x10000, v12
	v_max_f32_e32 v92, v92, v92
	v_max_f32_e32 v91, v91, v91
	v_add3_u32 v2, v12, v2, s71
	v_cndmask_b32_e64 v12, v93, v12, s[26:27]
	v_min_f32_e32 v93, v91, v92
	v_max_f32_e32 v91, v91, v92
	v_cndmask_b32_e64 v92, v91, v93, s[24:25]
	v_and_b32_e32 v91, 0x7f800000, v92
	v_cmp_eq_u32_e64 s[26:27], s70, v91
	v_bfe_u32 v91, v92, 16, 1
	v_cmp_eq_u32_sdwa s[28:29], v92, v3 src0_sel:WORD_0 src1_sel:DWORD
	v_or_b32_e32 v93, 0x10000, v92
	v_add3_u32 v91, v92, v91, s71
	v_cndmask_b32_e64 v92, v93, v92, s[28:29]
	v_and_b32_e32 v95, 0xffff0000, v13
	v_lshlrev_b32_e32 v93, 16, v9
	v_lshlrev_b32_e32 v13, 16, v13
	v_max_f32_e32 v13, v13, v13
	v_max_f32_e32 v93, v93, v93
	v_min_f32_e32 v104, v93, v13
	v_max_f32_e32 v13, v93, v13
	v_cndmask_b32_e64 v93, v13, v104, s[24:25]
	v_and_b32_e32 v94, 0xffff0000, v9
	v_and_b32_e32 v13, 0x7f800000, v93
	v_cmp_eq_u32_e64 s[28:29], s70, v13
	v_bfe_u32 v13, v93, 16, 1
	v_cmp_eq_u32_sdwa s[40:41], v93, v3 src0_sel:WORD_0 src1_sel:DWORD
	v_or_b32_e32 v104, 0x10000, v93
	v_max_f32_e32 v95, v95, v95
	v_max_f32_e32 v94, v94, v94
	v_add3_u32 v13, v93, v13, s71
	v_cndmask_b32_e64 v93, v104, v93, s[40:41]
	v_min_f32_e32 v104, v94, v95
	v_max_f32_e32 v94, v94, v95
	v_cndmask_b32_e64 v95, v94, v104, s[24:25]
	v_and_b32_e32 v94, 0x7f800000, v95
	v_cmp_eq_u32_e64 s[40:41], s70, v94
	v_bfe_u32 v94, v95, 16, 1
	v_cmp_eq_u32_sdwa s[42:43], v95, v3 src0_sel:WORD_0 src1_sel:DWORD
	v_or_b32_e32 v104, 0x10000, v95
	v_add3_u32 v94, v95, v94, s71
	v_cndmask_b32_e64 v95, v104, v95, s[42:43]
	v_and_b32_e32 v106, 0xffff0000, v14
	v_lshlrev_b32_e32 v104, 16, v10
	v_lshlrev_b32_e32 v14, 16, v14
	v_max_f32_e32 v14, v14, v14
	v_max_f32_e32 v104, v104, v104
	v_min_f32_e32 v107, v104, v14
	v_max_f32_e32 v14, v104, v14
	v_cndmask_b32_e64 v104, v14, v107, s[24:25]
	v_and_b32_e32 v105, 0xffff0000, v10
	v_and_b32_e32 v14, 0x7f800000, v104
	v_cmp_eq_u32_e64 s[42:43], s70, v14
	v_bfe_u32 v14, v104, 16, 1
	v_cmp_eq_u32_sdwa s[44:45], v104, v3 src0_sel:WORD_0 src1_sel:DWORD
	v_or_b32_e32 v107, 0x10000, v104
	v_max_f32_e32 v106, v106, v106
	v_max_f32_e32 v105, v105, v105
	v_add3_u32 v14, v104, v14, s71
	v_cndmask_b32_e64 v104, v107, v104, s[44:45]
	v_min_f32_e32 v107, v105, v106
	v_max_f32_e32 v105, v105, v106
	v_and_b32_e32 v110, 0xffff0000, v15
	v_lshlrev_b32_e32 v111, 16, v11
	v_lshlrev_b32_e32 v15, 16, v15
	v_cndmask_b32_e64 v106, v105, v107, s[24:25]
	v_max_f32_e32 v15, v15, v15
	v_max_f32_e32 v111, v111, v111
	v_and_b32_e32 v105, 0x7f800000, v106
	v_min_f32_e32 v120, v111, v15
	v_max_f32_e32 v15, v111, v15
	v_cmp_eq_u32_e64 s[44:45], s70, v105
	v_bfe_u32 v105, v106, 16, 1
	v_cmp_eq_u32_sdwa s[46:47], v106, v3 src0_sel:WORD_0 src1_sel:DWORD
	v_or_b32_e32 v107, 0x10000, v106
	v_cndmask_b32_e64 v15, v15, v120, s[24:25]
	v_add3_u32 v105, v106, v105, s71
	v_cndmask_b32_e64 v106, v107, v106, s[46:47]
	v_and_b32_e32 v107, 0xffff0000, v11
	v_and_b32_e32 v111, 0x7f800000, v15
	v_cmp_eq_u32_e64 s[46:47], s70, v111
	v_bfe_u32 v111, v15, 16, 1
	v_cmp_eq_u32_sdwa s[56:57], v15, v3 src0_sel:WORD_0 src1_sel:DWORD
	v_or_b32_e32 v120, 0x10000, v15
	v_max_f32_e32 v110, v110, v110
	v_max_f32_e32 v107, v107, v107
	v_add3_u32 v111, v15, v111, s71
	v_cndmask_b32_e64 v15, v120, v15, s[56:57]
	v_min_f32_e32 v120, v107, v110
	v_max_f32_e32 v107, v107, v110
	v_cndmask_b32_e64 v107, v107, v120, s[24:25]
	v_and_b32_e32 v110, 0x7f800000, v107
	v_cmp_eq_u32_e64 s[56:57], s70, v110
	v_bfe_u32 v110, v107, 16, 1
	v_cmp_eq_u32_sdwa s[58:59], v107, v3 src0_sel:WORD_0 src1_sel:DWORD
	v_or_b32_e32 v120, 0x10000, v107
	v_cndmask_b32_e32 v2, v2, v12, vcc
	v_add3_u32 v110, v107, v110, s71
	v_cndmask_b32_e64 v107, v120, v107, s[58:59]
	v_cndmask_b32_e64 v12, v91, v92, s[26:27]
	;; [unrolled: 1-line block ×5, first 2 shown]
	v_lshrrev_b32_e32 v2, 16, v2
	v_cndmask_b32_e64 v91, v94, v95, s[40:41]
	v_cndmask_b32_e64 v92, v105, v106, s[44:45]
	;; [unrolled: 1-line block ×3, first 2 shown]
	v_lshrrev_b32_e32 v13, 16, v13
	v_and_or_b32 v2, v12, s80, v2
	v_lshrrev_b32_e32 v12, 16, v14
	v_lshrrev_b32_e32 v14, 16, v15
	v_and_or_b32 v13, v91, s80, v13
	v_and_or_b32 v12, v92, s80, v12
	;; [unrolled: 1-line block ×3, first 2 shown]
	s_mov_b64 s[40:41], -1
	s_mov_b64 s[42:43], 0
.LBB9_1120:                             ;   Parent Loop BB9_47 Depth=1
                                        ;     Parent Loop BB9_1029 Depth=2
                                        ;       Parent Loop BB9_1032 Depth=3
                                        ;         Parent Loop BB9_1119 Depth=4
                                        ; =>        This Inner Loop Header: Depth=5
	v_cndmask_b32_e64 v14, 0, 1, s[40:41]
	s_cmp_eq_u32 s42, 1
	v_cmp_ne_u32_e32 vcc, 1, v14
	s_cselect_b64 s[26:27], -1, 0
	v_cndmask_b32_e64 v93, v9, v13, s[40:41]
	v_cndmask_b32_e64 v92, v8, v2, s[40:41]
	;; [unrolled: 1-line block ×4, first 2 shown]
	v_cndmask_b32_e32 v105, v57, v59, vcc
	v_cndmask_b32_e64 v107, v57, v59, s[26:27]
	s_cmp_eq_u32 s42, 0
	v_cndmask_b32_e32 v104, v56, v58, vcc
	v_cndmask_b32_e64 v106, v56, v58, s[26:27]
	global_store_dwordx4 v[104:105], v[92:95], off
	s_cselect_b64 vcc, -1, 0
	s_and_b64 s[28:29], exec, s[40:41]
	v_lshl_add_u64 v[92:93], v[106:107], 0, s[88:89]
	s_mov_b64 s[42:43], 1
	s_mov_b64 s[40:41], 0
	v_cndmask_b32_e64 v59, v59, v93, s[26:27]
	v_cndmask_b32_e64 v58, v58, v92, s[26:27]
	v_cndmask_b32_e32 v57, v57, v93, vcc
	v_cndmask_b32_e32 v56, v56, v92, vcc
	s_mov_b64 vcc, s[28:29]
	s_cbranch_vccnz .LBB9_1120
; %bb.1121:                             ;   in Loop: Header=BB9_1119 Depth=4
	v_sub_u32_e32 v90, v90, v80
	v_cmp_gt_i32_e32 vcc, 16, v90
	v_lshl_add_u64 v[56:57], v[56:57], 0, v[86:87]
	v_lshl_add_u64 v[58:59], v[58:59], 0, v[86:87]
	;; [unrolled: 1-line block ×4, first 2 shown]
	s_or_b64 s[54:55], vcc, s[54:55]
	v_sub_u32_e32 v73, v73, v52
	s_andn2_b64 exec, exec, s[54:55]
	s_cbranch_execnz .LBB9_1119
; %bb.1122:                             ;   in Loop: Header=BB9_1032 Depth=3
	s_or_b64 exec, exec, s[54:55]
.LBB9_1123:                             ;   in Loop: Header=BB9_1032 Depth=3
	s_or_b64 exec, exec, s[52:53]
	v_and_b32_e32 v8, 14, v61
	v_sub_u32_e32 v2, v72, v8
	v_cndmask_b32_e64 v2, 0, v2, s[22:23]
	v_cmp_lt_i32_e32 vcc, 0, v73
	v_add3_u32 v2, v63, v41, v2
	v_cndmask_b32_e64 v41, v72, v8, s[22:23]
	v_cndmask_b32_e32 v8, 0, v52, vcc
	v_sub_u32_e32 v8, v8, v73
	v_cmp_ne_u32_e32 vcc, 0, v41
	v_lshl_add_u32 v22, v8, 6, v62
	s_and_b64 s[24:25], vcc, exec
.LBB9_1124:                             ;   in Loop: Header=BB9_1032 Depth=3
	s_or_b64 exec, exec, s[50:51]
	s_and_saveexec_b64 s[40:41], s[24:25]
	s_cbranch_execz .LBB9_1151
.LBB9_1125:                             ;   in Loop: Header=BB9_1032 Depth=3
	v_ashrrev_i32_e32 v8, 31, v22
	v_ashrrev_i32_e32 v9, 31, v41
	v_lshrrev_b32_e32 v8, 26, v8
	v_lshrrev_b32_e32 v9, 23, v9
	v_add_u32_e32 v8, v22, v8
	v_add_u32_e32 v9, v41, v9
	v_ashrrev_i32_e32 v23, 6, v8
	v_ashrrev_i32_e32 v57, 9, v9
	v_sub_u32_e32 v56, v57, v23
	v_cmp_lt_i32_e32 vcc, 0, v56
	s_and_saveexec_b64 s[24:25], vcc
	s_cbranch_execz .LBB9_1145
; %bb.1126:                             ;   in Loop: Header=BB9_1032 Depth=3
	v_and_b32_e32 v8, 0x7fffffc0, v8
	v_sub_u32_e32 v8, v22, v8
	v_lshlrev_b32_e32 v8, 1, v8
	v_lshlrev_b32_e32 v9, 9, v23
	v_add3_u32 v8, v8, v2, v9
	s_and_b32 s74, s97, 1
	v_ashrrev_i32_e32 v9, 31, v8
	s_cmp_eq_u64 s[74:75], 0
	v_lshl_add_u64 v[10:11], v[8:9], 0, v[46:47]
	v_lshl_add_u64 v[12:13], v[8:9], 0, v[16:17]
	s_mov_b64 s[26:27], 0
	s_cselect_b64 vcc, -1, 0
	v_mov_b64_e32 v[14:15], v[44:45]
	s_waitcnt lgkmcnt(0)
	v_mov_b64_e32 v[20:21], v[18:19]
	s_branch .LBB9_1128
.LBB9_1127:                             ;   in Loop: Header=BB9_1128 Depth=4
	s_or_b64 exec, exec, s[28:29]
	v_sub_u32_e32 v56, v56, v52
	v_cmp_gt_i32_e64 s[22:23], 1, v56
	flat_store_short_d16_hi v[10:11], v72 offset:384 nt
	flat_store_short v[12:13], v58 nt
	flat_store_short v[12:13], v59 offset:128 nt
	flat_store_short v[12:13], v61 offset:256 nt
	;; [unrolled: 1-line block ×3, first 2 shown]
	v_lshl_add_u64 v[10:11], v[10:11], 0, v[82:83]
	v_lshl_add_u64 v[12:13], v[12:13], 0, v[82:83]
	;; [unrolled: 1-line block ×3, first 2 shown]
	s_or_b64 s[26:27], s[22:23], s[26:27]
	v_lshl_add_u64 v[14:15], v[14:15], 0, v[82:83]
	s_andn2_b64 exec, exec, s[26:27]
	s_cbranch_execz .LBB9_1144
.LBB9_1128:                             ;   Parent Loop BB9_47 Depth=1
                                        ;     Parent Loop BB9_1029 Depth=2
                                        ;       Parent Loop BB9_1032 Depth=3
                                        ; =>      This Inner Loop Header: Depth=4
	v_lshl_add_u64 v[92:93], v[8:9], 0, v[14:15]
	v_lshl_add_u64 v[90:91], v[8:9], 0, v[20:21]
	flat_load_ushort v58, v[92:93] nt
	flat_load_ushort v72, v[90:91] offset:256 nt
	flat_load_ushort v63, v[90:91] offset:384 nt
	flat_load_ushort v94, v[90:91] nt
	flat_load_ushort v73, v[90:91] offset:128 nt
	flat_load_ushort v59, v[92:93] offset:128 nt
	;; [unrolled: 1-line block ×4, first 2 shown]
	s_waitcnt vmcnt(0) lgkmcnt(0)
	v_lshlrev_b32_e32 v90, 16, v58
	v_max_f32_e32 v90, v90, v90
	v_lshlrev_b32_e32 v91, 16, v94
	v_max_f32_e32 v91, v91, v91
	v_min_f32_e32 v92, v90, v91
	v_max_f32_e32 v90, v90, v91
	v_cndmask_b32_e32 v90, v90, v92, vcc
	v_and_b32_e32 v91, 0x7f800000, v90
	v_cmp_ne_u32_e64 s[22:23], s70, v91
                                        ; implicit-def: $vgpr91
	s_and_saveexec_b64 s[28:29], s[22:23]
	s_xor_b64 s[22:23], exec, s[28:29]
; %bb.1129:                             ;   in Loop: Header=BB9_1128 Depth=4
	v_bfe_u32 v91, v90, 16, 1
	v_add3_u32 v91, v90, v91, s71
                                        ; implicit-def: $vgpr90
; %bb.1130:                             ;   in Loop: Header=BB9_1128 Depth=4
	s_andn2_saveexec_b64 s[28:29], s[22:23]
; %bb.1131:                             ;   in Loop: Header=BB9_1128 Depth=4
	v_or_b32_e32 v91, 0x10000, v90
	v_cmp_eq_u32_sdwa s[22:23], v90, v3 src0_sel:WORD_0 src1_sel:DWORD
	s_nop 1
	v_cndmask_b32_e64 v91, v91, v90, s[22:23]
; %bb.1132:                             ;   in Loop: Header=BB9_1128 Depth=4
	s_or_b64 exec, exec, s[28:29]
	v_lshlrev_b32_e32 v90, 16, v59
	v_lshlrev_b32_e32 v73, 16, v73
	v_max_f32_e32 v73, v73, v73
	v_max_f32_e32 v90, v90, v90
	flat_store_short_d16_hi v[10:11], v91 nt
	v_min_f32_e32 v91, v90, v73
	v_max_f32_e32 v73, v90, v73
	v_cndmask_b32_e32 v73, v73, v91, vcc
	v_and_b32_e32 v90, 0x7f800000, v73
	v_cmp_ne_u32_e64 s[22:23], s70, v90
                                        ; implicit-def: $vgpr90
	s_and_saveexec_b64 s[28:29], s[22:23]
	s_xor_b64 s[22:23], exec, s[28:29]
; %bb.1133:                             ;   in Loop: Header=BB9_1128 Depth=4
	v_bfe_u32 v90, v73, 16, 1
	v_add3_u32 v90, v73, v90, s71
                                        ; implicit-def: $vgpr73
; %bb.1134:                             ;   in Loop: Header=BB9_1128 Depth=4
	s_andn2_saveexec_b64 s[28:29], s[22:23]
; %bb.1135:                             ;   in Loop: Header=BB9_1128 Depth=4
	v_or_b32_e32 v90, 0x10000, v73
	v_cmp_eq_u32_sdwa s[22:23], v73, v3 src0_sel:WORD_0 src1_sel:DWORD
	s_nop 1
	v_cndmask_b32_e64 v90, v90, v73, s[22:23]
; %bb.1136:                             ;   in Loop: Header=BB9_1128 Depth=4
	s_or_b64 exec, exec, s[28:29]
	v_lshlrev_b32_e32 v73, 16, v61
	v_lshlrev_b32_e32 v72, 16, v72
	v_max_f32_e32 v72, v72, v72
	v_max_f32_e32 v73, v73, v73
	flat_store_short_d16_hi v[10:11], v90 offset:128 nt
	v_min_f32_e32 v90, v73, v72
	v_max_f32_e32 v72, v73, v72
	v_cndmask_b32_e32 v72, v72, v90, vcc
	v_and_b32_e32 v73, 0x7f800000, v72
	v_cmp_ne_u32_e64 s[22:23], s70, v73
                                        ; implicit-def: $vgpr73
	s_and_saveexec_b64 s[28:29], s[22:23]
	s_xor_b64 s[22:23], exec, s[28:29]
; %bb.1137:                             ;   in Loop: Header=BB9_1128 Depth=4
	v_bfe_u32 v73, v72, 16, 1
	v_add3_u32 v73, v72, v73, s71
                                        ; implicit-def: $vgpr72
; %bb.1138:                             ;   in Loop: Header=BB9_1128 Depth=4
	s_andn2_saveexec_b64 s[28:29], s[22:23]
; %bb.1139:                             ;   in Loop: Header=BB9_1128 Depth=4
	v_or_b32_e32 v73, 0x10000, v72
	v_cmp_eq_u32_sdwa s[22:23], v72, v3 src0_sel:WORD_0 src1_sel:DWORD
	s_nop 1
	v_cndmask_b32_e64 v73, v73, v72, s[22:23]
; %bb.1140:                             ;   in Loop: Header=BB9_1128 Depth=4
	s_or_b64 exec, exec, s[28:29]
	v_lshlrev_b32_e32 v72, 16, v62
	v_lshlrev_b32_e32 v63, 16, v63
	v_max_f32_e32 v63, v63, v63
	v_max_f32_e32 v72, v72, v72
	flat_store_short_d16_hi v[10:11], v73 offset:256 nt
	v_min_f32_e32 v73, v72, v63
	v_max_f32_e32 v63, v72, v63
	v_cndmask_b32_e32 v63, v63, v73, vcc
	v_and_b32_e32 v72, 0x7f800000, v63
	v_cmp_ne_u32_e64 s[22:23], s70, v72
                                        ; implicit-def: $vgpr72
	s_and_saveexec_b64 s[28:29], s[22:23]
	s_xor_b64 s[22:23], exec, s[28:29]
; %bb.1141:                             ;   in Loop: Header=BB9_1128 Depth=4
	v_bfe_u32 v72, v63, 16, 1
	v_add3_u32 v72, v63, v72, s71
                                        ; implicit-def: $vgpr63
; %bb.1142:                             ;   in Loop: Header=BB9_1128 Depth=4
	s_andn2_saveexec_b64 s[28:29], s[22:23]
	s_cbranch_execz .LBB9_1127
; %bb.1143:                             ;   in Loop: Header=BB9_1128 Depth=4
	v_or_b32_e32 v72, 0x10000, v63
	v_cmp_eq_u32_sdwa s[22:23], v63, v3 src0_sel:WORD_0 src1_sel:DWORD
	s_nop 1
	v_cndmask_b32_e64 v72, v72, v63, s[22:23]
	s_branch .LBB9_1127
.LBB9_1144:                             ;   in Loop: Header=BB9_1032 Depth=3
	s_or_b64 exec, exec, s[26:27]
.LBB9_1145:                             ;   in Loop: Header=BB9_1032 Depth=3
	s_or_b64 exec, exec, s[24:25]
	v_lshlrev_b32_e32 v8, 9, v57
	v_cmp_ne_u32_e32 vcc, v41, v8
	s_and_b64 exec, exec, vcc
	s_cbranch_execz .LBB9_1151
; %bb.1146:                             ;   in Loop: Header=BB9_1032 Depth=3
	v_lshlrev_b32_e32 v9, 6, v23
	v_sub_u32_e32 v9, v22, v9
	v_lshlrev_b32_e32 v10, 6, v56
	v_sub_u32_e32 v9, v9, v10
	v_ashrrev_i32_e32 v10, 31, v9
	v_lshrrev_b32_e32 v10, 26, v10
	v_add_u32_e32 v10, v9, v10
	v_and_b32_e32 v11, 0x7fffffc0, v10
	v_sub_u32_e32 v9, v9, v11
	v_lshlrev_b32_e32 v10, 1, v10
	v_and_b32_e32 v10, 0xffffff80, v10
	v_lshlrev_b32_e32 v9, 1, v9
	v_add3_u32 v8, v10, v9, v8
	v_sub_u32_e32 v20, v41, v8
	v_cmp_lt_i32_e32 vcc, 1, v20
	s_and_b64 exec, exec, vcc
	s_cbranch_execz .LBB9_1151
; %bb.1147:                             ;   in Loop: Header=BB9_1032 Depth=3
	v_add_u32_e32 v14, v8, v2
	s_and_b32 s74, s97, 1
	v_ashrrev_i32_e32 v15, 31, v14
	s_cmp_eq_u64 s[74:75], 0
	v_lshl_add_u64 v[8:9], v[14:15], 0, v[44:45]
	s_waitcnt lgkmcnt(0)
	v_lshl_add_u64 v[10:11], v[14:15], 0, v[18:19]
	v_lshl_add_u64 v[12:13], v[14:15], 0, v[46:47]
	;; [unrolled: 1-line block ×3, first 2 shown]
	s_mov_b64 s[42:43], 0
	s_cselect_b64 s[22:23], -1, 0
.LBB9_1148:                             ;   Parent Loop BB9_47 Depth=1
                                        ;     Parent Loop BB9_1029 Depth=2
                                        ;       Parent Loop BB9_1032 Depth=3
                                        ; =>      This Loop Header: Depth=4
                                        ;           Child Loop BB9_1149 Depth 5
	flat_load_ushort v2, v[8:9] nt
	flat_load_ushort v16, v[10:11] nt
	s_mov_b64 s[24:25], -1
	s_mov_b64 s[44:45], 0
	s_waitcnt vmcnt(0) lgkmcnt(0)
	v_lshlrev_b32_e32 v17, 16, v2
	v_lshlrev_b32_e32 v16, 16, v16
	v_max_f32_e32 v16, v16, v16
	v_max_f32_e32 v17, v17, v17
	v_min_f32_e32 v18, v17, v16
	v_max_f32_e32 v16, v17, v16
	v_cndmask_b32_e64 v16, v16, v18, s[22:23]
	v_and_b32_e32 v17, 0x7f800000, v16
	v_bfe_u32 v18, v16, 16, 1
	v_or_b32_e32 v19, 0x10000, v16
	v_cmp_eq_u32_sdwa vcc, v16, v3 src0_sel:WORD_0 src1_sel:DWORD
	v_add3_u32 v18, v16, v18, s71
	s_nop 0
	v_cndmask_b32_e32 v16, v19, v16, vcc
	v_cmp_eq_u32_e32 vcc, s70, v17
	s_nop 1
	v_cndmask_b32_e32 v16, v18, v16, vcc
.LBB9_1149:                             ;   Parent Loop BB9_47 Depth=1
                                        ;     Parent Loop BB9_1029 Depth=2
                                        ;       Parent Loop BB9_1032 Depth=3
                                        ;         Parent Loop BB9_1148 Depth=4
                                        ; =>        This Inner Loop Header: Depth=5
	s_mov_b64 vcc, s[24:25]
	v_cndmask_b32_e64 v17, 0, 1, s[24:25]
	s_cmp_eq_u32 s44, 1
	v_cndmask_b32_sdwa v21, v2, v16, vcc dst_sel:DWORD dst_unused:UNUSED_PAD src0_sel:DWORD src1_sel:WORD_1
	v_cmp_ne_u32_e32 vcc, 1, v17
	s_cselect_b64 s[26:27], -1, 0
	v_cndmask_b32_e64 v23, v13, v15, s[26:27]
	v_cndmask_b32_e32 v19, v13, v15, vcc
	s_cmp_eq_u32 s44, 0
	v_cndmask_b32_e32 v18, v12, v14, vcc
	v_cndmask_b32_e64 v22, v12, v14, s[26:27]
	flat_store_short v[18:19], v21 nt
	v_lshl_add_u64 v[18:19], v[22:23], 0, s[90:91]
	s_cselect_b64 vcc, -1, 0
	s_and_b64 s[28:29], exec, s[24:25]
	s_mov_b64 s[44:45], 1
	s_mov_b64 s[24:25], 0
	v_cndmask_b32_e64 v15, v15, v19, s[26:27]
	v_cndmask_b32_e64 v14, v14, v18, s[26:27]
	v_cndmask_b32_e32 v13, v13, v19, vcc
	v_cndmask_b32_e32 v12, v12, v18, vcc
	s_mov_b64 vcc, s[28:29]
	s_cbranch_vccnz .LBB9_1149
; %bb.1150:                             ;   in Loop: Header=BB9_1148 Depth=4
	v_sub_u32_e32 v20, v20, v84
	v_cmp_gt_i32_e32 vcc, 2, v20
	v_lshl_add_u64 v[12:13], v[12:13], 0, v[96:97]
	v_lshl_add_u64 v[14:15], v[14:15], 0, v[96:97]
	;; [unrolled: 1-line block ×3, first 2 shown]
	s_or_b64 s[42:43], vcc, s[42:43]
	v_lshl_add_u64 v[10:11], v[10:11], 0, v[100:101]
	s_andn2_b64 exec, exec, s[42:43]
	s_cbranch_execnz .LBB9_1148
.LBB9_1151:                             ;   in Loop: Header=BB9_1032 Depth=3
	s_or_b64 exec, exec, s[40:41]
	s_branch .LBB9_1109
.LBB9_1152:                             ;   in Loop: Header=BB9_1032 Depth=3
	s_mov_b64 s[24:25], -1
	s_and_saveexec_b64 s[22:23], s[16:17]
	s_cbranch_execz .LBB9_1154
; %bb.1153:                             ;   in Loop: Header=BB9_1032 Depth=3
	ds_read_b32 v2, v0 offset:720
	s_waitcnt lgkmcnt(0)
	v_and_b32_e32 v2, 15, v2
	v_cmp_eq_u32_e32 vcc, 0, v2
	s_orn2_b64 s[24:25], vcc, exec
.LBB9_1154:                             ;   in Loop: Header=BB9_1032 Depth=3
	s_or_b64 exec, exec, s[22:23]
	s_and_saveexec_b64 s[22:23], s[14:15]
	s_cbranch_execz .LBB9_1156
; %bb.1155:                             ;   in Loop: Header=BB9_1032 Depth=3
	ds_read_b32 v2, v0 offset:784
	s_waitcnt lgkmcnt(0)
	v_and_b32_e32 v2, 15, v2
	v_cmp_eq_u32_e32 vcc, 0, v2
	s_and_b64 s[26:27], s[24:25], vcc
	s_andn2_b64 s[24:25], s[24:25], exec
	s_and_b64 s[26:27], s[26:27], exec
	s_or_b64 s[24:25], s[24:25], s[26:27]
.LBB9_1156:                             ;   in Loop: Header=BB9_1032 Depth=3
	s_or_b64 exec, exec, s[22:23]
	s_xor_b64 s[24:25], s[24:25], -1
	v_cndmask_b32_e64 v8, 0, 1, s[24:25]
	v_lshlrev_b32_e32 v2, 1, v119
	s_mov_b64 s[22:23], -1
	v_mov_b32_e32 v12, 0
	v_cmp_ne_u32_e32 vcc, 0, v8
	s_cbranch_vccz .LBB9_1158
; %bb.1157:                             ;   in Loop: Header=BB9_1032 Depth=3
	v_mov_b32_e32 v13, v0
	s_and_saveexec_b64 s[28:29], s[22:23]
	s_cbranch_execnz .LBB9_1233
	s_branch .LBB9_1257
.LBB9_1158:                             ;   in Loop: Header=BB9_1032 Depth=3
	v_ashrrev_i32_e32 v8, 31, v2
	v_lshrrev_b32_e32 v8, 21, v8
	v_add_u32_e32 v8, v2, v8
	v_ashrrev_i32_e32 v58, 11, v8
	v_sub_u32_e32 v41, v58, v76
	v_cmp_lt_i32_e32 vcc, 0, v41
	s_and_saveexec_b64 s[24:25], vcc
	s_cbranch_execz .LBB9_1226
; %bb.1159:                             ;   in Loop: Header=BB9_1032 Depth=3
	s_and_b32 s74, s97, 1
	s_cmp_eq_u64 s[74:75], 0
	s_mov_b64 s[26:27], 0
	s_cselect_b64 vcc, -1, 0
	v_mov_b64_e32 v[56:57], v[68:69]
	s_branch .LBB9_1161
.LBB9_1160:                             ;   in Loop: Header=BB9_1161 Depth=4
	s_or_b64 exec, exec, s[28:29]
	v_lshrrev_b32_e32 v12, 16, v12
	v_and_or_b32 v9, v9, s80, v12
	v_lshrrev_b32_e32 v12, 16, v18
	v_and_or_b32 v8, v8, s80, v12
	v_lshrrev_b32_e32 v12, 16, v13
	v_sub_u32_e32 v41, v41, v52
	v_and_or_b32 v10, v10, s80, v12
	v_lshrrev_b32_e32 v12, 16, v14
	v_cmp_gt_i32_e64 s[22:23], 1, v41
	v_and_or_b32 v11, v11, s80, v12
	s_or_b64 s[26:27], s[22:23], s[26:27]
	v_lshl_add_u64 v[56:57], v[56:57], 0, v[70:71]
	global_store_dwordx4 v[16:17], v[8:11], off offset:1024
	s_andn2_b64 exec, exec, s[26:27]
	s_cbranch_execz .LBB9_1225
.LBB9_1161:                             ;   Parent Loop BB9_47 Depth=1
                                        ;     Parent Loop BB9_1029 Depth=2
                                        ;       Parent Loop BB9_1032 Depth=3
                                        ; =>      This Inner Loop Header: Depth=4
	v_lshl_add_u64 v[12:13], v[44:45], 0, v[56:57]
	s_waitcnt lgkmcnt(0)
	global_load_dwordx4 v[16:19], v[56:57], off nt
	global_load_dwordx4 v[20:23], v[12:13], off nt
	global_load_dwordx4 v[8:11], v[56:57], off offset:1024 nt
	s_nop 0
	global_load_dwordx4 v[12:15], v[12:13], off offset:1024 nt
	s_waitcnt vmcnt(0)
	v_lshlrev_b32_e32 v59, 16, v16
	v_lshlrev_b32_e32 v61, 16, v20
	v_max_f32_e32 v59, v59, v59
	v_max_f32_e32 v61, v61, v61
	v_min_f32_e32 v62, v61, v59
	v_max_f32_e32 v59, v61, v59
	v_cndmask_b32_e32 v61, v59, v62, vcc
	v_and_b32_e32 v59, 0x7f800000, v61
	v_cmp_ne_u32_e64 s[22:23], s70, v59
                                        ; implicit-def: $vgpr59
	s_and_saveexec_b64 s[28:29], s[22:23]
	s_xor_b64 s[22:23], exec, s[28:29]
; %bb.1162:                             ;   in Loop: Header=BB9_1161 Depth=4
	v_bfe_u32 v59, v61, 16, 1
	v_add3_u32 v59, v61, v59, s71
                                        ; implicit-def: $vgpr61
; %bb.1163:                             ;   in Loop: Header=BB9_1161 Depth=4
	s_andn2_saveexec_b64 s[28:29], s[22:23]
; %bb.1164:                             ;   in Loop: Header=BB9_1161 Depth=4
	v_or_b32_e32 v59, 0x10000, v61
	v_cmp_eq_u32_sdwa s[22:23], v61, v3 src0_sel:WORD_0 src1_sel:DWORD
	s_nop 1
	v_cndmask_b32_e64 v59, v59, v61, s[22:23]
; %bb.1165:                             ;   in Loop: Header=BB9_1161 Depth=4
	s_or_b64 exec, exec, s[28:29]
	v_and_b32_e32 v20, 0xffff0000, v20
	v_and_b32_e32 v16, 0xffff0000, v16
	v_max_f32_e32 v16, v16, v16
	v_max_f32_e32 v20, v20, v20
	v_min_f32_e32 v61, v20, v16
	v_max_f32_e32 v16, v20, v16
	v_cndmask_b32_e32 v16, v16, v61, vcc
	v_and_b32_e32 v20, 0x7f800000, v16
	v_cmp_ne_u32_e64 s[22:23], s70, v20
                                        ; implicit-def: $vgpr20
	s_and_saveexec_b64 s[28:29], s[22:23]
	s_xor_b64 s[22:23], exec, s[28:29]
; %bb.1166:                             ;   in Loop: Header=BB9_1161 Depth=4
	v_bfe_u32 v20, v16, 16, 1
	v_add3_u32 v20, v16, v20, s71
                                        ; implicit-def: $vgpr16
; %bb.1167:                             ;   in Loop: Header=BB9_1161 Depth=4
	s_andn2_saveexec_b64 s[28:29], s[22:23]
; %bb.1168:                             ;   in Loop: Header=BB9_1161 Depth=4
	v_or_b32_e32 v20, 0x10000, v16
	v_cmp_eq_u32_sdwa s[22:23], v16, v3 src0_sel:WORD_0 src1_sel:DWORD
	s_nop 1
	v_cndmask_b32_e64 v20, v20, v16, s[22:23]
; %bb.1169:                             ;   in Loop: Header=BB9_1161 Depth=4
	s_or_b64 exec, exec, s[28:29]
	v_lshlrev_b32_e32 v16, 16, v21
	v_lshlrev_b32_e32 v61, 16, v17
	v_max_f32_e32 v61, v61, v61
	v_max_f32_e32 v16, v16, v16
	v_min_f32_e32 v62, v16, v61
	v_max_f32_e32 v16, v16, v61
	v_cndmask_b32_e32 v16, v16, v62, vcc
	v_and_b32_e32 v61, 0x7f800000, v16
	v_cmp_ne_u32_e64 s[22:23], s70, v61
                                        ; implicit-def: $vgpr61
	s_and_saveexec_b64 s[28:29], s[22:23]
	s_xor_b64 s[22:23], exec, s[28:29]
; %bb.1170:                             ;   in Loop: Header=BB9_1161 Depth=4
	v_bfe_u32 v61, v16, 16, 1
	v_add3_u32 v61, v16, v61, s71
                                        ; implicit-def: $vgpr16
; %bb.1171:                             ;   in Loop: Header=BB9_1161 Depth=4
	s_andn2_saveexec_b64 s[28:29], s[22:23]
; %bb.1172:                             ;   in Loop: Header=BB9_1161 Depth=4
	v_or_b32_e32 v61, 0x10000, v16
	v_cmp_eq_u32_sdwa s[22:23], v16, v3 src0_sel:WORD_0 src1_sel:DWORD
	s_nop 1
	v_cndmask_b32_e64 v61, v61, v16, s[22:23]
; %bb.1173:                             ;   in Loop: Header=BB9_1161 Depth=4
	s_or_b64 exec, exec, s[28:29]
	v_and_b32_e32 v16, 0xffff0000, v21
	v_and_b32_e32 v17, 0xffff0000, v17
	v_max_f32_e32 v17, v17, v17
	v_max_f32_e32 v16, v16, v16
	v_min_f32_e32 v21, v16, v17
	v_max_f32_e32 v16, v16, v17
	v_cndmask_b32_e32 v16, v16, v21, vcc
	v_and_b32_e32 v17, 0x7f800000, v16
	v_cmp_ne_u32_e64 s[22:23], s70, v17
                                        ; implicit-def: $vgpr21
	s_and_saveexec_b64 s[28:29], s[22:23]
	s_xor_b64 s[22:23], exec, s[28:29]
; %bb.1174:                             ;   in Loop: Header=BB9_1161 Depth=4
	v_bfe_u32 v17, v16, 16, 1
	v_add3_u32 v21, v16, v17, s71
                                        ; implicit-def: $vgpr16
; %bb.1175:                             ;   in Loop: Header=BB9_1161 Depth=4
	s_andn2_saveexec_b64 s[28:29], s[22:23]
; %bb.1176:                             ;   in Loop: Header=BB9_1161 Depth=4
	v_or_b32_e32 v17, 0x10000, v16
	v_cmp_eq_u32_sdwa s[22:23], v16, v3 src0_sel:WORD_0 src1_sel:DWORD
	s_nop 1
	v_cndmask_b32_e64 v21, v17, v16, s[22:23]
; %bb.1177:                             ;   in Loop: Header=BB9_1161 Depth=4
	s_or_b64 exec, exec, s[28:29]
	v_lshlrev_b32_e32 v16, 16, v22
	v_lshlrev_b32_e32 v17, 16, v18
	v_max_f32_e32 v17, v17, v17
	v_max_f32_e32 v16, v16, v16
	v_min_f32_e32 v62, v16, v17
	v_max_f32_e32 v16, v16, v17
	v_cndmask_b32_e32 v16, v16, v62, vcc
	v_and_b32_e32 v17, 0x7f800000, v16
	v_cmp_ne_u32_e64 s[22:23], s70, v17
                                        ; implicit-def: $vgpr62
	s_and_saveexec_b64 s[28:29], s[22:23]
	s_xor_b64 s[22:23], exec, s[28:29]
; %bb.1178:                             ;   in Loop: Header=BB9_1161 Depth=4
	v_bfe_u32 v17, v16, 16, 1
	v_add3_u32 v62, v16, v17, s71
                                        ; implicit-def: $vgpr16
; %bb.1179:                             ;   in Loop: Header=BB9_1161 Depth=4
	s_andn2_saveexec_b64 s[28:29], s[22:23]
; %bb.1180:                             ;   in Loop: Header=BB9_1161 Depth=4
	v_or_b32_e32 v17, 0x10000, v16
	v_cmp_eq_u32_sdwa s[22:23], v16, v3 src0_sel:WORD_0 src1_sel:DWORD
	s_nop 1
	v_cndmask_b32_e64 v62, v17, v16, s[22:23]
; %bb.1181:                             ;   in Loop: Header=BB9_1161 Depth=4
	s_or_b64 exec, exec, s[28:29]
	v_and_b32_e32 v16, 0xffff0000, v22
	v_and_b32_e32 v17, 0xffff0000, v18
	v_max_f32_e32 v17, v17, v17
	v_max_f32_e32 v16, v16, v16
	v_min_f32_e32 v18, v16, v17
	v_max_f32_e32 v16, v16, v17
	v_cndmask_b32_e32 v16, v16, v18, vcc
	v_and_b32_e32 v17, 0x7f800000, v16
	v_cmp_ne_u32_e64 s[22:23], s70, v17
                                        ; implicit-def: $vgpr18
	s_and_saveexec_b64 s[28:29], s[22:23]
	s_xor_b64 s[22:23], exec, s[28:29]
; %bb.1182:                             ;   in Loop: Header=BB9_1161 Depth=4
	v_bfe_u32 v17, v16, 16, 1
	v_add3_u32 v18, v16, v17, s71
                                        ; implicit-def: $vgpr16
; %bb.1183:                             ;   in Loop: Header=BB9_1161 Depth=4
	s_andn2_saveexec_b64 s[28:29], s[22:23]
; %bb.1184:                             ;   in Loop: Header=BB9_1161 Depth=4
	v_or_b32_e32 v17, 0x10000, v16
	v_cmp_eq_u32_sdwa s[22:23], v16, v3 src0_sel:WORD_0 src1_sel:DWORD
	s_nop 1
	v_cndmask_b32_e64 v18, v17, v16, s[22:23]
; %bb.1185:                             ;   in Loop: Header=BB9_1161 Depth=4
	s_or_b64 exec, exec, s[28:29]
	v_lshlrev_b32_e32 v16, 16, v23
	v_lshlrev_b32_e32 v17, 16, v19
	v_max_f32_e32 v17, v17, v17
	v_max_f32_e32 v16, v16, v16
	v_min_f32_e32 v22, v16, v17
	v_max_f32_e32 v16, v16, v17
	v_cndmask_b32_e32 v16, v16, v22, vcc
	v_and_b32_e32 v17, 0x7f800000, v16
	v_cmp_ne_u32_e64 s[22:23], s70, v17
                                        ; implicit-def: $vgpr22
	s_and_saveexec_b64 s[28:29], s[22:23]
	s_xor_b64 s[22:23], exec, s[28:29]
; %bb.1186:                             ;   in Loop: Header=BB9_1161 Depth=4
	v_bfe_u32 v17, v16, 16, 1
	v_add3_u32 v22, v16, v17, s71
                                        ; implicit-def: $vgpr16
; %bb.1187:                             ;   in Loop: Header=BB9_1161 Depth=4
	s_andn2_saveexec_b64 s[28:29], s[22:23]
; %bb.1188:                             ;   in Loop: Header=BB9_1161 Depth=4
	v_or_b32_e32 v17, 0x10000, v16
	v_cmp_eq_u32_sdwa s[22:23], v16, v3 src0_sel:WORD_0 src1_sel:DWORD
	s_nop 1
	v_cndmask_b32_e64 v22, v17, v16, s[22:23]
; %bb.1189:                             ;   in Loop: Header=BB9_1161 Depth=4
	s_or_b64 exec, exec, s[28:29]
	v_and_b32_e32 v16, 0xffff0000, v23
	v_and_b32_e32 v17, 0xffff0000, v19
	v_max_f32_e32 v17, v17, v17
	v_max_f32_e32 v16, v16, v16
	v_min_f32_e32 v19, v16, v17
	v_max_f32_e32 v16, v16, v17
	v_cndmask_b32_e32 v16, v16, v19, vcc
	v_and_b32_e32 v17, 0x7f800000, v16
	v_cmp_ne_u32_e64 s[22:23], s70, v17
                                        ; implicit-def: $vgpr19
	s_and_saveexec_b64 s[28:29], s[22:23]
	s_xor_b64 s[22:23], exec, s[28:29]
; %bb.1190:                             ;   in Loop: Header=BB9_1161 Depth=4
	v_bfe_u32 v17, v16, 16, 1
	v_add3_u32 v19, v16, v17, s71
                                        ; implicit-def: $vgpr16
; %bb.1191:                             ;   in Loop: Header=BB9_1161 Depth=4
	s_andn2_saveexec_b64 s[28:29], s[22:23]
; %bb.1192:                             ;   in Loop: Header=BB9_1161 Depth=4
	v_or_b32_e32 v17, 0x10000, v16
	v_cmp_eq_u32_sdwa s[22:23], v16, v3 src0_sel:WORD_0 src1_sel:DWORD
	s_nop 1
	v_cndmask_b32_e64 v19, v17, v16, s[22:23]
; %bb.1193:                             ;   in Loop: Header=BB9_1161 Depth=4
	s_or_b64 exec, exec, s[28:29]
	v_lshrrev_b32_e32 v23, 16, v61
	v_and_or_b32 v91, v21, s80, v23
	v_lshrrev_b32_e32 v21, 16, v59
	v_and_or_b32 v90, v20, s80, v21
	;; [unrolled: 2-line block ×4, first 2 shown]
	v_lshlrev_b32_e32 v18, 16, v12
	v_lshlrev_b32_e32 v19, 16, v8
	v_max_f32_e32 v19, v19, v19
	v_max_f32_e32 v18, v18, v18
	v_min_f32_e32 v20, v18, v19
	v_max_f32_e32 v18, v18, v19
	v_cndmask_b32_e32 v19, v18, v20, vcc
	v_and_b32_e32 v18, 0x7f800000, v19
	v_lshl_add_u64 v[16:17], v[46:47], 0, v[56:57]
	v_cmp_ne_u32_e64 s[22:23], s70, v18
	global_store_dwordx4 v[16:17], v[90:93], off
                                        ; implicit-def: $vgpr18
	s_and_saveexec_b64 s[28:29], s[22:23]
	s_xor_b64 s[22:23], exec, s[28:29]
; %bb.1194:                             ;   in Loop: Header=BB9_1161 Depth=4
	v_bfe_u32 v18, v19, 16, 1
	v_add3_u32 v18, v19, v18, s71
                                        ; implicit-def: $vgpr19
; %bb.1195:                             ;   in Loop: Header=BB9_1161 Depth=4
	s_andn2_saveexec_b64 s[28:29], s[22:23]
; %bb.1196:                             ;   in Loop: Header=BB9_1161 Depth=4
	v_or_b32_e32 v18, 0x10000, v19
	v_cmp_eq_u32_sdwa s[22:23], v19, v3 src0_sel:WORD_0 src1_sel:DWORD
	s_nop 1
	v_cndmask_b32_e64 v18, v18, v19, s[22:23]
; %bb.1197:                             ;   in Loop: Header=BB9_1161 Depth=4
	s_or_b64 exec, exec, s[28:29]
	v_and_b32_e32 v12, 0xffff0000, v12
	v_and_b32_e32 v8, 0xffff0000, v8
	v_max_f32_e32 v8, v8, v8
	v_max_f32_e32 v12, v12, v12
	v_min_f32_e32 v19, v12, v8
	v_max_f32_e32 v8, v12, v8
	v_cndmask_b32_e32 v12, v8, v19, vcc
	v_and_b32_e32 v8, 0x7f800000, v12
	v_cmp_ne_u32_e64 s[22:23], s70, v8
                                        ; implicit-def: $vgpr8
	s_and_saveexec_b64 s[28:29], s[22:23]
	s_xor_b64 s[22:23], exec, s[28:29]
; %bb.1198:                             ;   in Loop: Header=BB9_1161 Depth=4
	v_bfe_u32 v8, v12, 16, 1
	v_add3_u32 v8, v12, v8, s71
                                        ; implicit-def: $vgpr12
; %bb.1199:                             ;   in Loop: Header=BB9_1161 Depth=4
	s_andn2_saveexec_b64 s[28:29], s[22:23]
; %bb.1200:                             ;   in Loop: Header=BB9_1161 Depth=4
	v_or_b32_e32 v8, 0x10000, v12
	v_cmp_eq_u32_sdwa s[22:23], v12, v3 src0_sel:WORD_0 src1_sel:DWORD
	s_nop 1
	v_cndmask_b32_e64 v8, v8, v12, s[22:23]
; %bb.1201:                             ;   in Loop: Header=BB9_1161 Depth=4
	s_or_b64 exec, exec, s[28:29]
	v_lshlrev_b32_e32 v12, 16, v13
	v_lshlrev_b32_e32 v19, 16, v9
	v_max_f32_e32 v19, v19, v19
	v_max_f32_e32 v12, v12, v12
	v_min_f32_e32 v20, v12, v19
	v_max_f32_e32 v12, v12, v19
	v_cndmask_b32_e32 v19, v12, v20, vcc
	v_and_b32_e32 v12, 0x7f800000, v19
	v_cmp_ne_u32_e64 s[22:23], s70, v12
                                        ; implicit-def: $vgpr12
	s_and_saveexec_b64 s[28:29], s[22:23]
	s_xor_b64 s[22:23], exec, s[28:29]
; %bb.1202:                             ;   in Loop: Header=BB9_1161 Depth=4
	v_bfe_u32 v12, v19, 16, 1
	v_add3_u32 v12, v19, v12, s71
                                        ; implicit-def: $vgpr19
; %bb.1203:                             ;   in Loop: Header=BB9_1161 Depth=4
	s_andn2_saveexec_b64 s[28:29], s[22:23]
; %bb.1204:                             ;   in Loop: Header=BB9_1161 Depth=4
	v_or_b32_e32 v12, 0x10000, v19
	v_cmp_eq_u32_sdwa s[22:23], v19, v3 src0_sel:WORD_0 src1_sel:DWORD
	s_nop 1
	v_cndmask_b32_e64 v12, v12, v19, s[22:23]
; %bb.1205:                             ;   in Loop: Header=BB9_1161 Depth=4
	s_or_b64 exec, exec, s[28:29]
	v_and_b32_e32 v13, 0xffff0000, v13
	v_and_b32_e32 v9, 0xffff0000, v9
	v_max_f32_e32 v9, v9, v9
	v_max_f32_e32 v13, v13, v13
	v_min_f32_e32 v19, v13, v9
	v_max_f32_e32 v9, v13, v9
	v_cndmask_b32_e32 v13, v9, v19, vcc
	v_and_b32_e32 v9, 0x7f800000, v13
	v_cmp_ne_u32_e64 s[22:23], s70, v9
                                        ; implicit-def: $vgpr9
	s_and_saveexec_b64 s[28:29], s[22:23]
	s_xor_b64 s[22:23], exec, s[28:29]
; %bb.1206:                             ;   in Loop: Header=BB9_1161 Depth=4
	v_bfe_u32 v9, v13, 16, 1
	v_add3_u32 v9, v13, v9, s71
                                        ; implicit-def: $vgpr13
; %bb.1207:                             ;   in Loop: Header=BB9_1161 Depth=4
	s_andn2_saveexec_b64 s[28:29], s[22:23]
; %bb.1208:                             ;   in Loop: Header=BB9_1161 Depth=4
	v_or_b32_e32 v9, 0x10000, v13
	v_cmp_eq_u32_sdwa s[22:23], v13, v3 src0_sel:WORD_0 src1_sel:DWORD
	s_nop 1
	v_cndmask_b32_e64 v9, v9, v13, s[22:23]
; %bb.1209:                             ;   in Loop: Header=BB9_1161 Depth=4
	s_or_b64 exec, exec, s[28:29]
	v_lshlrev_b32_e32 v13, 16, v14
	v_lshlrev_b32_e32 v19, 16, v10
	v_max_f32_e32 v19, v19, v19
	v_max_f32_e32 v13, v13, v13
	v_min_f32_e32 v20, v13, v19
	v_max_f32_e32 v13, v13, v19
	v_cndmask_b32_e32 v19, v13, v20, vcc
	v_and_b32_e32 v13, 0x7f800000, v19
	v_cmp_ne_u32_e64 s[22:23], s70, v13
                                        ; implicit-def: $vgpr13
	s_and_saveexec_b64 s[28:29], s[22:23]
	s_xor_b64 s[22:23], exec, s[28:29]
; %bb.1210:                             ;   in Loop: Header=BB9_1161 Depth=4
	v_bfe_u32 v13, v19, 16, 1
	v_add3_u32 v13, v19, v13, s71
                                        ; implicit-def: $vgpr19
; %bb.1211:                             ;   in Loop: Header=BB9_1161 Depth=4
	s_andn2_saveexec_b64 s[28:29], s[22:23]
; %bb.1212:                             ;   in Loop: Header=BB9_1161 Depth=4
	v_or_b32_e32 v13, 0x10000, v19
	v_cmp_eq_u32_sdwa s[22:23], v19, v3 src0_sel:WORD_0 src1_sel:DWORD
	s_nop 1
	v_cndmask_b32_e64 v13, v13, v19, s[22:23]
; %bb.1213:                             ;   in Loop: Header=BB9_1161 Depth=4
	s_or_b64 exec, exec, s[28:29]
	v_and_b32_e32 v14, 0xffff0000, v14
	v_and_b32_e32 v10, 0xffff0000, v10
	v_max_f32_e32 v10, v10, v10
	v_max_f32_e32 v14, v14, v14
	v_min_f32_e32 v19, v14, v10
	v_max_f32_e32 v10, v14, v10
	v_cndmask_b32_e32 v14, v10, v19, vcc
	v_and_b32_e32 v10, 0x7f800000, v14
	v_cmp_ne_u32_e64 s[22:23], s70, v10
                                        ; implicit-def: $vgpr10
	s_and_saveexec_b64 s[28:29], s[22:23]
	s_xor_b64 s[22:23], exec, s[28:29]
; %bb.1214:                             ;   in Loop: Header=BB9_1161 Depth=4
	v_bfe_u32 v10, v14, 16, 1
	v_add3_u32 v10, v14, v10, s71
                                        ; implicit-def: $vgpr14
; %bb.1215:                             ;   in Loop: Header=BB9_1161 Depth=4
	s_andn2_saveexec_b64 s[28:29], s[22:23]
; %bb.1216:                             ;   in Loop: Header=BB9_1161 Depth=4
	v_or_b32_e32 v10, 0x10000, v14
	v_cmp_eq_u32_sdwa s[22:23], v14, v3 src0_sel:WORD_0 src1_sel:DWORD
	s_nop 1
	v_cndmask_b32_e64 v10, v10, v14, s[22:23]
; %bb.1217:                             ;   in Loop: Header=BB9_1161 Depth=4
	s_or_b64 exec, exec, s[28:29]
	v_lshlrev_b32_e32 v14, 16, v15
	v_lshlrev_b32_e32 v19, 16, v11
	v_max_f32_e32 v19, v19, v19
	v_max_f32_e32 v14, v14, v14
	v_min_f32_e32 v20, v14, v19
	v_max_f32_e32 v14, v14, v19
	v_cndmask_b32_e32 v19, v14, v20, vcc
	v_and_b32_e32 v14, 0x7f800000, v19
	v_cmp_ne_u32_e64 s[22:23], s70, v14
                                        ; implicit-def: $vgpr14
	s_and_saveexec_b64 s[28:29], s[22:23]
	s_xor_b64 s[22:23], exec, s[28:29]
; %bb.1218:                             ;   in Loop: Header=BB9_1161 Depth=4
	v_bfe_u32 v14, v19, 16, 1
	v_add3_u32 v14, v19, v14, s71
                                        ; implicit-def: $vgpr19
; %bb.1219:                             ;   in Loop: Header=BB9_1161 Depth=4
	s_andn2_saveexec_b64 s[28:29], s[22:23]
; %bb.1220:                             ;   in Loop: Header=BB9_1161 Depth=4
	v_or_b32_e32 v14, 0x10000, v19
	v_cmp_eq_u32_sdwa s[22:23], v19, v3 src0_sel:WORD_0 src1_sel:DWORD
	s_nop 1
	v_cndmask_b32_e64 v14, v14, v19, s[22:23]
; %bb.1221:                             ;   in Loop: Header=BB9_1161 Depth=4
	s_or_b64 exec, exec, s[28:29]
	v_and_b32_e32 v15, 0xffff0000, v15
	v_and_b32_e32 v11, 0xffff0000, v11
	v_max_f32_e32 v11, v11, v11
	v_max_f32_e32 v15, v15, v15
	v_min_f32_e32 v19, v15, v11
	v_max_f32_e32 v11, v15, v11
	v_cndmask_b32_e32 v15, v11, v19, vcc
	v_and_b32_e32 v11, 0x7f800000, v15
	v_cmp_ne_u32_e64 s[22:23], s70, v11
                                        ; implicit-def: $vgpr11
	s_and_saveexec_b64 s[28:29], s[22:23]
	s_xor_b64 s[22:23], exec, s[28:29]
; %bb.1222:                             ;   in Loop: Header=BB9_1161 Depth=4
	v_bfe_u32 v11, v15, 16, 1
	v_add3_u32 v11, v15, v11, s71
                                        ; implicit-def: $vgpr15
; %bb.1223:                             ;   in Loop: Header=BB9_1161 Depth=4
	s_andn2_saveexec_b64 s[28:29], s[22:23]
	s_cbranch_execz .LBB9_1160
; %bb.1224:                             ;   in Loop: Header=BB9_1161 Depth=4
	v_or_b32_e32 v11, 0x10000, v15
	v_cmp_eq_u32_sdwa s[22:23], v15, v3 src0_sel:WORD_0 src1_sel:DWORD
	s_nop 1
	v_cndmask_b32_e64 v11, v11, v15, s[22:23]
	s_branch .LBB9_1160
.LBB9_1225:                             ;   in Loop: Header=BB9_1032 Depth=3
	s_or_b64 exec, exec, s[26:27]
.LBB9_1226:                             ;   in Loop: Header=BB9_1032 Depth=3
	s_or_b64 exec, exec, s[24:25]
	s_waitcnt lgkmcnt(0)
	v_lshlrev_b32_e32 v18, 11, v58
	v_cmp_ne_u32_e32 vcc, v2, v18
	s_mov_b64 s[22:23], 0
	v_mov_b32_e32 v12, 0
                                        ; implicit-def: $vgpr13
	s_and_saveexec_b64 s[58:59], vcc
	s_cbranch_execz .LBB9_1232
; %bb.1227:                             ;   in Loop: Header=BB9_1032 Depth=3
	v_lshlrev_b32_e32 v8, 6, v41
	v_sub_u32_e32 v8, v75, v8
	v_ashrrev_i32_e32 v10, 31, v8
	v_lshrrev_b32_e32 v10, 26, v10
	v_add_u32_e32 v10, v8, v10
	v_sub_u32_e32 v9, v2, v18
	v_ashrrev_i32_e32 v11, 6, v10
	v_and_b32_e32 v10, 0xffffffc0, v10
	v_sub_u32_e32 v19, v8, v10
	v_ashrrev_i32_e32 v10, 31, v9
	v_lshrrev_b32_e32 v10, 22, v10
	v_add_u32_e32 v10, v9, v10
	v_and_b32_e32 v20, 0xfffffc00, v10
	v_lshlrev_b32_e32 v8, 4, v19
	v_sub_u32_e32 v21, v9, v20
	v_lshl_add_u32 v8, v11, 10, v8
	v_ashrrev_i32_e32 v12, 10, v10
	v_cmp_lt_i32_e32 vcc, 15, v21
	v_sub_u32_e32 v23, v9, v8
	s_nop 0
	v_addc_co_u32_e64 v9, s[22:23], 0, v12, vcc
	v_sub_u32_e32 v22, v9, v11
	v_cmp_lt_i32_e64 s[22:23], 15, v23
	s_and_saveexec_b64 s[50:51], s[22:23]
	s_cbranch_execz .LBB9_1231
; %bb.1228:                             ;   in Loop: Header=BB9_1032 Depth=3
	s_and_b32 s74, s97, 1
	v_add_u32_e32 v12, v8, v18
	s_cmp_eq_u64 s[74:75], 0
	v_ashrrev_i32_e32 v13, 31, v12
	s_mov_b64 s[52:53], 0
	s_cselect_b64 s[22:23], -1, 0
.LBB9_1229:                             ;   Parent Loop BB9_47 Depth=1
                                        ;     Parent Loop BB9_1029 Depth=2
                                        ;       Parent Loop BB9_1032 Depth=3
                                        ; =>      This Inner Loop Header: Depth=4
	v_lshl_add_u64 v[16:17], v[44:45], 0, v[12:13]
	global_load_dwordx4 v[8:11], v[12:13], off nt
	global_load_dwordx4 v[56:59], v[16:17], off nt
	v_sub_u32_e32 v23, v23, v80
	v_cmp_gt_i32_e64 s[24:25], 16, v23
	s_or_b64 s[52:53], s[24:25], s[52:53]
	v_lshl_add_u64 v[14:15], v[46:47], 0, v[12:13]
	v_lshl_add_u64 v[12:13], v[12:13], 0, v[80:81]
	v_sub_u32_e32 v22, v22, v52
	s_waitcnt vmcnt(0)
	v_and_b32_e32 v16, 0xffff0000, v8
	v_lshlrev_b32_e32 v8, 16, v8
	v_and_b32_e32 v17, 0xffff0000, v9
	v_lshlrev_b32_e32 v9, 16, v9
	;; [unrolled: 2-line block ×8, first 2 shown]
	v_max_f32_e32 v8, v8, v8
	v_max_f32_e32 v16, v16, v16
	v_max_f32_e32 v9, v9, v9
	v_max_f32_e32 v17, v17, v17
	v_max_f32_e32 v10, v10, v10
	v_max_f32_e32 v41, v41, v41
	v_max_f32_e32 v11, v11, v11
	v_max_f32_e32 v61, v61, v61
	v_max_f32_e32 v56, v56, v56
	v_max_f32_e32 v62, v62, v62
	v_max_f32_e32 v57, v57, v57
	v_max_f32_e32 v63, v63, v63
	v_max_f32_e32 v58, v58, v58
	v_max_f32_e32 v72, v72, v72
	v_max_f32_e32 v59, v59, v59
	v_max_f32_e32 v73, v73, v73
	v_min_f32_e32 v90, v56, v8
	v_max_f32_e32 v8, v56, v8
	v_min_f32_e32 v56, v62, v16
	v_max_f32_e32 v16, v62, v16
	;; [unrolled: 2-line block ×8, first 2 shown]
	v_cndmask_b32_e64 v8, v8, v90, s[22:23]
	v_cndmask_b32_e64 v16, v16, v56, s[22:23]
	;; [unrolled: 1-line block ×8, first 2 shown]
	v_and_b32_e32 v57, 0x7f800000, v8
	v_bfe_u32 v58, v8, 16, 1
	v_or_b32_e32 v59, 0x10000, v8
	v_cmp_eq_u32_sdwa s[24:25], v8, v3 src0_sel:WORD_0 src1_sel:DWORD
	v_and_b32_e32 v61, 0x7f800000, v16
	v_bfe_u32 v62, v16, 16, 1
	v_or_b32_e32 v63, 0x10000, v16
	v_cmp_eq_u32_sdwa s[26:27], v16, v3 src0_sel:WORD_0 src1_sel:DWORD
	v_and_b32_e32 v72, 0x7f800000, v9
	v_bfe_u32 v73, v9, 16, 1
	v_or_b32_e32 v90, 0x10000, v9
	v_cmp_eq_u32_sdwa s[28:29], v9, v3 src0_sel:WORD_0 src1_sel:DWORD
	v_bfe_u32 v92, v17, 16, 1
	v_or_b32_e32 v93, 0x10000, v17
	v_cmp_eq_u32_sdwa s[40:41], v17, v3 src0_sel:WORD_0 src1_sel:DWORD
	v_and_b32_e32 v94, 0x7f800000, v10
	v_bfe_u32 v95, v10, 16, 1
	v_or_b32_e32 v104, 0x10000, v10
	v_cmp_eq_u32_sdwa s[42:43], v10, v3 src0_sel:WORD_0 src1_sel:DWORD
	v_bfe_u32 v106, v41, 16, 1
	v_or_b32_e32 v107, 0x10000, v41
	v_cmp_eq_u32_sdwa s[44:45], v41, v3 src0_sel:WORD_0 src1_sel:DWORD
	v_and_b32_e32 v110, 0x7f800000, v11
	v_bfe_u32 v111, v11, 16, 1
	v_or_b32_e32 v120, 0x10000, v11
	v_cmp_eq_u32_sdwa s[46:47], v11, v3 src0_sel:WORD_0 src1_sel:DWORD
	v_bfe_u32 v122, v56, 16, 1
	v_or_b32_e32 v123, 0x10000, v56
	v_cmp_eq_u32_sdwa s[56:57], v56, v3 src0_sel:WORD_0 src1_sel:DWORD
	v_and_b32_e32 v91, 0x7f800000, v17
	v_and_b32_e32 v105, 0x7f800000, v41
	;; [unrolled: 1-line block ×3, first 2 shown]
	v_add3_u32 v58, v8, v58, s71
	v_cndmask_b32_e64 v8, v59, v8, s[24:25]
	v_add3_u32 v59, v16, v62, s71
	v_cndmask_b32_e64 v16, v63, v16, s[26:27]
	v_cmp_eq_u32_e64 s[24:25], s70, v61
	v_add3_u32 v61, v9, v73, s71
	v_cndmask_b32_e64 v9, v90, v9, s[28:29]
	v_cmp_eq_u32_e64 s[26:27], s70, v72
	v_add3_u32 v62, v17, v92, s71
	v_cndmask_b32_e64 v17, v93, v17, s[40:41]
	v_add3_u32 v63, v10, v95, s71
	v_cndmask_b32_e64 v10, v104, v10, s[42:43]
	v_cmp_eq_u32_e64 s[40:41], s70, v94
	v_add3_u32 v72, v41, v106, s71
	v_cndmask_b32_e64 v41, v107, v41, s[44:45]
	;; [unrolled: 5-line block ×3, first 2 shown]
	v_cmp_eq_u32_e64 s[56:57], s70, v57
	v_cmp_eq_u32_e64 s[28:29], s70, v91
	;; [unrolled: 1-line block ×4, first 2 shown]
	v_cndmask_b32_e64 v8, v58, v8, s[56:57]
	v_cndmask_b32_e64 v9, v61, v9, s[26:27]
	;; [unrolled: 1-line block ×8, first 2 shown]
	v_lshrrev_b32_e32 v9, 16, v9
	v_lshrrev_b32_e32 v8, 16, v8
	;; [unrolled: 1-line block ×4, first 2 shown]
	v_and_or_b32 v9, v17, s80, v9
	v_and_or_b32 v8, v16, s80, v8
	;; [unrolled: 1-line block ×4, first 2 shown]
	global_store_dwordx4 v[14:15], v[8:11], off
	s_andn2_b64 exec, exec, s[52:53]
	s_cbranch_execnz .LBB9_1229
; %bb.1230:                             ;   in Loop: Header=BB9_1032 Depth=3
	s_or_b64 exec, exec, s[52:53]
.LBB9_1231:                             ;   in Loop: Header=BB9_1032 Depth=3
	s_or_b64 exec, exec, s[50:51]
	v_and_b32_e32 v2, 14, v2
	v_sub_u32_e32 v8, v21, v2
	v_cndmask_b32_e32 v8, 0, v8, vcc
	v_cndmask_b32_e32 v2, v21, v2, vcc
	v_cmp_lt_i32_e32 vcc, 0, v22
	v_add3_u32 v12, v20, v18, v8
	s_nop 0
	v_cndmask_b32_e32 v8, 0, v52, vcc
	v_sub_u32_e32 v8, v8, v22
	v_cmp_ne_u32_e32 vcc, 0, v2
	v_lshl_add_u32 v13, v8, 6, v19
	s_and_b64 s[22:23], vcc, exec
.LBB9_1232:                             ;   in Loop: Header=BB9_1032 Depth=3
	s_or_b64 exec, exec, s[58:59]
	s_and_saveexec_b64 s[28:29], s[22:23]
	s_cbranch_execz .LBB9_1257
.LBB9_1233:                             ;   in Loop: Header=BB9_1032 Depth=3
	v_ashrrev_i32_e32 v8, 31, v13
	v_ashrrev_i32_e32 v9, 31, v2
	v_lshrrev_b32_e32 v8, 26, v8
	v_lshrrev_b32_e32 v9, 23, v9
	v_add_u32_e32 v8, v13, v8
	v_add_u32_e32 v9, v2, v9
	v_ashrrev_i32_e32 v14, 6, v8
	v_ashrrev_i32_e32 v16, 9, v9
	v_sub_u32_e32 v15, v16, v14
	v_cmp_lt_i32_e32 vcc, 0, v15
	s_and_saveexec_b64 s[40:41], vcc
	s_cbranch_execz .LBB9_1253
; %bb.1234:                             ;   in Loop: Header=BB9_1032 Depth=3
	v_and_b32_e32 v8, 0x7fffffc0, v8
	v_sub_u32_e32 v8, v13, v8
	v_lshlrev_b32_e32 v8, 1, v8
	v_lshlrev_b32_e32 v9, 9, v14
	v_add3_u32 v8, v8, v12, v9
	s_and_b32 s74, s97, 1
	v_ashrrev_i32_e32 v9, 31, v8
	s_cmp_eq_u64 s[74:75], 0
	s_mov_b64 s[42:43], 0
	s_cselect_b64 s[22:23], -1, 0
	v_lshl_add_u64 v[8:9], v[8:9], 0, s[92:93]
	s_branch .LBB9_1236
.LBB9_1235:                             ;   in Loop: Header=BB9_1236 Depth=4
	s_or_b64 exec, exec, s[24:25]
	v_sub_u32_e32 v15, v15, v52
	v_cmp_gt_i32_e32 vcc, 1, v15
	s_or_b64 s[42:43], vcc, s[42:43]
	v_lshl_add_u64 v[8:9], v[8:9], 0, v[82:83]
	flat_store_short_d16_hi v[10:11], v18 nt
	s_andn2_b64 exec, exec, s[42:43]
	s_cbranch_execz .LBB9_1252
.LBB9_1236:                             ;   Parent Loop BB9_47 Depth=1
                                        ;     Parent Loop BB9_1029 Depth=2
                                        ;       Parent Loop BB9_1032 Depth=3
                                        ; =>      This Inner Loop Header: Depth=4
	v_lshl_add_u64 v[10:11], v[44:45], 0, v[8:9]
	s_waitcnt lgkmcnt(0)
	v_add_co_u32_e32 v18, vcc, 0xffffff00, v10
	s_nop 1
	v_addc_co_u32_e32 v19, vcc, -1, v11, vcc
	v_add_co_u32_e32 v22, vcc, 0xffffff00, v8
	s_mov_b64 s[24:25], vcc
	v_add_co_u32_e32 v56, vcc, s96, v10
	flat_load_ushort v21, v[18:19] nt
	s_nop 0
	v_addc_co_u32_e32 v57, vcc, -1, v11, vcc
	v_add_co_u32_e32 v58, vcc, s68, v8
	s_mov_b64 s[26:27], vcc
	flat_load_ushort v19, v[56:57] offset:256 nt
	flat_load_ushort v41, v[56:57] nt
	v_add_co_u32_e32 v56, vcc, 0xfffffe80, v8
	s_nop 1
	v_addc_co_u32_e32 v57, vcc, -1, v9, vcc
	flat_load_ushort v56, v[56:57] nt
	v_addc_co_u32_e64 v23, vcc, -1, v9, s[24:25]
	flat_load_ushort v22, v[22:23] nt
	v_addc_co_u32_e64 v59, vcc, -1, v9, s[26:27]
	flat_load_ushort v17, v[10:11] nt
	flat_load_ushort v18, v[8:9] nt
	;; [unrolled: 1-line block ×3, first 2 shown]
	s_waitcnt vmcnt(0) lgkmcnt(0)
	v_lshlrev_b32_e32 v10, 16, v41
	v_max_f32_e32 v10, v10, v10
	v_lshlrev_b32_e32 v11, 16, v56
	v_max_f32_e32 v11, v11, v11
	v_min_f32_e32 v23, v10, v11
	v_max_f32_e32 v10, v10, v11
	v_cndmask_b32_e64 v10, v10, v23, s[22:23]
	v_and_b32_e32 v11, 0x7f800000, v10
	v_cmp_ne_u32_e32 vcc, s70, v11
                                        ; implicit-def: $vgpr23
	s_and_saveexec_b64 s[24:25], vcc
	s_xor_b64 s[24:25], exec, s[24:25]
; %bb.1237:                             ;   in Loop: Header=BB9_1236 Depth=4
	v_bfe_u32 v11, v10, 16, 1
	v_add3_u32 v23, v10, v11, s71
                                        ; implicit-def: $vgpr10
; %bb.1238:                             ;   in Loop: Header=BB9_1236 Depth=4
	s_andn2_saveexec_b64 s[24:25], s[24:25]
; %bb.1239:                             ;   in Loop: Header=BB9_1236 Depth=4
	v_or_b32_e32 v11, 0x10000, v10
	v_cmp_eq_u32_sdwa vcc, v10, v3 src0_sel:WORD_0 src1_sel:DWORD
	s_nop 1
	v_cndmask_b32_e32 v23, v11, v10, vcc
; %bb.1240:                             ;   in Loop: Header=BB9_1236 Depth=4
	s_or_b64 exec, exec, s[24:25]
	v_lshl_add_u64 v[10:11], v[46:47], 0, v[8:9]
	v_add_co_u32_e32 v56, vcc, 0xfffffe80, v10
	v_lshlrev_b32_e32 v21, 16, v21
	v_lshlrev_b32_e32 v22, 16, v22
	v_addc_co_u32_e32 v57, vcc, -1, v11, vcc
	v_max_f32_e32 v22, v22, v22
	v_max_f32_e32 v21, v21, v21
	flat_store_short_d16_hi v[56:57], v23 nt
	v_min_f32_e32 v23, v21, v22
	v_max_f32_e32 v21, v21, v22
	v_cndmask_b32_e64 v22, v21, v23, s[22:23]
	v_and_b32_e32 v21, 0x7f800000, v22
	v_cmp_ne_u32_e32 vcc, s70, v21
                                        ; implicit-def: $vgpr21
	s_and_saveexec_b64 s[24:25], vcc
	s_xor_b64 s[24:25], exec, s[24:25]
; %bb.1241:                             ;   in Loop: Header=BB9_1236 Depth=4
	v_bfe_u32 v21, v22, 16, 1
	v_add3_u32 v21, v22, v21, s71
                                        ; implicit-def: $vgpr22
; %bb.1242:                             ;   in Loop: Header=BB9_1236 Depth=4
	s_andn2_saveexec_b64 s[24:25], s[24:25]
; %bb.1243:                             ;   in Loop: Header=BB9_1236 Depth=4
	v_or_b32_e32 v21, 0x10000, v22
	v_cmp_eq_u32_sdwa vcc, v22, v3 src0_sel:WORD_0 src1_sel:DWORD
	s_nop 1
	v_cndmask_b32_e32 v21, v21, v22, vcc
; %bb.1244:                             ;   in Loop: Header=BB9_1236 Depth=4
	s_or_b64 exec, exec, s[24:25]
	v_add_co_u32_e32 v22, vcc, 0xffffff00, v10
	v_lshlrev_b32_e32 v19, 16, v19
	v_lshlrev_b32_e32 v20, 16, v20
	v_addc_co_u32_e32 v23, vcc, -1, v11, vcc
	v_max_f32_e32 v20, v20, v20
	v_max_f32_e32 v19, v19, v19
	flat_store_short_d16_hi v[22:23], v21 nt
	v_min_f32_e32 v21, v19, v20
	v_max_f32_e32 v19, v19, v20
	v_cndmask_b32_e64 v20, v19, v21, s[22:23]
	v_and_b32_e32 v19, 0x7f800000, v20
	v_cmp_ne_u32_e32 vcc, s70, v19
                                        ; implicit-def: $vgpr19
	s_and_saveexec_b64 s[24:25], vcc
	s_xor_b64 s[24:25], exec, s[24:25]
; %bb.1245:                             ;   in Loop: Header=BB9_1236 Depth=4
	v_bfe_u32 v19, v20, 16, 1
	v_add3_u32 v19, v20, v19, s71
                                        ; implicit-def: $vgpr20
; %bb.1246:                             ;   in Loop: Header=BB9_1236 Depth=4
	s_andn2_saveexec_b64 s[24:25], s[24:25]
; %bb.1247:                             ;   in Loop: Header=BB9_1236 Depth=4
	v_or_b32_e32 v19, 0x10000, v20
	v_cmp_eq_u32_sdwa vcc, v20, v3 src0_sel:WORD_0 src1_sel:DWORD
	s_nop 1
	v_cndmask_b32_e32 v19, v19, v20, vcc
; %bb.1248:                             ;   in Loop: Header=BB9_1236 Depth=4
	s_or_b64 exec, exec, s[24:25]
	v_add_co_u32_e32 v20, vcc, 0xffffff80, v10
	v_lshlrev_b32_e32 v17, 16, v17
	v_lshlrev_b32_e32 v18, 16, v18
	v_addc_co_u32_e32 v21, vcc, -1, v11, vcc
	v_max_f32_e32 v18, v18, v18
	v_max_f32_e32 v17, v17, v17
	flat_store_short_d16_hi v[20:21], v19 nt
	v_min_f32_e32 v19, v17, v18
	v_max_f32_e32 v17, v17, v18
	v_cndmask_b32_e64 v17, v17, v19, s[22:23]
	v_and_b32_e32 v18, 0x7f800000, v17
	v_cmp_ne_u32_e32 vcc, s70, v18
                                        ; implicit-def: $vgpr18
	s_and_saveexec_b64 s[24:25], vcc
	s_xor_b64 s[24:25], exec, s[24:25]
; %bb.1249:                             ;   in Loop: Header=BB9_1236 Depth=4
	v_bfe_u32 v18, v17, 16, 1
	v_add3_u32 v18, v17, v18, s71
                                        ; implicit-def: $vgpr17
; %bb.1250:                             ;   in Loop: Header=BB9_1236 Depth=4
	s_andn2_saveexec_b64 s[24:25], s[24:25]
	s_cbranch_execz .LBB9_1235
; %bb.1251:                             ;   in Loop: Header=BB9_1236 Depth=4
	v_or_b32_e32 v18, 0x10000, v17
	v_cmp_eq_u32_sdwa vcc, v17, v3 src0_sel:WORD_0 src1_sel:DWORD
	s_nop 1
	v_cndmask_b32_e32 v18, v18, v17, vcc
	s_branch .LBB9_1235
.LBB9_1252:                             ;   in Loop: Header=BB9_1032 Depth=3
	s_or_b64 exec, exec, s[42:43]
.LBB9_1253:                             ;   in Loop: Header=BB9_1032 Depth=3
	s_or_b64 exec, exec, s[40:41]
	v_lshlrev_b32_e32 v8, 9, v16
	v_cmp_ne_u32_e32 vcc, v2, v8
	s_and_b64 exec, exec, vcc
	s_cbranch_execz .LBB9_1257
; %bb.1254:                             ;   in Loop: Header=BB9_1032 Depth=3
	v_lshlrev_b32_e32 v9, 6, v14
	v_sub_u32_e32 v9, v13, v9
	v_lshlrev_b32_e32 v10, 6, v15
	v_sub_u32_e32 v9, v9, v10
	v_ashrrev_i32_e32 v10, 31, v9
	v_lshrrev_b32_e32 v10, 26, v10
	v_add_u32_e32 v10, v9, v10
	v_and_b32_e32 v11, 0x7fffffc0, v10
	v_sub_u32_e32 v9, v9, v11
	v_lshlrev_b32_e32 v10, 1, v10
	v_and_b32_e32 v10, 0xffffff80, v10
	v_lshlrev_b32_e32 v9, 1, v9
	v_add3_u32 v8, v10, v9, v8
	v_sub_u32_e32 v2, v2, v8
	v_cmp_lt_i32_e32 vcc, 1, v2
	s_and_b64 exec, exec, vcc
	s_cbranch_execz .LBB9_1257
; %bb.1255:                             ;   in Loop: Header=BB9_1032 Depth=3
	s_and_b32 s74, s97, 1
	v_add_u32_e32 v8, v8, v12
	s_cmp_eq_u64 s[74:75], 0
	v_ashrrev_i32_e32 v9, 31, v8
	s_mov_b64 s[24:25], 0
	s_cselect_b64 vcc, -1, 0
.LBB9_1256:                             ;   Parent Loop BB9_47 Depth=1
                                        ;     Parent Loop BB9_1029 Depth=2
                                        ;       Parent Loop BB9_1032 Depth=3
                                        ; =>      This Inner Loop Header: Depth=4
	v_lshl_add_u64 v[10:11], v[44:45], 0, v[8:9]
	flat_load_ushort v12, v[8:9] nt
	flat_load_ushort v13, v[10:11] nt
	v_sub_u32_e32 v2, v2, v84
	v_cmp_gt_i32_e64 s[22:23], 2, v2
	s_or_b64 s[24:25], s[22:23], s[24:25]
	v_lshl_add_u64 v[10:11], v[46:47], 0, v[8:9]
	v_lshl_add_u64 v[8:9], v[8:9], 0, v[84:85]
	s_waitcnt vmcnt(0) lgkmcnt(0)
	v_lshlrev_b32_e32 v12, 16, v12
	v_lshlrev_b32_e32 v13, 16, v13
	v_max_f32_e32 v12, v12, v12
	v_max_f32_e32 v13, v13, v13
	v_min_f32_e32 v14, v13, v12
	v_max_f32_e32 v12, v13, v12
	v_cndmask_b32_e32 v12, v12, v14, vcc
	v_and_b32_e32 v13, 0x7f800000, v12
	v_bfe_u32 v14, v12, 16, 1
	v_or_b32_e32 v15, 0x10000, v12
	v_cmp_eq_u32_sdwa s[22:23], v12, v3 src0_sel:WORD_0 src1_sel:DWORD
	v_add3_u32 v14, v12, v14, s71
	s_nop 0
	v_cndmask_b32_e64 v12, v15, v12, s[22:23]
	v_cmp_eq_u32_e64 s[22:23], s70, v13
	s_nop 1
	v_cndmask_b32_e64 v12, v14, v12, s[22:23]
	flat_store_short_d16_hi v[10:11], v12 nt
	s_andn2_b64 exec, exec, s[24:25]
	s_cbranch_execnz .LBB9_1256
.LBB9_1257:                             ;   in Loop: Header=BB9_1032 Depth=3
	s_or_b64 exec, exec, s[28:29]
	v_cmp_lt_i32_e64 s[22:23], 0, v119
	s_and_saveexec_b64 s[24:25], s[4:5]
	s_cbranch_execz .LBB9_1276
.LBB9_1258:                             ;   in Loop: Header=BB9_1032 Depth=3
	s_and_saveexec_b64 s[26:27], s[76:77]
	s_xor_b64 s[26:27], exec, s[26:27]
	s_cbranch_execz .LBB9_1273
; %bb.1259:                             ;   in Loop: Header=BB9_1032 Depth=3
	s_and_saveexec_b64 s[28:29], s[12:13]
	s_cbranch_execz .LBB9_1272
; %bb.1260:                             ;   in Loop: Header=BB9_1032 Depth=3
	s_mov_b64 s[42:43], exec
	v_mbcnt_lo_u32_b32 v2, s42, 0
	v_mbcnt_hi_u32_b32 v2, s43, v2
	v_cmp_eq_u32_e32 vcc, 0, v2
	s_waitcnt lgkmcnt(0)
	s_and_saveexec_b64 s[40:41], vcc
	s_cbranch_execz .LBB9_1262
; %bb.1261:                             ;   in Loop: Header=BB9_1032 Depth=3
	s_bcnt1_i32_b64 s42, s[42:43]
	v_mov_b32_e32 v2, s42
	ds_add_u64 v0, v[2:3]
	s_trap 2
.LBB9_1262:                             ;   in Loop: Header=BB9_1032 Depth=3
	s_or_b64 exec, exec, s[40:41]
	s_trap 2
	ds_read_b64 v[8:9], v0
	s_waitcnt lgkmcnt(0)
	v_lshl_add_u64 v[38:39], v[38:39], 0, v[52:53]
	v_cmp_lt_u64_e32 vcc, v[8:9], v[38:39]
	s_and_saveexec_b64 s[40:41], vcc
	s_cbranch_execz .LBB9_1271
; %bb.1263:                             ;   in Loop: Header=BB9_1032 Depth=3
	s_mov_b32 s74, 0
	s_mov_b64 s[42:43], 0
                                        ; implicit-def: $sgpr44_sgpr45
                                        ; implicit-def: $sgpr46_sgpr47
	s_branch .LBB9_1265
.LBB9_1264:                             ;   in Loop: Header=BB9_1265 Depth=4
	s_or_b64 exec, exec, s[58:59]
	s_and_b64 s[56:57], exec, vcc
	s_or_b64 s[42:43], s[56:57], s[42:43]
	s_andn2_b64 s[44:45], s[44:45], exec
	s_and_b64 s[56:57], s[46:47], exec
	s_or_b64 s[44:45], s[44:45], s[56:57]
	s_andn2_b64 exec, exec, s[42:43]
	s_cbranch_execz .LBB9_1269
.LBB9_1265:                             ;   Parent Loop BB9_47 Depth=1
                                        ;     Parent Loop BB9_1029 Depth=2
                                        ;       Parent Loop BB9_1032 Depth=3
                                        ; =>      This Inner Loop Header: Depth=4
	s_add_i32 s74, s74, 1
	s_cmpk_lg_i32 s74, 0x2710
	s_cselect_b64 s[56:57], -1, 0
	s_and_b64 vcc, exec, s[56:57]
	s_cbranch_vccz .LBB9_1267
; %bb.1266:                             ;   in Loop: Header=BB9_1265 Depth=4
	s_mov_b64 vcc, -1
	s_or_b64 s[46:47], s[46:47], exec
	s_and_saveexec_b64 s[58:59], s[56:57]
	s_cbranch_execz .LBB9_1264
	s_branch .LBB9_1268
.LBB9_1267:                             ;   in Loop: Header=BB9_1265 Depth=4
	s_trap 2
	ds_read_b64 v[8:9], v0
	s_andn2_b64 s[56:57], s[56:57], exec
	s_mov_b32 s74, 0
	s_waitcnt vmcnt(0) lgkmcnt(0)
	flat_load_dword v2, v[8:9] sc0 sc1
	s_waitcnt vmcnt(0) lgkmcnt(0)
	buffer_inv sc0 sc1
	v_cmp_eq_u32_e32 vcc, 0, v2
	s_and_b64 s[58:59], vcc, exec
	s_or_b64 s[56:57], s[56:57], s[58:59]
	s_mov_b64 vcc, -1
	s_or_b64 s[46:47], s[46:47], exec
	s_and_saveexec_b64 s[58:59], s[56:57]
	s_cbranch_execz .LBB9_1264
.LBB9_1268:                             ;   in Loop: Header=BB9_1265 Depth=4
	s_sleep 1
	s_trap 2
	ds_read_b64 v[8:9], v0
	s_waitcnt lgkmcnt(0)
	s_andn2_b64 s[46:47], s[46:47], exec
	v_cmp_ge_u64_e32 vcc, v[8:9], v[38:39]
	s_orn2_b64 vcc, vcc, exec
	s_branch .LBB9_1264
.LBB9_1269:                             ;   in Loop: Header=BB9_1032 Depth=3
	s_or_b64 exec, exec, s[42:43]
	s_and_saveexec_b64 s[42:43], s[44:45]
	s_xor_b64 s[42:43], exec, s[42:43]
	s_cbranch_execz .LBB9_1271
; %bb.1270:                             ;   in Loop: Header=BB9_1032 Depth=3
	ds_write_b32 v0, v77
	s_trap 2
.LBB9_1271:                             ;   in Loop: Header=BB9_1032 Depth=3
	s_or_b64 exec, exec, s[40:41]
	;;#ASMSTART
	s_wakeup
	;;#ASMEND
.LBB9_1272:                             ;   in Loop: Header=BB9_1032 Depth=3
	s_or_b64 exec, exec, s[28:29]
.LBB9_1273:                             ;   in Loop: Header=BB9_1032 Depth=3
	s_andn2_saveexec_b64 s[26:27], s[26:27]
	s_cbranch_execz .LBB9_1275
; %bb.1274:                             ;   in Loop: Header=BB9_1032 Depth=3
	s_waitcnt lgkmcnt(0)
	s_barrier
.LBB9_1275:                             ;   in Loop: Header=BB9_1032 Depth=3
	s_or_b64 exec, exec, s[26:27]
.LBB9_1276:                             ;   in Loop: Header=BB9_1032 Depth=3
	s_or_b64 exec, exec, s[24:25]
	v_and_b32_e32 v8, 16, v74
	s_and_saveexec_b64 s[24:25], s[20:21]
	s_xor_b64 s[24:25], exec, s[24:25]
	s_cbranch_execz .LBB9_1280
; %bb.1277:                             ;   in Loop: Header=BB9_1032 Depth=3
	v_and_b32_e32 v2, 16, v74
	v_cmp_ne_u32_e32 vcc, 0, v2
	v_and_b32_e32 v8, 16, v74
	s_and_b64 s[26:27], vcc, s[22:23]
	s_and_saveexec_b64 s[22:23], s[26:27]
	s_cbranch_execz .LBB9_1279
; %bb.1278:                             ;   in Loop: Header=BB9_1032 Depth=3
	v_mov_b32_e32 v8, 1
	buffer_wbl2 sc1
	s_waitcnt vmcnt(0) lgkmcnt(0)
	buffer_inv sc1
.LBB9_1279:                             ;   in Loop: Header=BB9_1032 Depth=3
	s_or_b64 exec, exec, s[22:23]
.LBB9_1280:                             ;   in Loop: Header=BB9_1032 Depth=3
	s_andn2_saveexec_b64 s[22:23], s[24:25]
	s_cbranch_execz .LBB9_1299
; %bb.1281:                             ;   in Loop: Header=BB9_1032 Depth=3
	s_and_saveexec_b64 s[24:25], s[76:77]
	s_xor_b64 s[24:25], exec, s[24:25]
	s_cbranch_execz .LBB9_1296
; %bb.1282:                             ;   in Loop: Header=BB9_1032 Depth=3
	s_and_saveexec_b64 s[26:27], s[12:13]
	s_cbranch_execz .LBB9_1295
; %bb.1283:                             ;   in Loop: Header=BB9_1032 Depth=3
	s_mov_b64 s[40:41], exec
	v_mbcnt_lo_u32_b32 v2, s40, 0
	v_mbcnt_hi_u32_b32 v2, s41, v2
	v_cmp_eq_u32_e32 vcc, 0, v2
	;;#ASMSTART
	s_waitcnt lgkmcnt(0) vmcnt(0)
	;;#ASMEND
	s_and_saveexec_b64 s[28:29], vcc
	s_cbranch_execz .LBB9_1285
; %bb.1284:                             ;   in Loop: Header=BB9_1032 Depth=3
	s_bcnt1_i32_b64 s40, s[40:41]
	v_mov_b32_e32 v2, s40
	s_waitcnt lgkmcnt(0)
	ds_add_u64 v0, v[2:3]
	s_trap 2
.LBB9_1285:                             ;   in Loop: Header=BB9_1032 Depth=3
	s_or_b64 exec, exec, s[28:29]
	s_trap 2
	ds_read_b64 v[10:11], v0
	s_waitcnt lgkmcnt(0)
	v_lshl_add_u64 v[38:39], v[38:39], 0, v[52:53]
	v_cmp_lt_u64_e32 vcc, v[10:11], v[38:39]
	s_and_saveexec_b64 s[28:29], vcc
	s_cbranch_execz .LBB9_1294
; %bb.1286:                             ;   in Loop: Header=BB9_1032 Depth=3
	s_mov_b32 s74, 0
	s_mov_b64 s[40:41], 0
                                        ; implicit-def: $sgpr42_sgpr43
                                        ; implicit-def: $sgpr44_sgpr45
	s_branch .LBB9_1288
.LBB9_1287:                             ;   in Loop: Header=BB9_1288 Depth=4
	s_or_b64 exec, exec, s[56:57]
	s_and_b64 s[46:47], exec, s[58:59]
	s_or_b64 s[40:41], s[46:47], s[40:41]
	s_andn2_b64 s[42:43], s[42:43], exec
	s_and_b64 s[46:47], s[44:45], exec
	s_or_b64 s[42:43], s[42:43], s[46:47]
	s_andn2_b64 exec, exec, s[40:41]
	s_cbranch_execz .LBB9_1292
.LBB9_1288:                             ;   Parent Loop BB9_47 Depth=1
                                        ;     Parent Loop BB9_1029 Depth=2
                                        ;       Parent Loop BB9_1032 Depth=3
                                        ; =>      This Inner Loop Header: Depth=4
	s_add_i32 s74, s74, 1
	s_cmpk_lg_i32 s74, 0x2710
	s_cselect_b64 s[46:47], -1, 0
	s_and_b64 vcc, exec, s[46:47]
	s_cbranch_vccz .LBB9_1290
; %bb.1289:                             ;   in Loop: Header=BB9_1288 Depth=4
	s_mov_b64 s[58:59], -1
	s_or_b64 s[44:45], s[44:45], exec
	s_and_saveexec_b64 s[56:57], s[46:47]
	s_cbranch_execz .LBB9_1287
	s_branch .LBB9_1291
.LBB9_1290:                             ;   in Loop: Header=BB9_1288 Depth=4
	s_trap 2
	ds_read_b64 v[10:11], v0
	s_andn2_b64 s[46:47], s[46:47], exec
	s_mov_b32 s74, 0
	s_waitcnt vmcnt(0) lgkmcnt(0)
	flat_load_dword v2, v[10:11] sc0 sc1
	s_waitcnt vmcnt(0) lgkmcnt(0)
	buffer_inv sc0 sc1
	v_cmp_eq_u32_e32 vcc, 0, v2
	s_and_b64 s[56:57], vcc, exec
	s_or_b64 s[46:47], s[46:47], s[56:57]
	s_mov_b64 s[58:59], -1
	s_or_b64 s[44:45], s[44:45], exec
	s_and_saveexec_b64 s[56:57], s[46:47]
	s_cbranch_execz .LBB9_1287
.LBB9_1291:                             ;   in Loop: Header=BB9_1288 Depth=4
	s_sleep 1
	s_trap 2
	ds_read_b64 v[10:11], v0
	s_waitcnt lgkmcnt(0)
	s_andn2_b64 s[44:45], s[44:45], exec
	v_cmp_ge_u64_e32 vcc, v[10:11], v[38:39]
	s_orn2_b64 s[58:59], vcc, exec
	s_branch .LBB9_1287
.LBB9_1292:                             ;   in Loop: Header=BB9_1032 Depth=3
	s_or_b64 exec, exec, s[40:41]
	s_and_saveexec_b64 s[40:41], s[42:43]
	s_xor_b64 s[40:41], exec, s[40:41]
	s_cbranch_execz .LBB9_1294
; %bb.1293:                             ;   in Loop: Header=BB9_1032 Depth=3
	ds_write_b32 v0, v77
	s_trap 2
.LBB9_1294:                             ;   in Loop: Header=BB9_1032 Depth=3
	s_or_b64 exec, exec, s[28:29]
	;;#ASMSTART
	s_wakeup
	;;#ASMEND
.LBB9_1295:                             ;   in Loop: Header=BB9_1032 Depth=3
	s_or_b64 exec, exec, s[26:27]
.LBB9_1296:                             ;   in Loop: Header=BB9_1032 Depth=3
	s_andn2_saveexec_b64 s[24:25], s[24:25]
	s_cbranch_execz .LBB9_1298
; %bb.1297:                             ;   in Loop: Header=BB9_1032 Depth=3
	;;#ASMSTART
	s_waitcnt lgkmcnt(0) vmcnt(0)
	;;#ASMEND
	s_barrier
.LBB9_1298:                             ;   in Loop: Header=BB9_1032 Depth=3
	s_or_b64 exec, exec, s[24:25]
.LBB9_1299:                             ;   in Loop: Header=BB9_1032 Depth=3
	s_or_b64 exec, exec, s[22:23]
	v_cmp_ne_u32_e32 vcc, 0, v8
	s_xor_b64 s[22:23], s[6:7], -1
	s_and_b64 s[24:25], vcc, s[22:23]
	s_and_saveexec_b64 s[22:23], s[24:25]
	s_cbranch_execz .LBB9_1301
; %bb.1300:                             ;   in Loop: Header=BB9_1032 Depth=3
	flat_store_dword v[36:37], v77 sc0 sc1
.LBB9_1301:                             ;   in Loop: Header=BB9_1032 Depth=3
	s_or_b64 exec, exec, s[22:23]
	v_and_b32_e32 v2, 48, v74
	v_cmp_ne_u32_e32 vcc, 0, v2
	s_and_saveexec_b64 s[22:23], vcc
	s_cbranch_execz .LBB9_1031
; %bb.1302:                             ;   in Loop: Header=BB9_1032 Depth=3
	v_lshl_add_u64 v[112:113], v[112:113], 0, 2
	flat_store_dwordx2 v[32:33], v[112:113] sc0 sc1
	s_branch .LBB9_1031
.LBB9_1303:                             ;   in Loop: Header=BB9_1029 Depth=2
	s_or_b64 exec, exec, s[60:61]
	v_cmp_gt_i32_e32 vcc, 2, v2
	s_and_saveexec_b64 s[24:25], vcc
	s_cbranch_execz .LBB9_1379
.LBB9_1304:                             ;   in Loop: Header=BB9_1029 Depth=2
	v_cmp_eq_u32_e64 s[28:29], 0, v2
	s_mov_b64 s[26:27], 0
	s_branch .LBB9_1306
.LBB9_1305:                             ;   in Loop: Header=BB9_1306 Depth=3
	s_or_b64 exec, exec, s[22:23]
	v_add_u32_e32 v40, v118, v40
	s_mov_b64 s[28:29], 0
	s_andn2_b64 exec, exec, s[26:27]
	s_cbranch_execz .LBB9_1380
.LBB9_1306:                             ;   Parent Loop BB9_47 Depth=1
                                        ;     Parent Loop BB9_1029 Depth=2
                                        ; =>    This Loop Header: Depth=3
                                        ;         Child Loop BB9_1312 Depth 4
                                        ;         Child Loop BB9_1340 Depth 4
	;; [unrolled: 1-line block ×3, first 2 shown]
	v_sub_u32_e32 v2, v60, v40
	v_min_i32_e32 v118, v118, v2
	v_and_b32_e32 v2, 12, v74
	v_cmp_ne_u32_e32 vcc, 0, v2
	s_and_saveexec_b64 s[40:41], vcc
	s_cbranch_execz .LBB9_1332
; %bb.1307:                             ;   in Loop: Header=BB9_1306 Depth=3
	v_and_b32_e32 v2, 8, v74
	s_waitcnt vmcnt(0) lgkmcnt(0)
	v_lshl_add_u64 v[10:11], v[48:49], 0, v[2:3]
	v_lshl_add_u64 v[8:9], v[112:113], 0, 2
	v_cmp_lt_u64_e32 vcc, v[10:11], v[8:9]
	s_and_saveexec_b64 s[42:43], vcc
	s_cbranch_execz .LBB9_1319
; %bb.1308:                             ;   in Loop: Header=BB9_1306 Depth=3
	v_and_b32_e32 v10, 64, v74
	s_mov_b32 s74, 0
	v_cmp_eq_u32_e32 vcc, 0, v10
	s_mov_b64 s[44:45], 0
                                        ; implicit-def: $sgpr46_sgpr47
                                        ; implicit-def: $sgpr56_sgpr57
                                        ; implicit-def: $sgpr58_sgpr59
	s_branch .LBB9_1312
.LBB9_1309:                             ;   in Loop: Header=BB9_1312 Depth=4
	s_waitcnt vmcnt(0) lgkmcnt(0)
	v_lshl_add_u64 v[12:13], v[48:49], 0, v[2:3]
	v_cmp_ge_u64_e64 s[22:23], v[12:13], v[8:9]
	s_or_b64 s[48:49], s[48:49], exec
	s_orn2_b64 s[38:39], s[22:23], exec
.LBB9_1310:                             ;   in Loop: Header=BB9_1312 Depth=4
	s_or_b64 exec, exec, s[52:53]
	s_andn2_b64 s[22:23], s[58:59], exec
	s_and_b64 s[58:59], s[48:49], exec
	s_or_b64 s[58:59], s[22:23], s[58:59]
	s_andn2_b64 s[22:23], s[56:57], exec
	s_and_b64 s[56:57], s[38:39], exec
	s_or_b64 s[56:57], s[22:23], s[56:57]
.LBB9_1311:                             ;   in Loop: Header=BB9_1312 Depth=4
	s_or_b64 exec, exec, s[60:61]
	s_and_b64 s[22:23], exec, s[56:57]
	s_or_b64 s[44:45], s[22:23], s[44:45]
	s_andn2_b64 s[22:23], s[46:47], exec
	s_and_b64 s[46:47], s[58:59], exec
	s_or_b64 s[46:47], s[22:23], s[46:47]
	s_andn2_b64 exec, exec, s[44:45]
	s_cbranch_execz .LBB9_1316
.LBB9_1312:                             ;   Parent Loop BB9_47 Depth=1
                                        ;     Parent Loop BB9_1029 Depth=2
                                        ;       Parent Loop BB9_1306 Depth=3
                                        ; =>      This Inner Loop Header: Depth=4
	s_sleep 1
	s_waitcnt vmcnt(0) lgkmcnt(0)
	flat_load_dwordx2 v[48:49], v[32:33] sc0 sc1
	s_or_b64 s[58:59], s[58:59], exec
	s_or_b64 s[56:57], s[56:57], exec
                                        ; implicit-def: $vgpr10
	s_and_saveexec_b64 s[60:61], vcc
	s_cbranch_execz .LBB9_1311
; %bb.1313:                             ;   in Loop: Header=BB9_1312 Depth=4
	s_cmpk_lt_i32 s74, 0x270f
	s_cselect_b64 s[50:51], -1, 0
	s_cmpk_gt_i32 s74, 0x270e
	s_mov_b64 s[38:39], -1
	s_cbranch_scc0 .LBB9_1315
; %bb.1314:                             ;   in Loop: Header=BB9_1312 Depth=4
	s_trap 2
	ds_read_b64 v[10:11], v0
	s_andn2_b64 s[50:51], s[50:51], exec
	s_mov_b32 s74, 0
	s_mov_b64 s[48:49], 0
	s_waitcnt vmcnt(0) lgkmcnt(0)
	flat_load_dword v10, v[10:11] sc0 sc1
	s_waitcnt vmcnt(0) lgkmcnt(0)
	buffer_inv sc0 sc1
	v_cmp_eq_u32_e64 s[22:23], 0, v10
	s_and_b64 s[22:23], s[22:23], exec
	s_or_b64 s[50:51], s[50:51], s[22:23]
	s_and_saveexec_b64 s[52:53], s[50:51]
	s_cbranch_execz .LBB9_1310
	s_branch .LBB9_1309
.LBB9_1315:                             ;   in Loop: Header=BB9_1312 Depth=4
	s_add_i32 s74, s74, 1
	s_mov_b64 s[48:49], -1
                                        ; implicit-def: $vgpr10
	s_and_saveexec_b64 s[52:53], s[50:51]
	s_cbranch_execz .LBB9_1310
	s_branch .LBB9_1309
.LBB9_1316:                             ;   in Loop: Header=BB9_1306 Depth=3
	s_or_b64 exec, exec, s[44:45]
	s_xor_b64 s[22:23], s[46:47], -1
	s_and_saveexec_b64 s[44:45], s[22:23]
	s_xor_b64 s[22:23], exec, s[44:45]
	s_cbranch_execz .LBB9_1318
; %bb.1317:                             ;   in Loop: Header=BB9_1306 Depth=3
	v_or_b32_e32 v74, 64, v74
	s_waitcnt lgkmcnt(0)
	ds_write_b32 v0, v10
	s_trap 2
.LBB9_1318:                             ;   in Loop: Header=BB9_1306 Depth=3
	s_or_b64 exec, exec, s[22:23]
.LBB9_1319:                             ;   in Loop: Header=BB9_1306 Depth=3
	s_or_b64 exec, exec, s[42:43]
	v_and_b32_e32 v10, 0x108, v74
	v_cmp_ne_u32_e32 vcc, s69, v10
	;;#ASMSTART
	s_wakeup
	;;#ASMEND
                                        ; implicit-def: $vgpr10_vgpr11
	s_and_saveexec_b64 s[22:23], vcc
	s_xor_b64 s[22:23], exec, s[22:23]
; %bb.1320:                             ;   in Loop: Header=BB9_1306 Depth=3
	v_and_b32_e32 v10, 7, v112
	v_mov_b32_e32 v11, v3
                                        ; implicit-def: $vgpr112_vgpr113
; %bb.1321:                             ;   in Loop: Header=BB9_1306 Depth=3
	s_andn2_saveexec_b64 s[22:23], s[22:23]
	s_cbranch_execz .LBB9_1323
; %bb.1322:                             ;   in Loop: Header=BB9_1306 Depth=3
	v_and_b32_e32 v10, 7, v112
	v_ashrrev_i32_e32 v119, 31, v118
	v_mov_b32_e32 v11, v3
	v_mad_u64_u32 v[12:13], s[42:43], v10, 24, v[6:7]
	v_lshlrev_b64 v[14:15], 1, v[118:119]
	flat_store_dwordx2 v[12:13], v[14:15] offset:8
.LBB9_1323:                             ;   in Loop: Header=BB9_1306 Depth=3
	s_or_b64 exec, exec, s[22:23]
	v_and_b32_e32 v12, 0x100, v74
	v_cmp_ne_u32_e32 vcc, 0, v12
	s_mov_b64 s[22:23], -1
                                        ; implicit-def: $vgpr12_vgpr13
	s_and_saveexec_b64 s[42:43], vcc
	s_cbranch_execz .LBB9_1327
; %bb.1324:                             ;   in Loop: Header=BB9_1306 Depth=3
	v_mad_u64_u32 v[14:15], s[22:23], v10, 24, v[6:7]
	v_mov_b32_e32 v12, v15
	v_mad_u64_u32 v[12:13], s[22:23], v11, 24, v[12:13]
	v_mov_b32_e32 v15, v12
	flat_load_dword v12, v[14:15]
	s_waitcnt vmcnt(0) lgkmcnt(0)
	v_cmp_ne_u32_e32 vcc, 1, v12
	v_cmp_eq_u32_e64 s[22:23], 1, v12
                                        ; implicit-def: $vgpr12_vgpr13
	s_and_saveexec_b64 s[44:45], s[22:23]
	s_cbranch_execz .LBB9_1326
; %bb.1325:                             ;   in Loop: Header=BB9_1306 Depth=3
	flat_load_dword v12, v[14:15] offset:4 sc0 sc1
	s_waitcnt vmcnt(0) lgkmcnt(0)
	v_ashrrev_i32_e32 v13, 31, v12
	v_lshrrev_b64 v[12:13], 1, v[12:13]
.LBB9_1326:                             ;   in Loop: Header=BB9_1306 Depth=3
	s_or_b64 exec, exec, s[44:45]
	s_orn2_b64 s[22:23], vcc, exec
.LBB9_1327:                             ;   in Loop: Header=BB9_1306 Depth=3
	s_or_b64 exec, exec, s[42:43]
	s_and_saveexec_b64 s[42:43], s[22:23]
; %bb.1328:                             ;   in Loop: Header=BB9_1306 Depth=3
	v_mul_lo_u32 v11, v11, v30
	v_mul_lo_u32 v14, v10, v51
	v_mad_u64_u32 v[12:13], s[22:23], v10, v30, 0
	v_add3_u32 v13, v13, v14, v11
; %bb.1329:                             ;   in Loop: Header=BB9_1306 Depth=3
	s_or_b64 exec, exec, s[42:43]
	v_cmp_eq_u32_e32 vcc, 0, v2
	v_lshl_add_u64 v[10:11], v[12:13], 1, v[34:35]
	s_nop 0
	v_cndmask_b32_e32 v2, v88, v89, vcc
	v_add_u32_e32 v2, v0, v2
	ds_write_b64 v2, v[10:11] offset:584
	v_and_b32_e32 v2, 0x2000, v74
	v_cmp_ne_u32_e32 vcc, 0, v2
	s_and_saveexec_b64 s[22:23], vcc
	s_cbranch_execz .LBB9_1331
; %bb.1330:                             ;   in Loop: Header=BB9_1306 Depth=3
	ds_read_b64 v[10:11], v0 offset:872
	s_waitcnt lgkmcnt(0)
	v_lshl_add_u64 v[10:11], v[10:11], 0, 1
	ds_write_b64 v0, v[10:11] offset:872
.LBB9_1331:                             ;   in Loop: Header=BB9_1306 Depth=3
	s_or_b64 exec, exec, s[22:23]
	v_mov_b64_e32 v[112:113], v[8:9]
.LBB9_1332:                             ;   in Loop: Header=BB9_1306 Depth=3
	s_or_b64 exec, exec, s[40:41]
	s_xor_b64 s[22:23], s[28:29], -1
	s_and_b64 s[22:23], exec, s[22:23]
	s_or_b64 s[26:27], s[22:23], s[26:27]
	s_and_saveexec_b64 s[22:23], s[4:5]
	s_cbranch_execz .LBB9_1351
; %bb.1333:                             ;   in Loop: Header=BB9_1306 Depth=3
	s_and_saveexec_b64 s[28:29], s[76:77]
	s_xor_b64 s[28:29], exec, s[28:29]
	s_cbranch_execz .LBB9_1348
; %bb.1334:                             ;   in Loop: Header=BB9_1306 Depth=3
	s_and_saveexec_b64 s[40:41], s[12:13]
	s_cbranch_execz .LBB9_1347
; %bb.1335:                             ;   in Loop: Header=BB9_1306 Depth=3
	s_mov_b64 s[44:45], exec
	v_mbcnt_lo_u32_b32 v2, s44, 0
	v_mbcnt_hi_u32_b32 v2, s45, v2
	v_cmp_eq_u32_e32 vcc, 0, v2
	s_waitcnt lgkmcnt(0)
	s_and_saveexec_b64 s[42:43], vcc
	s_cbranch_execz .LBB9_1337
; %bb.1336:                             ;   in Loop: Header=BB9_1306 Depth=3
	s_bcnt1_i32_b64 s44, s[44:45]
	v_mov_b32_e32 v2, s44
	ds_add_u64 v0, v[2:3]
	s_trap 2
.LBB9_1337:                             ;   in Loop: Header=BB9_1306 Depth=3
	s_or_b64 exec, exec, s[42:43]
	s_trap 2
	ds_read_b64 v[8:9], v0
	s_waitcnt lgkmcnt(0)
	v_lshl_add_u64 v[38:39], v[38:39], 0, v[52:53]
	v_cmp_lt_u64_e32 vcc, v[8:9], v[38:39]
	s_and_saveexec_b64 s[42:43], vcc
	s_cbranch_execz .LBB9_1346
; %bb.1338:                             ;   in Loop: Header=BB9_1306 Depth=3
	s_mov_b32 s74, 0
	s_mov_b64 s[44:45], 0
                                        ; implicit-def: $sgpr46_sgpr47
                                        ; implicit-def: $sgpr56_sgpr57
	s_branch .LBB9_1340
.LBB9_1339:                             ;   in Loop: Header=BB9_1340 Depth=4
	s_or_b64 exec, exec, s[60:61]
	s_and_b64 s[58:59], exec, vcc
	s_or_b64 s[44:45], s[58:59], s[44:45]
	s_andn2_b64 s[46:47], s[46:47], exec
	s_and_b64 s[58:59], s[56:57], exec
	s_or_b64 s[46:47], s[46:47], s[58:59]
	s_andn2_b64 exec, exec, s[44:45]
	s_cbranch_execz .LBB9_1344
.LBB9_1340:                             ;   Parent Loop BB9_47 Depth=1
                                        ;     Parent Loop BB9_1029 Depth=2
                                        ;       Parent Loop BB9_1306 Depth=3
                                        ; =>      This Inner Loop Header: Depth=4
	s_add_i32 s74, s74, 1
	s_cmpk_lg_i32 s74, 0x2710
	s_cselect_b64 s[58:59], -1, 0
	s_and_b64 vcc, exec, s[58:59]
	s_cbranch_vccz .LBB9_1342
; %bb.1341:                             ;   in Loop: Header=BB9_1340 Depth=4
	s_mov_b64 vcc, -1
	s_or_b64 s[56:57], s[56:57], exec
	s_and_saveexec_b64 s[60:61], s[58:59]
	s_cbranch_execz .LBB9_1339
	s_branch .LBB9_1343
.LBB9_1342:                             ;   in Loop: Header=BB9_1340 Depth=4
	s_trap 2
	ds_read_b64 v[8:9], v0
	s_andn2_b64 s[58:59], s[58:59], exec
	s_mov_b32 s74, 0
	s_waitcnt vmcnt(0) lgkmcnt(0)
	flat_load_dword v2, v[8:9] sc0 sc1
	s_waitcnt vmcnt(0) lgkmcnt(0)
	buffer_inv sc0 sc1
	v_cmp_eq_u32_e32 vcc, 0, v2
	s_and_b64 s[60:61], vcc, exec
	s_or_b64 s[58:59], s[58:59], s[60:61]
	s_mov_b64 vcc, -1
	s_or_b64 s[56:57], s[56:57], exec
	s_and_saveexec_b64 s[60:61], s[58:59]
	s_cbranch_execz .LBB9_1339
.LBB9_1343:                             ;   in Loop: Header=BB9_1340 Depth=4
	s_sleep 1
	s_trap 2
	ds_read_b64 v[8:9], v0
	s_waitcnt lgkmcnt(0)
	s_andn2_b64 s[56:57], s[56:57], exec
	v_cmp_ge_u64_e32 vcc, v[8:9], v[38:39]
	s_orn2_b64 vcc, vcc, exec
	s_branch .LBB9_1339
.LBB9_1344:                             ;   in Loop: Header=BB9_1306 Depth=3
	s_or_b64 exec, exec, s[44:45]
	s_and_saveexec_b64 s[44:45], s[46:47]
	s_xor_b64 s[44:45], exec, s[44:45]
	s_cbranch_execz .LBB9_1346
; %bb.1345:                             ;   in Loop: Header=BB9_1306 Depth=3
	ds_write_b32 v0, v77
	s_trap 2
.LBB9_1346:                             ;   in Loop: Header=BB9_1306 Depth=3
	s_or_b64 exec, exec, s[42:43]
	;;#ASMSTART
	s_wakeup
	;;#ASMEND
.LBB9_1347:                             ;   in Loop: Header=BB9_1306 Depth=3
	s_or_b64 exec, exec, s[40:41]
.LBB9_1348:                             ;   in Loop: Header=BB9_1306 Depth=3
	s_andn2_saveexec_b64 s[28:29], s[28:29]
	s_cbranch_execz .LBB9_1350
; %bb.1349:                             ;   in Loop: Header=BB9_1306 Depth=3
	s_waitcnt lgkmcnt(0)
	s_barrier
.LBB9_1350:                             ;   in Loop: Header=BB9_1306 Depth=3
	s_or_b64 exec, exec, s[28:29]
.LBB9_1351:                             ;   in Loop: Header=BB9_1306 Depth=3
	s_or_b64 exec, exec, s[22:23]
	v_and_b32_e32 v8, 16, v74
	s_and_saveexec_b64 s[22:23], s[20:21]
	s_xor_b64 s[22:23], exec, s[22:23]
	s_cbranch_execz .LBB9_1355
; %bb.1352:                             ;   in Loop: Header=BB9_1306 Depth=3
	s_trap 2
	ds_read_b32 v2, v0
	v_cmp_lt_i32_e32 vcc, 0, v118
	v_and_b32_e32 v9, 16, v74
	v_and_b32_e32 v8, 16, v74
	s_waitcnt lgkmcnt(0)
	v_readfirstlane_b32 s28, v2
	s_cmp_eq_u32 s28, 0
	s_cselect_b64 s[28:29], -1, 0
	s_and_b64 s[28:29], vcc, s[28:29]
	v_cmp_ne_u32_e32 vcc, 0, v9
	s_and_b64 s[40:41], vcc, s[28:29]
	s_and_saveexec_b64 s[28:29], s[40:41]
	s_cbranch_execz .LBB9_1354
; %bb.1353:                             ;   in Loop: Header=BB9_1306 Depth=3
	v_mov_b32_e32 v8, 1
	buffer_wbl2 sc1
	s_waitcnt vmcnt(0)
	buffer_inv sc1
.LBB9_1354:                             ;   in Loop: Header=BB9_1306 Depth=3
	s_or_b64 exec, exec, s[28:29]
.LBB9_1355:                             ;   in Loop: Header=BB9_1306 Depth=3
	s_andn2_saveexec_b64 s[22:23], s[22:23]
	s_cbranch_execz .LBB9_1374
; %bb.1356:                             ;   in Loop: Header=BB9_1306 Depth=3
	s_and_saveexec_b64 s[28:29], s[76:77]
	s_xor_b64 s[28:29], exec, s[28:29]
	s_cbranch_execz .LBB9_1371
; %bb.1357:                             ;   in Loop: Header=BB9_1306 Depth=3
	s_and_saveexec_b64 s[40:41], s[12:13]
	s_cbranch_execz .LBB9_1370
; %bb.1358:                             ;   in Loop: Header=BB9_1306 Depth=3
	s_mov_b64 s[44:45], exec
	v_mbcnt_lo_u32_b32 v2, s44, 0
	v_mbcnt_hi_u32_b32 v2, s45, v2
	v_cmp_eq_u32_e32 vcc, 0, v2
	;;#ASMSTART
	s_waitcnt lgkmcnt(0) vmcnt(0)
	;;#ASMEND
	s_and_saveexec_b64 s[42:43], vcc
	s_cbranch_execz .LBB9_1360
; %bb.1359:                             ;   in Loop: Header=BB9_1306 Depth=3
	s_bcnt1_i32_b64 s44, s[44:45]
	v_mov_b32_e32 v2, s44
	s_waitcnt lgkmcnt(0)
	ds_add_u64 v0, v[2:3]
	s_trap 2
.LBB9_1360:                             ;   in Loop: Header=BB9_1306 Depth=3
	s_or_b64 exec, exec, s[42:43]
	s_trap 2
	ds_read_b64 v[10:11], v0
	s_waitcnt lgkmcnt(0)
	v_lshl_add_u64 v[38:39], v[38:39], 0, v[52:53]
	v_cmp_lt_u64_e32 vcc, v[10:11], v[38:39]
	s_and_saveexec_b64 s[42:43], vcc
	s_cbranch_execz .LBB9_1369
; %bb.1361:                             ;   in Loop: Header=BB9_1306 Depth=3
	s_mov_b32 s74, 0
	s_mov_b64 s[44:45], 0
                                        ; implicit-def: $sgpr46_sgpr47
                                        ; implicit-def: $sgpr56_sgpr57
	s_branch .LBB9_1363
.LBB9_1362:                             ;   in Loop: Header=BB9_1363 Depth=4
	s_or_b64 exec, exec, s[60:61]
	s_and_b64 s[58:59], exec, vcc
	s_or_b64 s[44:45], s[58:59], s[44:45]
	s_andn2_b64 s[46:47], s[46:47], exec
	s_and_b64 s[58:59], s[56:57], exec
	s_or_b64 s[46:47], s[46:47], s[58:59]
	s_andn2_b64 exec, exec, s[44:45]
	s_cbranch_execz .LBB9_1367
.LBB9_1363:                             ;   Parent Loop BB9_47 Depth=1
                                        ;     Parent Loop BB9_1029 Depth=2
                                        ;       Parent Loop BB9_1306 Depth=3
                                        ; =>      This Inner Loop Header: Depth=4
	s_add_i32 s74, s74, 1
	s_cmpk_lg_i32 s74, 0x2710
	s_cselect_b64 s[58:59], -1, 0
	s_and_b64 vcc, exec, s[58:59]
	s_cbranch_vccz .LBB9_1365
; %bb.1364:                             ;   in Loop: Header=BB9_1363 Depth=4
	s_mov_b64 vcc, -1
	s_or_b64 s[56:57], s[56:57], exec
	s_and_saveexec_b64 s[60:61], s[58:59]
	s_cbranch_execz .LBB9_1362
	s_branch .LBB9_1366
.LBB9_1365:                             ;   in Loop: Header=BB9_1363 Depth=4
	s_trap 2
	ds_read_b64 v[10:11], v0
	s_andn2_b64 s[58:59], s[58:59], exec
	s_mov_b32 s74, 0
	s_waitcnt vmcnt(0) lgkmcnt(0)
	flat_load_dword v2, v[10:11] sc0 sc1
	s_waitcnt vmcnt(0) lgkmcnt(0)
	buffer_inv sc0 sc1
	v_cmp_eq_u32_e32 vcc, 0, v2
	s_and_b64 s[60:61], vcc, exec
	s_or_b64 s[58:59], s[58:59], s[60:61]
	s_mov_b64 vcc, -1
	s_or_b64 s[56:57], s[56:57], exec
	s_and_saveexec_b64 s[60:61], s[58:59]
	s_cbranch_execz .LBB9_1362
.LBB9_1366:                             ;   in Loop: Header=BB9_1363 Depth=4
	s_sleep 1
	s_trap 2
	ds_read_b64 v[10:11], v0
	s_waitcnt lgkmcnt(0)
	s_andn2_b64 s[56:57], s[56:57], exec
	v_cmp_ge_u64_e32 vcc, v[10:11], v[38:39]
	s_orn2_b64 vcc, vcc, exec
	s_branch .LBB9_1362
.LBB9_1367:                             ;   in Loop: Header=BB9_1306 Depth=3
	s_or_b64 exec, exec, s[44:45]
	s_and_saveexec_b64 s[44:45], s[46:47]
	s_xor_b64 s[44:45], exec, s[44:45]
	s_cbranch_execz .LBB9_1369
; %bb.1368:                             ;   in Loop: Header=BB9_1306 Depth=3
	ds_write_b32 v0, v77
	s_trap 2
.LBB9_1369:                             ;   in Loop: Header=BB9_1306 Depth=3
	s_or_b64 exec, exec, s[42:43]
	;;#ASMSTART
	s_wakeup
	;;#ASMEND
.LBB9_1370:                             ;   in Loop: Header=BB9_1306 Depth=3
	s_or_b64 exec, exec, s[40:41]
.LBB9_1371:                             ;   in Loop: Header=BB9_1306 Depth=3
	s_andn2_saveexec_b64 s[28:29], s[28:29]
	s_cbranch_execz .LBB9_1373
; %bb.1372:                             ;   in Loop: Header=BB9_1306 Depth=3
	;;#ASMSTART
	s_waitcnt lgkmcnt(0) vmcnt(0)
	;;#ASMEND
	s_barrier
.LBB9_1373:                             ;   in Loop: Header=BB9_1306 Depth=3
	s_or_b64 exec, exec, s[28:29]
.LBB9_1374:                             ;   in Loop: Header=BB9_1306 Depth=3
	s_or_b64 exec, exec, s[22:23]
	v_cmp_ne_u32_e32 vcc, 0, v8
	s_xor_b64 s[22:23], s[6:7], -1
	s_and_b64 s[28:29], vcc, s[22:23]
	s_and_saveexec_b64 s[22:23], s[28:29]
	s_cbranch_execz .LBB9_1376
; %bb.1375:                             ;   in Loop: Header=BB9_1306 Depth=3
	flat_store_dword v[36:37], v77 sc0 sc1
.LBB9_1376:                             ;   in Loop: Header=BB9_1306 Depth=3
	s_or_b64 exec, exec, s[22:23]
	v_and_b32_e32 v2, 48, v74
	v_cmp_ne_u32_e32 vcc, 0, v2
	s_and_saveexec_b64 s[22:23], vcc
	s_cbranch_execz .LBB9_1305
; %bb.1377:                             ;   in Loop: Header=BB9_1306 Depth=3
	v_lshl_add_u64 v[112:113], v[112:113], 0, 2
	flat_store_dwordx2 v[32:33], v[112:113] sc0 sc1
	s_branch .LBB9_1305
.LBB9_1378:                             ;   in Loop: Header=BB9_1029 Depth=2
	s_or_b64 exec, exec, s[38:39]
	s_or_b64 exec, exec, s[60:61]
	v_cmp_gt_i32_e32 vcc, 2, v2
	s_and_saveexec_b64 s[24:25], vcc
	s_cbranch_execnz .LBB9_1304
.LBB9_1379:                             ;   in Loop: Header=BB9_1029 Depth=2
	s_or_b64 exec, exec, s[24:25]
	s_add_i32 s22, s64, 1
	s_cmp_eq_u32 s64, s85
	s_cbranch_scc0 .LBB9_1381
	s_branch .LBB9_1382
.LBB9_1380:                             ;   in Loop: Header=BB9_1029 Depth=2
	s_or_b64 exec, exec, s[26:27]
	s_or_b64 exec, exec, s[24:25]
	s_add_i32 s22, s64, 1
	s_cmp_eq_u32 s64, s85
	s_cbranch_scc1 .LBB9_1382
.LBB9_1381:                             ;   in Loop: Header=BB9_1029 Depth=2
	s_mov_b32 s64, s22
	s_branch .LBB9_1029
.LBB9_1382:                             ;   in Loop: Header=BB9_47 Depth=1
	v_mul_lo_u32 v2, v103, s86
	v_mul_lo_u32 v10, v102, s87
	v_mad_u64_u32 v[8:9], s[22:23], v102, s86, 0
	v_add3_u32 v9, v9, v10, v2
	v_sub_co_u32_e32 v10, vcc, v114, v8
	v_mov_b32_e32 v2, 0
	s_nop 0
	v_subb_co_u32_e32 v11, vcc, v115, v9, vcc
	v_cmp_lt_i64_e32 vcc, v[102:103], v[10:11]
	v_mov_b32_e32 v114, 0
	s_nop 0
	v_cndmask_b32_e32 v10, v10, v102, vcc
	s_waitcnt lgkmcnt(0)
	v_max_i32_e32 v46, 0, v10
	v_add_u32_e32 v11, 31, v46
	v_ashrrev_i32_e32 v12, 31, v11
	v_lshrrev_b32_e32 v12, 27, v12
	v_add_u32_e32 v11, v11, v12
	v_ashrrev_i32_e32 v11, 5, v11
	v_lshlrev_b32_e32 v11, 4, v11
	v_cmp_lt_i32_e32 vcc, 0, v10
	v_max_i32_e32 v47, s84, v11
	s_and_b64 s[22:23], s[36:37], vcc
	s_and_saveexec_b64 s[58:59], s[22:23]
	s_cbranch_execz .LBB9_1600
; %bb.1383:                             ;   in Loop: Header=BB9_47 Depth=1
	v_lshl_add_u64 v[8:9], v[8:9], 0, v[116:117]
	s_mov_b32 s54, 1
	s_mov_b64 s[38:39], -1
	v_mov_b32_e32 v114, 0
	s_mov_b64 s[60:61], 0
	v_lshlrev_b64 v[116:117], 1, v[8:9]
	s_branch .LBB9_1385
.LBB9_1384:                             ;   in Loop: Header=BB9_1385 Depth=2
	s_or_b64 exec, exec, s[22:23]
	v_add_u32_e32 v114, v47, v114
	v_cmp_ge_i32_e32 vcc, v114, v46
	s_xor_b64 s[22:23], s[38:39], -1
	s_or_b64 s[22:23], s[22:23], vcc
	s_and_b64 s[22:23], exec, s[22:23]
	s_or_b64 s[60:61], s[22:23], s[60:61]
	s_mov_b64 s[38:39], 0
	v_mov_b32_e32 v2, s54
	s_mov_b32 s54, 2
	s_andn2_b64 exec, exec, s[60:61]
	s_cbranch_execz .LBB9_1599
.LBB9_1385:                             ;   Parent Loop BB9_47 Depth=1
                                        ; =>  This Loop Header: Depth=2
                                        ;       Child Loop BB9_1393 Depth 3
                                        ;       Child Loop BB9_1417 Depth 3
	;; [unrolled: 1-line block ×9, first 2 shown]
	s_and_saveexec_b64 s[22:23], s[0:1]
	s_cbranch_execz .LBB9_1387
; %bb.1386:                             ;   in Loop: Header=BB9_1385 Depth=2
	s_trap 2
	ds_read_b128 v[8:11], v0
	v_ashrrev_i32_e32 v115, 31, v114
	v_lshlrev_b64 v[12:13], 1, v[114:115]
	s_waitcnt lgkmcnt(0)
	v_lshl_add_u64 v[8:9], v[8:9], 0, v[116:117]
	v_lshl_add_u64 v[14:15], v[10:11], 0, v[116:117]
	;; [unrolled: 1-line block ×3, first 2 shown]
	ds_write_b64 v0, v[8:9]
	v_lshl_add_u64 v[8:9], v[14:15], 0, v[12:13]
	v_cmp_ne_u64_e32 vcc, 0, v[10:11]
	s_nop 1
	v_cndmask_b32_e32 v9, 0, v9, vcc
	v_cndmask_b32_e32 v8, 0, v8, vcc
	ds_write_b64 v0, v[8:9]
.LBB9_1387:                             ;   in Loop: Header=BB9_1385 Depth=2
	s_or_b64 exec, exec, s[22:23]
	v_and_b32_e32 v2, 4, v74
	v_cmp_ne_u32_e32 vcc, 0, v2
	s_and_saveexec_b64 s[24:25], vcc
	s_cbranch_execz .LBB9_1409
; %bb.1388:                             ;   in Loop: Header=BB9_1385 Depth=2
	v_lshl_add_u64 v[8:9], v[112:113], 0, 2
	s_waitcnt vmcnt(0)
	v_cmp_lt_u64_e32 vcc, v[48:49], v[8:9]
	s_and_saveexec_b64 s[26:27], vcc
	s_cbranch_execz .LBB9_1400
; %bb.1389:                             ;   in Loop: Header=BB9_1385 Depth=2
	v_and_b32_e32 v2, 64, v74
	s_mov_b32 s74, 0
	v_cmp_eq_u32_e32 vcc, 0, v2
	s_mov_b64 s[28:29], 0
                                        ; implicit-def: $sgpr40_sgpr41
                                        ; implicit-def: $sgpr42_sgpr43
                                        ; implicit-def: $sgpr44_sgpr45
	s_branch .LBB9_1393
.LBB9_1390:                             ;   in Loop: Header=BB9_1393 Depth=3
	s_waitcnt vmcnt(0) lgkmcnt(0)
	v_cmp_ge_u64_e64 s[22:23], v[48:49], v[8:9]
	s_or_b64 s[48:49], s[48:49], exec
	s_orn2_b64 s[56:57], s[22:23], exec
.LBB9_1391:                             ;   in Loop: Header=BB9_1393 Depth=3
	s_or_b64 exec, exec, s[52:53]
	s_andn2_b64 s[22:23], s[44:45], exec
	s_and_b64 s[44:45], s[48:49], exec
	s_or_b64 s[44:45], s[22:23], s[44:45]
	s_andn2_b64 s[22:23], s[42:43], exec
	s_and_b64 s[42:43], s[56:57], exec
	s_or_b64 s[42:43], s[22:23], s[42:43]
.LBB9_1392:                             ;   in Loop: Header=BB9_1393 Depth=3
	s_or_b64 exec, exec, s[46:47]
	s_and_b64 s[22:23], exec, s[42:43]
	s_or_b64 s[28:29], s[22:23], s[28:29]
	s_andn2_b64 s[22:23], s[40:41], exec
	s_and_b64 s[40:41], s[44:45], exec
	s_or_b64 s[40:41], s[22:23], s[40:41]
	s_andn2_b64 exec, exec, s[28:29]
	s_cbranch_execz .LBB9_1397
.LBB9_1393:                             ;   Parent Loop BB9_47 Depth=1
                                        ;     Parent Loop BB9_1385 Depth=2
                                        ; =>    This Inner Loop Header: Depth=3
	s_sleep 1
	s_waitcnt vmcnt(0) lgkmcnt(0)
	flat_load_dwordx2 v[48:49], v[32:33] sc0 sc1
	s_or_b64 s[44:45], s[44:45], exec
	s_or_b64 s[42:43], s[42:43], exec
                                        ; implicit-def: $vgpr2
	s_and_saveexec_b64 s[46:47], vcc
	s_cbranch_execz .LBB9_1392
; %bb.1394:                             ;   in Loop: Header=BB9_1393 Depth=3
	s_cmpk_lt_i32 s74, 0x270f
	s_cselect_b64 s[50:51], -1, 0
	s_cmpk_gt_i32 s74, 0x270e
	s_mov_b64 s[56:57], -1
	s_cbranch_scc0 .LBB9_1396
; %bb.1395:                             ;   in Loop: Header=BB9_1393 Depth=3
	s_trap 2
	ds_read_b64 v[10:11], v0
	s_andn2_b64 s[50:51], s[50:51], exec
	s_mov_b32 s74, 0
	s_mov_b64 s[48:49], 0
	s_waitcnt vmcnt(0) lgkmcnt(0)
	flat_load_dword v2, v[10:11] sc0 sc1
	s_waitcnt vmcnt(0) lgkmcnt(0)
	buffer_inv sc0 sc1
	v_cmp_eq_u32_e64 s[22:23], 0, v2
	s_and_b64 s[22:23], s[22:23], exec
	s_or_b64 s[50:51], s[50:51], s[22:23]
	s_and_saveexec_b64 s[52:53], s[50:51]
	s_cbranch_execz .LBB9_1391
	s_branch .LBB9_1390
.LBB9_1396:                             ;   in Loop: Header=BB9_1393 Depth=3
	s_add_i32 s74, s74, 1
	s_mov_b64 s[48:49], -1
                                        ; implicit-def: $vgpr2
	s_and_saveexec_b64 s[52:53], s[50:51]
	s_cbranch_execz .LBB9_1391
	s_branch .LBB9_1390
.LBB9_1397:                             ;   in Loop: Header=BB9_1385 Depth=2
	s_or_b64 exec, exec, s[28:29]
	s_xor_b64 s[22:23], s[40:41], -1
	s_and_saveexec_b64 s[28:29], s[22:23]
	s_xor_b64 s[22:23], exec, s[28:29]
	s_cbranch_execz .LBB9_1399
; %bb.1398:                             ;   in Loop: Header=BB9_1385 Depth=2
	v_or_b32_e32 v74, 64, v74
	s_waitcnt lgkmcnt(0)
	ds_write_b32 v0, v2
	s_trap 2
.LBB9_1399:                             ;   in Loop: Header=BB9_1385 Depth=2
	s_or_b64 exec, exec, s[22:23]
.LBB9_1400:                             ;   in Loop: Header=BB9_1385 Depth=2
	s_or_b64 exec, exec, s[26:27]
	v_and_b32_e32 v2, 0x100, v74
	v_cmp_ne_u32_e32 vcc, 0, v2
	v_and_b32_e32 v2, 7, v112
	s_mov_b64 s[22:23], -1
	;;#ASMSTART
	s_wakeup
	;;#ASMEND
                                        ; implicit-def: $vgpr10_vgpr11
	s_and_saveexec_b64 s[26:27], vcc
	s_cbranch_execz .LBB9_1404
; %bb.1401:                             ;   in Loop: Header=BB9_1385 Depth=2
	v_mad_u64_u32 v[12:13], s[22:23], v2, 24, v[6:7]
	flat_load_dword v10, v[12:13]
	s_waitcnt vmcnt(0) lgkmcnt(0)
	v_cmp_ne_u32_e32 vcc, 1, v10
	v_cmp_eq_u32_e64 s[22:23], 1, v10
                                        ; implicit-def: $vgpr10_vgpr11
	s_and_saveexec_b64 s[28:29], s[22:23]
	s_cbranch_execz .LBB9_1403
; %bb.1402:                             ;   in Loop: Header=BB9_1385 Depth=2
	flat_load_dword v10, v[12:13] offset:4 sc0 sc1
	s_waitcnt vmcnt(0) lgkmcnt(0)
	v_ashrrev_i32_e32 v11, 31, v10
	v_lshrrev_b64 v[10:11], 1, v[10:11]
.LBB9_1403:                             ;   in Loop: Header=BB9_1385 Depth=2
	s_or_b64 exec, exec, s[28:29]
	s_orn2_b64 s[22:23], vcc, exec
.LBB9_1404:                             ;   in Loop: Header=BB9_1385 Depth=2
	s_or_b64 exec, exec, s[26:27]
	s_and_saveexec_b64 s[26:27], s[22:23]
; %bb.1405:                             ;   in Loop: Header=BB9_1385 Depth=2
	v_mad_i64_i32 v[10:11], s[22:23], v2, v30, 0
; %bb.1406:                             ;   in Loop: Header=BB9_1385 Depth=2
	s_or_b64 exec, exec, s[26:27]
	v_and_b32_e32 v2, 0x2000, v74
	v_lshl_add_u64 v[10:11], v[10:11], 1, v[34:35]
	v_cmp_ne_u32_e32 vcc, 0, v2
	ds_write_b64 v0, v[10:11] offset:720
	s_and_saveexec_b64 s[22:23], vcc
	s_cbranch_execz .LBB9_1408
; %bb.1407:                             ;   in Loop: Header=BB9_1385 Depth=2
	ds_read_b64 v[10:11], v0 offset:872
	s_waitcnt lgkmcnt(0)
	v_lshl_add_u64 v[10:11], v[10:11], 0, 1
	ds_write_b64 v0, v[10:11] offset:872
.LBB9_1408:                             ;   in Loop: Header=BB9_1385 Depth=2
	s_or_b64 exec, exec, s[22:23]
	v_mov_b64_e32 v[112:113], v[8:9]
.LBB9_1409:                             ;   in Loop: Header=BB9_1385 Depth=2
	s_or_b64 exec, exec, s[24:25]
	s_and_saveexec_b64 s[22:23], s[4:5]
	s_cbranch_execz .LBB9_1428
; %bb.1410:                             ;   in Loop: Header=BB9_1385 Depth=2
	s_and_saveexec_b64 s[24:25], s[76:77]
	s_xor_b64 s[24:25], exec, s[24:25]
	s_cbranch_execz .LBB9_1425
; %bb.1411:                             ;   in Loop: Header=BB9_1385 Depth=2
	s_and_saveexec_b64 s[26:27], s[12:13]
	s_cbranch_execz .LBB9_1424
; %bb.1412:                             ;   in Loop: Header=BB9_1385 Depth=2
	s_mov_b64 s[40:41], exec
	v_mbcnt_lo_u32_b32 v2, s40, 0
	v_mbcnt_hi_u32_b32 v2, s41, v2
	v_cmp_eq_u32_e32 vcc, 0, v2
	s_waitcnt lgkmcnt(0)
	s_and_saveexec_b64 s[28:29], vcc
	s_cbranch_execz .LBB9_1414
; %bb.1413:                             ;   in Loop: Header=BB9_1385 Depth=2
	s_bcnt1_i32_b64 s40, s[40:41]
	v_mov_b32_e32 v2, s40
	ds_add_u64 v0, v[2:3]
	s_trap 2
.LBB9_1414:                             ;   in Loop: Header=BB9_1385 Depth=2
	s_or_b64 exec, exec, s[28:29]
	s_trap 2
	ds_read_b64 v[8:9], v0
	s_waitcnt lgkmcnt(0)
	v_lshl_add_u64 v[38:39], v[38:39], 0, v[52:53]
	v_cmp_lt_u64_e32 vcc, v[8:9], v[38:39]
	s_and_saveexec_b64 s[28:29], vcc
	s_cbranch_execz .LBB9_1423
; %bb.1415:                             ;   in Loop: Header=BB9_1385 Depth=2
	s_mov_b32 s74, 0
	s_mov_b64 s[40:41], 0
                                        ; implicit-def: $sgpr42_sgpr43
                                        ; implicit-def: $sgpr44_sgpr45
	s_branch .LBB9_1417
.LBB9_1416:                             ;   in Loop: Header=BB9_1417 Depth=3
	s_or_b64 exec, exec, s[56:57]
	s_and_b64 s[46:47], exec, vcc
	s_or_b64 s[40:41], s[46:47], s[40:41]
	s_andn2_b64 s[42:43], s[42:43], exec
	s_and_b64 s[46:47], s[44:45], exec
	s_or_b64 s[42:43], s[42:43], s[46:47]
	s_andn2_b64 exec, exec, s[40:41]
	s_cbranch_execz .LBB9_1421
.LBB9_1417:                             ;   Parent Loop BB9_47 Depth=1
                                        ;     Parent Loop BB9_1385 Depth=2
                                        ; =>    This Inner Loop Header: Depth=3
	s_add_i32 s74, s74, 1
	s_cmpk_lg_i32 s74, 0x2710
	s_cselect_b64 s[46:47], -1, 0
	s_and_b64 vcc, exec, s[46:47]
	s_cbranch_vccz .LBB9_1419
; %bb.1418:                             ;   in Loop: Header=BB9_1417 Depth=3
	s_mov_b64 vcc, -1
	s_or_b64 s[44:45], s[44:45], exec
	s_and_saveexec_b64 s[56:57], s[46:47]
	s_cbranch_execz .LBB9_1416
	s_branch .LBB9_1420
.LBB9_1419:                             ;   in Loop: Header=BB9_1417 Depth=3
	s_trap 2
	ds_read_b64 v[8:9], v0
	s_andn2_b64 s[46:47], s[46:47], exec
	s_mov_b32 s74, 0
	s_waitcnt vmcnt(0) lgkmcnt(0)
	flat_load_dword v2, v[8:9] sc0 sc1
	s_waitcnt vmcnt(0) lgkmcnt(0)
	buffer_inv sc0 sc1
	v_cmp_eq_u32_e32 vcc, 0, v2
	s_and_b64 s[56:57], vcc, exec
	s_or_b64 s[46:47], s[46:47], s[56:57]
	s_mov_b64 vcc, -1
	s_or_b64 s[44:45], s[44:45], exec
	s_and_saveexec_b64 s[56:57], s[46:47]
	s_cbranch_execz .LBB9_1416
.LBB9_1420:                             ;   in Loop: Header=BB9_1417 Depth=3
	s_sleep 1
	s_trap 2
	ds_read_b64 v[8:9], v0
	s_waitcnt lgkmcnt(0)
	s_andn2_b64 s[44:45], s[44:45], exec
	v_cmp_ge_u64_e32 vcc, v[8:9], v[38:39]
	s_orn2_b64 vcc, vcc, exec
	s_branch .LBB9_1416
.LBB9_1421:                             ;   in Loop: Header=BB9_1385 Depth=2
	s_or_b64 exec, exec, s[40:41]
	s_and_saveexec_b64 s[40:41], s[42:43]
	s_xor_b64 s[40:41], exec, s[40:41]
	s_cbranch_execz .LBB9_1423
; %bb.1422:                             ;   in Loop: Header=BB9_1385 Depth=2
	ds_write_b32 v0, v77
	s_trap 2
.LBB9_1423:                             ;   in Loop: Header=BB9_1385 Depth=2
	s_or_b64 exec, exec, s[28:29]
	;;#ASMSTART
	s_wakeup
	;;#ASMEND
.LBB9_1424:                             ;   in Loop: Header=BB9_1385 Depth=2
	s_or_b64 exec, exec, s[26:27]
.LBB9_1425:                             ;   in Loop: Header=BB9_1385 Depth=2
	s_andn2_saveexec_b64 s[24:25], s[24:25]
	s_cbranch_execz .LBB9_1427
; %bb.1426:                             ;   in Loop: Header=BB9_1385 Depth=2
	s_waitcnt lgkmcnt(0)
	s_barrier
.LBB9_1427:                             ;   in Loop: Header=BB9_1385 Depth=2
	s_or_b64 exec, exec, s[24:25]
.LBB9_1428:                             ;   in Loop: Header=BB9_1385 Depth=2
	s_or_b64 exec, exec, s[22:23]
	s_trap 2
	ds_read_b32 v8, v0
	v_and_b32_e32 v2, 0x4000, v74
	v_cmp_ne_u32_e32 vcc, 0, v2
	s_xor_b64 s[22:23], s[2:3], -1
	s_and_b64 s[24:25], s[22:23], vcc
	s_and_saveexec_b64 s[22:23], s[24:25]
	s_cbranch_execz .LBB9_1447
; %bb.1429:                             ;   in Loop: Header=BB9_1385 Depth=2
	s_and_saveexec_b64 s[24:25], s[76:77]
	s_xor_b64 s[24:25], exec, s[24:25]
	s_cbranch_execz .LBB9_1444
; %bb.1430:                             ;   in Loop: Header=BB9_1385 Depth=2
	s_and_saveexec_b64 s[26:27], s[12:13]
	s_cbranch_execz .LBB9_1443
; %bb.1431:                             ;   in Loop: Header=BB9_1385 Depth=2
	s_mov_b64 s[40:41], exec
	v_mbcnt_lo_u32_b32 v2, s40, 0
	v_mbcnt_hi_u32_b32 v2, s41, v2
	v_cmp_eq_u32_e32 vcc, 0, v2
	s_waitcnt lgkmcnt(0)
	s_and_saveexec_b64 s[28:29], vcc
	s_cbranch_execz .LBB9_1433
; %bb.1432:                             ;   in Loop: Header=BB9_1385 Depth=2
	s_bcnt1_i32_b64 s40, s[40:41]
	v_mov_b32_e32 v2, s40
	ds_add_u64 v0, v[2:3]
	s_trap 2
.LBB9_1433:                             ;   in Loop: Header=BB9_1385 Depth=2
	s_or_b64 exec, exec, s[28:29]
	s_trap 2
	ds_read_b64 v[10:11], v0
	s_waitcnt lgkmcnt(0)
	v_lshl_add_u64 v[38:39], v[38:39], 0, v[52:53]
	v_cmp_lt_u64_e32 vcc, v[10:11], v[38:39]
	s_and_saveexec_b64 s[28:29], vcc
	s_cbranch_execz .LBB9_1442
; %bb.1434:                             ;   in Loop: Header=BB9_1385 Depth=2
	s_mov_b32 s74, 0
	s_mov_b64 s[40:41], 0
                                        ; implicit-def: $sgpr42_sgpr43
                                        ; implicit-def: $sgpr44_sgpr45
	s_branch .LBB9_1436
.LBB9_1435:                             ;   in Loop: Header=BB9_1436 Depth=3
	s_or_b64 exec, exec, s[56:57]
	s_and_b64 s[46:47], exec, vcc
	s_or_b64 s[40:41], s[46:47], s[40:41]
	s_andn2_b64 s[42:43], s[42:43], exec
	s_and_b64 s[46:47], s[44:45], exec
	s_or_b64 s[42:43], s[42:43], s[46:47]
	s_andn2_b64 exec, exec, s[40:41]
	s_cbranch_execz .LBB9_1440
.LBB9_1436:                             ;   Parent Loop BB9_47 Depth=1
                                        ;     Parent Loop BB9_1385 Depth=2
                                        ; =>    This Inner Loop Header: Depth=3
	s_add_i32 s74, s74, 1
	s_cmpk_lg_i32 s74, 0x2710
	s_cselect_b64 s[46:47], -1, 0
	s_and_b64 vcc, exec, s[46:47]
	s_cbranch_vccz .LBB9_1438
; %bb.1437:                             ;   in Loop: Header=BB9_1436 Depth=3
	s_mov_b64 vcc, -1
	s_or_b64 s[44:45], s[44:45], exec
	s_and_saveexec_b64 s[56:57], s[46:47]
	s_cbranch_execz .LBB9_1435
	s_branch .LBB9_1439
.LBB9_1438:                             ;   in Loop: Header=BB9_1436 Depth=3
	s_trap 2
	ds_read_b64 v[10:11], v0
	s_andn2_b64 s[46:47], s[46:47], exec
	s_mov_b32 s74, 0
	s_waitcnt vmcnt(0) lgkmcnt(0)
	flat_load_dword v2, v[10:11] sc0 sc1
	s_waitcnt vmcnt(0) lgkmcnt(0)
	buffer_inv sc0 sc1
	v_cmp_eq_u32_e32 vcc, 0, v2
	s_and_b64 s[56:57], vcc, exec
	s_or_b64 s[46:47], s[46:47], s[56:57]
	s_mov_b64 vcc, -1
	s_or_b64 s[44:45], s[44:45], exec
	s_and_saveexec_b64 s[56:57], s[46:47]
	s_cbranch_execz .LBB9_1435
.LBB9_1439:                             ;   in Loop: Header=BB9_1436 Depth=3
	s_sleep 1
	s_trap 2
	ds_read_b64 v[10:11], v0
	s_waitcnt lgkmcnt(0)
	s_andn2_b64 s[44:45], s[44:45], exec
	v_cmp_ge_u64_e32 vcc, v[10:11], v[38:39]
	s_orn2_b64 vcc, vcc, exec
	s_branch .LBB9_1435
.LBB9_1440:                             ;   in Loop: Header=BB9_1385 Depth=2
	s_or_b64 exec, exec, s[40:41]
	s_and_saveexec_b64 s[40:41], s[42:43]
	s_xor_b64 s[40:41], exec, s[40:41]
	s_cbranch_execz .LBB9_1442
; %bb.1441:                             ;   in Loop: Header=BB9_1385 Depth=2
	ds_write_b32 v0, v77
	s_trap 2
.LBB9_1442:                             ;   in Loop: Header=BB9_1385 Depth=2
	s_or_b64 exec, exec, s[28:29]
	;;#ASMSTART
	s_wakeup
	;;#ASMEND
.LBB9_1443:                             ;   in Loop: Header=BB9_1385 Depth=2
	s_or_b64 exec, exec, s[26:27]
.LBB9_1444:                             ;   in Loop: Header=BB9_1385 Depth=2
	s_andn2_saveexec_b64 s[24:25], s[24:25]
	s_cbranch_execz .LBB9_1446
; %bb.1445:                             ;   in Loop: Header=BB9_1385 Depth=2
	s_waitcnt lgkmcnt(0)
	s_barrier
.LBB9_1446:                             ;   in Loop: Header=BB9_1385 Depth=2
	s_or_b64 exec, exec, s[24:25]
.LBB9_1447:                             ;   in Loop: Header=BB9_1385 Depth=2
	s_or_b64 exec, exec, s[22:23]
	s_trap 2
	ds_read_b64 v[118:119], v0
	v_sub_u32_e32 v2, v46, v114
	v_min_i32_e32 v47, v47, v2
	s_waitcnt lgkmcnt(0)
	v_cmp_eq_u64_e32 vcc, 0, v[118:119]
	s_cbranch_vccnz .LBB9_1455
; %bb.1448:                             ;   in Loop: Header=BB9_1385 Depth=2
	s_trap 2
	ds_read_b64 v[40:41], v0
	s_waitcnt lgkmcnt(0)
	v_cmp_eq_u64_e32 vcc, 0, v[40:41]
	s_cbranch_vccnz .LBB9_1455
; %bb.1449:                             ;   in Loop: Header=BB9_1385 Depth=2
	s_trap 2
	ds_read_b64 v[42:43], v0
	s_mov_b64 s[24:25], -1
	s_waitcnt lgkmcnt(0)
	v_readfirstlane_b32 s55, v42
	s_and_saveexec_b64 s[22:23], s[16:17]
	s_cbranch_execz .LBB9_1451
; %bb.1450:                             ;   in Loop: Header=BB9_1385 Depth=2
	ds_read_b32 v2, v0 offset:720
	s_waitcnt lgkmcnt(0)
	v_and_b32_e32 v2, 15, v2
	v_cmp_eq_u32_e32 vcc, 0, v2
	s_orn2_b64 s[24:25], vcc, exec
.LBB9_1451:                             ;   in Loop: Header=BB9_1385 Depth=2
	s_or_b64 exec, exec, s[22:23]
	s_and_saveexec_b64 s[22:23], s[14:15]
	s_cbranch_execz .LBB9_1453
; %bb.1452:                             ;   in Loop: Header=BB9_1385 Depth=2
	ds_read_b32 v2, v0 offset:784
	s_waitcnt lgkmcnt(0)
	v_and_b32_e32 v2, 15, v2
	v_cmp_eq_u32_e32 vcc, 0, v2
	s_and_b64 s[26:27], s[24:25], vcc
	s_andn2_b64 s[24:25], s[24:25], exec
	s_and_b64 s[26:27], s[26:27], exec
	s_or_b64 s[24:25], s[24:25], s[26:27]
.LBB9_1453:                             ;   in Loop: Header=BB9_1385 Depth=2
	s_or_b64 exec, exec, s[22:23]
	v_cmp_eq_u32_e32 vcc, 0, v8
	s_xor_b64 s[24:25], s[24:25], -1
	v_cndmask_b32_e64 v8, 0, 1, s[24:25]
	v_cndmask_b32_e32 v2, 0, v47, vcc
	v_lshlrev_b32_e32 v115, 1, v2
	s_mov_b64 s[22:23], -1
	v_cmp_ne_u32_e32 vcc, 0, v8
	v_mov_b32_e32 v18, 0
	s_cbranch_vccz .LBB9_1460
; %bb.1454:                             ;   in Loop: Header=BB9_1385 Depth=2
	v_mov_b32_e32 v19, v0
	s_and_saveexec_b64 s[24:25], s[22:23]
	s_cbranch_execnz .LBB9_1535
	s_branch .LBB9_1559
.LBB9_1455:                             ;   in Loop: Header=BB9_1385 Depth=2
	s_mov_b64 s[22:23], 0
	s_and_saveexec_b64 s[24:25], s[4:5]
	s_cbranch_execnz .LBB9_1560
.LBB9_1456:                             ;   in Loop: Header=BB9_1385 Depth=2
	s_or_b64 exec, exec, s[24:25]
	s_and_saveexec_b64 s[24:25], s[20:21]
	s_xor_b64 s[24:25], exec, s[24:25]
	s_cbranch_execz .LBB9_1578
.LBB9_1457:                             ;   in Loop: Header=BB9_1385 Depth=2
	v_and_b32_e32 v2, 16, v74
	v_cmp_ne_u32_e32 vcc, 0, v2
	s_and_b64 s[26:27], vcc, s[22:23]
	s_and_saveexec_b64 s[22:23], s[26:27]
	s_cbranch_execz .LBB9_1459
; %bb.1458:                             ;   in Loop: Header=BB9_1385 Depth=2
	buffer_wbl2 sc1
	s_waitcnt vmcnt(0) lgkmcnt(0)
	buffer_inv sc1
.LBB9_1459:                             ;   in Loop: Header=BB9_1385 Depth=2
	s_or_b64 exec, exec, s[22:23]
	s_andn2_saveexec_b64 s[22:23], s[24:25]
	s_cbranch_execz .LBB9_1597
	s_branch .LBB9_1579
.LBB9_1460:                             ;   in Loop: Header=BB9_1385 Depth=2
	v_ashrrev_i32_e32 v8, 31, v115
	v_lshrrev_b32_e32 v8, 21, v8
	v_add_u32_e32 v8, v115, v8
	v_ashrrev_i32_e32 v57, 11, v8
	v_sub_u32_e32 v56, v57, v76
	v_cmp_lt_i32_e32 vcc, 0, v56
	s_and_saveexec_b64 s[24:25], vcc
	s_cbranch_execz .LBB9_1528
; %bb.1461:                             ;   in Loop: Header=BB9_1385 Depth=2
	s_and_b32 s74, s55, 1
	s_cmp_eq_u64 s[74:75], 0
	s_mov_b64 s[26:27], 0
	s_cselect_b64 vcc, -1, 0
	v_mov_b64_e32 v[44:45], v[68:69]
	s_branch .LBB9_1463
.LBB9_1462:                             ;   in Loop: Header=BB9_1463 Depth=3
	s_or_b64 exec, exec, s[28:29]
	v_lshrrev_b32_e32 v12, 16, v12
	v_and_or_b32 v9, v9, s80, v12
	v_lshrrev_b32_e32 v12, 16, v18
	v_and_or_b32 v8, v8, s80, v12
	v_lshrrev_b32_e32 v12, 16, v13
	v_sub_u32_e32 v56, v56, v52
	v_and_or_b32 v10, v10, s80, v12
	v_lshrrev_b32_e32 v12, 16, v14
	v_cmp_gt_i32_e64 s[22:23], 1, v56
	v_and_or_b32 v11, v11, s80, v12
	s_or_b64 s[26:27], s[22:23], s[26:27]
	v_lshl_add_u64 v[44:45], v[44:45], 0, v[70:71]
	global_store_dwordx4 v[16:17], v[8:11], off offset:1024
	s_andn2_b64 exec, exec, s[26:27]
	s_cbranch_execz .LBB9_1527
.LBB9_1463:                             ;   Parent Loop BB9_47 Depth=1
                                        ;     Parent Loop BB9_1385 Depth=2
                                        ; =>    This Inner Loop Header: Depth=3
	v_lshl_add_u64 v[12:13], v[42:43], 0, v[44:45]
	v_lshl_add_u64 v[8:9], v[118:119], 0, v[44:45]
	global_load_dwordx4 v[16:19], v[8:9], off nt
	global_load_dwordx4 v[20:23], v[12:13], off nt
	s_nop 0
	global_load_dwordx4 v[8:11], v[8:9], off offset:1024 nt
	s_nop 0
	global_load_dwordx4 v[12:15], v[12:13], off offset:1024 nt
	s_waitcnt vmcnt(0)
	v_lshlrev_b32_e32 v58, 16, v16
	v_lshlrev_b32_e32 v59, 16, v20
	v_max_f32_e32 v59, v59, v59
	v_max_f32_e32 v58, v58, v58
	v_min_f32_e32 v60, v58, v59
	v_max_f32_e32 v58, v58, v59
	v_cndmask_b32_e32 v59, v58, v60, vcc
	v_and_b32_e32 v58, 0x7f800000, v59
	v_cmp_ne_u32_e64 s[22:23], s70, v58
                                        ; implicit-def: $vgpr58
	s_and_saveexec_b64 s[28:29], s[22:23]
	s_xor_b64 s[22:23], exec, s[28:29]
; %bb.1464:                             ;   in Loop: Header=BB9_1463 Depth=3
	v_bfe_u32 v58, v59, 16, 1
	v_add3_u32 v58, v59, v58, s71
                                        ; implicit-def: $vgpr59
; %bb.1465:                             ;   in Loop: Header=BB9_1463 Depth=3
	s_andn2_saveexec_b64 s[28:29], s[22:23]
; %bb.1466:                             ;   in Loop: Header=BB9_1463 Depth=3
	v_or_b32_e32 v58, 0x10000, v59
	v_cmp_eq_u32_sdwa s[22:23], v59, v3 src0_sel:WORD_0 src1_sel:DWORD
	s_nop 1
	v_cndmask_b32_e64 v58, v58, v59, s[22:23]
; %bb.1467:                             ;   in Loop: Header=BB9_1463 Depth=3
	s_or_b64 exec, exec, s[28:29]
	v_and_b32_e32 v16, 0xffff0000, v16
	v_and_b32_e32 v20, 0xffff0000, v20
	v_max_f32_e32 v20, v20, v20
	v_max_f32_e32 v16, v16, v16
	v_min_f32_e32 v59, v16, v20
	v_max_f32_e32 v16, v16, v20
	v_cndmask_b32_e32 v16, v16, v59, vcc
	v_and_b32_e32 v20, 0x7f800000, v16
	v_cmp_ne_u32_e64 s[22:23], s70, v20
                                        ; implicit-def: $vgpr20
	s_and_saveexec_b64 s[28:29], s[22:23]
	s_xor_b64 s[22:23], exec, s[28:29]
; %bb.1468:                             ;   in Loop: Header=BB9_1463 Depth=3
	v_bfe_u32 v20, v16, 16, 1
	v_add3_u32 v20, v16, v20, s71
                                        ; implicit-def: $vgpr16
; %bb.1469:                             ;   in Loop: Header=BB9_1463 Depth=3
	s_andn2_saveexec_b64 s[28:29], s[22:23]
; %bb.1470:                             ;   in Loop: Header=BB9_1463 Depth=3
	v_or_b32_e32 v20, 0x10000, v16
	v_cmp_eq_u32_sdwa s[22:23], v16, v3 src0_sel:WORD_0 src1_sel:DWORD
	s_nop 1
	v_cndmask_b32_e64 v20, v20, v16, s[22:23]
; %bb.1471:                             ;   in Loop: Header=BB9_1463 Depth=3
	s_or_b64 exec, exec, s[28:29]
	v_lshlrev_b32_e32 v16, 16, v17
	v_lshlrev_b32_e32 v59, 16, v21
	v_max_f32_e32 v59, v59, v59
	v_max_f32_e32 v16, v16, v16
	v_min_f32_e32 v60, v16, v59
	v_max_f32_e32 v16, v16, v59
	v_cndmask_b32_e32 v16, v16, v60, vcc
	v_and_b32_e32 v59, 0x7f800000, v16
	v_cmp_ne_u32_e64 s[22:23], s70, v59
                                        ; implicit-def: $vgpr59
	s_and_saveexec_b64 s[28:29], s[22:23]
	s_xor_b64 s[22:23], exec, s[28:29]
; %bb.1472:                             ;   in Loop: Header=BB9_1463 Depth=3
	v_bfe_u32 v59, v16, 16, 1
	v_add3_u32 v59, v16, v59, s71
                                        ; implicit-def: $vgpr16
; %bb.1473:                             ;   in Loop: Header=BB9_1463 Depth=3
	s_andn2_saveexec_b64 s[28:29], s[22:23]
; %bb.1474:                             ;   in Loop: Header=BB9_1463 Depth=3
	v_or_b32_e32 v59, 0x10000, v16
	v_cmp_eq_u32_sdwa s[22:23], v16, v3 src0_sel:WORD_0 src1_sel:DWORD
	s_nop 1
	v_cndmask_b32_e64 v59, v59, v16, s[22:23]
; %bb.1475:                             ;   in Loop: Header=BB9_1463 Depth=3
	s_or_b64 exec, exec, s[28:29]
	v_and_b32_e32 v16, 0xffff0000, v17
	v_and_b32_e32 v17, 0xffff0000, v21
	v_max_f32_e32 v17, v17, v17
	v_max_f32_e32 v16, v16, v16
	v_min_f32_e32 v21, v16, v17
	v_max_f32_e32 v16, v16, v17
	v_cndmask_b32_e32 v16, v16, v21, vcc
	v_and_b32_e32 v17, 0x7f800000, v16
	v_cmp_ne_u32_e64 s[22:23], s70, v17
                                        ; implicit-def: $vgpr21
	s_and_saveexec_b64 s[28:29], s[22:23]
	s_xor_b64 s[22:23], exec, s[28:29]
; %bb.1476:                             ;   in Loop: Header=BB9_1463 Depth=3
	v_bfe_u32 v17, v16, 16, 1
	v_add3_u32 v21, v16, v17, s71
                                        ; implicit-def: $vgpr16
; %bb.1477:                             ;   in Loop: Header=BB9_1463 Depth=3
	s_andn2_saveexec_b64 s[28:29], s[22:23]
; %bb.1478:                             ;   in Loop: Header=BB9_1463 Depth=3
	v_or_b32_e32 v17, 0x10000, v16
	v_cmp_eq_u32_sdwa s[22:23], v16, v3 src0_sel:WORD_0 src1_sel:DWORD
	s_nop 1
	v_cndmask_b32_e64 v21, v17, v16, s[22:23]
; %bb.1479:                             ;   in Loop: Header=BB9_1463 Depth=3
	s_or_b64 exec, exec, s[28:29]
	v_lshlrev_b32_e32 v16, 16, v18
	v_lshlrev_b32_e32 v17, 16, v22
	v_max_f32_e32 v17, v17, v17
	v_max_f32_e32 v16, v16, v16
	v_min_f32_e32 v60, v16, v17
	v_max_f32_e32 v16, v16, v17
	v_cndmask_b32_e32 v16, v16, v60, vcc
	v_and_b32_e32 v17, 0x7f800000, v16
	v_cmp_ne_u32_e64 s[22:23], s70, v17
                                        ; implicit-def: $vgpr60
	s_and_saveexec_b64 s[28:29], s[22:23]
	s_xor_b64 s[22:23], exec, s[28:29]
; %bb.1480:                             ;   in Loop: Header=BB9_1463 Depth=3
	v_bfe_u32 v17, v16, 16, 1
	v_add3_u32 v60, v16, v17, s71
                                        ; implicit-def: $vgpr16
; %bb.1481:                             ;   in Loop: Header=BB9_1463 Depth=3
	s_andn2_saveexec_b64 s[28:29], s[22:23]
; %bb.1482:                             ;   in Loop: Header=BB9_1463 Depth=3
	v_or_b32_e32 v17, 0x10000, v16
	v_cmp_eq_u32_sdwa s[22:23], v16, v3 src0_sel:WORD_0 src1_sel:DWORD
	s_nop 1
	v_cndmask_b32_e64 v60, v17, v16, s[22:23]
; %bb.1483:                             ;   in Loop: Header=BB9_1463 Depth=3
	s_or_b64 exec, exec, s[28:29]
	v_and_b32_e32 v16, 0xffff0000, v18
	v_and_b32_e32 v17, 0xffff0000, v22
	v_max_f32_e32 v17, v17, v17
	v_max_f32_e32 v16, v16, v16
	v_min_f32_e32 v18, v16, v17
	v_max_f32_e32 v16, v16, v17
	v_cndmask_b32_e32 v16, v16, v18, vcc
	v_and_b32_e32 v17, 0x7f800000, v16
	v_cmp_ne_u32_e64 s[22:23], s70, v17
                                        ; implicit-def: $vgpr18
	s_and_saveexec_b64 s[28:29], s[22:23]
	s_xor_b64 s[22:23], exec, s[28:29]
; %bb.1484:                             ;   in Loop: Header=BB9_1463 Depth=3
	v_bfe_u32 v17, v16, 16, 1
	v_add3_u32 v18, v16, v17, s71
                                        ; implicit-def: $vgpr16
; %bb.1485:                             ;   in Loop: Header=BB9_1463 Depth=3
	s_andn2_saveexec_b64 s[28:29], s[22:23]
; %bb.1486:                             ;   in Loop: Header=BB9_1463 Depth=3
	v_or_b32_e32 v17, 0x10000, v16
	v_cmp_eq_u32_sdwa s[22:23], v16, v3 src0_sel:WORD_0 src1_sel:DWORD
	s_nop 1
	v_cndmask_b32_e64 v18, v17, v16, s[22:23]
; %bb.1487:                             ;   in Loop: Header=BB9_1463 Depth=3
	s_or_b64 exec, exec, s[28:29]
	v_lshlrev_b32_e32 v16, 16, v19
	v_lshlrev_b32_e32 v17, 16, v23
	v_max_f32_e32 v17, v17, v17
	v_max_f32_e32 v16, v16, v16
	v_min_f32_e32 v22, v16, v17
	v_max_f32_e32 v16, v16, v17
	v_cndmask_b32_e32 v16, v16, v22, vcc
	v_and_b32_e32 v17, 0x7f800000, v16
	v_cmp_ne_u32_e64 s[22:23], s70, v17
                                        ; implicit-def: $vgpr22
	s_and_saveexec_b64 s[28:29], s[22:23]
	s_xor_b64 s[22:23], exec, s[28:29]
; %bb.1488:                             ;   in Loop: Header=BB9_1463 Depth=3
	v_bfe_u32 v17, v16, 16, 1
	v_add3_u32 v22, v16, v17, s71
                                        ; implicit-def: $vgpr16
; %bb.1489:                             ;   in Loop: Header=BB9_1463 Depth=3
	s_andn2_saveexec_b64 s[28:29], s[22:23]
; %bb.1490:                             ;   in Loop: Header=BB9_1463 Depth=3
	v_or_b32_e32 v17, 0x10000, v16
	v_cmp_eq_u32_sdwa s[22:23], v16, v3 src0_sel:WORD_0 src1_sel:DWORD
	s_nop 1
	v_cndmask_b32_e64 v22, v17, v16, s[22:23]
; %bb.1491:                             ;   in Loop: Header=BB9_1463 Depth=3
	s_or_b64 exec, exec, s[28:29]
	v_and_b32_e32 v16, 0xffff0000, v19
	v_and_b32_e32 v17, 0xffff0000, v23
	v_max_f32_e32 v17, v17, v17
	v_max_f32_e32 v16, v16, v16
	v_min_f32_e32 v19, v16, v17
	v_max_f32_e32 v16, v16, v17
	v_cndmask_b32_e32 v16, v16, v19, vcc
	v_and_b32_e32 v17, 0x7f800000, v16
	v_cmp_ne_u32_e64 s[22:23], s70, v17
                                        ; implicit-def: $vgpr19
	s_and_saveexec_b64 s[28:29], s[22:23]
	s_xor_b64 s[22:23], exec, s[28:29]
; %bb.1492:                             ;   in Loop: Header=BB9_1463 Depth=3
	v_bfe_u32 v17, v16, 16, 1
	v_add3_u32 v19, v16, v17, s71
                                        ; implicit-def: $vgpr16
; %bb.1493:                             ;   in Loop: Header=BB9_1463 Depth=3
	s_andn2_saveexec_b64 s[28:29], s[22:23]
; %bb.1494:                             ;   in Loop: Header=BB9_1463 Depth=3
	v_or_b32_e32 v17, 0x10000, v16
	v_cmp_eq_u32_sdwa s[22:23], v16, v3 src0_sel:WORD_0 src1_sel:DWORD
	s_nop 1
	v_cndmask_b32_e64 v19, v17, v16, s[22:23]
; %bb.1495:                             ;   in Loop: Header=BB9_1463 Depth=3
	s_or_b64 exec, exec, s[28:29]
	v_lshrrev_b32_e32 v23, 16, v59
	v_and_or_b32 v59, v21, s80, v23
	v_lshrrev_b32_e32 v21, 16, v58
	v_and_or_b32 v58, v20, s80, v21
	;; [unrolled: 2-line block ×4, first 2 shown]
	v_lshlrev_b32_e32 v18, 16, v8
	v_lshlrev_b32_e32 v19, 16, v12
	v_max_f32_e32 v19, v19, v19
	v_max_f32_e32 v18, v18, v18
	v_min_f32_e32 v20, v18, v19
	v_max_f32_e32 v18, v18, v19
	v_cndmask_b32_e32 v19, v18, v20, vcc
	v_and_b32_e32 v18, 0x7f800000, v19
	v_lshl_add_u64 v[16:17], v[40:41], 0, v[44:45]
	v_cmp_ne_u32_e64 s[22:23], s70, v18
	global_store_dwordx4 v[16:17], v[58:61], off
                                        ; implicit-def: $vgpr18
	s_and_saveexec_b64 s[28:29], s[22:23]
	s_xor_b64 s[22:23], exec, s[28:29]
; %bb.1496:                             ;   in Loop: Header=BB9_1463 Depth=3
	v_bfe_u32 v18, v19, 16, 1
	v_add3_u32 v18, v19, v18, s71
                                        ; implicit-def: $vgpr19
; %bb.1497:                             ;   in Loop: Header=BB9_1463 Depth=3
	s_andn2_saveexec_b64 s[28:29], s[22:23]
; %bb.1498:                             ;   in Loop: Header=BB9_1463 Depth=3
	v_or_b32_e32 v18, 0x10000, v19
	v_cmp_eq_u32_sdwa s[22:23], v19, v3 src0_sel:WORD_0 src1_sel:DWORD
	s_nop 1
	v_cndmask_b32_e64 v18, v18, v19, s[22:23]
; %bb.1499:                             ;   in Loop: Header=BB9_1463 Depth=3
	s_or_b64 exec, exec, s[28:29]
	v_and_b32_e32 v8, 0xffff0000, v8
	v_and_b32_e32 v12, 0xffff0000, v12
	v_max_f32_e32 v12, v12, v12
	v_max_f32_e32 v8, v8, v8
	v_min_f32_e32 v19, v8, v12
	v_max_f32_e32 v8, v8, v12
	v_cndmask_b32_e32 v12, v8, v19, vcc
	v_and_b32_e32 v8, 0x7f800000, v12
	v_cmp_ne_u32_e64 s[22:23], s70, v8
                                        ; implicit-def: $vgpr8
	s_and_saveexec_b64 s[28:29], s[22:23]
	s_xor_b64 s[22:23], exec, s[28:29]
; %bb.1500:                             ;   in Loop: Header=BB9_1463 Depth=3
	v_bfe_u32 v8, v12, 16, 1
	v_add3_u32 v8, v12, v8, s71
                                        ; implicit-def: $vgpr12
; %bb.1501:                             ;   in Loop: Header=BB9_1463 Depth=3
	s_andn2_saveexec_b64 s[28:29], s[22:23]
; %bb.1502:                             ;   in Loop: Header=BB9_1463 Depth=3
	v_or_b32_e32 v8, 0x10000, v12
	v_cmp_eq_u32_sdwa s[22:23], v12, v3 src0_sel:WORD_0 src1_sel:DWORD
	s_nop 1
	v_cndmask_b32_e64 v8, v8, v12, s[22:23]
; %bb.1503:                             ;   in Loop: Header=BB9_1463 Depth=3
	s_or_b64 exec, exec, s[28:29]
	v_lshlrev_b32_e32 v12, 16, v9
	v_lshlrev_b32_e32 v19, 16, v13
	v_max_f32_e32 v19, v19, v19
	v_max_f32_e32 v12, v12, v12
	v_min_f32_e32 v20, v12, v19
	v_max_f32_e32 v12, v12, v19
	v_cndmask_b32_e32 v19, v12, v20, vcc
	v_and_b32_e32 v12, 0x7f800000, v19
	v_cmp_ne_u32_e64 s[22:23], s70, v12
                                        ; implicit-def: $vgpr12
	s_and_saveexec_b64 s[28:29], s[22:23]
	s_xor_b64 s[22:23], exec, s[28:29]
; %bb.1504:                             ;   in Loop: Header=BB9_1463 Depth=3
	v_bfe_u32 v12, v19, 16, 1
	v_add3_u32 v12, v19, v12, s71
                                        ; implicit-def: $vgpr19
; %bb.1505:                             ;   in Loop: Header=BB9_1463 Depth=3
	s_andn2_saveexec_b64 s[28:29], s[22:23]
; %bb.1506:                             ;   in Loop: Header=BB9_1463 Depth=3
	v_or_b32_e32 v12, 0x10000, v19
	v_cmp_eq_u32_sdwa s[22:23], v19, v3 src0_sel:WORD_0 src1_sel:DWORD
	s_nop 1
	v_cndmask_b32_e64 v12, v12, v19, s[22:23]
; %bb.1507:                             ;   in Loop: Header=BB9_1463 Depth=3
	s_or_b64 exec, exec, s[28:29]
	v_and_b32_e32 v9, 0xffff0000, v9
	v_and_b32_e32 v13, 0xffff0000, v13
	v_max_f32_e32 v13, v13, v13
	v_max_f32_e32 v9, v9, v9
	v_min_f32_e32 v19, v9, v13
	v_max_f32_e32 v9, v9, v13
	v_cndmask_b32_e32 v13, v9, v19, vcc
	v_and_b32_e32 v9, 0x7f800000, v13
	v_cmp_ne_u32_e64 s[22:23], s70, v9
                                        ; implicit-def: $vgpr9
	s_and_saveexec_b64 s[28:29], s[22:23]
	s_xor_b64 s[22:23], exec, s[28:29]
; %bb.1508:                             ;   in Loop: Header=BB9_1463 Depth=3
	v_bfe_u32 v9, v13, 16, 1
	v_add3_u32 v9, v13, v9, s71
                                        ; implicit-def: $vgpr13
; %bb.1509:                             ;   in Loop: Header=BB9_1463 Depth=3
	s_andn2_saveexec_b64 s[28:29], s[22:23]
; %bb.1510:                             ;   in Loop: Header=BB9_1463 Depth=3
	v_or_b32_e32 v9, 0x10000, v13
	v_cmp_eq_u32_sdwa s[22:23], v13, v3 src0_sel:WORD_0 src1_sel:DWORD
	s_nop 1
	v_cndmask_b32_e64 v9, v9, v13, s[22:23]
; %bb.1511:                             ;   in Loop: Header=BB9_1463 Depth=3
	s_or_b64 exec, exec, s[28:29]
	v_lshlrev_b32_e32 v13, 16, v10
	v_lshlrev_b32_e32 v19, 16, v14
	v_max_f32_e32 v19, v19, v19
	v_max_f32_e32 v13, v13, v13
	v_min_f32_e32 v20, v13, v19
	v_max_f32_e32 v13, v13, v19
	v_cndmask_b32_e32 v19, v13, v20, vcc
	v_and_b32_e32 v13, 0x7f800000, v19
	v_cmp_ne_u32_e64 s[22:23], s70, v13
                                        ; implicit-def: $vgpr13
	s_and_saveexec_b64 s[28:29], s[22:23]
	s_xor_b64 s[22:23], exec, s[28:29]
; %bb.1512:                             ;   in Loop: Header=BB9_1463 Depth=3
	v_bfe_u32 v13, v19, 16, 1
	v_add3_u32 v13, v19, v13, s71
                                        ; implicit-def: $vgpr19
; %bb.1513:                             ;   in Loop: Header=BB9_1463 Depth=3
	s_andn2_saveexec_b64 s[28:29], s[22:23]
; %bb.1514:                             ;   in Loop: Header=BB9_1463 Depth=3
	v_or_b32_e32 v13, 0x10000, v19
	v_cmp_eq_u32_sdwa s[22:23], v19, v3 src0_sel:WORD_0 src1_sel:DWORD
	s_nop 1
	v_cndmask_b32_e64 v13, v13, v19, s[22:23]
; %bb.1515:                             ;   in Loop: Header=BB9_1463 Depth=3
	s_or_b64 exec, exec, s[28:29]
	v_and_b32_e32 v10, 0xffff0000, v10
	v_and_b32_e32 v14, 0xffff0000, v14
	v_max_f32_e32 v14, v14, v14
	v_max_f32_e32 v10, v10, v10
	v_min_f32_e32 v19, v10, v14
	v_max_f32_e32 v10, v10, v14
	v_cndmask_b32_e32 v14, v10, v19, vcc
	v_and_b32_e32 v10, 0x7f800000, v14
	v_cmp_ne_u32_e64 s[22:23], s70, v10
                                        ; implicit-def: $vgpr10
	s_and_saveexec_b64 s[28:29], s[22:23]
	s_xor_b64 s[22:23], exec, s[28:29]
; %bb.1516:                             ;   in Loop: Header=BB9_1463 Depth=3
	v_bfe_u32 v10, v14, 16, 1
	v_add3_u32 v10, v14, v10, s71
                                        ; implicit-def: $vgpr14
; %bb.1517:                             ;   in Loop: Header=BB9_1463 Depth=3
	s_andn2_saveexec_b64 s[28:29], s[22:23]
; %bb.1518:                             ;   in Loop: Header=BB9_1463 Depth=3
	v_or_b32_e32 v10, 0x10000, v14
	v_cmp_eq_u32_sdwa s[22:23], v14, v3 src0_sel:WORD_0 src1_sel:DWORD
	s_nop 1
	v_cndmask_b32_e64 v10, v10, v14, s[22:23]
; %bb.1519:                             ;   in Loop: Header=BB9_1463 Depth=3
	s_or_b64 exec, exec, s[28:29]
	v_lshlrev_b32_e32 v14, 16, v11
	v_lshlrev_b32_e32 v19, 16, v15
	v_max_f32_e32 v19, v19, v19
	v_max_f32_e32 v14, v14, v14
	v_min_f32_e32 v20, v14, v19
	v_max_f32_e32 v14, v14, v19
	v_cndmask_b32_e32 v19, v14, v20, vcc
	v_and_b32_e32 v14, 0x7f800000, v19
	v_cmp_ne_u32_e64 s[22:23], s70, v14
                                        ; implicit-def: $vgpr14
	s_and_saveexec_b64 s[28:29], s[22:23]
	s_xor_b64 s[22:23], exec, s[28:29]
; %bb.1520:                             ;   in Loop: Header=BB9_1463 Depth=3
	v_bfe_u32 v14, v19, 16, 1
	v_add3_u32 v14, v19, v14, s71
                                        ; implicit-def: $vgpr19
; %bb.1521:                             ;   in Loop: Header=BB9_1463 Depth=3
	s_andn2_saveexec_b64 s[28:29], s[22:23]
; %bb.1522:                             ;   in Loop: Header=BB9_1463 Depth=3
	v_or_b32_e32 v14, 0x10000, v19
	v_cmp_eq_u32_sdwa s[22:23], v19, v3 src0_sel:WORD_0 src1_sel:DWORD
	s_nop 1
	v_cndmask_b32_e64 v14, v14, v19, s[22:23]
; %bb.1523:                             ;   in Loop: Header=BB9_1463 Depth=3
	s_or_b64 exec, exec, s[28:29]
	v_and_b32_e32 v11, 0xffff0000, v11
	v_and_b32_e32 v15, 0xffff0000, v15
	v_max_f32_e32 v15, v15, v15
	v_max_f32_e32 v11, v11, v11
	v_min_f32_e32 v19, v11, v15
	v_max_f32_e32 v11, v11, v15
	v_cndmask_b32_e32 v15, v11, v19, vcc
	v_and_b32_e32 v11, 0x7f800000, v15
	v_cmp_ne_u32_e64 s[22:23], s70, v11
                                        ; implicit-def: $vgpr11
	s_and_saveexec_b64 s[28:29], s[22:23]
	s_xor_b64 s[22:23], exec, s[28:29]
; %bb.1524:                             ;   in Loop: Header=BB9_1463 Depth=3
	v_bfe_u32 v11, v15, 16, 1
	v_add3_u32 v11, v15, v11, s71
                                        ; implicit-def: $vgpr15
; %bb.1525:                             ;   in Loop: Header=BB9_1463 Depth=3
	s_andn2_saveexec_b64 s[28:29], s[22:23]
	s_cbranch_execz .LBB9_1462
; %bb.1526:                             ;   in Loop: Header=BB9_1463 Depth=3
	v_or_b32_e32 v11, 0x10000, v15
	v_cmp_eq_u32_sdwa s[22:23], v15, v3 src0_sel:WORD_0 src1_sel:DWORD
	s_nop 1
	v_cndmask_b32_e64 v11, v11, v15, s[22:23]
	s_branch .LBB9_1462
.LBB9_1527:                             ;   in Loop: Header=BB9_1385 Depth=2
	s_or_b64 exec, exec, s[26:27]
.LBB9_1528:                             ;   in Loop: Header=BB9_1385 Depth=2
	s_or_b64 exec, exec, s[24:25]
	v_lshlrev_b32_e32 v16, 11, v57
	v_cmp_ne_u32_e32 vcc, v115, v16
	s_mov_b64 s[22:23], 0
	v_mov_b32_e32 v18, 0
                                        ; implicit-def: $vgpr19
	s_and_saveexec_b64 s[48:49], vcc
	s_cbranch_execz .LBB9_1534
; %bb.1529:                             ;   in Loop: Header=BB9_1385 Depth=2
	v_lshlrev_b32_e32 v8, 6, v56
	v_sub_u32_e32 v8, v75, v8
	v_ashrrev_i32_e32 v10, 31, v8
	v_lshrrev_b32_e32 v10, 26, v10
	v_add_u32_e32 v10, v8, v10
	v_sub_u32_e32 v9, v115, v16
	v_ashrrev_i32_e32 v11, 6, v10
	v_and_b32_e32 v10, 0xffffffc0, v10
	v_sub_u32_e32 v17, v8, v10
	v_ashrrev_i32_e32 v10, 31, v9
	v_lshrrev_b32_e32 v10, 22, v10
	v_add_u32_e32 v10, v9, v10
	v_and_b32_e32 v18, 0xfffffc00, v10
	v_lshlrev_b32_e32 v8, 4, v17
	v_sub_u32_e32 v19, v9, v18
	v_lshl_add_u32 v8, v11, 10, v8
	v_ashrrev_i32_e32 v12, 10, v10
	v_cmp_lt_i32_e32 vcc, 15, v19
	v_sub_u32_e32 v21, v9, v8
	s_nop 0
	v_addc_co_u32_e64 v9, s[22:23], 0, v12, vcc
	v_sub_u32_e32 v20, v9, v11
	v_cmp_lt_i32_e64 s[22:23], 15, v21
	s_and_saveexec_b64 s[50:51], s[22:23]
	s_cbranch_execz .LBB9_1533
; %bb.1530:                             ;   in Loop: Header=BB9_1385 Depth=2
	s_and_b32 s74, s55, 1
	v_add_u32_e32 v8, v8, v16
	s_cmp_eq_u64 s[74:75], 0
	v_ashrrev_i32_e32 v9, 31, v8
	s_mov_b64 s[52:53], 0
	s_cselect_b64 s[22:23], -1, 0
.LBB9_1531:                             ;   Parent Loop BB9_47 Depth=1
                                        ;     Parent Loop BB9_1385 Depth=2
                                        ; =>    This Inner Loop Header: Depth=3
	v_lshl_add_u64 v[12:13], v[42:43], 0, v[8:9]
	v_lshl_add_u64 v[14:15], v[118:119], 0, v[8:9]
	global_load_dwordx4 v[56:59], v[14:15], off nt
	s_nop 0
	global_load_dwordx4 v[12:15], v[12:13], off nt
	v_sub_u32_e32 v21, v21, v80
	v_cmp_gt_i32_e64 s[24:25], 16, v21
	s_or_b64 s[52:53], s[24:25], s[52:53]
	v_lshl_add_u64 v[10:11], v[40:41], 0, v[8:9]
	v_sub_u32_e32 v20, v20, v52
	v_lshl_add_u64 v[8:9], v[8:9], 0, v[80:81]
	s_waitcnt vmcnt(0)
	v_and_b32_e32 v22, 0xffff0000, v56
	v_and_b32_e32 v23, 0xffff0000, v12
	v_lshlrev_b32_e32 v44, 16, v56
	v_lshlrev_b32_e32 v12, 16, v12
	v_and_b32_e32 v45, 0xffff0000, v57
	v_and_b32_e32 v56, 0xffff0000, v13
	v_lshlrev_b32_e32 v57, 16, v57
	v_lshlrev_b32_e32 v13, 16, v13
	;; [unrolled: 4-line block ×4, first 2 shown]
	v_max_f32_e32 v12, v12, v12
	v_max_f32_e32 v44, v44, v44
	v_max_f32_e32 v23, v23, v23
	v_max_f32_e32 v22, v22, v22
	v_max_f32_e32 v13, v13, v13
	v_max_f32_e32 v57, v57, v57
	v_max_f32_e32 v56, v56, v56
	v_max_f32_e32 v45, v45, v45
	v_max_f32_e32 v14, v14, v14
	v_max_f32_e32 v58, v58, v58
	v_max_f32_e32 v61, v61, v61
	v_max_f32_e32 v60, v60, v60
	v_max_f32_e32 v15, v15, v15
	v_max_f32_e32 v59, v59, v59
	v_max_f32_e32 v63, v63, v63
	v_max_f32_e32 v62, v62, v62
	v_min_f32_e32 v72, v44, v12
	v_max_f32_e32 v12, v44, v12
	v_min_f32_e32 v44, v22, v23
	v_max_f32_e32 v22, v22, v23
	;; [unrolled: 2-line block ×8, first 2 shown]
	v_cndmask_b32_e64 v12, v12, v72, s[22:23]
	v_cndmask_b32_e64 v22, v22, v44, s[22:23]
	;; [unrolled: 1-line block ×8, first 2 shown]
	v_and_b32_e32 v56, 0x7f800000, v12
	v_bfe_u32 v57, v12, 16, 1
	v_or_b32_e32 v58, 0x10000, v12
	v_cmp_eq_u32_sdwa s[24:25], v12, v3 src0_sel:WORD_0 src1_sel:DWORD
	v_and_b32_e32 v59, 0x7f800000, v22
	v_bfe_u32 v60, v22, 16, 1
	v_or_b32_e32 v61, 0x10000, v22
	v_cmp_eq_u32_sdwa s[26:27], v22, v3 src0_sel:WORD_0 src1_sel:DWORD
	;; [unrolled: 4-line block ×3, first 2 shown]
	v_bfe_u32 v90, v23, 16, 1
	v_or_b32_e32 v91, 0x10000, v23
	v_cmp_eq_u32_sdwa s[40:41], v23, v3 src0_sel:WORD_0 src1_sel:DWORD
	v_and_b32_e32 v92, 0x7f800000, v14
	v_bfe_u32 v93, v14, 16, 1
	v_or_b32_e32 v94, 0x10000, v14
	v_cmp_eq_u32_sdwa s[42:43], v14, v3 src0_sel:WORD_0 src1_sel:DWORD
	v_bfe_u32 v104, v44, 16, 1
	v_or_b32_e32 v105, 0x10000, v44
	v_cmp_eq_u32_sdwa s[44:45], v44, v3 src0_sel:WORD_0 src1_sel:DWORD
	v_and_b32_e32 v106, 0x7f800000, v15
	v_bfe_u32 v107, v15, 16, 1
	v_or_b32_e32 v110, 0x10000, v15
	v_cmp_eq_u32_sdwa s[46:47], v15, v3 src0_sel:WORD_0 src1_sel:DWORD
	v_bfe_u32 v120, v45, 16, 1
	v_or_b32_e32 v121, 0x10000, v45
	v_cmp_eq_u32_sdwa s[56:57], v45, v3 src0_sel:WORD_0 src1_sel:DWORD
	v_and_b32_e32 v73, 0x7f800000, v23
	v_and_b32_e32 v95, 0x7f800000, v44
	;; [unrolled: 1-line block ×3, first 2 shown]
	v_add3_u32 v57, v12, v57, s71
	v_cndmask_b32_e64 v12, v58, v12, s[24:25]
	v_add3_u32 v58, v22, v60, s71
	v_cndmask_b32_e64 v22, v61, v22, s[26:27]
	v_cmp_eq_u32_e64 s[24:25], s70, v59
	v_add3_u32 v59, v13, v63, s71
	v_cndmask_b32_e64 v13, v72, v13, s[28:29]
	v_cmp_eq_u32_e64 s[26:27], s70, v62
	v_add3_u32 v60, v23, v90, s71
	v_cndmask_b32_e64 v23, v91, v23, s[40:41]
	v_add3_u32 v61, v14, v93, s71
	v_cndmask_b32_e64 v14, v94, v14, s[42:43]
	v_cmp_eq_u32_e64 s[40:41], s70, v92
	v_add3_u32 v62, v44, v104, s71
	v_cndmask_b32_e64 v44, v105, v44, s[44:45]
	;; [unrolled: 5-line block ×3, first 2 shown]
	v_cmp_eq_u32_e64 s[56:57], s70, v56
	v_cmp_eq_u32_e64 s[28:29], s70, v73
	;; [unrolled: 1-line block ×4, first 2 shown]
	v_cndmask_b32_e64 v12, v57, v12, s[56:57]
	v_cndmask_b32_e64 v13, v59, v13, s[26:27]
	;; [unrolled: 1-line block ×8, first 2 shown]
	v_lshrrev_b32_e32 v13, 16, v13
	v_lshrrev_b32_e32 v12, 16, v12
	;; [unrolled: 1-line block ×4, first 2 shown]
	v_and_or_b32 v13, v23, s80, v13
	v_and_or_b32 v12, v22, s80, v12
	;; [unrolled: 1-line block ×4, first 2 shown]
	global_store_dwordx4 v[10:11], v[12:15], off
	s_andn2_b64 exec, exec, s[52:53]
	s_cbranch_execnz .LBB9_1531
; %bb.1532:                             ;   in Loop: Header=BB9_1385 Depth=2
	s_or_b64 exec, exec, s[52:53]
.LBB9_1533:                             ;   in Loop: Header=BB9_1385 Depth=2
	s_or_b64 exec, exec, s[50:51]
	v_and_b32_e32 v8, 14, v115
	v_sub_u32_e32 v9, v19, v8
	v_cndmask_b32_e32 v9, 0, v9, vcc
	v_cndmask_b32_e32 v115, v19, v8, vcc
	v_cmp_lt_i32_e32 vcc, 0, v20
	v_add3_u32 v18, v18, v16, v9
	s_nop 0
	v_cndmask_b32_e32 v8, 0, v52, vcc
	v_sub_u32_e32 v8, v8, v20
	v_cmp_ne_u32_e32 vcc, 0, v115
	v_lshl_add_u32 v19, v8, 6, v17
	s_and_b64 s[22:23], vcc, exec
.LBB9_1534:                             ;   in Loop: Header=BB9_1385 Depth=2
	s_or_b64 exec, exec, s[48:49]
	s_and_saveexec_b64 s[24:25], s[22:23]
	s_cbranch_execz .LBB9_1559
.LBB9_1535:                             ;   in Loop: Header=BB9_1385 Depth=2
	v_ashrrev_i32_e32 v8, 31, v19
	v_ashrrev_i32_e32 v9, 31, v115
	v_lshrrev_b32_e32 v8, 26, v8
	v_lshrrev_b32_e32 v9, 23, v9
	v_add_u32_e32 v8, v19, v8
	v_add_u32_e32 v9, v115, v9
	v_ashrrev_i32_e32 v20, 6, v8
	v_ashrrev_i32_e32 v22, 9, v9
	v_sub_u32_e32 v21, v22, v20
	v_cmp_lt_i32_e32 vcc, 0, v21
	s_and_saveexec_b64 s[26:27], vcc
	s_cbranch_execz .LBB9_1555
; %bb.1536:                             ;   in Loop: Header=BB9_1385 Depth=2
	v_and_b32_e32 v8, 0x7fffffc0, v8
	v_sub_u32_e32 v8, v19, v8
	v_lshlrev_b32_e32 v8, 1, v8
	v_lshlrev_b32_e32 v9, 9, v20
	s_and_b32 s74, s55, 1
	v_add3_u32 v8, v8, v18, v9
	s_cmp_eq_u64 s[74:75], 0
	v_ashrrev_i32_e32 v9, 31, v8
	s_mov_b64 s[28:29], 0
	s_cselect_b64 vcc, -1, 0
	v_mov_b64_e32 v[10:11], v[40:41]
	v_mov_b64_e32 v[12:13], v[118:119]
	;; [unrolled: 1-line block ×3, first 2 shown]
	s_branch .LBB9_1538
.LBB9_1537:                             ;   in Loop: Header=BB9_1538 Depth=3
	s_or_b64 exec, exec, s[40:41]
	v_sub_u32_e32 v21, v21, v52
	v_cmp_gt_i32_e64 s[22:23], 1, v21
	v_lshl_add_u64 v[14:15], v[14:15], 0, v[82:83]
	v_lshl_add_u64 v[12:13], v[12:13], 0, v[82:83]
	s_or_b64 s[28:29], s[22:23], s[28:29]
	v_lshl_add_u64 v[10:11], v[10:11], 0, v[82:83]
	flat_store_short_d16_hi v[16:17], v44 offset:384 nt
	s_andn2_b64 exec, exec, s[28:29]
	s_cbranch_execz .LBB9_1554
.LBB9_1538:                             ;   Parent Loop BB9_47 Depth=1
                                        ;     Parent Loop BB9_1385 Depth=2
                                        ; =>    This Inner Loop Header: Depth=3
	v_lshl_add_u64 v[58:59], v[8:9], 0, v[12:13]
	v_lshl_add_u64 v[16:17], v[8:9], 0, v[14:15]
	flat_load_ushort v45, v[58:59] offset:256 nt
	flat_load_ushort v23, v[58:59] offset:384 nt
	flat_load_ushort v60, v[58:59] nt
	flat_load_ushort v56, v[16:17] offset:256 nt
	flat_load_ushort v44, v[16:17] offset:384 nt
	flat_load_ushort v61, v[16:17] nt
	flat_load_ushort v57, v[58:59] offset:128 nt
	s_nop 0
	flat_load_ushort v58, v[16:17] offset:128 nt
	s_waitcnt vmcnt(0) lgkmcnt(0)
	v_lshlrev_b32_e32 v16, 16, v60
	v_max_f32_e32 v16, v16, v16
	v_lshlrev_b32_e32 v17, 16, v61
	v_max_f32_e32 v17, v17, v17
	v_min_f32_e32 v59, v16, v17
	v_max_f32_e32 v16, v16, v17
	v_cndmask_b32_e32 v16, v16, v59, vcc
	v_and_b32_e32 v17, 0x7f800000, v16
	v_cmp_ne_u32_e64 s[22:23], s70, v17
                                        ; implicit-def: $vgpr59
	s_and_saveexec_b64 s[40:41], s[22:23]
	s_xor_b64 s[22:23], exec, s[40:41]
; %bb.1539:                             ;   in Loop: Header=BB9_1538 Depth=3
	v_bfe_u32 v17, v16, 16, 1
	v_add3_u32 v59, v16, v17, s71
                                        ; implicit-def: $vgpr16
; %bb.1540:                             ;   in Loop: Header=BB9_1538 Depth=3
	s_andn2_saveexec_b64 s[40:41], s[22:23]
; %bb.1541:                             ;   in Loop: Header=BB9_1538 Depth=3
	v_or_b32_e32 v17, 0x10000, v16
	v_cmp_eq_u32_sdwa s[22:23], v16, v3 src0_sel:WORD_0 src1_sel:DWORD
	s_nop 1
	v_cndmask_b32_e64 v59, v17, v16, s[22:23]
; %bb.1542:                             ;   in Loop: Header=BB9_1538 Depth=3
	s_or_b64 exec, exec, s[40:41]
	v_lshlrev_b32_e32 v57, 16, v57
	v_lshlrev_b32_e32 v58, 16, v58
	v_lshl_add_u64 v[16:17], v[8:9], 0, v[10:11]
	v_max_f32_e32 v58, v58, v58
	v_max_f32_e32 v57, v57, v57
	flat_store_short_d16_hi v[16:17], v59 nt
	v_min_f32_e32 v59, v57, v58
	v_max_f32_e32 v57, v57, v58
	v_cndmask_b32_e32 v57, v57, v59, vcc
	v_and_b32_e32 v58, 0x7f800000, v57
	v_cmp_ne_u32_e64 s[22:23], s70, v58
                                        ; implicit-def: $vgpr58
	s_and_saveexec_b64 s[40:41], s[22:23]
	s_xor_b64 s[22:23], exec, s[40:41]
; %bb.1543:                             ;   in Loop: Header=BB9_1538 Depth=3
	v_bfe_u32 v58, v57, 16, 1
	v_add3_u32 v58, v57, v58, s71
                                        ; implicit-def: $vgpr57
; %bb.1544:                             ;   in Loop: Header=BB9_1538 Depth=3
	s_andn2_saveexec_b64 s[40:41], s[22:23]
; %bb.1545:                             ;   in Loop: Header=BB9_1538 Depth=3
	v_or_b32_e32 v58, 0x10000, v57
	v_cmp_eq_u32_sdwa s[22:23], v57, v3 src0_sel:WORD_0 src1_sel:DWORD
	s_nop 1
	v_cndmask_b32_e64 v58, v58, v57, s[22:23]
; %bb.1546:                             ;   in Loop: Header=BB9_1538 Depth=3
	s_or_b64 exec, exec, s[40:41]
	v_lshlrev_b32_e32 v45, 16, v45
	v_lshlrev_b32_e32 v56, 16, v56
	v_max_f32_e32 v56, v56, v56
	v_max_f32_e32 v45, v45, v45
	v_min_f32_e32 v57, v45, v56
	v_max_f32_e32 v45, v45, v56
	v_cndmask_b32_e32 v45, v45, v57, vcc
	v_and_b32_e32 v56, 0x7f800000, v45
	v_cmp_ne_u32_e64 s[22:23], s70, v56
	flat_store_short_d16_hi v[16:17], v58 offset:128 nt
                                        ; implicit-def: $vgpr56
	s_and_saveexec_b64 s[40:41], s[22:23]
	s_xor_b64 s[22:23], exec, s[40:41]
; %bb.1547:                             ;   in Loop: Header=BB9_1538 Depth=3
	v_bfe_u32 v56, v45, 16, 1
	v_add3_u32 v56, v45, v56, s71
                                        ; implicit-def: $vgpr45
; %bb.1548:                             ;   in Loop: Header=BB9_1538 Depth=3
	s_andn2_saveexec_b64 s[40:41], s[22:23]
; %bb.1549:                             ;   in Loop: Header=BB9_1538 Depth=3
	v_or_b32_e32 v56, 0x10000, v45
	v_cmp_eq_u32_sdwa s[22:23], v45, v3 src0_sel:WORD_0 src1_sel:DWORD
	s_nop 1
	v_cndmask_b32_e64 v56, v56, v45, s[22:23]
; %bb.1550:                             ;   in Loop: Header=BB9_1538 Depth=3
	s_or_b64 exec, exec, s[40:41]
	v_lshlrev_b32_e32 v23, 16, v23
	v_lshlrev_b32_e32 v44, 16, v44
	v_max_f32_e32 v44, v44, v44
	v_max_f32_e32 v23, v23, v23
	v_min_f32_e32 v45, v23, v44
	v_max_f32_e32 v23, v23, v44
	v_cndmask_b32_e32 v23, v23, v45, vcc
	v_and_b32_e32 v44, 0x7f800000, v23
	v_cmp_ne_u32_e64 s[22:23], s70, v44
	flat_store_short_d16_hi v[16:17], v56 offset:256 nt
                                        ; implicit-def: $vgpr44
	s_and_saveexec_b64 s[40:41], s[22:23]
	s_xor_b64 s[22:23], exec, s[40:41]
; %bb.1551:                             ;   in Loop: Header=BB9_1538 Depth=3
	v_bfe_u32 v44, v23, 16, 1
	v_add3_u32 v44, v23, v44, s71
                                        ; implicit-def: $vgpr23
; %bb.1552:                             ;   in Loop: Header=BB9_1538 Depth=3
	s_andn2_saveexec_b64 s[40:41], s[22:23]
	s_cbranch_execz .LBB9_1537
; %bb.1553:                             ;   in Loop: Header=BB9_1538 Depth=3
	v_or_b32_e32 v44, 0x10000, v23
	v_cmp_eq_u32_sdwa s[22:23], v23, v3 src0_sel:WORD_0 src1_sel:DWORD
	s_nop 1
	v_cndmask_b32_e64 v44, v44, v23, s[22:23]
	s_branch .LBB9_1537
.LBB9_1554:                             ;   in Loop: Header=BB9_1385 Depth=2
	s_or_b64 exec, exec, s[28:29]
.LBB9_1555:                             ;   in Loop: Header=BB9_1385 Depth=2
	s_or_b64 exec, exec, s[26:27]
	v_lshlrev_b32_e32 v8, 9, v22
	v_cmp_ne_u32_e32 vcc, v115, v8
	s_and_b64 exec, exec, vcc
	s_cbranch_execz .LBB9_1559
; %bb.1556:                             ;   in Loop: Header=BB9_1385 Depth=2
	v_lshlrev_b32_e32 v9, 6, v20
	v_sub_u32_e32 v9, v19, v9
	v_lshlrev_b32_e32 v10, 6, v21
	v_sub_u32_e32 v9, v9, v10
	v_ashrrev_i32_e32 v10, 31, v9
	v_lshrrev_b32_e32 v10, 26, v10
	v_add_u32_e32 v10, v9, v10
	v_and_b32_e32 v11, 0x7fffffc0, v10
	v_sub_u32_e32 v9, v9, v11
	v_lshlrev_b32_e32 v10, 1, v10
	v_and_b32_e32 v10, 0xffffff80, v10
	v_lshlrev_b32_e32 v9, 1, v9
	v_add3_u32 v8, v10, v9, v8
	v_sub_u32_e32 v10, v115, v8
	v_cmp_lt_i32_e32 vcc, 1, v10
	s_and_b64 exec, exec, vcc
	s_cbranch_execz .LBB9_1559
; %bb.1557:                             ;   in Loop: Header=BB9_1385 Depth=2
	s_and_b32 s74, s55, 1
	v_add_u32_e32 v8, v8, v18
	s_cmp_eq_u64 s[74:75], 0
	v_ashrrev_i32_e32 v9, 31, v8
	s_mov_b64 s[26:27], 0
	s_cselect_b64 vcc, -1, 0
.LBB9_1558:                             ;   Parent Loop BB9_47 Depth=1
                                        ;     Parent Loop BB9_1385 Depth=2
                                        ; =>    This Inner Loop Header: Depth=3
	v_lshl_add_u64 v[14:15], v[118:119], 0, v[8:9]
	v_lshl_add_u64 v[12:13], v[42:43], 0, v[8:9]
	flat_load_ushort v11, v[14:15] nt
	s_nop 0
	flat_load_ushort v14, v[12:13] nt
	v_sub_u32_e32 v10, v10, v84
	v_cmp_gt_i32_e64 s[22:23], 2, v10
	s_or_b64 s[26:27], s[22:23], s[26:27]
	v_lshl_add_u64 v[12:13], v[40:41], 0, v[8:9]
	v_lshl_add_u64 v[8:9], v[8:9], 0, v[84:85]
	s_waitcnt vmcnt(0) lgkmcnt(0)
	v_lshlrev_b32_e32 v11, 16, v11
	v_lshlrev_b32_e32 v14, 16, v14
	v_max_f32_e32 v14, v14, v14
	v_max_f32_e32 v11, v11, v11
	v_min_f32_e32 v15, v11, v14
	v_max_f32_e32 v11, v11, v14
	v_cndmask_b32_e32 v11, v11, v15, vcc
	v_and_b32_e32 v14, 0x7f800000, v11
	v_bfe_u32 v15, v11, 16, 1
	v_or_b32_e32 v16, 0x10000, v11
	v_cmp_eq_u32_sdwa s[22:23], v11, v3 src0_sel:WORD_0 src1_sel:DWORD
	v_add3_u32 v15, v11, v15, s71
	s_nop 0
	v_cndmask_b32_e64 v11, v16, v11, s[22:23]
	v_cmp_eq_u32_e64 s[22:23], s70, v14
	s_nop 1
	v_cndmask_b32_e64 v11, v15, v11, s[22:23]
	flat_store_short_d16_hi v[12:13], v11 nt
	s_andn2_b64 exec, exec, s[26:27]
	s_cbranch_execnz .LBB9_1558
.LBB9_1559:                             ;   in Loop: Header=BB9_1385 Depth=2
	s_or_b64 exec, exec, s[24:25]
	v_cmp_lt_i32_e64 s[22:23], 0, v2
	s_and_saveexec_b64 s[24:25], s[4:5]
	s_cbranch_execz .LBB9_1456
.LBB9_1560:                             ;   in Loop: Header=BB9_1385 Depth=2
	s_and_saveexec_b64 s[26:27], s[76:77]
	s_xor_b64 s[26:27], exec, s[26:27]
	s_cbranch_execz .LBB9_1575
; %bb.1561:                             ;   in Loop: Header=BB9_1385 Depth=2
	s_and_saveexec_b64 s[28:29], s[12:13]
	s_cbranch_execz .LBB9_1574
; %bb.1562:                             ;   in Loop: Header=BB9_1385 Depth=2
	s_mov_b64 s[42:43], exec
	v_mbcnt_lo_u32_b32 v2, s42, 0
	v_mbcnt_hi_u32_b32 v2, s43, v2
	v_cmp_eq_u32_e32 vcc, 0, v2
	s_waitcnt lgkmcnt(0)
	s_and_saveexec_b64 s[40:41], vcc
	s_cbranch_execz .LBB9_1564
; %bb.1563:                             ;   in Loop: Header=BB9_1385 Depth=2
	s_bcnt1_i32_b64 s42, s[42:43]
	v_mov_b32_e32 v2, s42
	ds_add_u64 v0, v[2:3]
	s_trap 2
.LBB9_1564:                             ;   in Loop: Header=BB9_1385 Depth=2
	s_or_b64 exec, exec, s[40:41]
	s_trap 2
	ds_read_b64 v[8:9], v0
	s_waitcnt lgkmcnt(0)
	v_lshl_add_u64 v[38:39], v[38:39], 0, v[52:53]
	v_cmp_lt_u64_e32 vcc, v[8:9], v[38:39]
	s_and_saveexec_b64 s[40:41], vcc
	s_cbranch_execz .LBB9_1573
; %bb.1565:                             ;   in Loop: Header=BB9_1385 Depth=2
	s_mov_b32 s74, 0
	s_mov_b64 s[42:43], 0
                                        ; implicit-def: $sgpr44_sgpr45
                                        ; implicit-def: $sgpr46_sgpr47
	s_branch .LBB9_1567
.LBB9_1566:                             ;   in Loop: Header=BB9_1567 Depth=3
	s_or_b64 exec, exec, s[48:49]
	s_and_b64 s[56:57], exec, vcc
	s_or_b64 s[42:43], s[56:57], s[42:43]
	s_andn2_b64 s[44:45], s[44:45], exec
	s_and_b64 s[56:57], s[46:47], exec
	s_or_b64 s[44:45], s[44:45], s[56:57]
	s_andn2_b64 exec, exec, s[42:43]
	s_cbranch_execz .LBB9_1571
.LBB9_1567:                             ;   Parent Loop BB9_47 Depth=1
                                        ;     Parent Loop BB9_1385 Depth=2
                                        ; =>    This Inner Loop Header: Depth=3
	s_add_i32 s74, s74, 1
	s_cmpk_lg_i32 s74, 0x2710
	s_cselect_b64 s[56:57], -1, 0
	s_and_b64 vcc, exec, s[56:57]
	s_cbranch_vccz .LBB9_1569
; %bb.1568:                             ;   in Loop: Header=BB9_1567 Depth=3
	s_mov_b64 vcc, -1
	s_or_b64 s[46:47], s[46:47], exec
	s_and_saveexec_b64 s[48:49], s[56:57]
	s_cbranch_execz .LBB9_1566
	s_branch .LBB9_1570
.LBB9_1569:                             ;   in Loop: Header=BB9_1567 Depth=3
	s_trap 2
	ds_read_b64 v[8:9], v0
	s_andn2_b64 s[56:57], s[56:57], exec
	s_mov_b32 s74, 0
	s_waitcnt vmcnt(0) lgkmcnt(0)
	flat_load_dword v2, v[8:9] sc0 sc1
	s_waitcnt vmcnt(0) lgkmcnt(0)
	buffer_inv sc0 sc1
	v_cmp_eq_u32_e32 vcc, 0, v2
	s_and_b64 vcc, vcc, exec
	s_or_b64 s[56:57], s[56:57], vcc
	s_mov_b64 vcc, -1
	s_or_b64 s[46:47], s[46:47], exec
	s_and_saveexec_b64 s[48:49], s[56:57]
	s_cbranch_execz .LBB9_1566
.LBB9_1570:                             ;   in Loop: Header=BB9_1567 Depth=3
	s_sleep 1
	s_trap 2
	ds_read_b64 v[8:9], v0
	s_waitcnt lgkmcnt(0)
	s_andn2_b64 s[46:47], s[46:47], exec
	v_cmp_ge_u64_e32 vcc, v[8:9], v[38:39]
	s_orn2_b64 vcc, vcc, exec
	s_branch .LBB9_1566
.LBB9_1571:                             ;   in Loop: Header=BB9_1385 Depth=2
	s_or_b64 exec, exec, s[42:43]
	s_and_saveexec_b64 s[42:43], s[44:45]
	s_xor_b64 s[42:43], exec, s[42:43]
	s_cbranch_execz .LBB9_1573
; %bb.1572:                             ;   in Loop: Header=BB9_1385 Depth=2
	ds_write_b32 v0, v77
	s_trap 2
.LBB9_1573:                             ;   in Loop: Header=BB9_1385 Depth=2
	s_or_b64 exec, exec, s[40:41]
	;;#ASMSTART
	s_wakeup
	;;#ASMEND
.LBB9_1574:                             ;   in Loop: Header=BB9_1385 Depth=2
	s_or_b64 exec, exec, s[28:29]
.LBB9_1575:                             ;   in Loop: Header=BB9_1385 Depth=2
	s_andn2_saveexec_b64 s[26:27], s[26:27]
	s_cbranch_execz .LBB9_1577
; %bb.1576:                             ;   in Loop: Header=BB9_1385 Depth=2
	s_waitcnt lgkmcnt(0)
	s_barrier
.LBB9_1577:                             ;   in Loop: Header=BB9_1385 Depth=2
	s_or_b64 exec, exec, s[26:27]
	s_or_b64 exec, exec, s[24:25]
	s_and_saveexec_b64 s[24:25], s[20:21]
	s_xor_b64 s[24:25], exec, s[24:25]
	s_cbranch_execnz .LBB9_1457
.LBB9_1578:                             ;   in Loop: Header=BB9_1385 Depth=2
	s_andn2_saveexec_b64 s[22:23], s[24:25]
	s_cbranch_execz .LBB9_1597
.LBB9_1579:                             ;   in Loop: Header=BB9_1385 Depth=2
	s_and_saveexec_b64 s[24:25], s[76:77]
	s_xor_b64 s[24:25], exec, s[24:25]
	s_cbranch_execz .LBB9_1594
; %bb.1580:                             ;   in Loop: Header=BB9_1385 Depth=2
	s_and_saveexec_b64 s[26:27], s[12:13]
	s_cbranch_execz .LBB9_1593
; %bb.1581:                             ;   in Loop: Header=BB9_1385 Depth=2
	s_mov_b64 s[40:41], exec
	v_mbcnt_lo_u32_b32 v2, s40, 0
	v_mbcnt_hi_u32_b32 v2, s41, v2
	v_cmp_eq_u32_e32 vcc, 0, v2
	;;#ASMSTART
	s_waitcnt lgkmcnt(0) vmcnt(0)
	;;#ASMEND
	s_and_saveexec_b64 s[28:29], vcc
	s_cbranch_execz .LBB9_1583
; %bb.1582:                             ;   in Loop: Header=BB9_1385 Depth=2
	s_bcnt1_i32_b64 s40, s[40:41]
	v_mov_b32_e32 v2, s40
	s_waitcnt lgkmcnt(0)
	ds_add_u64 v0, v[2:3]
	s_trap 2
.LBB9_1583:                             ;   in Loop: Header=BB9_1385 Depth=2
	s_or_b64 exec, exec, s[28:29]
	s_trap 2
	ds_read_b64 v[8:9], v0
	s_waitcnt lgkmcnt(0)
	v_lshl_add_u64 v[38:39], v[38:39], 0, v[52:53]
	v_cmp_lt_u64_e32 vcc, v[8:9], v[38:39]
	s_and_saveexec_b64 s[28:29], vcc
	s_cbranch_execz .LBB9_1592
; %bb.1584:                             ;   in Loop: Header=BB9_1385 Depth=2
	s_mov_b32 s74, 0
	s_mov_b64 s[40:41], 0
                                        ; implicit-def: $sgpr42_sgpr43
                                        ; implicit-def: $sgpr44_sgpr45
	s_branch .LBB9_1586
.LBB9_1585:                             ;   in Loop: Header=BB9_1586 Depth=3
	s_or_b64 exec, exec, s[56:57]
	s_and_b64 s[46:47], exec, vcc
	s_or_b64 s[40:41], s[46:47], s[40:41]
	s_andn2_b64 s[42:43], s[42:43], exec
	s_and_b64 s[46:47], s[44:45], exec
	s_or_b64 s[42:43], s[42:43], s[46:47]
	s_andn2_b64 exec, exec, s[40:41]
	s_cbranch_execz .LBB9_1590
.LBB9_1586:                             ;   Parent Loop BB9_47 Depth=1
                                        ;     Parent Loop BB9_1385 Depth=2
                                        ; =>    This Inner Loop Header: Depth=3
	s_add_i32 s74, s74, 1
	s_cmpk_lg_i32 s74, 0x2710
	s_cselect_b64 s[46:47], -1, 0
	s_and_b64 vcc, exec, s[46:47]
	s_cbranch_vccz .LBB9_1588
; %bb.1587:                             ;   in Loop: Header=BB9_1586 Depth=3
	s_mov_b64 vcc, -1
	s_or_b64 s[44:45], s[44:45], exec
	s_and_saveexec_b64 s[56:57], s[46:47]
	s_cbranch_execz .LBB9_1585
	s_branch .LBB9_1589
.LBB9_1588:                             ;   in Loop: Header=BB9_1586 Depth=3
	s_trap 2
	ds_read_b64 v[8:9], v0
	s_andn2_b64 s[46:47], s[46:47], exec
	s_mov_b32 s74, 0
	s_waitcnt vmcnt(0) lgkmcnt(0)
	flat_load_dword v2, v[8:9] sc0 sc1
	s_waitcnt vmcnt(0) lgkmcnt(0)
	buffer_inv sc0 sc1
	v_cmp_eq_u32_e32 vcc, 0, v2
	s_and_b64 s[56:57], vcc, exec
	s_or_b64 s[46:47], s[46:47], s[56:57]
	s_mov_b64 vcc, -1
	s_or_b64 s[44:45], s[44:45], exec
	s_and_saveexec_b64 s[56:57], s[46:47]
	s_cbranch_execz .LBB9_1585
.LBB9_1589:                             ;   in Loop: Header=BB9_1586 Depth=3
	s_sleep 1
	s_trap 2
	ds_read_b64 v[8:9], v0
	s_waitcnt lgkmcnt(0)
	s_andn2_b64 s[44:45], s[44:45], exec
	v_cmp_ge_u64_e32 vcc, v[8:9], v[38:39]
	s_orn2_b64 vcc, vcc, exec
	s_branch .LBB9_1585
.LBB9_1590:                             ;   in Loop: Header=BB9_1385 Depth=2
	s_or_b64 exec, exec, s[40:41]
	s_and_saveexec_b64 s[40:41], s[42:43]
	s_xor_b64 s[40:41], exec, s[40:41]
	s_cbranch_execz .LBB9_1592
; %bb.1591:                             ;   in Loop: Header=BB9_1385 Depth=2
	ds_write_b32 v0, v77
	s_trap 2
.LBB9_1592:                             ;   in Loop: Header=BB9_1385 Depth=2
	s_or_b64 exec, exec, s[28:29]
	;;#ASMSTART
	s_wakeup
	;;#ASMEND
.LBB9_1593:                             ;   in Loop: Header=BB9_1385 Depth=2
	s_or_b64 exec, exec, s[26:27]
.LBB9_1594:                             ;   in Loop: Header=BB9_1385 Depth=2
	s_andn2_saveexec_b64 s[24:25], s[24:25]
	s_cbranch_execz .LBB9_1596
; %bb.1595:                             ;   in Loop: Header=BB9_1385 Depth=2
	;;#ASMSTART
	s_waitcnt lgkmcnt(0) vmcnt(0)
	;;#ASMEND
	s_barrier
.LBB9_1596:                             ;   in Loop: Header=BB9_1385 Depth=2
	s_or_b64 exec, exec, s[24:25]
.LBB9_1597:                             ;   in Loop: Header=BB9_1385 Depth=2
	s_or_b64 exec, exec, s[22:23]
	v_and_b32_e32 v2, 32, v74
	v_cmp_ne_u32_e32 vcc, 0, v2
	s_and_saveexec_b64 s[22:23], vcc
	s_cbranch_execz .LBB9_1384
; %bb.1598:                             ;   in Loop: Header=BB9_1385 Depth=2
	v_lshl_add_u64 v[112:113], v[112:113], 0, 2
	flat_store_dwordx2 v[32:33], v[112:113] sc0 sc1
	s_branch .LBB9_1384
.LBB9_1599:                             ;   in Loop: Header=BB9_47 Depth=1
	s_or_b64 exec, exec, s[60:61]
.LBB9_1600:                             ;   in Loop: Header=BB9_47 Depth=1
	s_or_b64 exec, exec, s[58:59]
	v_cmp_gt_i32_e32 vcc, 2, v2
	s_and_saveexec_b64 s[24:25], vcc
	s_cbranch_execz .LBB9_46
; %bb.1601:                             ;   in Loop: Header=BB9_47 Depth=1
	v_cmp_eq_u32_e64 s[28:29], 0, v2
	s_mov_b64 s[26:27], 0
	s_branch .LBB9_1603
.LBB9_1602:                             ;   in Loop: Header=BB9_1603 Depth=2
	s_or_b64 exec, exec, s[22:23]
	v_add_u32_e32 v114, v47, v114
	s_mov_b64 s[28:29], 0
	s_andn2_b64 exec, exec, s[26:27]
	s_cbranch_execz .LBB9_45
.LBB9_1603:                             ;   Parent Loop BB9_47 Depth=1
                                        ; =>  This Loop Header: Depth=2
                                        ;       Child Loop BB9_1609 Depth 3
                                        ;       Child Loop BB9_1633 Depth 3
	;; [unrolled: 1-line block ×3, first 2 shown]
	v_and_b32_e32 v2, 4, v74
	v_cmp_ne_u32_e32 vcc, 0, v2
	s_and_saveexec_b64 s[40:41], vcc
	s_cbranch_execz .LBB9_1625
; %bb.1604:                             ;   in Loop: Header=BB9_1603 Depth=2
	v_lshl_add_u64 v[8:9], v[112:113], 0, 2
	s_waitcnt vmcnt(0) lgkmcnt(0)
	v_cmp_lt_u64_e32 vcc, v[48:49], v[8:9]
	s_and_saveexec_b64 s[42:43], vcc
	s_cbranch_execz .LBB9_1616
; %bb.1605:                             ;   in Loop: Header=BB9_1603 Depth=2
	v_and_b32_e32 v2, 64, v74
	s_mov_b32 s74, 0
	v_cmp_eq_u32_e32 vcc, 0, v2
	s_mov_b64 s[44:45], 0
                                        ; implicit-def: $sgpr46_sgpr47
                                        ; implicit-def: $sgpr56_sgpr57
                                        ; implicit-def: $sgpr58_sgpr59
	s_branch .LBB9_1609
.LBB9_1606:                             ;   in Loop: Header=BB9_1609 Depth=3
	s_waitcnt vmcnt(0) lgkmcnt(0)
	v_cmp_ge_u64_e64 s[22:23], v[48:49], v[8:9]
	s_or_b64 s[48:49], s[48:49], exec
	s_orn2_b64 s[38:39], s[22:23], exec
.LBB9_1607:                             ;   in Loop: Header=BB9_1609 Depth=3
	s_or_b64 exec, exec, s[52:53]
	s_andn2_b64 s[22:23], s[58:59], exec
	s_and_b64 s[58:59], s[48:49], exec
	s_or_b64 s[58:59], s[22:23], s[58:59]
	s_andn2_b64 s[22:23], s[56:57], exec
	s_and_b64 s[56:57], s[38:39], exec
	s_or_b64 s[56:57], s[22:23], s[56:57]
.LBB9_1608:                             ;   in Loop: Header=BB9_1609 Depth=3
	s_or_b64 exec, exec, s[60:61]
	s_and_b64 s[22:23], exec, s[56:57]
	s_or_b64 s[44:45], s[22:23], s[44:45]
	s_andn2_b64 s[22:23], s[46:47], exec
	s_and_b64 s[46:47], s[58:59], exec
	s_or_b64 s[46:47], s[22:23], s[46:47]
	s_andn2_b64 exec, exec, s[44:45]
	s_cbranch_execz .LBB9_1613
.LBB9_1609:                             ;   Parent Loop BB9_47 Depth=1
                                        ;     Parent Loop BB9_1603 Depth=2
                                        ; =>    This Inner Loop Header: Depth=3
	s_sleep 1
	s_waitcnt vmcnt(0) lgkmcnt(0)
	flat_load_dwordx2 v[48:49], v[32:33] sc0 sc1
	s_or_b64 s[58:59], s[58:59], exec
	s_or_b64 s[56:57], s[56:57], exec
                                        ; implicit-def: $vgpr2
	s_and_saveexec_b64 s[60:61], vcc
	s_cbranch_execz .LBB9_1608
; %bb.1610:                             ;   in Loop: Header=BB9_1609 Depth=3
	s_cmpk_lt_i32 s74, 0x270f
	s_cselect_b64 s[50:51], -1, 0
	s_cmpk_gt_i32 s74, 0x270e
	s_mov_b64 s[38:39], -1
	s_cbranch_scc0 .LBB9_1612
; %bb.1611:                             ;   in Loop: Header=BB9_1609 Depth=3
	s_trap 2
	ds_read_b64 v[10:11], v0
	s_andn2_b64 s[50:51], s[50:51], exec
	s_mov_b32 s74, 0
	s_mov_b64 s[48:49], 0
	s_waitcnt vmcnt(0) lgkmcnt(0)
	flat_load_dword v2, v[10:11] sc0 sc1
	s_waitcnt vmcnt(0) lgkmcnt(0)
	buffer_inv sc0 sc1
	v_cmp_eq_u32_e64 s[22:23], 0, v2
	s_and_b64 s[22:23], s[22:23], exec
	s_or_b64 s[50:51], s[50:51], s[22:23]
	s_and_saveexec_b64 s[52:53], s[50:51]
	s_cbranch_execz .LBB9_1607
	s_branch .LBB9_1606
.LBB9_1612:                             ;   in Loop: Header=BB9_1609 Depth=3
	s_add_i32 s74, s74, 1
	s_mov_b64 s[48:49], -1
                                        ; implicit-def: $vgpr2
	s_and_saveexec_b64 s[52:53], s[50:51]
	s_cbranch_execz .LBB9_1607
	s_branch .LBB9_1606
.LBB9_1613:                             ;   in Loop: Header=BB9_1603 Depth=2
	s_or_b64 exec, exec, s[44:45]
	s_xor_b64 s[22:23], s[46:47], -1
	s_and_saveexec_b64 s[44:45], s[22:23]
	s_xor_b64 s[22:23], exec, s[44:45]
	s_cbranch_execz .LBB9_1615
; %bb.1614:                             ;   in Loop: Header=BB9_1603 Depth=2
	v_or_b32_e32 v74, 64, v74
	s_waitcnt lgkmcnt(0)
	ds_write_b32 v0, v2
	s_trap 2
.LBB9_1615:                             ;   in Loop: Header=BB9_1603 Depth=2
	s_or_b64 exec, exec, s[22:23]
.LBB9_1616:                             ;   in Loop: Header=BB9_1603 Depth=2
	s_or_b64 exec, exec, s[42:43]
	v_and_b32_e32 v2, 0x100, v74
	v_cmp_ne_u32_e32 vcc, 0, v2
	v_and_b32_e32 v2, 7, v112
	s_mov_b64 s[22:23], -1
	;;#ASMSTART
	s_wakeup
	;;#ASMEND
                                        ; implicit-def: $vgpr10_vgpr11
	s_and_saveexec_b64 s[42:43], vcc
	s_cbranch_execz .LBB9_1620
; %bb.1617:                             ;   in Loop: Header=BB9_1603 Depth=2
	v_mad_u64_u32 v[12:13], s[22:23], v2, 24, v[6:7]
	flat_load_dword v10, v[12:13]
	s_waitcnt vmcnt(0) lgkmcnt(0)
	v_cmp_ne_u32_e32 vcc, 1, v10
	v_cmp_eq_u32_e64 s[22:23], 1, v10
                                        ; implicit-def: $vgpr10_vgpr11
	s_and_saveexec_b64 s[44:45], s[22:23]
	s_cbranch_execz .LBB9_1619
; %bb.1618:                             ;   in Loop: Header=BB9_1603 Depth=2
	flat_load_dword v10, v[12:13] offset:4 sc0 sc1
	s_waitcnt vmcnt(0) lgkmcnt(0)
	v_ashrrev_i32_e32 v11, 31, v10
	v_lshrrev_b64 v[10:11], 1, v[10:11]
.LBB9_1619:                             ;   in Loop: Header=BB9_1603 Depth=2
	s_or_b64 exec, exec, s[44:45]
	s_orn2_b64 s[22:23], vcc, exec
.LBB9_1620:                             ;   in Loop: Header=BB9_1603 Depth=2
	s_or_b64 exec, exec, s[42:43]
	s_and_saveexec_b64 s[42:43], s[22:23]
; %bb.1621:                             ;   in Loop: Header=BB9_1603 Depth=2
	v_mad_i64_i32 v[10:11], s[22:23], v2, v30, 0
; %bb.1622:                             ;   in Loop: Header=BB9_1603 Depth=2
	s_or_b64 exec, exec, s[42:43]
	v_and_b32_e32 v2, 0x2000, v74
	v_lshl_add_u64 v[10:11], v[10:11], 1, v[34:35]
	v_cmp_ne_u32_e32 vcc, 0, v2
	ds_write_b64 v0, v[10:11] offset:720
	s_and_saveexec_b64 s[22:23], vcc
	s_cbranch_execz .LBB9_1624
; %bb.1623:                             ;   in Loop: Header=BB9_1603 Depth=2
	ds_read_b64 v[10:11], v0 offset:872
	s_waitcnt lgkmcnt(0)
	v_lshl_add_u64 v[10:11], v[10:11], 0, 1
	ds_write_b64 v0, v[10:11] offset:872
.LBB9_1624:                             ;   in Loop: Header=BB9_1603 Depth=2
	s_or_b64 exec, exec, s[22:23]
	v_mov_b64_e32 v[112:113], v[8:9]
.LBB9_1625:                             ;   in Loop: Header=BB9_1603 Depth=2
	s_or_b64 exec, exec, s[40:41]
	s_xor_b64 s[22:23], s[28:29], -1
	s_and_b64 s[22:23], exec, s[22:23]
	s_or_b64 s[26:27], s[22:23], s[26:27]
	s_and_saveexec_b64 s[22:23], s[4:5]
	s_cbranch_execz .LBB9_1644
; %bb.1626:                             ;   in Loop: Header=BB9_1603 Depth=2
	s_and_saveexec_b64 s[28:29], s[76:77]
	s_xor_b64 s[28:29], exec, s[28:29]
	s_cbranch_execz .LBB9_1641
; %bb.1627:                             ;   in Loop: Header=BB9_1603 Depth=2
	s_and_saveexec_b64 s[40:41], s[12:13]
	s_cbranch_execz .LBB9_1640
; %bb.1628:                             ;   in Loop: Header=BB9_1603 Depth=2
	s_mov_b64 s[44:45], exec
	v_mbcnt_lo_u32_b32 v2, s44, 0
	v_mbcnt_hi_u32_b32 v2, s45, v2
	v_cmp_eq_u32_e32 vcc, 0, v2
	s_waitcnt lgkmcnt(0)
	s_and_saveexec_b64 s[42:43], vcc
	s_cbranch_execz .LBB9_1630
; %bb.1629:                             ;   in Loop: Header=BB9_1603 Depth=2
	s_bcnt1_i32_b64 s44, s[44:45]
	v_mov_b32_e32 v2, s44
	ds_add_u64 v0, v[2:3]
	s_trap 2
.LBB9_1630:                             ;   in Loop: Header=BB9_1603 Depth=2
	s_or_b64 exec, exec, s[42:43]
	s_trap 2
	ds_read_b64 v[8:9], v0
	s_waitcnt lgkmcnt(0)
	v_lshl_add_u64 v[38:39], v[38:39], 0, v[52:53]
	v_cmp_lt_u64_e32 vcc, v[8:9], v[38:39]
	s_and_saveexec_b64 s[42:43], vcc
	s_cbranch_execz .LBB9_1639
; %bb.1631:                             ;   in Loop: Header=BB9_1603 Depth=2
	s_mov_b32 s74, 0
	s_mov_b64 s[44:45], 0
                                        ; implicit-def: $sgpr46_sgpr47
                                        ; implicit-def: $sgpr56_sgpr57
	s_branch .LBB9_1633
.LBB9_1632:                             ;   in Loop: Header=BB9_1633 Depth=3
	s_or_b64 exec, exec, s[60:61]
	s_and_b64 s[58:59], exec, vcc
	s_or_b64 s[44:45], s[58:59], s[44:45]
	s_andn2_b64 s[46:47], s[46:47], exec
	s_and_b64 s[58:59], s[56:57], exec
	s_or_b64 s[46:47], s[46:47], s[58:59]
	s_andn2_b64 exec, exec, s[44:45]
	s_cbranch_execz .LBB9_1637
.LBB9_1633:                             ;   Parent Loop BB9_47 Depth=1
                                        ;     Parent Loop BB9_1603 Depth=2
                                        ; =>    This Inner Loop Header: Depth=3
	s_add_i32 s74, s74, 1
	s_cmpk_lg_i32 s74, 0x2710
	s_cselect_b64 s[58:59], -1, 0
	s_and_b64 vcc, exec, s[58:59]
	s_cbranch_vccz .LBB9_1635
; %bb.1634:                             ;   in Loop: Header=BB9_1633 Depth=3
	s_mov_b64 vcc, -1
	s_or_b64 s[56:57], s[56:57], exec
	s_and_saveexec_b64 s[60:61], s[58:59]
	s_cbranch_execz .LBB9_1632
	s_branch .LBB9_1636
.LBB9_1635:                             ;   in Loop: Header=BB9_1633 Depth=3
	s_trap 2
	ds_read_b64 v[8:9], v0
	s_andn2_b64 s[58:59], s[58:59], exec
	s_mov_b32 s74, 0
	s_waitcnt vmcnt(0) lgkmcnt(0)
	flat_load_dword v2, v[8:9] sc0 sc1
	s_waitcnt vmcnt(0) lgkmcnt(0)
	buffer_inv sc0 sc1
	v_cmp_eq_u32_e32 vcc, 0, v2
	s_and_b64 s[60:61], vcc, exec
	s_or_b64 s[58:59], s[58:59], s[60:61]
	s_mov_b64 vcc, -1
	s_or_b64 s[56:57], s[56:57], exec
	s_and_saveexec_b64 s[60:61], s[58:59]
	s_cbranch_execz .LBB9_1632
.LBB9_1636:                             ;   in Loop: Header=BB9_1633 Depth=3
	s_sleep 1
	s_trap 2
	ds_read_b64 v[8:9], v0
	s_waitcnt lgkmcnt(0)
	s_andn2_b64 s[56:57], s[56:57], exec
	v_cmp_ge_u64_e32 vcc, v[8:9], v[38:39]
	s_orn2_b64 vcc, vcc, exec
	s_branch .LBB9_1632
.LBB9_1637:                             ;   in Loop: Header=BB9_1603 Depth=2
	s_or_b64 exec, exec, s[44:45]
	s_and_saveexec_b64 s[44:45], s[46:47]
	s_xor_b64 s[44:45], exec, s[44:45]
	s_cbranch_execz .LBB9_1639
; %bb.1638:                             ;   in Loop: Header=BB9_1603 Depth=2
	ds_write_b32 v0, v77
	s_trap 2
.LBB9_1639:                             ;   in Loop: Header=BB9_1603 Depth=2
	s_or_b64 exec, exec, s[42:43]
	;;#ASMSTART
	s_wakeup
	;;#ASMEND
.LBB9_1640:                             ;   in Loop: Header=BB9_1603 Depth=2
	s_or_b64 exec, exec, s[40:41]
.LBB9_1641:                             ;   in Loop: Header=BB9_1603 Depth=2
	s_andn2_saveexec_b64 s[28:29], s[28:29]
	s_cbranch_execz .LBB9_1643
; %bb.1642:                             ;   in Loop: Header=BB9_1603 Depth=2
	s_waitcnt lgkmcnt(0)
	s_barrier
.LBB9_1643:                             ;   in Loop: Header=BB9_1603 Depth=2
	s_or_b64 exec, exec, s[28:29]
.LBB9_1644:                             ;   in Loop: Header=BB9_1603 Depth=2
	s_or_b64 exec, exec, s[22:23]
	v_sub_u32_e32 v2, v46, v114
	v_min_i32_e32 v47, v47, v2
	s_and_saveexec_b64 s[22:23], s[20:21]
	s_xor_b64 s[22:23], exec, s[22:23]
	s_cbranch_execz .LBB9_1648
; %bb.1645:                             ;   in Loop: Header=BB9_1603 Depth=2
	s_trap 2
	ds_read_b32 v2, v0
	v_cmp_lt_i32_e32 vcc, 0, v47
	v_and_b32_e32 v8, 16, v74
	s_waitcnt lgkmcnt(0)
	v_readfirstlane_b32 s28, v2
	s_cmp_eq_u32 s28, 0
	s_cselect_b64 s[28:29], -1, 0
	s_and_b64 s[28:29], vcc, s[28:29]
	v_cmp_ne_u32_e32 vcc, 0, v8
	s_and_b64 s[40:41], vcc, s[28:29]
	s_and_saveexec_b64 s[28:29], s[40:41]
	s_cbranch_execz .LBB9_1647
; %bb.1646:                             ;   in Loop: Header=BB9_1603 Depth=2
	buffer_wbl2 sc1
	s_waitcnt vmcnt(0)
	buffer_inv sc1
.LBB9_1647:                             ;   in Loop: Header=BB9_1603 Depth=2
	s_or_b64 exec, exec, s[28:29]
.LBB9_1648:                             ;   in Loop: Header=BB9_1603 Depth=2
	s_andn2_saveexec_b64 s[22:23], s[22:23]
	s_cbranch_execz .LBB9_1667
; %bb.1649:                             ;   in Loop: Header=BB9_1603 Depth=2
	s_and_saveexec_b64 s[28:29], s[76:77]
	s_xor_b64 s[28:29], exec, s[28:29]
	s_cbranch_execz .LBB9_1664
; %bb.1650:                             ;   in Loop: Header=BB9_1603 Depth=2
	s_and_saveexec_b64 s[40:41], s[12:13]
	s_cbranch_execz .LBB9_1663
; %bb.1651:                             ;   in Loop: Header=BB9_1603 Depth=2
	s_mov_b64 s[44:45], exec
	v_mbcnt_lo_u32_b32 v2, s44, 0
	v_mbcnt_hi_u32_b32 v2, s45, v2
	v_cmp_eq_u32_e32 vcc, 0, v2
	;;#ASMSTART
	s_waitcnt lgkmcnt(0) vmcnt(0)
	;;#ASMEND
	s_and_saveexec_b64 s[42:43], vcc
	s_cbranch_execz .LBB9_1653
; %bb.1652:                             ;   in Loop: Header=BB9_1603 Depth=2
	s_bcnt1_i32_b64 s44, s[44:45]
	v_mov_b32_e32 v2, s44
	s_waitcnt lgkmcnt(0)
	ds_add_u64 v0, v[2:3]
	s_trap 2
.LBB9_1653:                             ;   in Loop: Header=BB9_1603 Depth=2
	s_or_b64 exec, exec, s[42:43]
	s_trap 2
	ds_read_b64 v[8:9], v0
	s_waitcnt lgkmcnt(0)
	v_lshl_add_u64 v[38:39], v[38:39], 0, v[52:53]
	v_cmp_lt_u64_e32 vcc, v[8:9], v[38:39]
	s_and_saveexec_b64 s[42:43], vcc
	s_cbranch_execz .LBB9_1662
; %bb.1654:                             ;   in Loop: Header=BB9_1603 Depth=2
	s_mov_b32 s74, 0
	s_mov_b64 s[44:45], 0
                                        ; implicit-def: $sgpr46_sgpr47
                                        ; implicit-def: $sgpr56_sgpr57
	s_branch .LBB9_1656
.LBB9_1655:                             ;   in Loop: Header=BB9_1656 Depth=3
	s_or_b64 exec, exec, s[60:61]
	s_and_b64 s[58:59], exec, vcc
	s_or_b64 s[44:45], s[58:59], s[44:45]
	s_andn2_b64 s[46:47], s[46:47], exec
	s_and_b64 s[58:59], s[56:57], exec
	s_or_b64 s[46:47], s[46:47], s[58:59]
	s_andn2_b64 exec, exec, s[44:45]
	s_cbranch_execz .LBB9_1660
.LBB9_1656:                             ;   Parent Loop BB9_47 Depth=1
                                        ;     Parent Loop BB9_1603 Depth=2
                                        ; =>    This Inner Loop Header: Depth=3
	s_add_i32 s74, s74, 1
	s_cmpk_lg_i32 s74, 0x2710
	s_cselect_b64 s[58:59], -1, 0
	s_and_b64 vcc, exec, s[58:59]
	s_cbranch_vccz .LBB9_1658
; %bb.1657:                             ;   in Loop: Header=BB9_1656 Depth=3
	s_mov_b64 vcc, -1
	s_or_b64 s[56:57], s[56:57], exec
	s_and_saveexec_b64 s[60:61], s[58:59]
	s_cbranch_execz .LBB9_1655
	s_branch .LBB9_1659
.LBB9_1658:                             ;   in Loop: Header=BB9_1656 Depth=3
	s_trap 2
	ds_read_b64 v[8:9], v0
	s_andn2_b64 s[58:59], s[58:59], exec
	s_mov_b32 s74, 0
	s_waitcnt vmcnt(0) lgkmcnt(0)
	flat_load_dword v2, v[8:9] sc0 sc1
	s_waitcnt vmcnt(0) lgkmcnt(0)
	buffer_inv sc0 sc1
	v_cmp_eq_u32_e32 vcc, 0, v2
	s_and_b64 s[60:61], vcc, exec
	s_or_b64 s[58:59], s[58:59], s[60:61]
	s_mov_b64 vcc, -1
	s_or_b64 s[56:57], s[56:57], exec
	s_and_saveexec_b64 s[60:61], s[58:59]
	s_cbranch_execz .LBB9_1655
.LBB9_1659:                             ;   in Loop: Header=BB9_1656 Depth=3
	s_sleep 1
	s_trap 2
	ds_read_b64 v[8:9], v0
	s_waitcnt lgkmcnt(0)
	s_andn2_b64 s[56:57], s[56:57], exec
	v_cmp_ge_u64_e32 vcc, v[8:9], v[38:39]
	s_orn2_b64 vcc, vcc, exec
	s_branch .LBB9_1655
.LBB9_1660:                             ;   in Loop: Header=BB9_1603 Depth=2
	s_or_b64 exec, exec, s[44:45]
	s_and_saveexec_b64 s[44:45], s[46:47]
	s_xor_b64 s[44:45], exec, s[44:45]
	s_cbranch_execz .LBB9_1662
; %bb.1661:                             ;   in Loop: Header=BB9_1603 Depth=2
	ds_write_b32 v0, v77
	s_trap 2
.LBB9_1662:                             ;   in Loop: Header=BB9_1603 Depth=2
	s_or_b64 exec, exec, s[42:43]
	;;#ASMSTART
	s_wakeup
	;;#ASMEND
.LBB9_1663:                             ;   in Loop: Header=BB9_1603 Depth=2
	s_or_b64 exec, exec, s[40:41]
.LBB9_1664:                             ;   in Loop: Header=BB9_1603 Depth=2
	s_andn2_saveexec_b64 s[28:29], s[28:29]
	s_cbranch_execz .LBB9_1666
; %bb.1665:                             ;   in Loop: Header=BB9_1603 Depth=2
	;;#ASMSTART
	s_waitcnt lgkmcnt(0) vmcnt(0)
	;;#ASMEND
	s_barrier
.LBB9_1666:                             ;   in Loop: Header=BB9_1603 Depth=2
	s_or_b64 exec, exec, s[28:29]
.LBB9_1667:                             ;   in Loop: Header=BB9_1603 Depth=2
	s_or_b64 exec, exec, s[22:23]
	v_and_b32_e32 v2, 32, v74
	v_cmp_ne_u32_e32 vcc, 0, v2
	s_and_saveexec_b64 s[22:23], vcc
	s_cbranch_execz .LBB9_1602
; %bb.1668:                             ;   in Loop: Header=BB9_1603 Depth=2
	v_lshl_add_u64 v[112:113], v[112:113], 0, 2
	flat_store_dwordx2 v[32:33], v[112:113] sc0 sc1
	s_branch .LBB9_1602
.LBB9_1669:
	s_or_b64 exec, exec, s[78:79]
.LBB9_1670:
	s_or_b64 exec, exec, s[72:73]
	v_and_b32_e32 v0, 0x800, v74
	v_cmp_eq_u32_e32 vcc, 0, v0
	s_and_saveexec_b64 s[2:3], vcc
	s_cbranch_execz .LBB9_1703
; %bb.1671:
	v_and_b32_e32 v0, 48, v74
	v_cmp_ne_u32_e32 vcc, 0, v0
	s_and_saveexec_b64 s[0:1], vcc
	s_cbranch_execz .LBB9_1673
; %bb.1672:
	flat_store_dwordx2 v[28:29], v[112:113] offset:104
.LBB9_1673:
	s_or_b64 exec, exec, s[0:1]
	s_movk_i32 s0, 0x88
	v_and_b32_e32 v0, 0x88, v74
	v_cmp_eq_u32_e32 vcc, s0, v0
	s_and_saveexec_b64 s[4:5], vcc
	s_cbranch_execz .LBB9_1683
; %bb.1674:
	v_add_u32_e32 v0, 6, v112
	v_and_b32_e32 v0, 7, v0
	v_mad_u64_u32 v[2:3], s[0:1], v0, 24, v[6:7]
	flat_load_dwordx2 v[4:5], v[2:3] offset:8 sc0 sc1
	s_waitcnt vmcnt(0)
	v_and_b32_e32 v0, 64, v74
	v_cmp_eq_u32_e64 s[0:1], 0, v0
	s_mov_b32 s18, 0
	s_waitcnt lgkmcnt(0)
	v_cmp_ne_u64_e32 vcc, -1, v[4:5]
	s_and_b64 s[0:1], vcc, s[0:1]
	s_and_b64 exec, exec, s[0:1]
	s_cbranch_execz .LBB9_1683
; %bb.1675:
	s_mov_b64 s[0:1], 0
                                        ; implicit-def: $sgpr6_sgpr7
                                        ; implicit-def: $sgpr10_sgpr11
	s_branch .LBB9_1678
.LBB9_1676:                             ;   in Loop: Header=BB9_1678 Depth=1
	flat_load_dwordx2 v[4:5], v[2:3] offset:8 sc0 sc1
	s_waitcnt vmcnt(0)
	s_andn2_b64 s[10:11], s[10:11], exec
	s_waitcnt lgkmcnt(0)
	v_cmp_eq_u64_e32 vcc, -1, v[4:5]
	s_orn2_b64 s[14:15], vcc, exec
.LBB9_1677:                             ;   in Loop: Header=BB9_1678 Depth=1
	s_or_b64 exec, exec, s[16:17]
	s_and_b64 s[12:13], exec, s[14:15]
	s_or_b64 s[0:1], s[12:13], s[0:1]
	s_andn2_b64 s[6:7], s[6:7], exec
	s_and_b64 s[12:13], s[10:11], exec
	s_or_b64 s[6:7], s[6:7], s[12:13]
	s_andn2_b64 exec, exec, s[0:1]
	s_cbranch_execz .LBB9_1681
.LBB9_1678:                             ; =>This Inner Loop Header: Depth=1
	s_cmpk_lt_i32 s18, 0x270f
	s_cselect_b64 s[12:13], -1, 0
	s_and_b64 vcc, exec, s[12:13]
	s_cbranch_vccnz .LBB9_1680
; %bb.1679:                             ;   in Loop: Header=BB9_1678 Depth=1
	s_trap 2
	ds_read_b64 v[4:5], v0
	s_andn2_b64 s[12:13], s[12:13], exec
	s_mov_b32 s18, 0
	s_waitcnt lgkmcnt(0)
	flat_load_dword v0, v[4:5] sc0 sc1
	s_waitcnt vmcnt(0) lgkmcnt(0)
	buffer_inv sc0 sc1
	v_cmp_eq_u32_e32 vcc, 0, v0
	s_and_b64 s[14:15], vcc, exec
	s_or_b64 s[12:13], s[12:13], s[14:15]
	s_mov_b64 s[14:15], -1
	s_or_b64 s[10:11], s[10:11], exec
	s_and_saveexec_b64 s[16:17], s[12:13]
	s_cbranch_execz .LBB9_1677
	s_branch .LBB9_1676
.LBB9_1680:                             ;   in Loop: Header=BB9_1678 Depth=1
	s_add_i32 s18, s18, 1
                                        ; implicit-def: $vgpr0
	s_mov_b64 s[14:15], -1
	s_or_b64 s[10:11], s[10:11], exec
	s_and_saveexec_b64 s[16:17], s[12:13]
	s_cbranch_execz .LBB9_1677
	s_branch .LBB9_1676
.LBB9_1681:
	s_or_b64 exec, exec, s[0:1]
	s_and_saveexec_b64 s[0:1], s[6:7]
	s_xor_b64 s[0:1], exec, s[0:1]
	s_cbranch_execz .LBB9_1683
; %bb.1682:
	ds_write_b32 v0, v0
	s_trap 2
.LBB9_1683:
	s_or_b64 exec, exec, s[4:5]
	v_and_b32_e32 v0, 0x2000, v74
	v_cmp_ne_u32_e32 vcc, 0, v0
	s_and_saveexec_b64 s[0:1], vcc
	s_cbranch_execz .LBB9_1685
; %bb.1684:
	s_trap 2
	ds_read_b64 v[2:3], v0
	s_waitcnt lgkmcnt(0)
	flat_store_dwordx2 v[26:27], v[2:3] offset:16
.LBB9_1685:
	s_or_b64 exec, exec, s[0:1]
	v_cmp_ne_u32_e32 vcc, 64, v1
	s_and_b64 exec, exec, vcc
	s_cbranch_execz .LBB9_1703
; %bb.1686:
	v_cmp_ne_u32_sdwa s[0:1], v1, v50 src0_sel:DWORD src1_sel:WORD_0
	s_and_saveexec_b64 s[4:5], s[0:1]
	s_xor_b64 s[0:1], exec, s[4:5]
	s_cbranch_execz .LBB9_1701
; %bb.1687:
	v_and_b32_e32 v0, 63, v31
	v_cmp_eq_u32_e32 vcc, 0, v0
	s_and_saveexec_b64 s[4:5], vcc
	s_cbranch_execz .LBB9_1700
; %bb.1688:
	s_mov_b64 s[10:11], exec
	v_mbcnt_lo_u32_b32 v0, s10, 0
	v_mbcnt_hi_u32_b32 v0, s11, v0
	v_cmp_eq_u32_e32 vcc, 0, v0
	s_waitcnt lgkmcnt(0)
	s_and_saveexec_b64 s[6:7], vcc
	s_cbranch_execz .LBB9_1690
; %bb.1689:
	s_bcnt1_i32_b64 s10, s[10:11]
	v_mov_b32_e32 v2, s10
	v_mov_b32_e32 v3, 0
	ds_add_u64 v0, v[2:3]
	s_trap 2
.LBB9_1690:
	s_or_b64 exec, exec, s[6:7]
	s_trap 2
	ds_read_b64 v[2:3], v0
	s_waitcnt lgkmcnt(0)
	v_lshrrev_b32_e32 v0, 6, v1
	v_mov_b32_e32 v1, 0
	v_lshl_add_u64 v[0:1], v[38:39], 0, v[0:1]
	v_cmp_lt_u64_e32 vcc, v[2:3], v[0:1]
	s_and_saveexec_b64 s[6:7], vcc
	s_cbranch_execz .LBB9_1699
; %bb.1691:
	s_mov_b32 s22, 0
	s_mov_b64 s[10:11], 0
                                        ; implicit-def: $sgpr12_sgpr13
                                        ; implicit-def: $sgpr14_sgpr15
	s_branch .LBB9_1693
.LBB9_1692:                             ;   in Loop: Header=BB9_1693 Depth=1
	s_or_b64 exec, exec, s[18:19]
	s_and_b64 s[16:17], exec, s[20:21]
	s_or_b64 s[10:11], s[16:17], s[10:11]
	s_andn2_b64 s[12:13], s[12:13], exec
	s_and_b64 s[16:17], s[14:15], exec
	s_or_b64 s[12:13], s[12:13], s[16:17]
	s_andn2_b64 exec, exec, s[10:11]
	s_cbranch_execz .LBB9_1697
.LBB9_1693:                             ; =>This Inner Loop Header: Depth=1
	s_add_i32 s22, s22, 1
	s_cmpk_lg_i32 s22, 0x2710
	s_cselect_b64 s[16:17], -1, 0
	s_and_b64 vcc, exec, s[16:17]
	s_cbranch_vccz .LBB9_1695
; %bb.1694:                             ;   in Loop: Header=BB9_1693 Depth=1
	s_mov_b64 s[20:21], -1
	s_or_b64 s[14:15], s[14:15], exec
	s_and_saveexec_b64 s[18:19], s[16:17]
	s_cbranch_execz .LBB9_1692
	s_branch .LBB9_1696
.LBB9_1695:                             ;   in Loop: Header=BB9_1693 Depth=1
	s_trap 2
	ds_read_b64 v[2:3], v0
	s_andn2_b64 s[16:17], s[16:17], exec
	s_mov_b32 s22, 0
	s_waitcnt vmcnt(0) lgkmcnt(0)
	flat_load_dword v2, v[2:3] sc0 sc1
	s_waitcnt vmcnt(0) lgkmcnt(0)
	buffer_inv sc0 sc1
	v_cmp_eq_u32_e32 vcc, 0, v2
	s_and_b64 s[18:19], vcc, exec
	s_or_b64 s[16:17], s[16:17], s[18:19]
	s_mov_b64 s[20:21], -1
	s_or_b64 s[14:15], s[14:15], exec
	s_and_saveexec_b64 s[18:19], s[16:17]
	s_cbranch_execz .LBB9_1692
.LBB9_1696:                             ;   in Loop: Header=BB9_1693 Depth=1
	s_sleep 1
	s_trap 2
	ds_read_b64 v[2:3], v0
	s_waitcnt lgkmcnt(0)
	s_andn2_b64 s[14:15], s[14:15], exec
	v_cmp_ge_u64_e32 vcc, v[2:3], v[0:1]
	s_orn2_b64 s[20:21], vcc, exec
	s_branch .LBB9_1692
.LBB9_1697:
	s_or_b64 exec, exec, s[10:11]
	s_and_saveexec_b64 s[10:11], s[12:13]
	s_xor_b64 s[10:11], exec, s[10:11]
	s_cbranch_execz .LBB9_1699
; %bb.1698:
	v_mov_b32_e32 v0, 1
	ds_write_b32 v0, v0
	s_trap 2
.LBB9_1699:
	s_or_b64 exec, exec, s[6:7]
	;;#ASMSTART
	s_wakeup
	;;#ASMEND
.LBB9_1700:
	s_or_b64 exec, exec, s[4:5]
.LBB9_1701:
	s_andn2_saveexec_b64 s[0:1], s[0:1]
	s_cbranch_execz .LBB9_1703
; %bb.1702:
	s_waitcnt lgkmcnt(0)
	s_barrier
.LBB9_1703:
	s_or_b64 exec, exec, s[2:3]
.LBB9_1704:
	s_andn2_saveexec_b64 s[22:23], s[62:63]
	s_cbranch_execz .LBB9_1706
; %bb.1705:
	s_getpc_b64 s[0:1]
	s_add_u32 s0, s0, __PRETTY_FUNCTION__._ZN10PrimitivesI12hip_bfloat1610FuncMinMaxIS0_E12FanSymmetricILi1EELi0E11ProtoSimpleILi2ELi2ELi1ELi1ELi0ELi0EELi0ELb0ELi0ELi0ELi1EEC2EiiPKiS9_PKvPvmhhhP15ncclDevWorkCollP14ncclDevWorkP2pii@rel32@lo+4
	s_addc_u32 s1, s1, __PRETTY_FUNCTION__._ZN10PrimitivesI12hip_bfloat1610FuncMinMaxIS0_E12FanSymmetricILi1EELi0E11ProtoSimpleILi2ELi2ELi1ELi1ELi0ELi0EELi0ELb0ELi0ELi0ELi1EEC2EiiPKiS9_PKvPvmhhhP15ncclDevWorkCollP14ncclDevWorkP2pii@rel32@hi+12
	s_getpc_b64 s[2:3]
	s_add_u32 s2, s2, __assert_fail@rel32@lo+4
	s_addc_u32 s3, s3, __assert_fail@rel32@hi+12
	v_mov_b32_e32 v0, s0
	v_mov_b32_e32 v1, s1
	s_swappc_b64 s[30:31], s[2:3]
	; divergent unreachable
.LBB9_1706:
	s_or_b64 exec, exec, s[22:23]
	scratch_load_dword v123, off, s33       ; 4-byte Folded Reload
	scratch_load_dword v122, off, s33 offset:4 ; 4-byte Folded Reload
	scratch_load_dword v121, off, s33 offset:8 ; 4-byte Folded Reload
	;; [unrolled: 1-line block ×43, first 2 shown]
	v_readlane_b32 s30, v124, 33
	v_readlane_b32 s31, v124, 34
	v_readlane_b32 s98, v124, 32
	v_readlane_b32 s97, v124, 31
	v_readlane_b32 s96, v124, 30
	v_readlane_b32 s87, v124, 29
	v_readlane_b32 s86, v124, 28
	v_readlane_b32 s85, v124, 27
	v_readlane_b32 s84, v124, 26
	v_readlane_b32 s83, v124, 25
	v_readlane_b32 s82, v124, 24
	v_readlane_b32 s81, v124, 23
	v_readlane_b32 s80, v124, 22
	v_readlane_b32 s71, v124, 21
	v_readlane_b32 s70, v124, 20
	v_readlane_b32 s69, v124, 19
	v_readlane_b32 s68, v124, 18
	v_readlane_b32 s67, v124, 17
	v_readlane_b32 s66, v124, 16
	v_readlane_b32 s65, v124, 15
	v_readlane_b32 s64, v124, 14
	v_readlane_b32 s55, v124, 13
	v_readlane_b32 s54, v124, 12
	v_readlane_b32 s53, v124, 11
	v_readlane_b32 s52, v124, 10
	v_readlane_b32 s51, v124, 9
	v_readlane_b32 s50, v124, 8
	v_readlane_b32 s49, v124, 7
	v_readlane_b32 s48, v124, 6
	v_readlane_b32 s39, v124, 5
	v_readlane_b32 s38, v124, 4
	v_readlane_b32 s37, v124, 3
	v_readlane_b32 s36, v124, 2
	v_readlane_b32 s35, v124, 1
	v_readlane_b32 s34, v124, 0
	s_mov_b32 s32, s33
	v_readlane_b32 s0, v124, 35
	s_or_saveexec_b64 s[2:3], -1
	scratch_load_dword v124, off, s33 offset:176 ; 4-byte Folded Reload
	s_mov_b64 exec, s[2:3]
	s_mov_b32 s33, s0
	s_waitcnt vmcnt(0) lgkmcnt(0)
	s_setpc_b64 s[30:31]
.Lfunc_end9:
	.size	_ZN12_GLOBAL__N_17runRingI12hip_bfloat1610FuncMinMaxIS1_E11ProtoSimpleILi2ELi2ELi1ELi1ELi0ELi0EELi0ELi1ELi1ELi0EEEviiP15ncclDevWorkColl, .Lfunc_end9-_ZN12_GLOBAL__N_17runRingI12hip_bfloat1610FuncMinMaxIS1_E11ProtoSimpleILi2ELi2ELi1ELi1ELi0ELi0EELi0ELi1ELi1ELi0EEEviiP15ncclDevWorkColl
                                        ; -- End function
	.set .L_ZN12_GLOBAL__N_17runRingI12hip_bfloat1610FuncMinMaxIS1_E11ProtoSimpleILi2ELi2ELi1ELi1ELi0ELi0EELi0ELi1ELi1ELi0EEEviiP15ncclDevWorkColl.num_vgpr, max(125, .L__assert_fail.num_vgpr)
	.set .L_ZN12_GLOBAL__N_17runRingI12hip_bfloat1610FuncMinMaxIS1_E11ProtoSimpleILi2ELi2ELi1ELi1ELi0ELi0EELi0ELi1ELi1ELi0EEEviiP15ncclDevWorkColl.num_agpr, max(0, .L__assert_fail.num_agpr)
	.set .L_ZN12_GLOBAL__N_17runRingI12hip_bfloat1610FuncMinMaxIS1_E11ProtoSimpleILi2ELi2ELi1ELi1ELi0ELi0EELi0ELi1ELi1ELi0EEEviiP15ncclDevWorkColl.numbered_sgpr, max(99, .L__assert_fail.numbered_sgpr)
	.set .L_ZN12_GLOBAL__N_17runRingI12hip_bfloat1610FuncMinMaxIS1_E11ProtoSimpleILi2ELi2ELi1ELi1ELi0ELi0EELi0ELi1ELi1ELi0EEEviiP15ncclDevWorkColl.num_named_barrier, max(0, .L__assert_fail.num_named_barrier)
	.set .L_ZN12_GLOBAL__N_17runRingI12hip_bfloat1610FuncMinMaxIS1_E11ProtoSimpleILi2ELi2ELi1ELi1ELi0ELi0EELi0ELi1ELi1ELi0EEEviiP15ncclDevWorkColl.private_seg_size, 192+max(.L__assert_fail.private_seg_size)
	.set .L_ZN12_GLOBAL__N_17runRingI12hip_bfloat1610FuncMinMaxIS1_E11ProtoSimpleILi2ELi2ELi1ELi1ELi0ELi0EELi0ELi1ELi1ELi0EEEviiP15ncclDevWorkColl.uses_vcc, or(1, .L__assert_fail.uses_vcc)
	.set .L_ZN12_GLOBAL__N_17runRingI12hip_bfloat1610FuncMinMaxIS1_E11ProtoSimpleILi2ELi2ELi1ELi1ELi0ELi0EELi0ELi1ELi1ELi0EEEviiP15ncclDevWorkColl.uses_flat_scratch, or(0, .L__assert_fail.uses_flat_scratch)
	.set .L_ZN12_GLOBAL__N_17runRingI12hip_bfloat1610FuncMinMaxIS1_E11ProtoSimpleILi2ELi2ELi1ELi1ELi0ELi0EELi0ELi1ELi1ELi0EEEviiP15ncclDevWorkColl.has_dyn_sized_stack, or(0, .L__assert_fail.has_dyn_sized_stack)
	.set .L_ZN12_GLOBAL__N_17runRingI12hip_bfloat1610FuncMinMaxIS1_E11ProtoSimpleILi2ELi2ELi1ELi1ELi0ELi0EELi0ELi1ELi1ELi0EEEviiP15ncclDevWorkColl.has_recursion, or(1, .L__assert_fail.has_recursion)
	.set .L_ZN12_GLOBAL__N_17runRingI12hip_bfloat1610FuncMinMaxIS1_E11ProtoSimpleILi2ELi2ELi1ELi1ELi0ELi0EELi0ELi1ELi1ELi0EEEviiP15ncclDevWorkColl.has_indirect_call, or(0, .L__assert_fail.has_indirect_call)
	.section	.AMDGPU.csdata,"",@progbits
; Function info:
; codeLenInByte = 57640
; TotalNumSgprs: 105
; NumVgprs: 125
; NumAgprs: 0
; TotalNumVgprs: 125
; ScratchSize: 256
; MemoryBound: 1
	.text
	.p2align	2                               ; -- Begin function _Z51ncclDevFunc_AllReduce_RING_SIMPLE_MinMax_bf16_1_0_1v
	.type	_Z51ncclDevFunc_AllReduce_RING_SIMPLE_MinMax_bf16_1_0_1v,@function
_Z51ncclDevFunc_AllReduce_RING_SIMPLE_MinMax_bf16_1_0_1v: ; @_Z51ncclDevFunc_AllReduce_RING_SIMPLE_MinMax_bf16_1_0_1v
; %bb.0:
	s_waitcnt vmcnt(0) expcnt(0) lgkmcnt(0)
	s_mov_b32 s0, s33
	s_mov_b32 s33, s32
	s_or_saveexec_b64 s[2:3], -1
	scratch_store_dword off, v44, s33 offset:24 ; 4-byte Folded Spill
	scratch_store_dword off, v45, s33 offset:28 ; 4-byte Folded Spill
	s_mov_b64 exec, s[2:3]
	v_writelane_b32 v45, s0, 38
	v_writelane_b32 v45, s100, 36
	;; [unrolled: 1-line block ×3, first 2 shown]
	s_add_i32 s32, s32, 48
	scratch_store_dword off, v40, s33 offset:16 ; 4-byte Folded Spill
	scratch_store_dword off, v41, s33 offset:12 ; 4-byte Folded Spill
	;; [unrolled: 1-line block ×4, first 2 shown]
	scratch_store_dword off, v124, s33      ; 4-byte Folded Spill
	v_writelane_b32 v45, s34, 0
	v_writelane_b32 v45, s35, 1
	;; [unrolled: 1-line block ×35, first 2 shown]
	s_nop 1
	v_writelane_b32 v45, s31, 35
	s_trap 2
	ds_read_b32 v0, v0
	v_mov_b32_e32 v40, v31
                                        ; implicit-def: $vgpr44 : SGPR spill to VGPR lane
	v_and_b32_e32 v41, 0x3ff, v40
	s_mov_b32 s98, s12
	v_writelane_b32 v44, s8, 0
	s_waitcnt lgkmcnt(0)
	v_cmp_lt_i32_e32 vcc, v41, v0
	v_writelane_b32 v44, s9, 1
	s_and_saveexec_b64 s[0:1], vcc
	s_cbranch_execz .LBB10_5
; %bb.1:
	v_readlane_b32 s4, v44, 0
	v_readlane_b32 s5, v44, 1
	s_load_dword s2, s[4:5], 0x0
	v_mov_b32_e32 v1, 0
	s_mov_b32 s6, 0
	v_mov_b32_e32 v4, v41
                                        ; implicit-def: $vgpr2
	s_waitcnt lgkmcnt(0)
	s_cmp_lt_u32 s98, s2
	s_cselect_b32 s2, 12, 18
	s_add_u32 s2, s4, s2
	s_addc_u32 s3, s5, 0
	global_load_ushort v1, v1, s[2:3]
	s_trap 2
	ds_read_b32 v3, v0
	s_mov_b64 s[2:3], 0
	s_waitcnt vmcnt(0) lgkmcnt(0)
	v_mul_lo_u32 v3, v3, v1
	s_branch .LBB10_3
.LBB10_2:                               ;   in Loop: Header=BB10_3 Depth=1
	s_or_b64 exec, exec, s[4:5]
	v_add_u32_e32 v4, v4, v1
	v_cmp_ge_i32_e32 vcc, v4, v0
	s_or_b64 s[2:3], vcc, s[2:3]
	v_add_u32_e32 v2, v2, v3
	s_andn2_b64 exec, exec, s[2:3]
	s_cbranch_execz .LBB10_5
.LBB10_3:                               ; =>This Inner Loop Header: Depth=1
	ds_read_b32 v5, v2
	s_waitcnt lgkmcnt(0)
	v_and_b32_e32 v5, 0x1000000, v5
	v_cmp_ne_u32_e32 vcc, 0, v5
	s_and_saveexec_b64 s[4:5], vcc
	s_cbranch_execz .LBB10_2
; %bb.4:                                ;   in Loop: Header=BB10_3 Depth=1
	ds_read_b64 v[6:7], v2 offset:104
	s_waitcnt lgkmcnt(0)
	flat_load_ushort v5, v[6:7]
	v_mov_b32_e32 v7, s6
	s_waitcnt vmcnt(0) lgkmcnt(0)
	v_and_b32_e32 v6, 0xffff, v5
	ds_write_b64 v2, v[6:7] offset:104
	s_branch .LBB10_2
.LBB10_5:
	s_or_b64 exec, exec, s[0:1]
	s_waitcnt lgkmcnt(0)
	s_barrier
	s_trap 2
	ds_read_b32 v0, v0
	s_waitcnt lgkmcnt(0)
	v_cmp_gt_i32_e32 vcc, 1, v0
	s_cbranch_vccnz .LBB10_16
; %bb.6:
	s_mov_b32 s99, 0
	v_mov_b32_e32 v43, 6
	v_writelane_b32 v44, s98, 2
	s_branch .LBB10_8
.LBB10_7:                               ;   in Loop: Header=BB10_8 Depth=1
	s_or_b64 exec, exec, s[2:3]
	s_trap 2
	ds_read_b32 v0, v0
	s_add_i32 s99, s99, 1
	s_waitcnt lgkmcnt(0)
	v_cmp_lt_i32_e32 vcc, s99, v0
	s_cbranch_vccz .LBB10_16
.LBB10_8:                               ; =>This Inner Loop Header: Depth=1
	s_trap 2
	ds_read_b32 v0, v0
	s_cmp_eq_u32 s99, 0
	s_cbranch_scc1 .LBB10_11
; %bb.9:                                ;   in Loop: Header=BB10_8 Depth=1
	s_trap 2
	s_waitcnt lgkmcnt(0)
	ds_read_b32 v1, v0
	s_waitcnt lgkmcnt(0)
	v_xor_b32_e32 v1, v1, v0
	v_and_b32_e32 v1, 0xff0000, v1
	v_cmp_eq_u32_e32 vcc, 0, v1
	s_cbranch_vccnz .LBB10_11
; %bb.10:                               ;   in Loop: Header=BB10_8 Depth=1
	s_barrier
	ds_read_b32 v0, v0
.LBB10_11:                              ;   in Loop: Header=BB10_8 Depth=1
	s_waitcnt lgkmcnt(0)
	v_lshlrev_b32_sdwa v42, v43, v0 dst_sel:DWORD dst_unused:UNUSED_PAD src0_sel:DWORD src1_sel:BYTE_2
	v_cmp_lt_u32_e32 vcc, v41, v42
	s_and_saveexec_b64 s[2:3], vcc
	s_cbranch_execz .LBB10_7
; %bb.12:                               ;   in Loop: Header=BB10_8 Depth=1
	v_cmp_lt_i32_e32 vcc, -1, v0
	s_mov_b64 s[96:97], src_shared_base
	s_mov_b64 s[0:1], -1
	v_writelane_b32 v44, s2, 3
	s_nop 1
	v_writelane_b32 v44, s3, 4
	s_cbranch_vccnz .LBB10_14
; %bb.13:                               ;   in Loop: Header=BB10_8 Depth=1
	v_readlane_b32 s8, v44, 0
	s_getpc_b64 s[0:1]
	s_add_u32 s0, s0, _ZN12_GLOBAL__N_17runRingI12hip_bfloat1610FuncMinMaxIS1_E11ProtoSimpleILi1ELi4ELi1ELi1ELi0ELi0EELi0ELi1ELi1ELi0EEEviiP15ncclDevWorkColl@rel32@lo+4
	s_addc_u32 s1, s1, _ZN12_GLOBAL__N_17runRingI12hip_bfloat1610FuncMinMaxIS1_E11ProtoSimpleILi1ELi4ELi1ELi1ELi0ELi0EELi0ELi1ELi1ELi0EEEviiP15ncclDevWorkColl@rel32@hi+12
	v_readlane_b32 s9, v44, 1
	s_mov_b32 s12, s98
	v_mov_b32_e32 v31, v40
	v_mov_b32_e32 v0, v41
	;; [unrolled: 1-line block ×4, first 2 shown]
	s_or_saveexec_b64 s[100:101], -1
	scratch_store_dword off, v44, s33 offset:20 ; 4-byte Folded Spill
	s_mov_b64 exec, s[100:101]
	s_swappc_b64 s[30:31], s[0:1]
	s_or_saveexec_b64 s[100:101], -1
	scratch_load_dword v44, off, s33 offset:20 ; 4-byte Folded Reload
	s_mov_b64 exec, s[100:101]
	s_waitcnt vmcnt(0)
	v_readlane_b32 s2, v44, 3
	v_readlane_b32 s3, v44, 4
	s_mov_b64 s[0:1], 0
.LBB10_14:                              ;   in Loop: Header=BB10_8 Depth=1
	s_andn2_b64 vcc, exec, s[0:1]
	s_cbranch_vccnz .LBB10_7
; %bb.15:                               ;   in Loop: Header=BB10_8 Depth=1
	v_readlane_b32 s8, v44, 0
	s_getpc_b64 s[0:1]
	s_add_u32 s0, s0, _ZN12_GLOBAL__N_17runRingI12hip_bfloat1610FuncMinMaxIS1_E11ProtoSimpleILi2ELi2ELi1ELi1ELi0ELi0EELi0ELi1ELi1ELi0EEEviiP15ncclDevWorkColl@rel32@lo+4
	s_addc_u32 s1, s1, _ZN12_GLOBAL__N_17runRingI12hip_bfloat1610FuncMinMaxIS1_E11ProtoSimpleILi2ELi2ELi1ELi1ELi0ELi0EELi0ELi1ELi1ELi0EEEviiP15ncclDevWorkColl@rel32@hi+12
	v_readlane_b32 s9, v44, 1
	s_mov_b32 s12, s98
	v_mov_b32_e32 v31, v40
	v_mov_b32_e32 v0, v41
	;; [unrolled: 1-line block ×4, first 2 shown]
	s_swappc_b64 s[30:31], s[0:1]
	v_readlane_b32 s2, v44, 3
	v_readlane_b32 s3, v44, 4
	;; [unrolled: 1-line block ×3, first 2 shown]
	s_branch .LBB10_7
.LBB10_16:
	scratch_load_dword v124, off, s33       ; 4-byte Folded Reload
	scratch_load_dword v43, off, s33 offset:4 ; 4-byte Folded Reload
	scratch_load_dword v42, off, s33 offset:8 ; 4-byte Folded Reload
	;; [unrolled: 1-line block ×4, first 2 shown]
	v_readlane_b32 s30, v45, 34
	v_readlane_b32 s31, v45, 35
	;; [unrolled: 1-line block ×36, first 2 shown]
	s_mov_b32 s32, s33
	v_readlane_b32 s0, v45, 38
	v_readlane_b32 s100, v45, 36
	;; [unrolled: 1-line block ×3, first 2 shown]
	s_or_saveexec_b64 s[2:3], -1
	scratch_load_dword v44, off, s33 offset:24 ; 4-byte Folded Reload
	scratch_load_dword v45, off, s33 offset:28 ; 4-byte Folded Reload
	s_mov_b64 exec, s[2:3]
	s_mov_b32 s33, s0
	s_waitcnt vmcnt(0)
	s_setpc_b64 s[30:31]
.Lfunc_end10:
	.size	_Z51ncclDevFunc_AllReduce_RING_SIMPLE_MinMax_bf16_1_0_1v, .Lfunc_end10-_Z51ncclDevFunc_AllReduce_RING_SIMPLE_MinMax_bf16_1_0_1v
                                        ; -- End function
	.set .L_Z51ncclDevFunc_AllReduce_RING_SIMPLE_MinMax_bf16_1_0_1v.num_vgpr, max(125, .L_ZN12_GLOBAL__N_17runRingI12hip_bfloat1610FuncMinMaxIS1_E11ProtoSimpleILi1ELi4ELi1ELi1ELi0ELi0EELi0ELi1ELi1ELi0EEEviiP15ncclDevWorkColl.num_vgpr, .L_ZN12_GLOBAL__N_17runRingI12hip_bfloat1610FuncMinMaxIS1_E11ProtoSimpleILi2ELi2ELi1ELi1ELi0ELi0EELi0ELi1ELi1ELi0EEEviiP15ncclDevWorkColl.num_vgpr)
	.set .L_Z51ncclDevFunc_AllReduce_RING_SIMPLE_MinMax_bf16_1_0_1v.num_agpr, max(0, .L_ZN12_GLOBAL__N_17runRingI12hip_bfloat1610FuncMinMaxIS1_E11ProtoSimpleILi1ELi4ELi1ELi1ELi0ELi0EELi0ELi1ELi1ELi0EEEviiP15ncclDevWorkColl.num_agpr, .L_ZN12_GLOBAL__N_17runRingI12hip_bfloat1610FuncMinMaxIS1_E11ProtoSimpleILi2ELi2ELi1ELi1ELi0ELi0EELi0ELi1ELi1ELi0EEEviiP15ncclDevWorkColl.num_agpr)
	.set .L_Z51ncclDevFunc_AllReduce_RING_SIMPLE_MinMax_bf16_1_0_1v.numbered_sgpr, max(102, .L_ZN12_GLOBAL__N_17runRingI12hip_bfloat1610FuncMinMaxIS1_E11ProtoSimpleILi1ELi4ELi1ELi1ELi0ELi0EELi0ELi1ELi1ELi0EEEviiP15ncclDevWorkColl.numbered_sgpr, .L_ZN12_GLOBAL__N_17runRingI12hip_bfloat1610FuncMinMaxIS1_E11ProtoSimpleILi2ELi2ELi1ELi1ELi0ELi0EELi0ELi1ELi1ELi0EEEviiP15ncclDevWorkColl.numbered_sgpr)
	.set .L_Z51ncclDevFunc_AllReduce_RING_SIMPLE_MinMax_bf16_1_0_1v.num_named_barrier, max(0, .L_ZN12_GLOBAL__N_17runRingI12hip_bfloat1610FuncMinMaxIS1_E11ProtoSimpleILi1ELi4ELi1ELi1ELi0ELi0EELi0ELi1ELi1ELi0EEEviiP15ncclDevWorkColl.num_named_barrier, .L_ZN12_GLOBAL__N_17runRingI12hip_bfloat1610FuncMinMaxIS1_E11ProtoSimpleILi2ELi2ELi1ELi1ELi0ELi0EELi0ELi1ELi1ELi0EEEviiP15ncclDevWorkColl.num_named_barrier)
	.set .L_Z51ncclDevFunc_AllReduce_RING_SIMPLE_MinMax_bf16_1_0_1v.private_seg_size, 48+max(.L_ZN12_GLOBAL__N_17runRingI12hip_bfloat1610FuncMinMaxIS1_E11ProtoSimpleILi1ELi4ELi1ELi1ELi0ELi0EELi0ELi1ELi1ELi0EEEviiP15ncclDevWorkColl.private_seg_size, .L_ZN12_GLOBAL__N_17runRingI12hip_bfloat1610FuncMinMaxIS1_E11ProtoSimpleILi2ELi2ELi1ELi1ELi0ELi0EELi0ELi1ELi1ELi0EEEviiP15ncclDevWorkColl.private_seg_size)
	.set .L_Z51ncclDevFunc_AllReduce_RING_SIMPLE_MinMax_bf16_1_0_1v.uses_vcc, or(1, .L_ZN12_GLOBAL__N_17runRingI12hip_bfloat1610FuncMinMaxIS1_E11ProtoSimpleILi1ELi4ELi1ELi1ELi0ELi0EELi0ELi1ELi1ELi0EEEviiP15ncclDevWorkColl.uses_vcc, .L_ZN12_GLOBAL__N_17runRingI12hip_bfloat1610FuncMinMaxIS1_E11ProtoSimpleILi2ELi2ELi1ELi1ELi0ELi0EELi0ELi1ELi1ELi0EEEviiP15ncclDevWorkColl.uses_vcc)
	.set .L_Z51ncclDevFunc_AllReduce_RING_SIMPLE_MinMax_bf16_1_0_1v.uses_flat_scratch, or(0, .L_ZN12_GLOBAL__N_17runRingI12hip_bfloat1610FuncMinMaxIS1_E11ProtoSimpleILi1ELi4ELi1ELi1ELi0ELi0EELi0ELi1ELi1ELi0EEEviiP15ncclDevWorkColl.uses_flat_scratch, .L_ZN12_GLOBAL__N_17runRingI12hip_bfloat1610FuncMinMaxIS1_E11ProtoSimpleILi2ELi2ELi1ELi1ELi0ELi0EELi0ELi1ELi1ELi0EEEviiP15ncclDevWorkColl.uses_flat_scratch)
	.set .L_Z51ncclDevFunc_AllReduce_RING_SIMPLE_MinMax_bf16_1_0_1v.has_dyn_sized_stack, or(0, .L_ZN12_GLOBAL__N_17runRingI12hip_bfloat1610FuncMinMaxIS1_E11ProtoSimpleILi1ELi4ELi1ELi1ELi0ELi0EELi0ELi1ELi1ELi0EEEviiP15ncclDevWorkColl.has_dyn_sized_stack, .L_ZN12_GLOBAL__N_17runRingI12hip_bfloat1610FuncMinMaxIS1_E11ProtoSimpleILi2ELi2ELi1ELi1ELi0ELi0EELi0ELi1ELi1ELi0EEEviiP15ncclDevWorkColl.has_dyn_sized_stack)
	.set .L_Z51ncclDevFunc_AllReduce_RING_SIMPLE_MinMax_bf16_1_0_1v.has_recursion, or(1, .L_ZN12_GLOBAL__N_17runRingI12hip_bfloat1610FuncMinMaxIS1_E11ProtoSimpleILi1ELi4ELi1ELi1ELi0ELi0EELi0ELi1ELi1ELi0EEEviiP15ncclDevWorkColl.has_recursion, .L_ZN12_GLOBAL__N_17runRingI12hip_bfloat1610FuncMinMaxIS1_E11ProtoSimpleILi2ELi2ELi1ELi1ELi0ELi0EELi0ELi1ELi1ELi0EEEviiP15ncclDevWorkColl.has_recursion)
	.set .L_Z51ncclDevFunc_AllReduce_RING_SIMPLE_MinMax_bf16_1_0_1v.has_indirect_call, or(0, .L_ZN12_GLOBAL__N_17runRingI12hip_bfloat1610FuncMinMaxIS1_E11ProtoSimpleILi1ELi4ELi1ELi1ELi0ELi0EELi0ELi1ELi1ELi0EEEviiP15ncclDevWorkColl.has_indirect_call, .L_ZN12_GLOBAL__N_17runRingI12hip_bfloat1610FuncMinMaxIS1_E11ProtoSimpleILi2ELi2ELi1ELi1ELi0ELi0EELi0ELi1ELi1ELi0EEEviiP15ncclDevWorkColl.has_indirect_call)
	.section	.AMDGPU.csdata,"",@progbits
; Function info:
; codeLenInByte = 1484
; TotalNumSgprs: 108
; NumVgprs: 128
; NumAgprs: 0
; TotalNumVgprs: 128
; ScratchSize: 320
; MemoryBound: 0
	.text
	.p2align	2                               ; -- Begin function _ZN12_GLOBAL__N_17runRingI12hip_bfloat1610FuncMinMaxIS1_E11ProtoSimpleILi1ELi4ELi1ELi1ELi0ELi0EELi0ELi1ELi1ELi1EEEviiP15ncclDevWorkColl
	.type	_ZN12_GLOBAL__N_17runRingI12hip_bfloat1610FuncMinMaxIS1_E11ProtoSimpleILi1ELi4ELi1ELi1ELi0ELi0EELi0ELi1ELi1ELi1EEEviiP15ncclDevWorkColl,@function
_ZN12_GLOBAL__N_17runRingI12hip_bfloat1610FuncMinMaxIS1_E11ProtoSimpleILi1ELi4ELi1ELi1ELi0ELi0EELi0ELi1ELi1ELi1EEEviiP15ncclDevWorkColl: ; @_ZN12_GLOBAL__N_17runRingI12hip_bfloat1610FuncMinMaxIS1_E11ProtoSimpleILi1ELi4ELi1ELi1ELi0ELi0EELi0ELi1ELi1ELi1EEEviiP15ncclDevWorkColl
; %bb.0:
	s_waitcnt vmcnt(0) expcnt(0) lgkmcnt(0)
	s_mov_b32 s0, s33
	s_mov_b32 s33, s32
	s_or_saveexec_b64 s[2:3], -1
	scratch_store_dword off, v127, s33 offset:284 ; 4-byte Folded Spill
	scratch_store_dword off, v126, s33 offset:288 ; 4-byte Folded Spill
	s_mov_b64 exec, s[2:3]
	v_writelane_b32 v127, s0, 36
	s_addk_i32 s32, 0x130
	scratch_store_dword off, v40, s33 offset:180 ; 4-byte Folded Spill
	scratch_store_dword off, v41, s33 offset:176 ; 4-byte Folded Spill
	;; [unrolled: 1-line block ×45, first 2 shown]
	scratch_store_dword off, v125, s33      ; 4-byte Folded Spill
	v_writelane_b32 v127, s34, 0
	v_writelane_b32 v127, s35, 1
	;; [unrolled: 1-line block ×35, first 2 shown]
	s_nop 1
	v_writelane_b32 v127, s31, 35
	s_trap 2
	flat_load_dword v9, v[2:3]
	ds_read_b32 v6, v0
                                        ; implicit-def: $vgpr14_vgpr15
                                        ; implicit-def: $vgpr24_vgpr25
                                        ; implicit-def: $vgpr4_vgpr5
	s_waitcnt lgkmcnt(0)
	v_readfirstlane_b32 s68, v6
	s_waitcnt vmcnt(0)
	v_cmp_ne_u32_sdwa s[0:1], v6, v9 src0_sel:DWORD src1_sel:BYTE_0
	s_and_saveexec_b64 s[2:3], s[0:1]
	s_xor_b64 s[0:1], exec, s[2:3]
	s_cbranch_execz .LBB11_6
; %bb.1:
	v_not_b32_sdwa v8, v9 dst_sel:DWORD dst_unused:UNUSED_PAD src0_sel:BYTE_0
	v_cmp_ne_u32_sdwa s[2:3], v6, v9 src0_sel:DWORD src1_sel:BYTE_1
                                        ; implicit-def: $vgpr14_vgpr15
                                        ; implicit-def: $vgpr24_vgpr25
                                        ; implicit-def: $vgpr4_vgpr5
	s_and_saveexec_b64 s[4:5], s[2:3]
	s_xor_b64 s[2:3], exec, s[4:5]
	s_cbranch_execz .LBB11_3
; %bb.2:
	flat_load_dwordx4 v[10:13], v[2:3] offset:72
	flat_load_dwordx2 v[4:5], v[2:3] offset:96
	v_add_u32_e32 v6, v6, v8
	v_ashrrev_i32_e32 v7, 31, v6
                                        ; implicit-def: $vgpr9
                                        ; implicit-def: $vgpr8
	s_waitcnt vmcnt(0) lgkmcnt(0)
	v_mul_lo_u32 v7, v12, v7
	v_mad_u64_u32 v[24:25], s[4:5], v12, v6, v[10:11]
	v_mul_lo_u32 v6, v13, v6
	v_lshrrev_b64 v[14:15], 13, v[4:5]
	v_add3_u32 v25, v6, v25, v7
	v_mov_b64_e32 v[4:5], v[12:13]
.LBB11_3:
	s_andn2_saveexec_b64 s[2:3], s[2:3]
	s_cbranch_execz .LBB11_5
; %bb.4:
	flat_load_dwordx4 v[10:13], v[2:3] offset:72
	flat_load_dwordx4 v[4:7], v[2:3] offset:88
	s_waitcnt vmcnt(0) lgkmcnt(0)
	v_add_u32_sdwa v6, v9, v8 dst_sel:DWORD dst_unused:UNUSED_PAD src0_sel:BYTE_1 src1_sel:DWORD
	v_ashrrev_i32_e32 v8, 31, v6
	v_mul_lo_u32 v8, v12, v8
	v_mad_u64_u32 v[24:25], s[4:5], v12, v6, v[10:11]
	v_mul_lo_u32 v6, v13, v6
	v_add3_u32 v25, v6, v25, v8
	v_lshrrev_b32_e32 v14, 2, v7
.LBB11_5:
	s_or_b64 exec, exec, s[2:3]
.LBB11_6:
	s_andn2_saveexec_b64 s[0:1], s[0:1]
	s_cbranch_execz .LBB11_8
; %bb.7:
	flat_load_dwordx2 v[6:7], v[2:3] offset:96
	flat_load_dwordx2 v[4:5], v[2:3] offset:72
	v_mov_b64_e32 v[24:25], 0
	s_waitcnt vmcnt(0) lgkmcnt(0)
	v_lshlrev_b64 v[14:15], 8, v[6:7]
.LBB11_8:
	s_or_b64 exec, exec, s[0:1]
	s_trap 2
	ds_read_b64 v[6:7], v0
	s_waitcnt lgkmcnt(0)
	v_cmp_ne_u32_e32 vcc, -1, v6
	s_nop 1
	v_cndmask_b32_e64 v15, 0, 1, vcc
	v_cmp_ne_u32_e32 vcc, -1, v7
	s_nop 1
	v_addc_co_u32_e64 v8, s[0:1], 0, v15, vcc
	v_lshlrev_b32_e32 v6, 1, v8
	v_cmp_le_u32_e64 s[0:1], v6, v1
	s_and_saveexec_b64 s[2:3], s[0:1]
	s_xor_b64 s[72:73], exec, s[2:3]
	s_cbranch_execz .LBB11_1925
; %bb.9:
	flat_load_dwordx4 v[10:13], v[2:3] offset:16
	flat_load_dwordx2 v[16:17], v[2:3] offset:104
	flat_load_ushort v7, v[2:3] offset:8
	flat_load_dword v6, v[2:3] offset:4
	s_trap 2
	s_load_dword s0, s[8:9], 0x0
	v_mov_b32_e32 v9, 0
	v_mov_b32_e32 v90, 4
	s_waitcnt lgkmcnt(0)
	s_cmp_lt_u32 s12, s0
	s_cselect_b32 s0, 12, 18
	s_add_u32 s0, s8, s0
	s_addc_u32 s1, s9, 0
	global_load_ushort v21, v9, s[0:1]
	ds_read_b32 v9, v0
	v_cmp_ge_u32_e64 s[0:1], v0, v15
	s_waitcnt lgkmcnt(0)
	v_readfirstlane_b32 s22, v9
	s_and_saveexec_b64 s[2:3], s[0:1]
	s_cbranch_execz .LBB11_19
; %bb.10:
	v_cmp_ge_u32_e64 s[0:1], v0, v8
                                        ; implicit-def: $vgpr90
	s_and_saveexec_b64 s[4:5], s[0:1]
	s_xor_b64 s[0:1], exec, s[4:5]
	s_cbranch_execz .LBB11_16
; %bb.11:
	v_cndmask_b32_e64 v9, 0, 1, vcc
	v_sub_u32_e32 v9, v1, v9
	v_cmp_ge_u32_e32 vcc, v0, v9
	s_and_saveexec_b64 s[4:5], vcc
	s_xor_b64 s[4:5], exec, s[4:5]
; %bb.12:
                                        ; implicit-def: $vgpr8
; %bb.13:
	s_or_saveexec_b64 s[4:5], s[4:5]
	v_mov_b32_e32 v90, 16
	s_xor_b64 exec, exec, s[4:5]
; %bb.14:
	v_sub_u32_e32 v8, v1, v8
	v_cmp_lt_i32_e32 vcc, v0, v8
	s_nop 1
	v_cndmask_b32_e64 v90, 32, 0, vcc
; %bb.15:
	s_or_b64 exec, exec, s[4:5]
.LBB11_16:
	s_andn2_saveexec_b64 s[0:1], s[0:1]
; %bb.17:
	v_mov_b32_e32 v90, 8
; %bb.18:
	s_or_b64 exec, exec, s[0:1]
.LBB11_19:
	s_or_b64 exec, exec, s[2:3]
	v_and_b32_e32 v8, 36, v90
	v_cmp_ne_u32_e32 vcc, 0, v8
	v_mov_b32_e32 v8, -1
	s_and_saveexec_b64 s[0:1], vcc
	s_cbranch_execz .LBB11_21
; %bb.20:
	s_trap 2
	ds_read_b32 v8, v0
.LBB11_21:
	s_or_b64 exec, exec, s[0:1]
	v_and_b32_e32 v9, 24, v90
	v_cmp_ne_u32_e64 s[0:1], 0, v9
	s_and_saveexec_b64 s[2:3], s[0:1]
	s_cbranch_execz .LBB11_23
; %bb.22:
	s_trap 2
	s_waitcnt lgkmcnt(0)
	ds_read_b32 v8, v0
.LBB11_23:
	s_or_b64 exec, exec, s[2:3]
	s_waitcnt vmcnt(0)
	v_lshrrev_b64 v[6:7], 31, v[6:7]
	v_and_b32_e32 v20, 3, v6
	v_mov_b64_e32 v[6:7], 0
	scratch_store_dwordx2 off, v[6:7], s33 offset:264 ; 8-byte Folded Spill
                                        ; implicit-def: $vgpr6_vgpr7
                                        ; kill: killed $vgpr6_vgpr7
                                        ; implicit-def: $vgpr30
                                        ; implicit-def: $vgpr44_vgpr45
                                        ; implicit-def: $vgpr34_vgpr35
                                        ; implicit-def: $vgpr38_vgpr39
                                        ; implicit-def: $vgpr32_vgpr33
	v_mov_b64_e32 v[6:7], 0
	s_and_saveexec_b64 s[0:1], vcc
	s_cbranch_execz .LBB11_33
; %bb.24:
	s_trap 2
	ds_read_b64 v[6:7], v0
	s_waitcnt lgkmcnt(1)
	v_ashrrev_i32_e32 v9, 31, v8
	s_movk_i32 s2, 0xa8
	s_waitcnt lgkmcnt(0)
	v_lshl_add_u64 v[6:7], v[8:9], 3, v[6:7]
	flat_load_dwordx2 v[6:7], v[6:7]
	v_and_b32_e32 v9, 0xffff, v20
	s_waitcnt vmcnt(0) lgkmcnt(0)
	v_mad_u64_u32 v[18:19], s[2:3], v9, s2, v[6:7]
	flat_load_dword v6, v[18:19] offset:640
	s_waitcnt vmcnt(0) lgkmcnt(0)
	v_cmp_eq_u32_e32 vcc, 1, v6
                                        ; implicit-def: $vgpr6_vgpr7
                                        ; kill: killed $vgpr6_vgpr7
	s_and_saveexec_b64 s[2:3], vcc
	s_cbranch_execz .LBB11_26
; %bb.25:
	flat_load_dwordx2 v[22:23], v[18:19] offset:648
	v_or_b32_e32 v90, 0x2000, v90
	s_waitcnt vmcnt(0) lgkmcnt(0)
	flat_load_dwordx2 v[6:7], v[22:23]
	s_trap 2
	scratch_store_dwordx2 off, v[22:23], s33 offset:276 ; 8-byte Folded Spill
	s_waitcnt vmcnt(0) lgkmcnt(0)
	ds_write_b64 v0, v[6:7]
	flat_load_dwordx2 v[6:7], v[22:23] offset:8
	s_waitcnt vmcnt(0) lgkmcnt(0)
	ds_write_b64 v0, v[6:7]
	flat_load_dwordx2 v[6:7], v[22:23] offset:16
	s_waitcnt vmcnt(0) lgkmcnt(0)
	ds_write_b64 v0, v[6:7]
.LBB11_26:
	s_or_b64 exec, exec, s[2:3]
	flat_load_dwordx2 v[6:7], v[18:19] offset:608
	v_and_b32_e32 v9, 32, v90
	v_cmp_ne_u32_e32 vcc, 0, v9
                                        ; implicit-def: $vgpr32_vgpr33
	s_waitcnt vmcnt(0) lgkmcnt(0)
	v_lshl_add_u64 v[44:45], v[6:7], 0, 3
	v_and_b32_e32 v44, -4, v44
	s_and_saveexec_b64 s[2:3], vcc
	s_cbranch_execz .LBB11_28
; %bb.27:
	flat_load_dwordx2 v[32:33], v[18:19] offset:560
	s_waitcnt vmcnt(0) lgkmcnt(0)
	flat_store_dwordx2 v[32:33], v[44:45] sc0 sc1
.LBB11_28:
	s_or_b64 exec, exec, s[2:3]
	s_mov_b64 s[2:3], 0x1f8
	v_lshl_add_u64 v[6:7], v[18:19], 0, s[2:3]
	scratch_store_dwordx2 off, v[6:7], s33 offset:264 ; 8-byte Folded Spill
	v_and_b32_e32 v6, 4, v90
	v_cmp_ne_u32_e32 vcc, 0, v6
	v_mov_b64_e32 v[6:7], 0
                                        ; implicit-def: $vgpr30
                                        ; implicit-def: $vgpr34_vgpr35
                                        ; implicit-def: $vgpr38_vgpr39
	s_and_saveexec_b64 s[2:3], vcc
	s_cbranch_execz .LBB11_32
; %bb.29:
	v_and_b32_e32 v6, 0x800, v90
	v_cmp_eq_u32_e32 vcc, 0, v6
	s_and_saveexec_b64 s[4:5], vcc
	s_cbranch_execz .LBB11_31
; %bb.30:
	s_trap 2
	scratch_load_dwordx2 v[6:7], off, s33 offset:264 ; 8-byte Folded Reload
	s_waitcnt vmcnt(0)
	ds_write_b64 v0, v[6:7]
.LBB11_31:
	s_or_b64 exec, exec, s[4:5]
	flat_load_dwordx2 v[32:33], v[18:19] offset:552
	s_waitcnt vmcnt(0) lgkmcnt(0)
	flat_load_dwordx2 v[38:39], v[32:33] sc0 sc1
	flat_load_dword v9, v[18:19] offset:576
	flat_load_dwordx2 v[6:7], v[18:19] offset:600
	flat_load_dwordx2 v[34:35], v[18:19] offset:520
	v_or_b32_e32 v18, 0x100, v90
	s_waitcnt vmcnt(0) lgkmcnt(0)
	v_ashrrev_i32_e32 v30, 1, v9
	v_cmp_eq_u64_e32 vcc, 0, v[6:7]
	s_nop 1
	v_cndmask_b32_e32 v90, v18, v90, vcc
.LBB11_32:
	s_or_b64 exec, exec, s[2:3]
.LBB11_33:
	s_or_b64 exec, exec, s[0:1]
	v_and_b32_e32 v9, 24, v90
	v_cmp_ne_u32_e32 vcc, 0, v9
                                        ; implicit-def: $vgpr36_vgpr37
	s_and_saveexec_b64 s[0:1], vcc
	s_cbranch_execz .LBB11_41
; %bb.34:
	s_trap 2
	ds_read_b64 v[6:7], v0
	s_waitcnt lgkmcnt(0)
	v_ashrrev_i32_e32 v9, 31, v8
	s_movk_i32 s2, 0xa8
	v_or_b32_e32 v18, 0x100, v90
                                        ; implicit-def: $vgpr36_vgpr37
	v_lshl_add_u64 v[6:7], v[8:9], 3, v[6:7]
	flat_load_dwordx2 v[6:7], v[6:7]
	v_and_b32_e32 v8, 0xffff, v20
	s_waitcnt vmcnt(0) lgkmcnt(0)
	v_mad_u64_u32 v[6:7], s[2:3], v8, s2, v[6:7]
	scratch_store_dwordx2 off, v[6:7], s33 offset:264 ; 8-byte Folded Spill
	flat_load_dwordx4 v[6:9], v[6:7] offset:96
	s_waitcnt vmcnt(0) lgkmcnt(0)
	v_cmp_eq_u64_e32 vcc, 0, v[6:7]
	s_nop 1
	v_cndmask_b32_e32 v90, v18, v90, vcc
	v_and_b32_e32 v18, 16, v90
	v_cmp_ne_u32_e32 vcc, 0, v18
	s_and_saveexec_b64 s[2:3], vcc
	s_cbranch_execz .LBB11_36
; %bb.35:
	scratch_load_dwordx2 v[18:19], off, s33 offset:264 ; 8-byte Folded Reload
	s_waitcnt vmcnt(0)
	flat_load_dwordx2 v[32:33], v[18:19] offset:48
	flat_load_dwordx2 v[36:37], v[18:19] offset:120
	;; [unrolled: 1-line block ×3, first 2 shown]
.LBB11_36:
	s_or_b64 exec, exec, s[2:3]
	v_lshl_add_u64 v[44:45], v[8:9], 0, 3
	v_and_b32_e32 v8, 8, v90
	v_and_b32_e32 v44, -4, v44
	v_cmp_ne_u32_e32 vcc, 0, v8
	s_and_saveexec_b64 s[2:3], vcc
	s_cbranch_execz .LBB11_40
; %bb.37:
	v_and_b32_e32 v8, 0x800, v90
	v_cmp_eq_u32_e32 vcc, 0, v8
	s_and_saveexec_b64 s[4:5], vcc
	s_cbranch_execz .LBB11_39
; %bb.38:
	s_trap 2
	scratch_load_dwordx2 v[8:9], off, s33 offset:264 ; 8-byte Folded Reload
	s_waitcnt vmcnt(0)
	ds_write_b64 v0, v[8:9]
.LBB11_39:
	s_or_b64 exec, exec, s[4:5]
	scratch_load_dwordx2 v[18:19], off, s33 offset:264 ; 8-byte Folded Reload
	s_waitcnt vmcnt(0) lgkmcnt(0)
	flat_load_dwordx2 v[32:33], v[18:19] offset:56
	s_waitcnt vmcnt(0) lgkmcnt(0)
	flat_load_dwordx2 v[38:39], v[32:33] sc0 sc1
	flat_load_dword v8, v[18:19] offset:72
	flat_load_dwordx2 v[34:35], v[18:19] offset:16
	s_waitcnt vmcnt(0) lgkmcnt(0)
	v_ashrrev_i32_e32 v30, 1, v8
.LBB11_40:
	s_or_b64 exec, exec, s[2:3]
.LBB11_41:
	s_or_b64 exec, exec, s[0:1]
	v_cmp_eq_u32_e64 s[0:1], 0, v0
	s_and_saveexec_b64 s[2:3], s[0:1]
	s_cbranch_execz .LBB11_43
; %bb.42:
	s_waitcnt lgkmcnt(0)
	flat_load_dwordx2 v[8:9], v[2:3] offset:32
	ds_write2_b64 v0, v[12:13], v[10:11] offset1:1
	s_trap 2
	s_waitcnt vmcnt(0) lgkmcnt(0)
	ds_write_b64 v0, v[8:9]
	ds_write_b64 v0, v[16:17]
.LBB11_43:
	s_or_b64 exec, exec, s[2:3]
	v_mov_b64_e32 v[48:49], 0
	v_cmp_lt_i64_e32 vcc, 0, v[4:5]
	s_trap 2
	s_and_saveexec_b64 s[4:5], vcc
	s_cbranch_execz .LBB11_1891
; %bb.44:
	s_waitcnt lgkmcnt(0)
	flat_load_dword v8, v[2:3] offset:4
	s_ashr_i32 s16, s22, 31
	s_lshr_b32 s23, s16, 29
	s_add_i32 s22, s22, s23
	s_ashr_i32 s69, s68, 31
	s_ashr_i32 s23, s22, 4
	s_add_u32 s34, s68, -1
	s_addc_u32 s35, s69, -1
	s_add_i32 s71, s68, s68
	s_not_b32 s24, s68
	s_cmp_gt_i32 s68, 0
	s_cselect_b32 s24, s24, -1
	s_ashr_i32 s22, s22, 31
	s_lshr_b32 s22, s22, 29
	s_add_i32 s80, s24, s71
	s_add_i32 s23, s23, s22
	s_ashr_i32 s81, s80, 31
	s_ashr_i32 s82, s23, 3
	s_cmp_gt_i32 s68, 2
	v_lshrrev_b32_e32 v52, 6, v1
	v_lshlrev_b32_e32 v10, 1, v1
	s_cselect_b64 s[36:37], -1, 0
	s_add_i32 s83, s33, 0xf0
	s_add_i32 s84, s33, 0xd0
	;; [unrolled: 1-line block ×5, first 2 shown]
	v_and_b32_e32 v2, 0x1fffff00, v14
	v_lshlrev_b32_e32 v68, 11, v52
	v_lshlrev_b32_e32 v70, 10, v52
	;; [unrolled: 1-line block ×4, first 2 shown]
	v_and_b32_e32 v82, 0x7f80, v10
                                        ; implicit-def: $vgpr126 : SGPR spill to VGPR lane
	v_and_b32_e32 v9, 63, v31
	v_and_b32_e32 v91, 63, v0
	v_mad_i64_i32 v[64:65], s[14:15], v2, s68, 0
	v_add_u32_e32 v84, 0xfffff800, v68
	v_add_u32_e32 v86, 0xfffffc00, v70
	;; [unrolled: 1-line block ×5, first 2 shown]
	v_writelane_b32 v126, s4, 0
	v_mov_b32_e32 v3, 0
	v_lshrrev_b32_e32 v92, 6, v0
	s_mov_b64 s[88:89], 0x800
	s_mov_b64 s[90:91], 0x400
	s_mov_b64 s[92:93], 0x200
	s_mov_b64 s[94:95], 0x80
	v_cmp_eq_u32_e64 s[14:15], 0, v9
	v_lshlrev_b32_e32 v9, 4, v91
	v_ashrrev_i32_e32 v85, 31, v84
	v_ashrrev_i32_e32 v87, 31, v86
	;; [unrolled: 1-line block ×5, first 2 shown]
	v_writelane_b32 v126, s5, 1
	s_mov_b32 s77, 0
	v_cmp_ge_u32_e64 s[2:3], v0, v1
	v_ashrrev_i32_e32 v51, 31, v30
	v_cmp_eq_u32_e64 s[4:5], 64, v1
	v_cmp_ne_u32_e64 s[6:7], 64, v1
	v_cmp_ne_u32_sdwa s[78:79], v1, v21 src0_sel:DWORD src1_sel:WORD_0
	s_movk_i32 s70, 0xff80
	s_mov_b64 s[30:31], 0
	s_waitcnt vmcnt(0)
	v_cmp_eq_u64_e64 s[10:11], 0, v[36:37]
	v_cmp_ne_u64_e64 s[12:13], 0, v[36:37]
	v_lshlrev_b32_e32 v54, 4, v0
	v_mov_b32_e32 v53, v3
	v_cmp_eq_u32_e64 s[16:17], 0, v91
	v_cmp_lt_u32_e64 s[18:19], v91, v15
	v_mov_b32_e32 v11, v3
	v_cmp_le_u32_e64 s[20:21], v91, v15
	v_mov_b32_e32 v55, v3
	v_mov_b32_e32 v81, v3
	v_lshl_or_b32 v10, v92, 11, v9
	v_lshl_add_u64 v[100:101], v[84:85], 0, s[88:89]
	v_lshl_add_u64 v[102:103], v[86:87], 0, s[90:91]
	;; [unrolled: 1-line block ×4, first 2 shown]
	s_waitcnt lgkmcnt(0)
	v_and_b32_e32 v8, 1, v8
	v_cmp_eq_u32_e64 s[22:23], 1, v8
	s_xor_b64 s[38:39], s[22:23], -1
	s_cmp_ge_i32 s24, s68
	s_cselect_b32 s25, s68, 0
	s_sub_i32 s87, s24, s25
	v_lshl_add_u64 v[118:119], v[116:117], 0, s[94:95]
	v_mov_b32_e32 v71, v3
	v_mov_b32_e32 v83, v3
	;; [unrolled: 1-line block ×3, first 2 shown]
	s_ashr_i32 s96, s87, 31
	s_add_i32 s97, s68, -2
	v_mov_b64_e32 v[40:41], 0
	v_mov_b32_e32 v94, 1
	s_movk_i32 s98, 0x108
	s_mov_b32 s99, 0x7f800000
	s_movk_i32 s74, 0x7fff
	s_mov_b32 s75, 0xffff0000
	v_mov_b32_e32 v26, v3
	v_mov_b32_e32 v27, v3
	;; [unrolled: 1-line block ×6, first 2 shown]
	v_mov_b64_e32 v[48:49], 0
	v_mov_b64_e32 v[42:43], v[2:3]
	scratch_store_dword off, v21, s33 offset:272 ; 4-byte Folded Spill
	s_trap 2
	scratch_store_dwordx2 off, v[10:11], s33 offset:256 ; 8-byte Folded Spill
	s_branch .LBB11_47
.LBB11_45:                              ;   in Loop: Header=BB11_47 Depth=1
	s_or_b64 exec, exec, s[24:25]
.LBB11_46:                              ;   in Loop: Header=BB11_47 Depth=1
	s_or_b64 exec, exec, s[26:27]
	v_lshl_add_u64 v[40:41], v[40:41], 0, v[64:65]
	v_cmp_ge_i64_e32 vcc, v[40:41], v[4:5]
	s_or_b64 s[30:31], vcc, s[30:31]
	s_andn2_b64 exec, exec, s[30:31]
	s_cbranch_execz .LBB11_1890
.LBB11_47:                              ; =>This Loop Header: Depth=1
                                        ;     Child Loop BB11_62 Depth 2
                                        ;     Child Loop BB11_86 Depth 2
                                        ;     Child Loop BB11_105 Depth 2
                                        ;     Child Loop BB11_130 Depth 2
                                        ;     Child Loop BB11_142 Depth 2
                                        ;     Child Loop BB11_158 Depth 2
                                        ;     Child Loop BB11_169 Depth 2
                                        ;     Child Loop BB11_183 Depth 2
                                        ;     Child Loop BB11_207 Depth 2
                                        ;     Child Loop BB11_229 Depth 2
                                        ;     Child Loop BB11_253 Depth 2
                                        ;     Child Loop BB11_277 Depth 2
                                        ;     Child Loop BB11_296 Depth 2
                                        ;       Child Loop BB11_305 Depth 3
                                        ;       Child Loop BB11_333 Depth 3
	;; [unrolled: 1-line block ×4, first 2 shown]
                                        ;         Child Loop BB11_382 Depth 4
                                        ;         Child Loop BB11_419 Depth 4
                                        ;       Child Loop BB11_494 Depth 3
                                        ;         Child Loop BB11_495 Depth 4
                                        ;         Child Loop BB11_532 Depth 4
                                        ;       Child Loop BB11_609 Depth 3
                                        ;       Child Loop BB11_668 Depth 3
                                        ;         Child Loop BB11_669 Depth 4
                                        ;         Child Loop BB11_678 Depth 4
                                        ;       Child Loop BB11_697 Depth 3
                                        ;       Child Loop BB11_716 Depth 3
	;; [unrolled: 1-line block ×5, first 2 shown]
                                        ;     Child Loop BB11_818 Depth 2
                                        ;     Child Loop BB11_853 Depth 2
	;; [unrolled: 1-line block ×8, first 2 shown]
                                        ;       Child Loop BB11_981 Depth 3
                                        ;     Child Loop BB11_987 Depth 2
                                        ;       Child Loop BB11_1020 Depth 3
                                        ;     Child Loop BB11_1028 Depth 2
                                        ;     Child Loop BB11_1076 Depth 2
                                        ;       Child Loop BB11_1081 Depth 3
                                        ;     Child Loop BB11_1217 Depth 2
                                        ;     Child Loop BB11_1240 Depth 2
	;; [unrolled: 1-line block ×6, first 2 shown]
                                        ;       Child Loop BB11_1271 Depth 3
                                        ;       Child Loop BB11_1311 Depth 3
	;; [unrolled: 1-line block ×8, first 2 shown]
                                        ;         Child Loop BB11_1406 Depth 4
                                        ;       Child Loop BB11_1412 Depth 3
                                        ;         Child Loop BB11_1413 Depth 4
                                        ;       Child Loop BB11_1421 Depth 3
                                        ;       Child Loop BB11_1453 Depth 3
                                        ;         Child Loop BB11_1454 Depth 4
                                        ;       Child Loop BB11_1570 Depth 3
                                        ;       Child Loop BB11_1589 Depth 3
                                        ;       Child Loop BB11_1278 Depth 3
                                        ;       Child Loop BB11_1338 Depth 3
                                        ;       Child Loop BB11_1376 Depth 3
                                        ;     Child Loop BB11_1616 Depth 2
                                        ;     Child Loop BB11_1640 Depth 2
	;; [unrolled: 1-line block ×12, first 2 shown]
	v_sub_co_u32_e32 v46, vcc, v4, v40
	s_nop 1
	v_subb_co_u32_e32 v47, vcc, v5, v41, vcc
	v_cmp_lt_i64_e32 vcc, v[46:47], v[64:65]
	s_and_saveexec_b64 s[26:27], vcc
	s_cbranch_execz .LBB11_53
; %bb.48:                               ;   in Loop: Header=BB11_47 Depth=1
	v_lshl_add_u64 v[8:9], s[34:35], 0, v[46:47]
	v_or_b32_e32 v11, s69, v9
	v_mov_b32_e32 v10, v3
	v_cmp_ne_u64_e32 vcc, 0, v[10:11]
                                        ; implicit-def: $vgpr10_vgpr11
	s_and_saveexec_b64 s[24:25], vcc
	s_xor_b64 s[28:29], exec, s[24:25]
	s_cbranch_execz .LBB11_50
; %bb.49:                               ;   in Loop: Header=BB11_47 Depth=1
	s_ashr_i32 s40, s69, 31
	s_add_u32 s24, s68, s40
	s_mov_b32 s41, s40
	s_addc_u32 s25, s69, s40
	s_xor_b64 s[42:43], s[24:25], s[40:41]
	v_cvt_f32_u32_e32 v2, s42
	v_cvt_f32_u32_e32 v10, s43
	s_sub_u32 s41, 0, s42
	s_subb_u32 s44, 0, s43
	v_fmac_f32_e32 v2, 0x4f800000, v10
	v_rcp_f32_e32 v2, v2
	s_nop 0
	v_mul_f32_e32 v2, 0x5f7ffffc, v2
	v_mul_f32_e32 v10, 0x2f800000, v2
	v_trunc_f32_e32 v10, v10
	v_fmac_f32_e32 v2, 0xcf800000, v10
	v_cvt_u32_f32_e32 v10, v10
	v_cvt_u32_f32_e32 v2, v2
	v_readfirstlane_b32 s45, v10
	v_readfirstlane_b32 s24, v2
	s_mul_i32 s25, s41, s45
	s_mul_hi_u32 s47, s41, s24
	s_mul_i32 s46, s44, s24
	s_add_i32 s25, s47, s25
	s_add_i32 s25, s25, s46
	s_mul_i32 s56, s41, s24
	s_mul_i32 s47, s24, s25
	s_mul_hi_u32 s57, s24, s56
	s_mul_hi_u32 s46, s24, s25
	s_add_u32 s47, s57, s47
	s_addc_u32 s46, 0, s46
	s_mul_hi_u32 s58, s45, s56
	s_mul_i32 s56, s45, s56
	s_add_u32 s47, s47, s56
	s_mul_hi_u32 s57, s45, s25
	s_addc_u32 s46, s46, s58
	s_addc_u32 s47, s57, 0
	s_mul_i32 s25, s45, s25
	s_add_u32 s25, s46, s25
	s_addc_u32 s46, 0, s47
	s_add_u32 s47, s24, s25
	s_cselect_b64 s[24:25], -1, 0
	s_cmp_lg_u64 s[24:25], 0
	s_addc_u32 s45, s45, s46
	s_mul_i32 s24, s41, s45
	s_mul_hi_u32 s25, s41, s47
	s_add_i32 s24, s25, s24
	s_mul_i32 s44, s44, s47
	s_add_i32 s24, s24, s44
	s_mul_i32 s41, s41, s47
	s_mul_hi_u32 s44, s45, s41
	s_mul_i32 s46, s45, s41
	s_mul_i32 s57, s47, s24
	s_mul_hi_u32 s41, s47, s41
	s_mul_hi_u32 s56, s47, s24
	s_add_u32 s41, s41, s57
	s_addc_u32 s56, 0, s56
	s_add_u32 s41, s41, s46
	s_mul_hi_u32 s25, s45, s24
	s_addc_u32 s41, s56, s44
	s_addc_u32 s25, s25, 0
	s_mul_i32 s24, s45, s24
	s_add_u32 s24, s41, s24
	s_addc_u32 s41, 0, s25
	s_add_u32 s44, s47, s24
	v_ashrrev_i32_e32 v10, 31, v9
	s_cselect_b64 s[24:25], -1, 0
	v_mov_b32_e32 v11, v10
	s_cmp_lg_u64 s[24:25], 0
	v_lshl_add_u64 v[8:9], v[8:9], 0, v[10:11]
	s_addc_u32 s41, s45, s41
	v_xor_b32_e32 v16, v8, v10
	v_xor_b32_e32 v11, v9, v10
	v_mad_u64_u32 v[8:9], s[24:25], v16, s41, 0
	v_mul_hi_u32 v2, v16, s44
	v_lshl_add_u64 v[8:9], v[2:3], 0, v[8:9]
	v_mad_u64_u32 v[14:15], s[24:25], v11, s44, 0
	v_add_co_u32_e32 v2, vcc, v8, v14
	v_mad_u64_u32 v[12:13], s[24:25], v11, s41, 0
	s_nop 0
	v_addc_co_u32_e32 v2, vcc, v9, v15, vcc
	s_nop 1
	v_addc_co_u32_e32 v13, vcc, 0, v13, vcc
	v_lshl_add_u64 v[8:9], v[2:3], 0, v[12:13]
	v_mul_lo_u32 v2, s43, v8
	v_mul_lo_u32 v14, s42, v9
	v_mad_u64_u32 v[12:13], s[24:25], s42, v8, 0
	v_add3_u32 v2, v13, v14, v2
	v_sub_u32_e32 v13, v11, v2
	v_mov_b32_e32 v14, s43
	v_sub_co_u32_e32 v16, vcc, v16, v12
	s_nop 1
	v_subb_co_u32_e64 v12, s[24:25], v13, v14, vcc
	v_subrev_co_u32_e64 v13, s[24:25], s42, v16
	v_subb_co_u32_e32 v2, vcc, v11, v2, vcc
	s_nop 0
	v_subbrev_co_u32_e64 v12, s[24:25], 0, v12, s[24:25]
	v_cmp_le_u32_e64 s[24:25], s43, v12
	v_cmp_le_u32_e32 vcc, s43, v2
	s_nop 0
	v_cndmask_b32_e64 v14, 0, -1, s[24:25]
	v_cmp_le_u32_e64 s[24:25], s42, v13
	v_cndmask_b32_e64 v11, 0, -1, vcc
	v_cmp_le_u32_e32 vcc, s42, v16
	v_cndmask_b32_e64 v13, 0, -1, s[24:25]
	v_cmp_eq_u32_e64 s[24:25], s43, v12
	s_nop 1
	v_cndmask_b32_e64 v17, v14, v13, s[24:25]
	v_lshl_add_u64 v[12:13], v[8:9], 0, 2
	v_lshl_add_u64 v[14:15], v[8:9], 0, 1
	v_cmp_ne_u32_e64 s[24:25], 0, v17
	s_nop 1
	v_cndmask_b32_e64 v13, v15, v13, s[24:25]
	v_cndmask_b32_e64 v15, 0, -1, vcc
	v_cmp_eq_u32_e32 vcc, s43, v2
	s_nop 1
	v_cndmask_b32_e32 v2, v11, v15, vcc
	v_cmp_ne_u32_e32 vcc, 0, v2
	s_nop 1
	v_cndmask_b32_e32 v2, v9, v13, vcc
	v_cndmask_b32_e64 v9, v14, v12, s[24:25]
	v_cndmask_b32_e32 v8, v8, v9, vcc
	v_xor_b32_e32 v9, s40, v10
	v_xor_b32_e32 v8, v8, v9
	;; [unrolled: 1-line block ×3, first 2 shown]
	v_sub_co_u32_e32 v10, vcc, v8, v9
	s_nop 1
	v_subb_co_u32_e32 v11, vcc, v2, v9, vcc
                                        ; implicit-def: $vgpr8_vgpr9
.LBB11_50:                              ;   in Loop: Header=BB11_47 Depth=1
	s_andn2_saveexec_b64 s[24:25], s[28:29]
	s_cbranch_execz .LBB11_52
; %bb.51:                               ;   in Loop: Header=BB11_47 Depth=1
	v_cvt_f32_u32_e32 v2, s68
	s_sub_i32 s28, 0, s68
	v_rcp_iflag_f32_e32 v2, v2
	s_nop 0
	v_mul_f32_e32 v2, 0x4f7ffffe, v2
	v_cvt_u32_f32_e32 v2, v2
	v_mul_lo_u32 v9, s28, v2
	v_mul_hi_u32 v9, v2, v9
	v_add_u32_e32 v2, v2, v9
	v_mul_hi_u32 v2, v8, v2
	v_mul_lo_u32 v9, v2, s68
	v_sub_u32_e32 v8, v8, v9
	v_add_u32_e32 v10, 1, v2
	v_subrev_u32_e32 v9, s68, v8
	v_cmp_le_u32_e32 vcc, s68, v8
	s_nop 1
	v_cndmask_b32_e32 v8, v8, v9, vcc
	v_cndmask_b32_e32 v2, v2, v10, vcc
	v_add_u32_e32 v9, 1, v2
	v_cmp_le_u32_e32 vcc, s68, v8
	s_nop 1
	v_cndmask_b32_e32 v2, v2, v9, vcc
	v_mov_b64_e32 v[10:11], v[2:3]
.LBB11_52:                              ;   in Loop: Header=BB11_47 Depth=1
	s_or_b64 exec, exec, s[24:25]
	v_lshl_add_u64 v[42:43], v[10:11], 0, 7
	v_and_b32_e32 v42, -8, v42
.LBB11_53:                              ;   in Loop: Header=BB11_47 Depth=1
	s_or_b64 exec, exec, s[26:27]
	v_mul_lo_u32 v2, v43, s80
	v_mul_lo_u32 v10, v42, s81
	v_mad_u64_u32 v[8:9], s[24:25], v42, s80, 0
	v_add3_u32 v9, v9, v10, v2
	v_sub_co_u32_e32 v10, vcc, v46, v8
	v_lshl_add_u64 v[56:57], v[40:41], 0, v[24:25]
	s_nop 0
	v_subb_co_u32_e32 v11, vcc, v47, v9, vcc
	v_cmp_lt_i64_e32 vcc, v[42:43], v[10:11]
	v_mov_b32_e32 v2, 0
	s_nop 0
	v_cndmask_b32_e32 v10, v10, v42, vcc
	v_max_i32_e32 v78, 0, v10
	v_add_u32_e32 v11, 15, v78
	v_ashrrev_i32_e32 v12, 31, v11
	v_lshrrev_b32_e32 v12, 28, v12
	v_add_u32_e32 v11, v11, v12
	v_cmp_gt_i32_e32 vcc, 1, v10
	v_and_b32_e32 v11, -16, v11
	s_or_b64 s[26:27], s[2:3], vcc
	v_max_i32_e32 v58, s82, v11
	s_xor_b64 s[24:25], s[26:27], -1
	s_and_saveexec_b64 s[28:29], s[24:25]
	s_cbranch_execz .LBB11_222
; %bb.54:                               ;   in Loop: Header=BB11_47 Depth=1
	s_and_saveexec_b64 s[24:25], s[0:1]
	s_cbranch_execz .LBB11_56
; %bb.55:                               ;   in Loop: Header=BB11_47 Depth=1
	s_trap 2
	ds_read_b64 v[10:11], v0
	s_waitcnt lgkmcnt(0)
	v_lshl_add_u64 v[10:11], v[56:57], 1, v[10:11]
	v_lshl_add_u64 v[8:9], v[8:9], 1, v[10:11]
	ds_write_b64 v0, v[8:9]
	ds_write_b64 v0, v[26:27]
.LBB11_56:                              ;   in Loop: Header=BB11_47 Depth=1
	s_or_b64 exec, exec, s[24:25]
	v_and_b32_e32 v2, 8, v90
	v_min_i32_e32 v58, v58, v78
	v_cmp_ne_u32_e32 vcc, 0, v2
	s_and_saveexec_b64 s[40:41], vcc
	s_cbranch_execz .LBB11_78
; %bb.57:                               ;   in Loop: Header=BB11_47 Depth=1
	s_waitcnt vmcnt(0) lgkmcnt(0)
	v_lshl_add_u64 v[10:11], v[38:39], 0, 8
	v_lshl_add_u64 v[8:9], v[44:45], 0, 4
	v_cmp_lt_u64_e32 vcc, v[10:11], v[8:9]
	s_and_saveexec_b64 s[42:43], vcc
	s_cbranch_execz .LBB11_69
; %bb.58:                               ;   in Loop: Header=BB11_47 Depth=1
	v_and_b32_e32 v2, 64, v90
	s_mov_b32 s76, 0
	v_cmp_eq_u32_e32 vcc, 0, v2
	s_mov_b64 s[44:45], 0
                                        ; implicit-def: $sgpr46_sgpr47
                                        ; implicit-def: $sgpr56_sgpr57
                                        ; implicit-def: $sgpr58_sgpr59
	s_branch .LBB11_62
.LBB11_59:                              ;   in Loop: Header=BB11_62 Depth=2
	s_waitcnt vmcnt(0) lgkmcnt(0)
	v_lshl_add_u64 v[10:11], v[38:39], 0, 8
	v_cmp_ge_u64_e64 s[24:25], v[10:11], v[8:9]
	s_or_b64 s[50:51], s[50:51], exec
	s_orn2_b64 s[62:63], s[24:25], exec
.LBB11_60:                              ;   in Loop: Header=BB11_62 Depth=2
	s_or_b64 exec, exec, s[54:55]
	s_andn2_b64 s[24:25], s[58:59], exec
	s_and_b64 s[58:59], s[50:51], exec
	s_or_b64 s[58:59], s[24:25], s[58:59]
	s_andn2_b64 s[24:25], s[56:57], exec
	s_and_b64 s[56:57], s[62:63], exec
	s_or_b64 s[56:57], s[24:25], s[56:57]
.LBB11_61:                              ;   in Loop: Header=BB11_62 Depth=2
	s_or_b64 exec, exec, s[60:61]
	s_and_b64 s[24:25], exec, s[56:57]
	s_or_b64 s[44:45], s[24:25], s[44:45]
	s_andn2_b64 s[24:25], s[46:47], exec
	s_and_b64 s[46:47], s[58:59], exec
	s_or_b64 s[46:47], s[24:25], s[46:47]
	s_andn2_b64 exec, exec, s[44:45]
	s_cbranch_execz .LBB11_66
.LBB11_62:                              ;   Parent Loop BB11_47 Depth=1
                                        ; =>  This Inner Loop Header: Depth=2
	s_sleep 1
	s_waitcnt vmcnt(0) lgkmcnt(0)
	flat_load_dwordx2 v[38:39], v[32:33] sc0 sc1
	s_or_b64 s[58:59], s[58:59], exec
	s_or_b64 s[56:57], s[56:57], exec
                                        ; implicit-def: $vgpr2
	s_and_saveexec_b64 s[60:61], vcc
	s_cbranch_execz .LBB11_61
; %bb.63:                               ;   in Loop: Header=BB11_62 Depth=2
	s_cmpk_lt_i32 s76, 0x270f
	s_cselect_b64 s[52:53], -1, 0
	s_cmpk_gt_i32 s76, 0x270e
	s_mov_b64 s[62:63], -1
	s_cbranch_scc0 .LBB11_65
; %bb.64:                               ;   in Loop: Header=BB11_62 Depth=2
	s_trap 2
	ds_read_b64 v[10:11], v0
	s_andn2_b64 s[48:49], s[52:53], exec
	s_mov_b32 s76, 0
	s_mov_b64 s[50:51], 0
	s_waitcnt vmcnt(0) lgkmcnt(0)
	flat_load_dword v2, v[10:11] sc0 sc1
	s_waitcnt vmcnt(0) lgkmcnt(0)
	buffer_inv sc0 sc1
	v_cmp_eq_u32_e64 s[24:25], 0, v2
	s_and_b64 s[24:25], s[24:25], exec
	s_or_b64 s[52:53], s[48:49], s[24:25]
	s_and_saveexec_b64 s[54:55], s[52:53]
	s_cbranch_execz .LBB11_60
	s_branch .LBB11_59
.LBB11_65:                              ;   in Loop: Header=BB11_62 Depth=2
	s_add_i32 s76, s76, 1
	s_mov_b64 s[50:51], -1
                                        ; implicit-def: $vgpr2
	s_and_saveexec_b64 s[54:55], s[52:53]
	s_cbranch_execz .LBB11_60
	s_branch .LBB11_59
.LBB11_66:                              ;   in Loop: Header=BB11_47 Depth=1
	s_or_b64 exec, exec, s[44:45]
	s_xor_b64 s[24:25], s[46:47], -1
	s_and_saveexec_b64 s[44:45], s[24:25]
	s_xor_b64 s[24:25], exec, s[44:45]
	s_cbranch_execz .LBB11_68
; %bb.67:                               ;   in Loop: Header=BB11_47 Depth=1
	v_or_b32_e32 v90, 64, v90
	s_waitcnt lgkmcnt(0)
	ds_write_b32 v0, v2
	s_trap 2
.LBB11_68:                              ;   in Loop: Header=BB11_47 Depth=1
	s_or_b64 exec, exec, s[24:25]
.LBB11_69:                              ;   in Loop: Header=BB11_47 Depth=1
	s_or_b64 exec, exec, s[42:43]
	v_and_b32_e32 v2, 0x100, v90
	v_cmp_ne_u32_e32 vcc, 0, v2
	v_and_b32_e32 v2, 7, v44
	s_mov_b64 s[24:25], -1
	;;#ASMSTART
	s_wakeup
	;;#ASMEND
                                        ; implicit-def: $vgpr10_vgpr11
	s_and_saveexec_b64 s[42:43], vcc
	s_cbranch_execz .LBB11_73
; %bb.70:                               ;   in Loop: Header=BB11_47 Depth=1
	v_mad_u64_u32 v[12:13], s[24:25], v2, 24, v[6:7]
	flat_load_dword v14, v[12:13]
	v_ashrrev_i32_e32 v59, 31, v58
	v_lshlrev_b64 v[10:11], 1, v[58:59]
	flat_store_dwordx2 v[12:13], v[10:11] offset:8
                                        ; implicit-def: $vgpr10_vgpr11
	s_waitcnt vmcnt(0) lgkmcnt(0)
	v_cmp_ne_u32_e32 vcc, 1, v14
	v_cmp_eq_u32_e64 s[24:25], 1, v14
	s_and_saveexec_b64 s[44:45], s[24:25]
	s_cbranch_execz .LBB11_72
; %bb.71:                               ;   in Loop: Header=BB11_47 Depth=1
	flat_load_dword v10, v[12:13] offset:4 sc0 sc1
	s_waitcnt vmcnt(0) lgkmcnt(0)
	v_ashrrev_i32_e32 v11, 31, v10
	v_lshrrev_b64 v[10:11], 1, v[10:11]
.LBB11_72:                              ;   in Loop: Header=BB11_47 Depth=1
	s_or_b64 exec, exec, s[44:45]
	s_orn2_b64 s[24:25], vcc, exec
.LBB11_73:                              ;   in Loop: Header=BB11_47 Depth=1
	s_or_b64 exec, exec, s[42:43]
	s_and_saveexec_b64 s[42:43], s[24:25]
; %bb.74:                               ;   in Loop: Header=BB11_47 Depth=1
	v_mad_i64_i32 v[10:11], s[24:25], v2, v30, 0
; %bb.75:                               ;   in Loop: Header=BB11_47 Depth=1
	s_or_b64 exec, exec, s[42:43]
	v_and_b32_e32 v2, 0x2000, v90
	v_lshl_add_u64 v[10:11], v[10:11], 1, v[34:35]
	v_cmp_ne_u32_e32 vcc, 0, v2
	ds_write_b64 v0, v[10:11] offset:784
	s_and_saveexec_b64 s[24:25], vcc
	s_cbranch_execz .LBB11_77
; %bb.76:                               ;   in Loop: Header=BB11_47 Depth=1
	ds_read_b64 v[10:11], v0 offset:872
	s_waitcnt lgkmcnt(0)
	v_lshl_add_u64 v[10:11], v[10:11], 0, 1
	ds_write_b64 v0, v[10:11] offset:872
.LBB11_77:                              ;   in Loop: Header=BB11_47 Depth=1
	s_or_b64 exec, exec, s[24:25]
	v_mov_b64_e32 v[44:45], v[8:9]
.LBB11_78:                              ;   in Loop: Header=BB11_47 Depth=1
	s_or_b64 exec, exec, s[40:41]
	s_and_saveexec_b64 s[24:25], s[6:7]
	s_cbranch_execz .LBB11_97
; %bb.79:                               ;   in Loop: Header=BB11_47 Depth=1
	s_and_saveexec_b64 s[40:41], s[78:79]
	s_xor_b64 s[40:41], exec, s[40:41]
	s_cbranch_execz .LBB11_94
; %bb.80:                               ;   in Loop: Header=BB11_47 Depth=1
	s_and_saveexec_b64 s[42:43], s[14:15]
	s_cbranch_execz .LBB11_93
; %bb.81:                               ;   in Loop: Header=BB11_47 Depth=1
	s_mov_b64 s[46:47], exec
	v_mbcnt_lo_u32_b32 v2, s46, 0
	v_mbcnt_hi_u32_b32 v2, s47, v2
	v_cmp_eq_u32_e32 vcc, 0, v2
	s_waitcnt lgkmcnt(0)
	s_and_saveexec_b64 s[44:45], vcc
	s_cbranch_execz .LBB11_83
; %bb.82:                               ;   in Loop: Header=BB11_47 Depth=1
	s_bcnt1_i32_b64 s46, s[46:47]
	v_mov_b32_e32 v2, s46
	ds_add_u64 v0, v[2:3]
	s_trap 2
.LBB11_83:                              ;   in Loop: Header=BB11_47 Depth=1
	s_or_b64 exec, exec, s[44:45]
	s_trap 2
	ds_read_b64 v[8:9], v0
	s_waitcnt lgkmcnt(0)
	v_lshl_add_u64 v[48:49], v[48:49], 0, v[52:53]
	v_cmp_lt_u64_e32 vcc, v[8:9], v[48:49]
	s_and_saveexec_b64 s[44:45], vcc
	s_cbranch_execz .LBB11_92
; %bb.84:                               ;   in Loop: Header=BB11_47 Depth=1
	s_mov_b32 s76, 0
	s_mov_b64 s[46:47], 0
                                        ; implicit-def: $sgpr56_sgpr57
                                        ; implicit-def: $sgpr58_sgpr59
	s_branch .LBB11_86
.LBB11_85:                              ;   in Loop: Header=BB11_86 Depth=2
	s_or_b64 exec, exec, s[62:63]
	s_and_b64 s[60:61], exec, vcc
	s_or_b64 s[46:47], s[60:61], s[46:47]
	s_andn2_b64 s[56:57], s[56:57], exec
	s_and_b64 s[60:61], s[58:59], exec
	s_or_b64 s[56:57], s[56:57], s[60:61]
	s_andn2_b64 exec, exec, s[46:47]
	s_cbranch_execz .LBB11_90
.LBB11_86:                              ;   Parent Loop BB11_47 Depth=1
                                        ; =>  This Inner Loop Header: Depth=2
	s_add_i32 s76, s76, 1
	s_cmpk_lg_i32 s76, 0x2710
	s_cselect_b64 s[60:61], -1, 0
	s_and_b64 vcc, exec, s[60:61]
	s_cbranch_vccz .LBB11_88
; %bb.87:                               ;   in Loop: Header=BB11_86 Depth=2
	s_mov_b64 vcc, -1
	s_or_b64 s[58:59], s[58:59], exec
	s_and_saveexec_b64 s[62:63], s[60:61]
	s_cbranch_execz .LBB11_85
	s_branch .LBB11_89
.LBB11_88:                              ;   in Loop: Header=BB11_86 Depth=2
	s_trap 2
	ds_read_b64 v[8:9], v0
	s_andn2_b64 s[60:61], s[60:61], exec
	s_mov_b32 s76, 0
	s_waitcnt vmcnt(0) lgkmcnt(0)
	flat_load_dword v2, v[8:9] sc0 sc1
	s_waitcnt vmcnt(0) lgkmcnt(0)
	buffer_inv sc0 sc1
	v_cmp_eq_u32_e32 vcc, 0, v2
	s_and_b64 s[62:63], vcc, exec
	s_or_b64 s[60:61], s[60:61], s[62:63]
	s_mov_b64 vcc, -1
	s_or_b64 s[58:59], s[58:59], exec
	s_and_saveexec_b64 s[62:63], s[60:61]
	s_cbranch_execz .LBB11_85
.LBB11_89:                              ;   in Loop: Header=BB11_86 Depth=2
	s_sleep 1
	s_trap 2
	ds_read_b64 v[8:9], v0
	s_waitcnt lgkmcnt(0)
	s_andn2_b64 s[58:59], s[58:59], exec
	v_cmp_ge_u64_e32 vcc, v[8:9], v[48:49]
	s_orn2_b64 vcc, vcc, exec
	s_branch .LBB11_85
.LBB11_90:                              ;   in Loop: Header=BB11_47 Depth=1
	s_or_b64 exec, exec, s[46:47]
	s_and_saveexec_b64 s[46:47], s[56:57]
	s_xor_b64 s[46:47], exec, s[46:47]
	s_cbranch_execz .LBB11_92
; %bb.91:                               ;   in Loop: Header=BB11_47 Depth=1
	ds_write_b32 v0, v94
	s_trap 2
.LBB11_92:                              ;   in Loop: Header=BB11_47 Depth=1
	s_or_b64 exec, exec, s[44:45]
	;;#ASMSTART
	s_wakeup
	;;#ASMEND
.LBB11_93:                              ;   in Loop: Header=BB11_47 Depth=1
	s_or_b64 exec, exec, s[42:43]
.LBB11_94:                              ;   in Loop: Header=BB11_47 Depth=1
	s_andn2_saveexec_b64 s[40:41], s[40:41]
	s_cbranch_execz .LBB11_96
; %bb.95:                               ;   in Loop: Header=BB11_47 Depth=1
	s_waitcnt lgkmcnt(0)
	s_barrier
.LBB11_96:                              ;   in Loop: Header=BB11_47 Depth=1
	s_or_b64 exec, exec, s[40:41]
.LBB11_97:                              ;   in Loop: Header=BB11_47 Depth=1
	s_or_b64 exec, exec, s[24:25]
	s_trap 2
	ds_read_b32 v8, v0
	v_and_b32_e32 v2, 0x4000, v90
	v_cmp_ne_u32_e32 vcc, 0, v2
	s_xor_b64 s[24:25], s[4:5], -1
	s_and_b64 s[40:41], s[24:25], vcc
	s_and_saveexec_b64 s[24:25], s[40:41]
	s_cbranch_execz .LBB11_116
; %bb.98:                               ;   in Loop: Header=BB11_47 Depth=1
	s_and_saveexec_b64 s[40:41], s[78:79]
	s_xor_b64 s[40:41], exec, s[40:41]
	s_cbranch_execz .LBB11_113
; %bb.99:                               ;   in Loop: Header=BB11_47 Depth=1
	s_and_saveexec_b64 s[42:43], s[14:15]
	s_cbranch_execz .LBB11_112
; %bb.100:                              ;   in Loop: Header=BB11_47 Depth=1
	s_mov_b64 s[46:47], exec
	v_mbcnt_lo_u32_b32 v2, s46, 0
	v_mbcnt_hi_u32_b32 v2, s47, v2
	v_cmp_eq_u32_e32 vcc, 0, v2
	s_waitcnt lgkmcnt(0)
	s_and_saveexec_b64 s[44:45], vcc
	s_cbranch_execz .LBB11_102
; %bb.101:                              ;   in Loop: Header=BB11_47 Depth=1
	s_bcnt1_i32_b64 s46, s[46:47]
	v_mov_b32_e32 v2, s46
	ds_add_u64 v0, v[2:3]
	s_trap 2
.LBB11_102:                             ;   in Loop: Header=BB11_47 Depth=1
	s_or_b64 exec, exec, s[44:45]
	s_trap 2
	ds_read_b64 v[10:11], v0
	s_waitcnt lgkmcnt(0)
	v_lshl_add_u64 v[48:49], v[48:49], 0, v[52:53]
	v_cmp_lt_u64_e32 vcc, v[10:11], v[48:49]
	s_and_saveexec_b64 s[44:45], vcc
	s_cbranch_execz .LBB11_111
; %bb.103:                              ;   in Loop: Header=BB11_47 Depth=1
	s_mov_b32 s76, 0
	s_mov_b64 s[46:47], 0
                                        ; implicit-def: $sgpr56_sgpr57
                                        ; implicit-def: $sgpr58_sgpr59
	s_branch .LBB11_105
.LBB11_104:                             ;   in Loop: Header=BB11_105 Depth=2
	s_or_b64 exec, exec, s[62:63]
	s_and_b64 s[60:61], exec, vcc
	s_or_b64 s[46:47], s[60:61], s[46:47]
	s_andn2_b64 s[56:57], s[56:57], exec
	s_and_b64 s[60:61], s[58:59], exec
	s_or_b64 s[56:57], s[56:57], s[60:61]
	s_andn2_b64 exec, exec, s[46:47]
	s_cbranch_execz .LBB11_109
.LBB11_105:                             ;   Parent Loop BB11_47 Depth=1
                                        ; =>  This Inner Loop Header: Depth=2
	s_add_i32 s76, s76, 1
	s_cmpk_lg_i32 s76, 0x2710
	s_cselect_b64 s[60:61], -1, 0
	s_and_b64 vcc, exec, s[60:61]
	s_cbranch_vccz .LBB11_107
; %bb.106:                              ;   in Loop: Header=BB11_105 Depth=2
	s_mov_b64 vcc, -1
	s_or_b64 s[58:59], s[58:59], exec
	s_and_saveexec_b64 s[62:63], s[60:61]
	s_cbranch_execz .LBB11_104
	s_branch .LBB11_108
.LBB11_107:                             ;   in Loop: Header=BB11_105 Depth=2
	s_trap 2
	ds_read_b64 v[10:11], v0
	s_andn2_b64 s[60:61], s[60:61], exec
	s_mov_b32 s76, 0
	s_waitcnt vmcnt(0) lgkmcnt(0)
	flat_load_dword v2, v[10:11] sc0 sc1
	s_waitcnt vmcnt(0) lgkmcnt(0)
	buffer_inv sc0 sc1
	v_cmp_eq_u32_e32 vcc, 0, v2
	s_and_b64 s[62:63], vcc, exec
	s_or_b64 s[60:61], s[60:61], s[62:63]
	s_mov_b64 vcc, -1
	s_or_b64 s[58:59], s[58:59], exec
	s_and_saveexec_b64 s[62:63], s[60:61]
	s_cbranch_execz .LBB11_104
.LBB11_108:                             ;   in Loop: Header=BB11_105 Depth=2
	s_sleep 1
	s_trap 2
	ds_read_b64 v[10:11], v0
	s_waitcnt lgkmcnt(0)
	s_andn2_b64 s[58:59], s[58:59], exec
	v_cmp_ge_u64_e32 vcc, v[10:11], v[48:49]
	s_orn2_b64 vcc, vcc, exec
	s_branch .LBB11_104
.LBB11_109:                             ;   in Loop: Header=BB11_47 Depth=1
	s_or_b64 exec, exec, s[46:47]
	s_and_saveexec_b64 s[46:47], s[56:57]
	s_xor_b64 s[46:47], exec, s[46:47]
	s_cbranch_execz .LBB11_111
; %bb.110:                              ;   in Loop: Header=BB11_47 Depth=1
	ds_write_b32 v0, v94
	s_trap 2
.LBB11_111:                             ;   in Loop: Header=BB11_47 Depth=1
	s_or_b64 exec, exec, s[44:45]
	;;#ASMSTART
	s_wakeup
	;;#ASMEND
.LBB11_112:                             ;   in Loop: Header=BB11_47 Depth=1
	s_or_b64 exec, exec, s[42:43]
.LBB11_113:                             ;   in Loop: Header=BB11_47 Depth=1
	s_andn2_saveexec_b64 s[40:41], s[40:41]
	s_cbranch_execz .LBB11_115
; %bb.114:                              ;   in Loop: Header=BB11_47 Depth=1
	s_waitcnt lgkmcnt(0)
	s_barrier
.LBB11_115:                             ;   in Loop: Header=BB11_47 Depth=1
	s_or_b64 exec, exec, s[40:41]
.LBB11_116:                             ;   in Loop: Header=BB11_47 Depth=1
	s_or_b64 exec, exec, s[24:25]
	s_trap 2
	ds_read_b64 v[60:61], v0
	s_waitcnt lgkmcnt(0)
	v_cmp_eq_u64_e32 vcc, 0, v[60:61]
	s_cbranch_vccnz .LBB11_124
; %bb.117:                              ;   in Loop: Header=BB11_47 Depth=1
	s_trap 2
	ds_read_b64 v[62:63], v0
	s_waitcnt lgkmcnt(0)
	v_cmp_eq_u64_e32 vcc, 0, v[62:63]
	s_cbranch_vccnz .LBB11_124
; %bb.118:                              ;   in Loop: Header=BB11_47 Depth=1
	s_mov_b64 s[40:41], -1
	s_and_saveexec_b64 s[24:25], s[16:17]
	s_cbranch_execz .LBB11_120
; %bb.119:                              ;   in Loop: Header=BB11_47 Depth=1
	ds_read_b32 v2, v0 offset:720
	s_waitcnt lgkmcnt(0)
	v_and_b32_e32 v2, 15, v2
	v_cmp_eq_u32_e32 vcc, 0, v2
	s_orn2_b64 s[40:41], vcc, exec
.LBB11_120:                             ;   in Loop: Header=BB11_47 Depth=1
	s_or_b64 exec, exec, s[24:25]
	s_and_saveexec_b64 s[24:25], s[18:19]
	s_cbranch_execz .LBB11_122
; %bb.121:                              ;   in Loop: Header=BB11_47 Depth=1
	ds_read_b32 v2, v0 offset:784
	s_waitcnt lgkmcnt(0)
	v_and_b32_e32 v2, 15, v2
	v_cmp_eq_u32_e32 vcc, 0, v2
	s_and_b64 s[42:43], s[40:41], vcc
	s_andn2_b64 s[40:41], s[40:41], exec
	s_and_b64 s[42:43], s[42:43], exec
	s_or_b64 s[40:41], s[40:41], s[42:43]
.LBB11_122:                             ;   in Loop: Header=BB11_47 Depth=1
	s_or_b64 exec, exec, s[24:25]
	s_xor_b64 s[40:41], s[40:41], -1
	v_cndmask_b32_e64 v2, 0, 1, s[40:41]
	v_cmp_eq_u32_e64 s[24:25], 0, v8
	s_mov_b64 s[42:43], -1
	v_cmp_ne_u32_e32 vcc, 0, v2
	s_cbranch_vccz .LBB11_125
; %bb.123:                              ;   in Loop: Header=BB11_47 Depth=1
	s_mov_b64 s[42:43], 0
	s_mov_b64 s[40:41], -1
	s_branch .LBB11_126
.LBB11_124:                             ;   in Loop: Header=BB11_47 Depth=1
	s_mov_b64 s[24:25], 0
	s_and_saveexec_b64 s[40:41], s[6:7]
	s_cbranch_execnz .LBB11_176
	s_branch .LBB11_194
.LBB11_125:                             ;   in Loop: Header=BB11_47 Depth=1
	s_mov_b64 s[40:41], 0
.LBB11_126:                             ;   in Loop: Header=BB11_47 Depth=1
	v_cndmask_b32_e64 v2, 0, v58, s[24:25]
	v_lshlrev_b32_e32 v59, 1, v2
	s_andn2_b64 vcc, exec, s[42:43]
	v_mov_b32_e32 v14, 0
	s_cbranch_vccnz .LBB11_134
; %bb.127:                              ;   in Loop: Header=BB11_47 Depth=1
	v_ashrrev_i32_e32 v8, 31, v59
	v_lshrrev_b32_e32 v8, 21, v8
	v_add_u32_e32 v8, v59, v8
	v_ashrrev_i32_e32 v79, 11, v8
	scratch_load_dwordx2 v[8:9], off, s33 offset:256 ; 8-byte Folded Reload
	v_sub_u32_e32 v76, v79, v92
	v_cmp_lt_i32_e32 vcc, 0, v76
	s_mov_b64 s[42:43], 0
                                        ; implicit-def: $vgpr12_vgpr13
	s_waitcnt vmcnt(0)
	v_lshl_add_u64 v[72:73], v[62:63], 0, v[8:9]
                                        ; implicit-def: $vgpr8_vgpr9
	s_and_saveexec_b64 s[24:25], vcc
	s_cbranch_execz .LBB11_136
; %bb.128:                              ;   in Loop: Header=BB11_47 Depth=1
	scratch_load_dwordx2 v[8:9], off, s33 offset:256 ; 8-byte Folded Reload
	s_mov_b64 s[46:47], 0
                                        ; implicit-def: $sgpr44_sgpr45
                                        ; implicit-def: $vgpr12_vgpr13
	s_waitcnt vmcnt(0)
	v_lshl_add_u64 v[74:75], v[60:61], 0, v[8:9]
                                        ; implicit-def: $vgpr8_vgpr9
	s_branch .LBB11_130
.LBB11_129:                             ;   in Loop: Header=BB11_130 Depth=2
	s_or_b64 exec, exec, s[56:57]
	s_waitcnt vmcnt(1)
	global_store_dwordx4 v[72:73], v[16:19], off
	s_waitcnt vmcnt(1)
	global_store_dwordx4 v[72:73], v[20:23], off offset:1024
	v_lshl_add_u64 v[74:75], v[74:75], 0, v[76:77]
	v_lshl_add_u64 v[16:17], v[72:73], 0, v[76:77]
	v_sub_u32_e32 v76, v88, v89
	v_cmp_gt_i32_e32 vcc, 1, v76
	s_or_b64 s[42:43], vcc, s[42:43]
	s_andn2_b64 s[44:45], s[44:45], exec
	s_and_b64 s[56:57], s[46:47], exec
	v_lshl_add_u64 v[72:73], v[16:17], 0, s[88:89]
	s_or_b64 s[44:45], s[44:45], s[56:57]
	s_andn2_b64 exec, exec, s[42:43]
	s_cbranch_execz .LBB11_135
.LBB11_130:                             ;   Parent Loop BB11_47 Depth=1
                                        ; =>  This Inner Loop Header: Depth=2
	global_load_dwordx4 v[16:19], v[74:75], off nt
	global_load_dwordx4 v[20:23], v[74:75], off offset:1024 nt
	s_and_saveexec_b64 s[56:57], s[46:47]
	s_cbranch_execz .LBB11_132
; %bb.131:                              ;   in Loop: Header=BB11_130 Depth=2
	v_lshl_add_u64 v[88:89], v[72:73], 0, v[100:101]
	global_store_dwordx4 v[72:73], v[8:11], off
	global_store_dwordx4 v[72:73], v[12:15], off offset:1024
	v_mov_b64_e32 v[72:73], v[88:89]
.LBB11_132:                             ;   in Loop: Header=BB11_130 Depth=2
	s_or_b64 exec, exec, s[56:57]
	v_sub_u32_e32 v88, v76, v52
	v_lshl_add_u64 v[74:75], v[74:75], 0, v[100:101]
	v_mov_b32_e32 v89, 0
	v_cmp_lt_i32_e64 s[46:47], 0, v88
	v_mov_b64_e32 v[76:77], 0
	s_and_saveexec_b64 s[56:57], s[46:47]
	s_cbranch_execz .LBB11_129
; %bb.133:                              ;   in Loop: Header=BB11_130 Depth=2
	global_load_dwordx4 v[8:11], v[74:75], off nt
	global_load_dwordx4 v[12:15], v[74:75], off offset:1024 nt
	v_lshl_add_u64 v[74:75], v[74:75], 0, s[88:89]
	v_mov_b32_e32 v89, v52
	v_mov_b64_e32 v[76:77], v[84:85]
	s_branch .LBB11_129
.LBB11_134:                             ;   in Loop: Header=BB11_47 Depth=1
	v_mov_b32_e32 v8, v0
	v_mov_b32_e32 v15, v91
	s_and_saveexec_b64 s[24:25], s[40:41]
	s_cbranch_execnz .LBB11_155
	s_branch .LBB11_175
.LBB11_135:                             ;   in Loop: Header=BB11_47 Depth=1
	s_or_b64 exec, exec, s[42:43]
	s_and_b64 s[42:43], s[44:45], exec
.LBB11_136:                             ;   in Loop: Header=BB11_47 Depth=1
	s_or_b64 exec, exec, s[24:25]
	s_and_saveexec_b64 s[24:25], s[42:43]
	s_cbranch_execz .LBB11_138
; %bb.137:                              ;   in Loop: Header=BB11_47 Depth=1
	global_store_dwordx4 v[72:73], v[8:11], off
	global_store_dwordx4 v[72:73], v[12:15], off offset:1024
.LBB11_138:                             ;   in Loop: Header=BB11_47 Depth=1
	s_or_b64 exec, exec, s[24:25]
	v_lshlrev_b32_e32 v20, 11, v79
	v_cmp_ne_u32_e32 vcc, v59, v20
                                        ; implicit-def: $vgpr14
                                        ; implicit-def: $vgpr8
                                        ; implicit-def: $vgpr15
	s_and_saveexec_b64 s[42:43], vcc
	s_cbranch_execz .LBB11_154
; %bb.139:                              ;   in Loop: Header=BB11_47 Depth=1
	v_lshlrev_b32_e32 v9, 6, v76
	v_sub_u32_e32 v9, v91, v9
	v_ashrrev_i32_e32 v10, 31, v9
	v_lshrrev_b32_e32 v10, 26, v10
	v_add_u32_e32 v10, v9, v10
	v_ashrrev_i32_e32 v11, 6, v10
	v_and_b32_e32 v10, 0xffffffc0, v10
	v_sub_u32_e32 v21, v9, v10
	v_lshlrev_b32_e32 v9, 4, v21
	v_sub_u32_e32 v8, v59, v20
	v_lshl_add_u32 v9, v11, 10, v9
	v_add_u32_e32 v10, v9, v20
	v_sub_u32_e32 v73, v8, v9
	v_ashrrev_i32_e32 v9, 31, v8
	v_lshrrev_b32_e32 v9, 22, v9
	v_add_u32_e32 v9, v8, v9
	v_and_b32_e32 v22, 0xfffffc00, v9
	v_sub_u32_e32 v72, v8, v22
	v_ashrrev_i32_e32 v12, 10, v9
	v_cmp_lt_i32_e32 vcc, 15, v72
	s_mov_b64 s[46:47], 0
	s_nop 0
	v_addc_co_u32_e64 v8, s[24:25], 0, v12, vcc
	v_sub_u32_e32 v23, v8, v11
	v_ashrrev_i32_e32 v11, 31, v10
	v_lshl_add_u64 v[16:17], v[10:11], 0, v[62:63]
	v_cmp_lt_i32_e64 s[24:25], 15, v73
                                        ; implicit-def: $vgpr8_vgpr9
	s_and_saveexec_b64 s[44:45], s[24:25]
	s_cbranch_execz .LBB11_149
; %bb.140:                              ;   in Loop: Header=BB11_47 Depth=1
	v_lshl_add_u64 v[18:19], v[10:11], 0, v[60:61]
	s_mov_b64 s[58:59], 0
                                        ; implicit-def: $sgpr56_sgpr57
                                        ; implicit-def: $vgpr8_vgpr9
	s_branch .LBB11_142
.LBB11_141:                             ;   in Loop: Header=BB11_142 Depth=2
	s_or_b64 exec, exec, s[24:25]
	v_cmp_gt_i32_e64 s[24:25], 16, v73
	s_or_b64 s[46:47], s[24:25], s[46:47]
	s_andn2_b64 s[24:25], s[56:57], exec
	s_and_b64 s[56:57], s[58:59], exec
	s_or_b64 s[56:57], s[24:25], s[56:57]
	s_andn2_b64 exec, exec, s[46:47]
	s_cbranch_execz .LBB11_148
.LBB11_142:                             ;   Parent Loop BB11_47 Depth=1
                                        ; =>  This Inner Loop Header: Depth=2
	global_load_dwordx4 v[12:15], v[18:19], off nt
	s_and_saveexec_b64 s[24:25], s[58:59]
	s_cbranch_execz .LBB11_144
; %bb.143:                              ;   in Loop: Header=BB11_142 Depth=2
	v_lshl_add_u64 v[74:75], v[16:17], 0, v[102:103]
	global_store_dwordx4 v[16:17], v[8:11], off
	v_mov_b64_e32 v[16:17], v[74:75]
.LBB11_144:                             ;   in Loop: Header=BB11_142 Depth=2
	s_or_b64 exec, exec, s[24:25]
	v_sub_u32_e32 v73, v73, v70
	v_lshl_add_u64 v[18:19], v[18:19], 0, v[102:103]
	v_cmp_lt_i32_e64 s[58:59], 15, v73
	s_and_saveexec_b64 s[24:25], s[58:59]
	s_cbranch_execz .LBB11_146
; %bb.145:                              ;   in Loop: Header=BB11_142 Depth=2
	global_load_dwordx4 v[8:11], v[18:19], off nt
	v_lshl_add_u64 v[18:19], v[18:19], 0, s[90:91]
.LBB11_146:                             ;   in Loop: Header=BB11_142 Depth=2
	s_or_b64 exec, exec, s[24:25]
	v_sub_u32_e32 v23, v23, v52
	s_waitcnt vmcnt(0)
	global_store_dwordx4 v[16:17], v[12:15], off
	v_lshl_add_u64 v[16:17], v[16:17], 0, s[90:91]
	s_and_saveexec_b64 s[24:25], s[58:59]
	s_cbranch_execz .LBB11_141
; %bb.147:                              ;   in Loop: Header=BB11_142 Depth=2
	v_sub_u32_e32 v23, v23, v52
	v_sub_u32_e32 v73, v73, v70
	v_lshl_add_u64 v[18:19], v[18:19], 0, v[86:87]
	v_lshl_add_u64 v[16:17], v[16:17], 0, v[86:87]
	s_branch .LBB11_141
.LBB11_148:                             ;   in Loop: Header=BB11_47 Depth=1
	s_or_b64 exec, exec, s[46:47]
	s_and_b64 s[46:47], s[56:57], exec
.LBB11_149:                             ;   in Loop: Header=BB11_47 Depth=1
	s_or_b64 exec, exec, s[44:45]
	s_and_saveexec_b64 s[24:25], s[46:47]
	s_cbranch_execz .LBB11_151
; %bb.150:                              ;   in Loop: Header=BB11_47 Depth=1
	global_store_dwordx4 v[16:17], v[8:11], off
.LBB11_151:                             ;   in Loop: Header=BB11_47 Depth=1
	s_or_b64 exec, exec, s[24:25]
	s_nop 0
	v_and_b32_e32 v9, 14, v59
	v_cndmask_b32_e32 v59, v72, v9, vcc
	v_cmp_ne_u32_e64 s[24:25], 0, v59
	s_mov_b64 s[46:47], s[40:41]
                                        ; implicit-def: $vgpr14
                                        ; implicit-def: $vgpr8
                                        ; implicit-def: $vgpr15
	s_and_saveexec_b64 s[44:45], s[24:25]
	s_cbranch_execz .LBB11_153
; %bb.152:                              ;   in Loop: Header=BB11_47 Depth=1
	v_sub_u32_e32 v8, v72, v9
	v_cndmask_b32_e32 v8, 0, v8, vcc
	v_cmp_lt_i32_e32 vcc, 0, v23
	v_add3_u32 v14, v22, v20, v8
	s_or_b64 s[46:47], s[40:41], exec
	v_cndmask_b32_e32 v8, 0, v52, vcc
	v_sub_u32_e32 v8, v8, v23
	v_lshl_add_u32 v8, v8, 6, v21
	v_ashrrev_i32_e32 v9, 31, v8
	v_lshrrev_b32_e32 v9, 26, v9
	v_add_u32_e32 v9, v8, v9
	v_and_b32_e32 v9, 0xffffffc0, v9
	v_sub_u32_e32 v15, v8, v9
.LBB11_153:                             ;   in Loop: Header=BB11_47 Depth=1
	s_or_b64 exec, exec, s[44:45]
	s_andn2_b64 s[24:25], s[40:41], exec
	s_and_b64 s[40:41], s[46:47], exec
	s_or_b64 s[40:41], s[24:25], s[40:41]
.LBB11_154:                             ;   in Loop: Header=BB11_47 Depth=1
	s_or_b64 exec, exec, s[42:43]
	s_and_saveexec_b64 s[24:25], s[40:41]
	s_cbranch_execz .LBB11_175
.LBB11_155:                             ;   in Loop: Header=BB11_47 Depth=1
	v_ashrrev_i32_e32 v9, 31, v8
	v_lshrrev_b32_e32 v9, 26, v9
	v_add_u32_e32 v8, v8, v9
	v_ashrrev_i32_e32 v8, 6, v8
	v_lshlrev_b32_e32 v9, 9, v8
	v_lshlrev_b32_e32 v10, 1, v15
	v_add3_u32 v10, v14, v10, v9
	v_ashrrev_i32_e32 v9, 31, v59
	v_lshrrev_b32_e32 v9, 23, v9
	v_add_u32_e32 v9, v59, v9
	v_ashrrev_i32_e32 v16, 9, v9
	v_sub_u32_e32 v12, v16, v8
	v_ashrrev_i32_e32 v11, 31, v10
	v_lshl_add_u64 v[8:9], v[62:63], 0, v[10:11]
	v_cmp_lt_i32_e32 vcc, 0, v12
	s_mov_b64 s[42:43], 0
                                        ; implicit-def: $vgpr17
                                        ; implicit-def: $vgpr18
                                        ; implicit-def: $vgpr19
                                        ; implicit-def: $vgpr20
	s_and_saveexec_b64 s[40:41], vcc
	s_cbranch_execz .LBB11_163
; %bb.156:                              ;   in Loop: Header=BB11_47 Depth=1
	v_lshl_add_u64 v[10:11], v[10:11], 0, v[60:61]
	s_mov_b64 s[46:47], 0
                                        ; implicit-def: $sgpr44_sgpr45
                                        ; implicit-def: $vgpr17
                                        ; implicit-def: $vgpr18
                                        ; implicit-def: $vgpr19
                                        ; implicit-def: $vgpr20
	s_branch .LBB11_158
.LBB11_157:                             ;   in Loop: Header=BB11_158 Depth=2
	s_or_b64 exec, exec, s[56:57]
	s_waitcnt vmcnt(0) lgkmcnt(0)
	flat_store_short v[8:9], v21 nt
	flat_store_short v[8:9], v22 offset:128 nt
	flat_store_short v[8:9], v23 offset:256 nt
	;; [unrolled: 1-line block ×3, first 2 shown]
	v_lshl_add_u64 v[8:9], v[8:9], 0, v[12:13]
	v_lshl_add_u64 v[10:11], v[10:11], 0, v[12:13]
	v_sub_u32_e32 v12, v73, v74
	v_cmp_gt_i32_e32 vcc, 1, v12
	s_or_b64 s[42:43], vcc, s[42:43]
	s_andn2_b64 s[44:45], s[44:45], exec
	s_and_b64 s[56:57], s[46:47], exec
	v_lshl_add_u64 v[8:9], v[8:9], 0, s[92:93]
	s_or_b64 s[44:45], s[44:45], s[56:57]
	s_andn2_b64 exec, exec, s[42:43]
	s_cbranch_execz .LBB11_162
.LBB11_158:                             ;   Parent Loop BB11_47 Depth=1
                                        ; =>  This Inner Loop Header: Depth=2
	flat_load_ushort v21, v[10:11] nt
	flat_load_ushort v22, v[10:11] offset:128 nt
	flat_load_ushort v23, v[10:11] offset:256 nt
	;; [unrolled: 1-line block ×3, first 2 shown]
	s_and_saveexec_b64 s[56:57], s[46:47]
	s_cbranch_execz .LBB11_160
; %bb.159:                              ;   in Loop: Header=BB11_158 Depth=2
	flat_store_short v[8:9], v17 nt
	flat_store_short v[8:9], v18 offset:128 nt
	flat_store_short v[8:9], v19 offset:256 nt
	;; [unrolled: 1-line block ×3, first 2 shown]
	v_lshl_add_u64 v[8:9], v[8:9], 0, v[112:113]
.LBB11_160:                             ;   in Loop: Header=BB11_158 Depth=2
	s_or_b64 exec, exec, s[56:57]
	v_sub_u32_e32 v73, v12, v52
	v_lshl_add_u64 v[10:11], v[10:11], 0, v[112:113]
	v_mov_b32_e32 v74, 0
	v_cmp_lt_i32_e64 s[46:47], 0, v73
	v_mov_b64_e32 v[12:13], 0
	s_and_saveexec_b64 s[56:57], s[46:47]
	s_cbranch_execz .LBB11_157
; %bb.161:                              ;   in Loop: Header=BB11_158 Depth=2
	flat_load_ushort v17, v[10:11] nt
	flat_load_ushort v18, v[10:11] offset:128 nt
	flat_load_ushort v19, v[10:11] offset:256 nt
	;; [unrolled: 1-line block ×3, first 2 shown]
	v_lshl_add_u64 v[10:11], v[10:11], 0, s[92:93]
	v_mov_b32_e32 v74, v52
	v_mov_b64_e32 v[12:13], v[96:97]
	s_branch .LBB11_157
.LBB11_162:                             ;   in Loop: Header=BB11_47 Depth=1
	s_or_b64 exec, exec, s[42:43]
	s_and_b64 s[42:43], s[44:45], exec
.LBB11_163:                             ;   in Loop: Header=BB11_47 Depth=1
	s_or_b64 exec, exec, s[40:41]
	s_and_saveexec_b64 s[40:41], s[42:43]
	s_cbranch_execz .LBB11_165
; %bb.164:                              ;   in Loop: Header=BB11_47 Depth=1
	flat_store_short v[8:9], v17 nt
	flat_store_short v[8:9], v18 offset:128 nt
	flat_store_short v[8:9], v19 offset:256 nt
	;; [unrolled: 1-line block ×3, first 2 shown]
.LBB11_165:                             ;   in Loop: Header=BB11_47 Depth=1
	s_or_b64 exec, exec, s[40:41]
	v_lshlrev_b32_e32 v8, 9, v16
	v_cmp_ne_u32_e32 vcc, v59, v8
	s_and_b64 exec, exec, vcc
	s_cbranch_execz .LBB11_175
; %bb.166:                              ;   in Loop: Header=BB11_47 Depth=1
	v_lshlrev_b32_e32 v9, 6, v12
	v_sub_u32_e32 v9, v15, v9
	v_ashrrev_i32_e32 v10, 31, v9
	v_lshrrev_b32_e32 v10, 26, v10
	v_add_u32_e32 v10, v9, v10
	v_and_b32_e32 v11, 0x7fffffc0, v10
	v_sub_u32_e32 v9, v9, v11
	v_lshlrev_b32_e32 v10, 1, v10
	v_and_b32_e32 v10, 0xffffff80, v10
	v_lshlrev_b32_e32 v9, 1, v9
	v_add3_u32 v8, v10, v9, v8
	v_sub_u32_e32 v12, v59, v8
	v_cmp_lt_i32_e32 vcc, 1, v12
	s_and_b64 exec, exec, vcc
	s_cbranch_execz .LBB11_175
; %bb.167:                              ;   in Loop: Header=BB11_47 Depth=1
	v_add_u32_e32 v10, v8, v14
	v_ashrrev_i32_e32 v11, 31, v10
	v_lshl_add_u64 v[8:9], v[62:63], 0, v[10:11]
	v_lshl_add_u64 v[10:11], v[10:11], 0, v[60:61]
	s_mov_b64 s[44:45], 0
	s_mov_b64 s[40:41], 0
                                        ; implicit-def: $sgpr42_sgpr43
                                        ; implicit-def: $vgpr14
	s_branch .LBB11_169
.LBB11_168:                             ;   in Loop: Header=BB11_169 Depth=2
	s_or_b64 exec, exec, s[46:47]
	s_waitcnt vmcnt(0) lgkmcnt(0)
	flat_store_short v[8:9], v15 nt
	v_lshl_add_u64 v[8:9], v[8:9], 0, v[12:13]
	v_lshl_add_u64 v[10:11], v[10:11], 0, v[12:13]
	v_sub_u32_e32 v12, v16, v17
	v_cmp_gt_i32_e32 vcc, 2, v12
	s_or_b64 s[40:41], vcc, s[40:41]
	s_andn2_b64 s[42:43], s[42:43], exec
	s_and_b64 s[46:47], s[44:45], exec
	v_lshl_add_u64 v[8:9], v[8:9], 0, s[94:95]
	s_or_b64 s[42:43], s[42:43], s[46:47]
	s_andn2_b64 exec, exec, s[40:41]
	s_cbranch_execz .LBB11_173
.LBB11_169:                             ;   Parent Loop BB11_47 Depth=1
                                        ; =>  This Inner Loop Header: Depth=2
	flat_load_ushort v15, v[10:11] nt
	s_and_saveexec_b64 s[46:47], s[44:45]
	s_cbranch_execz .LBB11_171
; %bb.170:                              ;   in Loop: Header=BB11_169 Depth=2
	v_lshl_add_u64 v[16:17], v[8:9], 0, v[114:115]
	flat_store_short v[8:9], v14 nt
	v_mov_b64_e32 v[8:9], v[16:17]
.LBB11_171:                             ;   in Loop: Header=BB11_169 Depth=2
	s_or_b64 exec, exec, s[46:47]
	v_sub_u32_e32 v16, v12, v93
	v_lshl_add_u64 v[10:11], v[10:11], 0, v[114:115]
	v_cmp_lt_i32_e64 s[44:45], 1, v16
	v_mov_b64_e32 v[12:13], 0
	v_mov_b32_e32 v17, 0
	s_and_saveexec_b64 s[46:47], s[44:45]
	s_cbranch_execz .LBB11_168
; %bb.172:                              ;   in Loop: Header=BB11_169 Depth=2
	flat_load_ushort v14, v[10:11] nt
	v_lshl_add_u64 v[10:11], v[10:11], 0, s[94:95]
	v_mov_b32_e32 v17, v93
	v_mov_b64_e32 v[12:13], v[98:99]
	s_branch .LBB11_168
.LBB11_173:                             ;   in Loop: Header=BB11_47 Depth=1
	s_or_b64 exec, exec, s[40:41]
	s_and_b64 exec, exec, s[42:43]
	s_cbranch_execz .LBB11_175
; %bb.174:                              ;   in Loop: Header=BB11_47 Depth=1
	flat_store_short v[8:9], v14 nt
.LBB11_175:                             ;   in Loop: Header=BB11_47 Depth=1
	s_or_b64 exec, exec, s[24:25]
	v_cmp_lt_i32_e64 s[24:25], 0, v2
	s_and_saveexec_b64 s[40:41], s[6:7]
	s_cbranch_execz .LBB11_194
.LBB11_176:                             ;   in Loop: Header=BB11_47 Depth=1
	s_and_saveexec_b64 s[42:43], s[78:79]
	s_xor_b64 s[42:43], exec, s[42:43]
	s_cbranch_execz .LBB11_191
; %bb.177:                              ;   in Loop: Header=BB11_47 Depth=1
	s_and_saveexec_b64 s[44:45], s[14:15]
	s_cbranch_execz .LBB11_190
; %bb.178:                              ;   in Loop: Header=BB11_47 Depth=1
	s_mov_b64 s[56:57], exec
	v_mbcnt_lo_u32_b32 v2, s56, 0
	v_mbcnt_hi_u32_b32 v2, s57, v2
	v_cmp_eq_u32_e32 vcc, 0, v2
	s_waitcnt lgkmcnt(0)
	s_and_saveexec_b64 s[46:47], vcc
	s_cbranch_execz .LBB11_180
; %bb.179:                              ;   in Loop: Header=BB11_47 Depth=1
	s_bcnt1_i32_b64 s56, s[56:57]
	v_mov_b32_e32 v2, s56
	ds_add_u64 v0, v[2:3]
	s_trap 2
.LBB11_180:                             ;   in Loop: Header=BB11_47 Depth=1
	s_or_b64 exec, exec, s[46:47]
	s_trap 2
	ds_read_b64 v[8:9], v0
	s_waitcnt lgkmcnt(0)
	v_lshl_add_u64 v[48:49], v[48:49], 0, v[52:53]
	v_cmp_lt_u64_e32 vcc, v[8:9], v[48:49]
	s_and_saveexec_b64 s[46:47], vcc
	s_cbranch_execz .LBB11_189
; %bb.181:                              ;   in Loop: Header=BB11_47 Depth=1
	s_mov_b32 s76, 0
	s_mov_b64 s[56:57], 0
                                        ; implicit-def: $sgpr58_sgpr59
                                        ; implicit-def: $sgpr60_sgpr61
	s_branch .LBB11_183
.LBB11_182:                             ;   in Loop: Header=BB11_183 Depth=2
	s_or_b64 exec, exec, s[50:51]
	s_and_b64 s[62:63], exec, vcc
	s_or_b64 s[56:57], s[62:63], s[56:57]
	s_andn2_b64 s[58:59], s[58:59], exec
	s_and_b64 s[62:63], s[60:61], exec
	s_or_b64 s[58:59], s[58:59], s[62:63]
	s_andn2_b64 exec, exec, s[56:57]
	s_cbranch_execz .LBB11_187
.LBB11_183:                             ;   Parent Loop BB11_47 Depth=1
                                        ; =>  This Inner Loop Header: Depth=2
	s_add_i32 s76, s76, 1
	s_cmpk_lg_i32 s76, 0x2710
	s_cselect_b64 s[62:63], -1, 0
	s_and_b64 vcc, exec, s[62:63]
	s_cbranch_vccz .LBB11_185
; %bb.184:                              ;   in Loop: Header=BB11_183 Depth=2
	s_mov_b64 vcc, -1
	s_or_b64 s[60:61], s[60:61], exec
	s_and_saveexec_b64 s[50:51], s[62:63]
	s_cbranch_execz .LBB11_182
	s_branch .LBB11_186
.LBB11_185:                             ;   in Loop: Header=BB11_183 Depth=2
	s_trap 2
	ds_read_b64 v[8:9], v0
	s_andn2_b64 s[62:63], s[62:63], exec
	s_mov_b32 s76, 0
	s_waitcnt vmcnt(0) lgkmcnt(0)
	flat_load_dword v2, v[8:9] sc0 sc1
	s_waitcnt vmcnt(0) lgkmcnt(0)
	buffer_inv sc0 sc1
	v_cmp_eq_u32_e32 vcc, 0, v2
	s_and_b64 vcc, vcc, exec
	s_or_b64 s[62:63], s[62:63], vcc
	s_mov_b64 vcc, -1
	s_or_b64 s[60:61], s[60:61], exec
	s_and_saveexec_b64 s[50:51], s[62:63]
	s_cbranch_execz .LBB11_182
.LBB11_186:                             ;   in Loop: Header=BB11_183 Depth=2
	s_sleep 1
	s_trap 2
	ds_read_b64 v[8:9], v0
	s_waitcnt lgkmcnt(0)
	s_andn2_b64 s[60:61], s[60:61], exec
	v_cmp_ge_u64_e32 vcc, v[8:9], v[48:49]
	s_orn2_b64 vcc, vcc, exec
	s_branch .LBB11_182
.LBB11_187:                             ;   in Loop: Header=BB11_47 Depth=1
	s_or_b64 exec, exec, s[56:57]
	s_and_saveexec_b64 s[56:57], s[58:59]
	s_xor_b64 s[56:57], exec, s[56:57]
	s_cbranch_execz .LBB11_189
; %bb.188:                              ;   in Loop: Header=BB11_47 Depth=1
	ds_write_b32 v0, v94
	s_trap 2
.LBB11_189:                             ;   in Loop: Header=BB11_47 Depth=1
	s_or_b64 exec, exec, s[46:47]
	;;#ASMSTART
	s_wakeup
	;;#ASMEND
.LBB11_190:                             ;   in Loop: Header=BB11_47 Depth=1
	s_or_b64 exec, exec, s[44:45]
.LBB11_191:                             ;   in Loop: Header=BB11_47 Depth=1
	s_andn2_saveexec_b64 s[42:43], s[42:43]
	s_cbranch_execz .LBB11_193
; %bb.192:                              ;   in Loop: Header=BB11_47 Depth=1
	s_waitcnt lgkmcnt(0)
	s_barrier
.LBB11_193:                             ;   in Loop: Header=BB11_47 Depth=1
	s_or_b64 exec, exec, s[42:43]
.LBB11_194:                             ;   in Loop: Header=BB11_47 Depth=1
	s_or_b64 exec, exec, s[40:41]
	v_and_b32_e32 v8, 16, v90
	s_and_saveexec_b64 s[40:41], s[22:23]
	s_xor_b64 s[40:41], exec, s[40:41]
	s_cbranch_execz .LBB11_199
; %bb.195:                              ;   in Loop: Header=BB11_47 Depth=1
	v_and_b32_e32 v2, 16, v90
	v_cmp_ne_u32_e32 vcc, 0, v2
	v_and_b32_e32 v8, 16, v90
	s_and_b64 s[42:43], vcc, s[24:25]
	s_and_saveexec_b64 s[24:25], s[42:43]
	s_cbranch_execz .LBB11_197
; %bb.196:                              ;   in Loop: Header=BB11_47 Depth=1
	v_mov_b32_e32 v8, 1
	buffer_wbl2 sc1
	s_waitcnt vmcnt(0) lgkmcnt(0)
	buffer_inv sc1
.LBB11_197:                             ;   in Loop: Header=BB11_47 Depth=1
	s_or_b64 exec, exec, s[24:25]
	s_andn2_saveexec_b64 s[24:25], s[40:41]
	s_cbranch_execnz .LBB11_200
.LBB11_198:                             ;   in Loop: Header=BB11_47 Depth=1
	s_or_b64 exec, exec, s[24:25]
	v_cmp_ne_u32_e32 vcc, 0, v8
	s_and_saveexec_b64 s[24:25], vcc
	s_cbranch_execnz .LBB11_218
	s_branch .LBB11_221
.LBB11_199:                             ;   in Loop: Header=BB11_47 Depth=1
	s_andn2_saveexec_b64 s[24:25], s[40:41]
	s_cbranch_execz .LBB11_198
.LBB11_200:                             ;   in Loop: Header=BB11_47 Depth=1
	s_and_saveexec_b64 s[40:41], s[78:79]
	s_xor_b64 s[40:41], exec, s[40:41]
	s_cbranch_execz .LBB11_215
; %bb.201:                              ;   in Loop: Header=BB11_47 Depth=1
	s_and_saveexec_b64 s[42:43], s[14:15]
	s_cbranch_execz .LBB11_214
; %bb.202:                              ;   in Loop: Header=BB11_47 Depth=1
	s_mov_b64 s[46:47], exec
	v_mbcnt_lo_u32_b32 v2, s46, 0
	v_mbcnt_hi_u32_b32 v2, s47, v2
	v_cmp_eq_u32_e32 vcc, 0, v2
	;;#ASMSTART
	s_waitcnt lgkmcnt(0) vmcnt(0)
	;;#ASMEND
	s_and_saveexec_b64 s[44:45], vcc
	s_cbranch_execz .LBB11_204
; %bb.203:                              ;   in Loop: Header=BB11_47 Depth=1
	s_bcnt1_i32_b64 s46, s[46:47]
	v_mov_b32_e32 v2, s46
	s_waitcnt lgkmcnt(0)
	ds_add_u64 v0, v[2:3]
	s_trap 2
.LBB11_204:                             ;   in Loop: Header=BB11_47 Depth=1
	s_or_b64 exec, exec, s[44:45]
	s_trap 2
	ds_read_b64 v[10:11], v0
	s_waitcnt lgkmcnt(0)
	v_lshl_add_u64 v[48:49], v[48:49], 0, v[52:53]
	v_cmp_lt_u64_e32 vcc, v[10:11], v[48:49]
	s_and_saveexec_b64 s[44:45], vcc
	s_cbranch_execz .LBB11_213
; %bb.205:                              ;   in Loop: Header=BB11_47 Depth=1
	s_mov_b32 s76, 0
	s_mov_b64 s[46:47], 0
                                        ; implicit-def: $sgpr56_sgpr57
                                        ; implicit-def: $sgpr58_sgpr59
	s_branch .LBB11_207
.LBB11_206:                             ;   in Loop: Header=BB11_207 Depth=2
	s_or_b64 exec, exec, s[62:63]
	s_and_b64 s[60:61], exec, vcc
	s_or_b64 s[46:47], s[60:61], s[46:47]
	s_andn2_b64 s[56:57], s[56:57], exec
	s_and_b64 s[60:61], s[58:59], exec
	s_or_b64 s[56:57], s[56:57], s[60:61]
	s_andn2_b64 exec, exec, s[46:47]
	s_cbranch_execz .LBB11_211
.LBB11_207:                             ;   Parent Loop BB11_47 Depth=1
                                        ; =>  This Inner Loop Header: Depth=2
	s_add_i32 s76, s76, 1
	s_cmpk_lg_i32 s76, 0x2710
	s_cselect_b64 s[60:61], -1, 0
	s_and_b64 vcc, exec, s[60:61]
	s_cbranch_vccz .LBB11_209
; %bb.208:                              ;   in Loop: Header=BB11_207 Depth=2
	s_mov_b64 vcc, -1
	s_or_b64 s[58:59], s[58:59], exec
	s_and_saveexec_b64 s[62:63], s[60:61]
	s_cbranch_execz .LBB11_206
	s_branch .LBB11_210
.LBB11_209:                             ;   in Loop: Header=BB11_207 Depth=2
	s_trap 2
	ds_read_b64 v[10:11], v0
	s_andn2_b64 s[60:61], s[60:61], exec
	s_mov_b32 s76, 0
	s_waitcnt vmcnt(0) lgkmcnt(0)
	flat_load_dword v2, v[10:11] sc0 sc1
	s_waitcnt vmcnt(0) lgkmcnt(0)
	buffer_inv sc0 sc1
	v_cmp_eq_u32_e32 vcc, 0, v2
	s_and_b64 s[62:63], vcc, exec
	s_or_b64 s[60:61], s[60:61], s[62:63]
	s_mov_b64 vcc, -1
	s_or_b64 s[58:59], s[58:59], exec
	s_and_saveexec_b64 s[62:63], s[60:61]
	s_cbranch_execz .LBB11_206
.LBB11_210:                             ;   in Loop: Header=BB11_207 Depth=2
	s_sleep 1
	s_trap 2
	ds_read_b64 v[10:11], v0
	s_waitcnt lgkmcnt(0)
	s_andn2_b64 s[58:59], s[58:59], exec
	v_cmp_ge_u64_e32 vcc, v[10:11], v[48:49]
	s_orn2_b64 vcc, vcc, exec
	s_branch .LBB11_206
.LBB11_211:                             ;   in Loop: Header=BB11_47 Depth=1
	s_or_b64 exec, exec, s[46:47]
	s_and_saveexec_b64 s[46:47], s[56:57]
	s_xor_b64 s[46:47], exec, s[46:47]
	s_cbranch_execz .LBB11_213
; %bb.212:                              ;   in Loop: Header=BB11_47 Depth=1
	ds_write_b32 v0, v94
	s_trap 2
.LBB11_213:                             ;   in Loop: Header=BB11_47 Depth=1
	s_or_b64 exec, exec, s[44:45]
	;;#ASMSTART
	s_wakeup
	;;#ASMEND
.LBB11_214:                             ;   in Loop: Header=BB11_47 Depth=1
	s_or_b64 exec, exec, s[42:43]
.LBB11_215:                             ;   in Loop: Header=BB11_47 Depth=1
	s_andn2_saveexec_b64 s[40:41], s[40:41]
	s_cbranch_execz .LBB11_217
; %bb.216:                              ;   in Loop: Header=BB11_47 Depth=1
	;;#ASMSTART
	s_waitcnt lgkmcnt(0) vmcnt(0)
	;;#ASMEND
	s_barrier
.LBB11_217:                             ;   in Loop: Header=BB11_47 Depth=1
	s_or_b64 exec, exec, s[40:41]
	s_or_b64 exec, exec, s[24:25]
	v_cmp_ne_u32_e32 vcc, 0, v8
	s_and_saveexec_b64 s[24:25], vcc
	s_cbranch_execz .LBB11_221
.LBB11_218:                             ;   in Loop: Header=BB11_47 Depth=1
	s_and_saveexec_b64 s[40:41], s[12:13]
	s_cbranch_execz .LBB11_220
; %bb.219:                              ;   in Loop: Header=BB11_47 Depth=1
	flat_store_dword v[36:37], v94 sc0 sc1
.LBB11_220:                             ;   in Loop: Header=BB11_47 Depth=1
	s_or_b64 exec, exec, s[40:41]
	v_lshl_add_u64 v[44:45], v[44:45], 0, 4
	flat_store_dwordx2 v[32:33], v[44:45] sc0 sc1
.LBB11_221:                             ;   in Loop: Header=BB11_47 Depth=1
	s_or_b64 exec, exec, s[24:25]
	v_mov_b32_e32 v2, v58
.LBB11_222:                             ;   in Loop: Header=BB11_47 Depth=1
	s_or_b64 exec, exec, s[28:29]
	s_and_saveexec_b64 s[28:29], s[26:27]
	s_cbranch_execz .LBB11_292
; %bb.223:                              ;   in Loop: Header=BB11_47 Depth=1
	v_sub_u32_e32 v2, v78, v2
	v_min_i32_e32 v8, v58, v2
	v_and_b32_e32 v2, 8, v90
	v_cmp_ne_u32_e32 vcc, 0, v2
	s_and_saveexec_b64 s[26:27], vcc
	s_cbranch_execz .LBB11_245
; %bb.224:                              ;   in Loop: Header=BB11_47 Depth=1
	s_waitcnt vmcnt(0) lgkmcnt(0)
	v_lshl_add_u64 v[12:13], v[38:39], 0, 8
	v_lshl_add_u64 v[10:11], v[44:45], 0, 4
	v_cmp_lt_u64_e32 vcc, v[12:13], v[10:11]
	s_and_saveexec_b64 s[40:41], vcc
	s_cbranch_execz .LBB11_236
; %bb.225:                              ;   in Loop: Header=BB11_47 Depth=1
	v_and_b32_e32 v2, 64, v90
	s_mov_b32 s76, 0
	v_cmp_eq_u32_e32 vcc, 0, v2
	s_mov_b64 s[42:43], 0
                                        ; implicit-def: $sgpr44_sgpr45
                                        ; implicit-def: $sgpr46_sgpr47
                                        ; implicit-def: $sgpr56_sgpr57
	s_branch .LBB11_229
.LBB11_226:                             ;   in Loop: Header=BB11_229 Depth=2
	s_waitcnt vmcnt(0) lgkmcnt(0)
	v_lshl_add_u64 v[12:13], v[38:39], 0, 8
	v_cmp_ge_u64_e64 s[24:25], v[12:13], v[10:11]
	s_or_b64 s[62:63], s[62:63], exec
	s_orn2_b64 s[60:61], s[24:25], exec
.LBB11_227:                             ;   in Loop: Header=BB11_229 Depth=2
	s_or_b64 exec, exec, s[52:53]
	s_andn2_b64 s[24:25], s[56:57], exec
	s_and_b64 s[56:57], s[62:63], exec
	s_or_b64 s[56:57], s[24:25], s[56:57]
	s_andn2_b64 s[24:25], s[46:47], exec
	s_and_b64 s[46:47], s[60:61], exec
	s_or_b64 s[46:47], s[24:25], s[46:47]
.LBB11_228:                             ;   in Loop: Header=BB11_229 Depth=2
	s_or_b64 exec, exec, s[58:59]
	s_and_b64 s[24:25], exec, s[46:47]
	s_or_b64 s[42:43], s[24:25], s[42:43]
	s_andn2_b64 s[24:25], s[44:45], exec
	s_and_b64 s[44:45], s[56:57], exec
	s_or_b64 s[44:45], s[24:25], s[44:45]
	s_andn2_b64 exec, exec, s[42:43]
	s_cbranch_execz .LBB11_233
.LBB11_229:                             ;   Parent Loop BB11_47 Depth=1
                                        ; =>  This Inner Loop Header: Depth=2
	s_sleep 1
	s_waitcnt vmcnt(0) lgkmcnt(0)
	flat_load_dwordx2 v[38:39], v[32:33] sc0 sc1
	s_or_b64 s[56:57], s[56:57], exec
	s_or_b64 s[46:47], s[46:47], exec
                                        ; implicit-def: $vgpr2
	s_and_saveexec_b64 s[58:59], vcc
	s_cbranch_execz .LBB11_228
; %bb.230:                              ;   in Loop: Header=BB11_229 Depth=2
	s_cmpk_lt_i32 s76, 0x270f
	s_cselect_b64 s[50:51], -1, 0
	s_cmpk_gt_i32 s76, 0x270e
	s_mov_b64 s[60:61], -1
	s_cbranch_scc0 .LBB11_232
; %bb.231:                              ;   in Loop: Header=BB11_229 Depth=2
	s_trap 2
	ds_read_b64 v[12:13], v0
	s_andn2_b64 s[48:49], s[50:51], exec
	s_mov_b32 s76, 0
	s_mov_b64 s[62:63], 0
	s_waitcnt vmcnt(0) lgkmcnt(0)
	flat_load_dword v2, v[12:13] sc0 sc1
	s_waitcnt vmcnt(0) lgkmcnt(0)
	buffer_inv sc0 sc1
	v_cmp_eq_u32_e64 s[24:25], 0, v2
	s_and_b64 s[24:25], s[24:25], exec
	s_or_b64 s[50:51], s[48:49], s[24:25]
	s_and_saveexec_b64 s[52:53], s[50:51]
	s_cbranch_execz .LBB11_227
	s_branch .LBB11_226
.LBB11_232:                             ;   in Loop: Header=BB11_229 Depth=2
	s_add_i32 s76, s76, 1
	s_mov_b64 s[62:63], -1
                                        ; implicit-def: $vgpr2
	s_and_saveexec_b64 s[52:53], s[50:51]
	s_cbranch_execz .LBB11_227
	s_branch .LBB11_226
.LBB11_233:                             ;   in Loop: Header=BB11_47 Depth=1
	s_or_b64 exec, exec, s[42:43]
	s_xor_b64 s[24:25], s[44:45], -1
	s_and_saveexec_b64 s[42:43], s[24:25]
	s_xor_b64 s[24:25], exec, s[42:43]
	s_cbranch_execz .LBB11_235
; %bb.234:                              ;   in Loop: Header=BB11_47 Depth=1
	v_or_b32_e32 v90, 64, v90
	s_waitcnt lgkmcnt(0)
	ds_write_b32 v0, v2
	s_trap 2
.LBB11_235:                             ;   in Loop: Header=BB11_47 Depth=1
	s_or_b64 exec, exec, s[24:25]
.LBB11_236:                             ;   in Loop: Header=BB11_47 Depth=1
	s_or_b64 exec, exec, s[40:41]
	v_and_b32_e32 v2, 0x100, v90
	v_cmp_ne_u32_e32 vcc, 0, v2
	v_and_b32_e32 v2, 7, v44
	s_mov_b64 s[24:25], -1
	;;#ASMSTART
	s_wakeup
	;;#ASMEND
                                        ; implicit-def: $vgpr12_vgpr13
	s_and_saveexec_b64 s[40:41], vcc
	s_cbranch_execz .LBB11_240
; %bb.237:                              ;   in Loop: Header=BB11_47 Depth=1
	v_mad_u64_u32 v[14:15], s[24:25], v2, 24, v[6:7]
	flat_load_dword v16, v[14:15]
	v_ashrrev_i32_e32 v9, 31, v8
	v_lshlrev_b64 v[12:13], 1, v[8:9]
	flat_store_dwordx2 v[14:15], v[12:13] offset:8
                                        ; implicit-def: $vgpr12_vgpr13
	s_waitcnt vmcnt(0) lgkmcnt(0)
	v_cmp_ne_u32_e32 vcc, 1, v16
	v_cmp_eq_u32_e64 s[24:25], 1, v16
	s_and_saveexec_b64 s[42:43], s[24:25]
	s_cbranch_execz .LBB11_239
; %bb.238:                              ;   in Loop: Header=BB11_47 Depth=1
	flat_load_dword v12, v[14:15] offset:4 sc0 sc1
	s_waitcnt vmcnt(0) lgkmcnt(0)
	v_ashrrev_i32_e32 v13, 31, v12
	v_lshrrev_b64 v[12:13], 1, v[12:13]
.LBB11_239:                             ;   in Loop: Header=BB11_47 Depth=1
	s_or_b64 exec, exec, s[42:43]
	s_orn2_b64 s[24:25], vcc, exec
.LBB11_240:                             ;   in Loop: Header=BB11_47 Depth=1
	s_or_b64 exec, exec, s[40:41]
	s_and_saveexec_b64 s[40:41], s[24:25]
; %bb.241:                              ;   in Loop: Header=BB11_47 Depth=1
	v_mad_i64_i32 v[12:13], s[24:25], v2, v30, 0
; %bb.242:                              ;   in Loop: Header=BB11_47 Depth=1
	s_or_b64 exec, exec, s[40:41]
	v_and_b32_e32 v2, 0x2000, v90
	v_lshl_add_u64 v[12:13], v[12:13], 1, v[34:35]
	v_cmp_ne_u32_e32 vcc, 0, v2
	ds_write_b64 v0, v[12:13] offset:784
	s_and_saveexec_b64 s[24:25], vcc
	s_cbranch_execz .LBB11_244
; %bb.243:                              ;   in Loop: Header=BB11_47 Depth=1
	ds_read_b64 v[12:13], v0 offset:872
	s_waitcnt lgkmcnt(0)
	v_lshl_add_u64 v[12:13], v[12:13], 0, 1
	ds_write_b64 v0, v[12:13] offset:872
.LBB11_244:                             ;   in Loop: Header=BB11_47 Depth=1
	s_or_b64 exec, exec, s[24:25]
	v_mov_b64_e32 v[44:45], v[10:11]
.LBB11_245:                             ;   in Loop: Header=BB11_47 Depth=1
	s_or_b64 exec, exec, s[26:27]
	s_and_saveexec_b64 s[24:25], s[6:7]
	s_cbranch_execz .LBB11_264
; %bb.246:                              ;   in Loop: Header=BB11_47 Depth=1
	s_and_saveexec_b64 s[26:27], s[78:79]
	s_xor_b64 s[26:27], exec, s[26:27]
	s_cbranch_execz .LBB11_261
; %bb.247:                              ;   in Loop: Header=BB11_47 Depth=1
	s_and_saveexec_b64 s[40:41], s[14:15]
	s_cbranch_execz .LBB11_260
; %bb.248:                              ;   in Loop: Header=BB11_47 Depth=1
	s_mov_b64 s[44:45], exec
	v_mbcnt_lo_u32_b32 v2, s44, 0
	v_mbcnt_hi_u32_b32 v2, s45, v2
	v_cmp_eq_u32_e32 vcc, 0, v2
	s_waitcnt lgkmcnt(0)
	s_and_saveexec_b64 s[42:43], vcc
	s_cbranch_execz .LBB11_250
; %bb.249:                              ;   in Loop: Header=BB11_47 Depth=1
	s_bcnt1_i32_b64 s44, s[44:45]
	v_mov_b32_e32 v2, s44
	ds_add_u64 v0, v[2:3]
	s_trap 2
.LBB11_250:                             ;   in Loop: Header=BB11_47 Depth=1
	s_or_b64 exec, exec, s[42:43]
	s_trap 2
	ds_read_b64 v[10:11], v0
	s_waitcnt lgkmcnt(0)
	v_lshl_add_u64 v[48:49], v[48:49], 0, v[52:53]
	v_cmp_lt_u64_e32 vcc, v[10:11], v[48:49]
	s_and_saveexec_b64 s[42:43], vcc
	s_cbranch_execz .LBB11_259
; %bb.251:                              ;   in Loop: Header=BB11_47 Depth=1
	s_mov_b32 s76, 0
	s_mov_b64 s[44:45], 0
                                        ; implicit-def: $sgpr46_sgpr47
                                        ; implicit-def: $sgpr56_sgpr57
	s_branch .LBB11_253
.LBB11_252:                             ;   in Loop: Header=BB11_253 Depth=2
	s_or_b64 exec, exec, s[60:61]
	s_and_b64 s[58:59], exec, s[62:63]
	s_or_b64 s[44:45], s[58:59], s[44:45]
	s_andn2_b64 s[46:47], s[46:47], exec
	s_and_b64 s[58:59], s[56:57], exec
	s_or_b64 s[46:47], s[46:47], s[58:59]
	s_andn2_b64 exec, exec, s[44:45]
	s_cbranch_execz .LBB11_257
.LBB11_253:                             ;   Parent Loop BB11_47 Depth=1
                                        ; =>  This Inner Loop Header: Depth=2
	s_add_i32 s76, s76, 1
	s_cmpk_lg_i32 s76, 0x2710
	s_cselect_b64 s[58:59], -1, 0
	s_and_b64 vcc, exec, s[58:59]
	s_cbranch_vccz .LBB11_255
; %bb.254:                              ;   in Loop: Header=BB11_253 Depth=2
	s_mov_b64 s[62:63], -1
	s_or_b64 s[56:57], s[56:57], exec
	s_and_saveexec_b64 s[60:61], s[58:59]
	s_cbranch_execz .LBB11_252
	s_branch .LBB11_256
.LBB11_255:                             ;   in Loop: Header=BB11_253 Depth=2
	s_trap 2
	ds_read_b64 v[10:11], v0
	s_andn2_b64 s[58:59], s[58:59], exec
	s_mov_b32 s76, 0
	s_waitcnt vmcnt(0) lgkmcnt(0)
	flat_load_dword v2, v[10:11] sc0 sc1
	s_waitcnt vmcnt(0) lgkmcnt(0)
	buffer_inv sc0 sc1
	v_cmp_eq_u32_e32 vcc, 0, v2
	s_and_b64 s[60:61], vcc, exec
	s_or_b64 s[58:59], s[58:59], s[60:61]
	s_mov_b64 s[62:63], -1
	s_or_b64 s[56:57], s[56:57], exec
	s_and_saveexec_b64 s[60:61], s[58:59]
	s_cbranch_execz .LBB11_252
.LBB11_256:                             ;   in Loop: Header=BB11_253 Depth=2
	s_sleep 1
	s_trap 2
	ds_read_b64 v[10:11], v0
	s_waitcnt lgkmcnt(0)
	s_andn2_b64 s[56:57], s[56:57], exec
	v_cmp_ge_u64_e32 vcc, v[10:11], v[48:49]
	s_orn2_b64 s[62:63], vcc, exec
	s_branch .LBB11_252
.LBB11_257:                             ;   in Loop: Header=BB11_47 Depth=1
	s_or_b64 exec, exec, s[44:45]
	s_and_saveexec_b64 s[44:45], s[46:47]
	s_xor_b64 s[44:45], exec, s[44:45]
	s_cbranch_execz .LBB11_259
; %bb.258:                              ;   in Loop: Header=BB11_47 Depth=1
	ds_write_b32 v0, v94
	s_trap 2
.LBB11_259:                             ;   in Loop: Header=BB11_47 Depth=1
	s_or_b64 exec, exec, s[42:43]
	;;#ASMSTART
	s_wakeup
	;;#ASMEND
.LBB11_260:                             ;   in Loop: Header=BB11_47 Depth=1
	s_or_b64 exec, exec, s[40:41]
.LBB11_261:                             ;   in Loop: Header=BB11_47 Depth=1
	s_andn2_saveexec_b64 s[26:27], s[26:27]
	s_cbranch_execz .LBB11_263
; %bb.262:                              ;   in Loop: Header=BB11_47 Depth=1
	s_waitcnt lgkmcnt(0)
	s_barrier
.LBB11_263:                             ;   in Loop: Header=BB11_47 Depth=1
	s_or_b64 exec, exec, s[26:27]
.LBB11_264:                             ;   in Loop: Header=BB11_47 Depth=1
	s_or_b64 exec, exec, s[24:25]
	v_and_b32_e32 v9, 16, v90
	s_and_saveexec_b64 s[24:25], s[22:23]
	s_xor_b64 s[24:25], exec, s[24:25]
	s_cbranch_execz .LBB11_269
; %bb.265:                              ;   in Loop: Header=BB11_47 Depth=1
	s_trap 2
	ds_read_b32 v2, v0
	v_cmp_lt_i32_e32 vcc, 0, v8
	v_and_b32_e32 v8, 16, v90
	v_and_b32_e32 v9, 16, v90
	s_waitcnt lgkmcnt(0)
	v_readfirstlane_b32 s26, v2
	s_cmp_eq_u32 s26, 0
	s_cselect_b64 s[26:27], -1, 0
	s_and_b64 s[26:27], vcc, s[26:27]
	v_cmp_ne_u32_e32 vcc, 0, v8
	s_and_b64 s[40:41], vcc, s[26:27]
	s_and_saveexec_b64 s[26:27], s[40:41]
	s_cbranch_execz .LBB11_267
; %bb.266:                              ;   in Loop: Header=BB11_47 Depth=1
	v_mov_b32_e32 v9, 1
	buffer_wbl2 sc1
	s_waitcnt vmcnt(0)
	buffer_inv sc1
.LBB11_267:                             ;   in Loop: Header=BB11_47 Depth=1
	s_or_b64 exec, exec, s[26:27]
	s_andn2_saveexec_b64 s[24:25], s[24:25]
	s_cbranch_execnz .LBB11_270
.LBB11_268:                             ;   in Loop: Header=BB11_47 Depth=1
	s_or_b64 exec, exec, s[24:25]
	v_cmp_ne_u32_e32 vcc, 0, v9
	s_and_saveexec_b64 s[24:25], vcc
	s_cbranch_execnz .LBB11_288
	s_branch .LBB11_291
.LBB11_269:                             ;   in Loop: Header=BB11_47 Depth=1
	s_andn2_saveexec_b64 s[24:25], s[24:25]
	s_cbranch_execz .LBB11_268
.LBB11_270:                             ;   in Loop: Header=BB11_47 Depth=1
	s_and_saveexec_b64 s[26:27], s[78:79]
	s_xor_b64 s[26:27], exec, s[26:27]
	s_cbranch_execz .LBB11_285
; %bb.271:                              ;   in Loop: Header=BB11_47 Depth=1
	s_and_saveexec_b64 s[40:41], s[14:15]
	s_cbranch_execz .LBB11_284
; %bb.272:                              ;   in Loop: Header=BB11_47 Depth=1
	s_mov_b64 s[44:45], exec
	v_mbcnt_lo_u32_b32 v2, s44, 0
	v_mbcnt_hi_u32_b32 v2, s45, v2
	v_cmp_eq_u32_e32 vcc, 0, v2
	;;#ASMSTART
	s_waitcnt lgkmcnt(0) vmcnt(0)
	;;#ASMEND
	s_and_saveexec_b64 s[42:43], vcc
	s_cbranch_execz .LBB11_274
; %bb.273:                              ;   in Loop: Header=BB11_47 Depth=1
	s_bcnt1_i32_b64 s44, s[44:45]
	v_mov_b32_e32 v2, s44
	s_waitcnt lgkmcnt(0)
	ds_add_u64 v0, v[2:3]
	s_trap 2
.LBB11_274:                             ;   in Loop: Header=BB11_47 Depth=1
	s_or_b64 exec, exec, s[42:43]
	s_trap 2
	ds_read_b64 v[10:11], v0
	s_waitcnt lgkmcnt(0)
	v_lshl_add_u64 v[48:49], v[48:49], 0, v[52:53]
	v_cmp_lt_u64_e32 vcc, v[10:11], v[48:49]
	s_and_saveexec_b64 s[42:43], vcc
	s_cbranch_execz .LBB11_283
; %bb.275:                              ;   in Loop: Header=BB11_47 Depth=1
	s_mov_b32 s76, 0
	s_mov_b64 s[44:45], 0
                                        ; implicit-def: $sgpr46_sgpr47
                                        ; implicit-def: $sgpr56_sgpr57
	s_branch .LBB11_277
.LBB11_276:                             ;   in Loop: Header=BB11_277 Depth=2
	s_or_b64 exec, exec, s[60:61]
	s_and_b64 s[58:59], exec, s[62:63]
	s_or_b64 s[44:45], s[58:59], s[44:45]
	s_andn2_b64 s[46:47], s[46:47], exec
	s_and_b64 s[58:59], s[56:57], exec
	s_or_b64 s[46:47], s[46:47], s[58:59]
	s_andn2_b64 exec, exec, s[44:45]
	s_cbranch_execz .LBB11_281
.LBB11_277:                             ;   Parent Loop BB11_47 Depth=1
                                        ; =>  This Inner Loop Header: Depth=2
	s_add_i32 s76, s76, 1
	s_cmpk_lg_i32 s76, 0x2710
	s_cselect_b64 s[58:59], -1, 0
	s_and_b64 vcc, exec, s[58:59]
	s_cbranch_vccz .LBB11_279
; %bb.278:                              ;   in Loop: Header=BB11_277 Depth=2
	s_mov_b64 s[62:63], -1
	s_or_b64 s[56:57], s[56:57], exec
	s_and_saveexec_b64 s[60:61], s[58:59]
	s_cbranch_execz .LBB11_276
	s_branch .LBB11_280
.LBB11_279:                             ;   in Loop: Header=BB11_277 Depth=2
	s_trap 2
	ds_read_b64 v[10:11], v0
	s_andn2_b64 s[58:59], s[58:59], exec
	s_mov_b32 s76, 0
	s_waitcnt vmcnt(0) lgkmcnt(0)
	flat_load_dword v2, v[10:11] sc0 sc1
	s_waitcnt vmcnt(0) lgkmcnt(0)
	buffer_inv sc0 sc1
	v_cmp_eq_u32_e32 vcc, 0, v2
	s_and_b64 s[60:61], vcc, exec
	s_or_b64 s[58:59], s[58:59], s[60:61]
	s_mov_b64 s[62:63], -1
	s_or_b64 s[56:57], s[56:57], exec
	s_and_saveexec_b64 s[60:61], s[58:59]
	s_cbranch_execz .LBB11_276
.LBB11_280:                             ;   in Loop: Header=BB11_277 Depth=2
	s_sleep 1
	s_trap 2
	ds_read_b64 v[10:11], v0
	s_waitcnt lgkmcnt(0)
	s_andn2_b64 s[56:57], s[56:57], exec
	v_cmp_ge_u64_e32 vcc, v[10:11], v[48:49]
	s_orn2_b64 s[62:63], vcc, exec
	s_branch .LBB11_276
.LBB11_281:                             ;   in Loop: Header=BB11_47 Depth=1
	s_or_b64 exec, exec, s[44:45]
	s_and_saveexec_b64 s[44:45], s[46:47]
	s_xor_b64 s[44:45], exec, s[44:45]
	s_cbranch_execz .LBB11_283
; %bb.282:                              ;   in Loop: Header=BB11_47 Depth=1
	ds_write_b32 v0, v94
	s_trap 2
.LBB11_283:                             ;   in Loop: Header=BB11_47 Depth=1
	s_or_b64 exec, exec, s[42:43]
	;;#ASMSTART
	s_wakeup
	;;#ASMEND
.LBB11_284:                             ;   in Loop: Header=BB11_47 Depth=1
	s_or_b64 exec, exec, s[40:41]
.LBB11_285:                             ;   in Loop: Header=BB11_47 Depth=1
	s_andn2_saveexec_b64 s[26:27], s[26:27]
	s_cbranch_execz .LBB11_287
; %bb.286:                              ;   in Loop: Header=BB11_47 Depth=1
	;;#ASMSTART
	s_waitcnt lgkmcnt(0) vmcnt(0)
	;;#ASMEND
	s_barrier
.LBB11_287:                             ;   in Loop: Header=BB11_47 Depth=1
	s_or_b64 exec, exec, s[26:27]
	s_or_b64 exec, exec, s[24:25]
	v_cmp_ne_u32_e32 vcc, 0, v9
	s_and_saveexec_b64 s[24:25], vcc
	s_cbranch_execz .LBB11_291
.LBB11_288:                             ;   in Loop: Header=BB11_47 Depth=1
	s_and_saveexec_b64 s[26:27], s[12:13]
	s_cbranch_execz .LBB11_290
; %bb.289:                              ;   in Loop: Header=BB11_47 Depth=1
	flat_store_dword v[36:37], v94 sc0 sc1
.LBB11_290:                             ;   in Loop: Header=BB11_47 Depth=1
	s_or_b64 exec, exec, s[26:27]
	v_lshl_add_u64 v[44:45], v[44:45], 0, 4
	flat_store_dwordx2 v[32:33], v[44:45] sc0 sc1
.LBB11_291:                             ;   in Loop: Header=BB11_47 Depth=1
	s_or_b64 exec, exec, s[24:25]
.LBB11_292:                             ;   in Loop: Header=BB11_47 Depth=1
	s_or_b64 exec, exec, s[28:29]
	v_cndmask_b32_e64 v2, 0, 1, s[36:37]
	v_cmp_ne_u32_e64 s[24:25], 1, v2
	s_andn2_b64 vcc, exec, s[36:37]
	s_cbranch_vccnz .LBB11_805
; %bb.293:                              ;   in Loop: Header=BB11_47 Depth=1
	s_mov_b32 s76, 2
	s_branch .LBB11_296
.LBB11_294:                             ;   in Loop: Header=BB11_296 Depth=2
	s_or_b64 exec, exec, s[26:27]
.LBB11_295:                             ;   in Loop: Header=BB11_296 Depth=2
	s_or_b64 exec, exec, s[28:29]
	s_add_i32 s76, s76, 1
	s_cmp_eq_u32 s76, s68
	s_cbranch_scc1 .LBB11_805
.LBB11_296:                             ;   Parent Loop BB11_47 Depth=1
                                        ; =>  This Loop Header: Depth=2
                                        ;       Child Loop BB11_305 Depth 3
                                        ;       Child Loop BB11_333 Depth 3
	;; [unrolled: 1-line block ×4, first 2 shown]
                                        ;         Child Loop BB11_382 Depth 4
                                        ;         Child Loop BB11_419 Depth 4
                                        ;       Child Loop BB11_494 Depth 3
                                        ;         Child Loop BB11_495 Depth 4
                                        ;         Child Loop BB11_532 Depth 4
                                        ;       Child Loop BB11_609 Depth 3
                                        ;       Child Loop BB11_668 Depth 3
                                        ;         Child Loop BB11_669 Depth 4
                                        ;         Child Loop BB11_678 Depth 4
                                        ;       Child Loop BB11_697 Depth 3
                                        ;       Child Loop BB11_716 Depth 3
	;; [unrolled: 1-line block ×5, first 2 shown]
	s_sub_i32 s26, s71, s76
	s_cmp_ge_i32 s26, s68
	s_cselect_b32 s27, s68, 0
	s_sub_i32 s26, s26, s27
	s_ashr_i32 s27, s26, 31
	v_mul_lo_u32 v2, v42, s27
	v_mul_lo_u32 v10, v43, s26
	v_mad_u64_u32 v[8:9], s[26:27], v42, s26, 0
	v_add3_u32 v9, v9, v2, v10
	v_sub_co_u32_e32 v10, vcc, v46, v8
	s_nop 1
	v_subb_co_u32_e32 v11, vcc, v47, v9, vcc
	v_cmp_lt_i64_e32 vcc, v[42:43], v[10:11]
	s_nop 1
	v_cndmask_b32_e32 v2, v10, v42, vcc
	v_max_i32_e32 v72, 0, v2
	v_add_u32_e32 v10, 15, v72
	v_ashrrev_i32_e32 v11, 31, v10
	v_lshrrev_b32_e32 v11, 28, v11
	v_add_u32_e32 v10, v10, v11
	v_cmp_gt_i32_e32 vcc, 1, v2
	v_and_b32_e32 v10, -16, v10
	s_or_b64 s[44:45], s[2:3], vcc
	v_max_i32_e32 v16, s82, v10
	s_xor_b64 s[26:27], s[44:45], -1
	v_mov_b32_e32 v2, 0
	s_and_saveexec_b64 s[46:47], s[26:27]
	s_cbranch_execz .LBB11_732
; %bb.297:                              ;   in Loop: Header=BB11_296 Depth=2
	s_and_saveexec_b64 s[26:27], s[0:1]
	s_cbranch_execz .LBB11_299
; %bb.298:                              ;   in Loop: Header=BB11_296 Depth=2
	s_trap 2
	ds_read_b64 v[10:11], v0
	s_waitcnt lgkmcnt(0)
	v_lshl_add_u64 v[10:11], v[56:57], 1, v[10:11]
	v_lshl_add_u64 v[8:9], v[8:9], 1, v[10:11]
	ds_write_b64 v0, v[8:9]
	ds_write_b64 v0, v[26:27]
.LBB11_299:                             ;   in Loop: Header=BB11_296 Depth=2
	s_or_b64 exec, exec, s[26:27]
	v_and_b32_e32 v2, 12, v90
	v_min_i32_e32 v16, v16, v72
	v_cmp_ne_u32_e32 vcc, 0, v2
	s_and_saveexec_b64 s[28:29], vcc
	s_cbranch_execz .LBB11_325
; %bb.300:                              ;   in Loop: Header=BB11_296 Depth=2
	v_and_b32_e32 v2, 8, v90
	s_waitcnt vmcnt(0) lgkmcnt(0)
	v_lshl_add_u64 v[10:11], v[38:39], 0, v[2:3]
	v_lshl_add_u64 v[8:9], v[44:45], 0, 4
	v_cmp_lt_u64_e32 vcc, v[10:11], v[8:9]
	s_and_saveexec_b64 s[40:41], vcc
	s_cbranch_execz .LBB11_312
; %bb.301:                              ;   in Loop: Header=BB11_296 Depth=2
	v_and_b32_e32 v10, 64, v90
	s_mov_b32 s48, 0
	v_cmp_eq_u32_e32 vcc, 0, v10
	s_mov_b64 s[42:43], 0
                                        ; implicit-def: $sgpr56_sgpr57
                                        ; implicit-def: $sgpr58_sgpr59
                                        ; implicit-def: $sgpr60_sgpr61
	s_branch .LBB11_305
.LBB11_302:                             ;   in Loop: Header=BB11_305 Depth=3
	s_waitcnt vmcnt(0) lgkmcnt(0)
	v_lshl_add_u64 v[12:13], v[38:39], 0, v[2:3]
	v_cmp_ge_u64_e64 s[26:27], v[12:13], v[8:9]
	s_or_b64 s[52:53], s[52:53], exec
	s_orn2_b64 s[50:51], s[26:27], exec
.LBB11_303:                             ;   in Loop: Header=BB11_305 Depth=3
	s_or_b64 exec, exec, s[64:65]
	s_andn2_b64 s[26:27], s[60:61], exec
	s_and_b64 s[60:61], s[52:53], exec
	s_or_b64 s[60:61], s[26:27], s[60:61]
	s_andn2_b64 s[26:27], s[58:59], exec
	s_and_b64 s[58:59], s[50:51], exec
	s_or_b64 s[58:59], s[26:27], s[58:59]
.LBB11_304:                             ;   in Loop: Header=BB11_305 Depth=3
	s_or_b64 exec, exec, s[62:63]
	s_and_b64 s[26:27], exec, s[58:59]
	s_or_b64 s[42:43], s[26:27], s[42:43]
	s_andn2_b64 s[26:27], s[56:57], exec
	s_and_b64 s[56:57], s[60:61], exec
	s_or_b64 s[56:57], s[26:27], s[56:57]
	s_andn2_b64 exec, exec, s[42:43]
	s_cbranch_execz .LBB11_309
.LBB11_305:                             ;   Parent Loop BB11_47 Depth=1
                                        ;     Parent Loop BB11_296 Depth=2
                                        ; =>    This Inner Loop Header: Depth=3
	s_sleep 1
	s_waitcnt vmcnt(0) lgkmcnt(0)
	flat_load_dwordx2 v[38:39], v[32:33] sc0 sc1
	s_or_b64 s[60:61], s[60:61], exec
	s_or_b64 s[58:59], s[58:59], exec
                                        ; implicit-def: $vgpr10
	s_and_saveexec_b64 s[62:63], vcc
	s_cbranch_execz .LBB11_304
; %bb.306:                              ;   in Loop: Header=BB11_305 Depth=3
	s_cmpk_lt_i32 s48, 0x270f
	s_cselect_b64 s[54:55], -1, 0
	s_cmpk_gt_i32 s48, 0x270e
	s_mov_b64 s[50:51], -1
	s_cbranch_scc0 .LBB11_308
; %bb.307:                              ;   in Loop: Header=BB11_305 Depth=3
	s_trap 2
	ds_read_b64 v[10:11], v0
	s_andn2_b64 s[54:55], s[54:55], exec
	s_mov_b32 s48, 0
	s_mov_b64 s[52:53], 0
	s_waitcnt vmcnt(0) lgkmcnt(0)
	flat_load_dword v10, v[10:11] sc0 sc1
	s_waitcnt vmcnt(0) lgkmcnt(0)
	buffer_inv sc0 sc1
	v_cmp_eq_u32_e64 s[26:27], 0, v10
	s_and_b64 s[26:27], s[26:27], exec
	s_or_b64 s[54:55], s[54:55], s[26:27]
	s_and_saveexec_b64 s[64:65], s[54:55]
	s_cbranch_execz .LBB11_303
	s_branch .LBB11_302
.LBB11_308:                             ;   in Loop: Header=BB11_305 Depth=3
	s_add_i32 s48, s48, 1
	s_mov_b64 s[52:53], -1
                                        ; implicit-def: $vgpr10
	s_and_saveexec_b64 s[64:65], s[54:55]
	s_cbranch_execz .LBB11_303
	s_branch .LBB11_302
.LBB11_309:                             ;   in Loop: Header=BB11_296 Depth=2
	s_or_b64 exec, exec, s[42:43]
	s_xor_b64 s[26:27], s[56:57], -1
	s_and_saveexec_b64 s[42:43], s[26:27]
	s_xor_b64 s[26:27], exec, s[42:43]
	s_cbranch_execz .LBB11_311
; %bb.310:                              ;   in Loop: Header=BB11_296 Depth=2
	v_or_b32_e32 v90, 64, v90
	s_waitcnt lgkmcnt(0)
	ds_write_b32 v0, v10
	s_trap 2
.LBB11_311:                             ;   in Loop: Header=BB11_296 Depth=2
	s_or_b64 exec, exec, s[26:27]
.LBB11_312:                             ;   in Loop: Header=BB11_296 Depth=2
	s_or_b64 exec, exec, s[40:41]
	v_and_b32_e32 v10, 0x108, v90
	v_cmp_ne_u32_e32 vcc, s98, v10
	;;#ASMSTART
	s_wakeup
	;;#ASMEND
                                        ; implicit-def: $vgpr10_vgpr11
	s_and_saveexec_b64 s[26:27], vcc
	s_xor_b64 s[26:27], exec, s[26:27]
; %bb.313:                              ;   in Loop: Header=BB11_296 Depth=2
	v_and_b32_e32 v10, 7, v44
	v_mov_b32_e32 v11, v3
                                        ; implicit-def: $vgpr44_vgpr45
; %bb.314:                              ;   in Loop: Header=BB11_296 Depth=2
	s_andn2_saveexec_b64 s[26:27], s[26:27]
	s_cbranch_execz .LBB11_316
; %bb.315:                              ;   in Loop: Header=BB11_296 Depth=2
	v_and_b32_e32 v10, 7, v44
	v_ashrrev_i32_e32 v17, 31, v16
	v_mov_b32_e32 v11, v3
	v_mad_u64_u32 v[12:13], s[40:41], v10, 24, v[6:7]
	v_lshlrev_b64 v[14:15], 1, v[16:17]
	flat_store_dwordx2 v[12:13], v[14:15] offset:8
.LBB11_316:                             ;   in Loop: Header=BB11_296 Depth=2
	s_or_b64 exec, exec, s[26:27]
	v_and_b32_e32 v12, 0x100, v90
	v_cmp_ne_u32_e32 vcc, 0, v12
	s_mov_b64 s[26:27], -1
                                        ; implicit-def: $vgpr12_vgpr13
	s_and_saveexec_b64 s[40:41], vcc
	s_cbranch_execz .LBB11_320
; %bb.317:                              ;   in Loop: Header=BB11_296 Depth=2
	v_mad_u64_u32 v[14:15], s[26:27], v10, 24, v[6:7]
	v_mov_b32_e32 v12, v15
	v_mad_u64_u32 v[12:13], s[26:27], v11, 24, v[12:13]
	v_mov_b32_e32 v15, v12
	flat_load_dword v12, v[14:15]
	s_waitcnt vmcnt(0) lgkmcnt(0)
	v_cmp_ne_u32_e32 vcc, 1, v12
	v_cmp_eq_u32_e64 s[26:27], 1, v12
                                        ; implicit-def: $vgpr12_vgpr13
	s_and_saveexec_b64 s[42:43], s[26:27]
	s_cbranch_execz .LBB11_319
; %bb.318:                              ;   in Loop: Header=BB11_296 Depth=2
	flat_load_dword v12, v[14:15] offset:4 sc0 sc1
	s_waitcnt vmcnt(0) lgkmcnt(0)
	v_ashrrev_i32_e32 v13, 31, v12
	v_lshrrev_b64 v[12:13], 1, v[12:13]
.LBB11_319:                             ;   in Loop: Header=BB11_296 Depth=2
	s_or_b64 exec, exec, s[42:43]
	s_orn2_b64 s[26:27], vcc, exec
.LBB11_320:                             ;   in Loop: Header=BB11_296 Depth=2
	s_or_b64 exec, exec, s[40:41]
	s_and_saveexec_b64 s[40:41], s[26:27]
; %bb.321:                              ;   in Loop: Header=BB11_296 Depth=2
	v_mul_lo_u32 v11, v11, v30
	v_mul_lo_u32 v14, v10, v51
	v_mad_u64_u32 v[12:13], s[26:27], v10, v30, 0
	v_add3_u32 v13, v13, v14, v11
; %bb.322:                              ;   in Loop: Header=BB11_296 Depth=2
	s_or_b64 exec, exec, s[40:41]
	v_cmp_eq_u32_e32 vcc, 0, v2
	v_lshl_add_u64 v[10:11], v[12:13], 1, v[34:35]
	s_nop 0
	v_cndmask_b32_e32 v2, v95, v104, vcc
	v_add_u32_e32 v2, v0, v2
	ds_write_b64 v2, v[10:11] offset:584
	v_and_b32_e32 v2, 0x2000, v90
	v_cmp_ne_u32_e32 vcc, 0, v2
	s_and_saveexec_b64 s[26:27], vcc
	s_cbranch_execz .LBB11_324
; %bb.323:                              ;   in Loop: Header=BB11_296 Depth=2
	ds_read_b64 v[10:11], v0 offset:872
	s_waitcnt lgkmcnt(0)
	v_lshl_add_u64 v[10:11], v[10:11], 0, 1
	ds_write_b64 v0, v[10:11] offset:872
.LBB11_324:                             ;   in Loop: Header=BB11_296 Depth=2
	s_or_b64 exec, exec, s[26:27]
	v_mov_b64_e32 v[44:45], v[8:9]
.LBB11_325:                             ;   in Loop: Header=BB11_296 Depth=2
	s_or_b64 exec, exec, s[28:29]
	s_and_saveexec_b64 s[26:27], s[6:7]
	s_cbranch_execz .LBB11_344
; %bb.326:                              ;   in Loop: Header=BB11_296 Depth=2
	s_and_saveexec_b64 s[28:29], s[78:79]
	s_xor_b64 s[28:29], exec, s[28:29]
	s_cbranch_execz .LBB11_341
; %bb.327:                              ;   in Loop: Header=BB11_296 Depth=2
	s_and_saveexec_b64 s[40:41], s[14:15]
	s_cbranch_execz .LBB11_340
; %bb.328:                              ;   in Loop: Header=BB11_296 Depth=2
	s_mov_b64 s[56:57], exec
	v_mbcnt_lo_u32_b32 v2, s56, 0
	v_mbcnt_hi_u32_b32 v2, s57, v2
	v_cmp_eq_u32_e32 vcc, 0, v2
	s_waitcnt lgkmcnt(0)
	s_and_saveexec_b64 s[42:43], vcc
	s_cbranch_execz .LBB11_330
; %bb.329:                              ;   in Loop: Header=BB11_296 Depth=2
	s_bcnt1_i32_b64 s56, s[56:57]
	v_mov_b32_e32 v2, s56
	ds_add_u64 v0, v[2:3]
	s_trap 2
.LBB11_330:                             ;   in Loop: Header=BB11_296 Depth=2
	s_or_b64 exec, exec, s[42:43]
	s_trap 2
	ds_read_b64 v[8:9], v0
	s_waitcnt lgkmcnt(0)
	v_lshl_add_u64 v[48:49], v[48:49], 0, v[52:53]
	v_cmp_lt_u64_e32 vcc, v[8:9], v[48:49]
	s_and_saveexec_b64 s[42:43], vcc
	s_cbranch_execz .LBB11_339
; %bb.331:                              ;   in Loop: Header=BB11_296 Depth=2
	s_mov_b32 s48, 0
	s_mov_b64 s[56:57], 0
                                        ; implicit-def: $sgpr58_sgpr59
                                        ; implicit-def: $sgpr60_sgpr61
	s_branch .LBB11_333
.LBB11_332:                             ;   in Loop: Header=BB11_333 Depth=3
	s_or_b64 exec, exec, s[50:51]
	s_and_b64 s[62:63], exec, vcc
	s_or_b64 s[56:57], s[62:63], s[56:57]
	s_andn2_b64 s[58:59], s[58:59], exec
	s_and_b64 s[62:63], s[60:61], exec
	s_or_b64 s[58:59], s[58:59], s[62:63]
	s_andn2_b64 exec, exec, s[56:57]
	s_cbranch_execz .LBB11_337
.LBB11_333:                             ;   Parent Loop BB11_47 Depth=1
                                        ;     Parent Loop BB11_296 Depth=2
                                        ; =>    This Inner Loop Header: Depth=3
	s_add_i32 s48, s48, 1
	s_cmpk_lg_i32 s48, 0x2710
	s_cselect_b64 s[62:63], -1, 0
	s_and_b64 vcc, exec, s[62:63]
	s_cbranch_vccz .LBB11_335
; %bb.334:                              ;   in Loop: Header=BB11_333 Depth=3
	s_mov_b64 vcc, -1
	s_or_b64 s[60:61], s[60:61], exec
	s_and_saveexec_b64 s[50:51], s[62:63]
	s_cbranch_execz .LBB11_332
	s_branch .LBB11_336
.LBB11_335:                             ;   in Loop: Header=BB11_333 Depth=3
	s_trap 2
	ds_read_b64 v[8:9], v0
	s_andn2_b64 s[62:63], s[62:63], exec
	s_mov_b32 s48, 0
	s_waitcnt vmcnt(0) lgkmcnt(0)
	flat_load_dword v2, v[8:9] sc0 sc1
	s_waitcnt vmcnt(0) lgkmcnt(0)
	buffer_inv sc0 sc1
	v_cmp_eq_u32_e32 vcc, 0, v2
	s_and_b64 vcc, vcc, exec
	s_or_b64 s[62:63], s[62:63], vcc
	s_mov_b64 vcc, -1
	s_or_b64 s[60:61], s[60:61], exec
	s_and_saveexec_b64 s[50:51], s[62:63]
	s_cbranch_execz .LBB11_332
.LBB11_336:                             ;   in Loop: Header=BB11_333 Depth=3
	s_sleep 1
	s_trap 2
	ds_read_b64 v[8:9], v0
	s_waitcnt lgkmcnt(0)
	s_andn2_b64 s[60:61], s[60:61], exec
	v_cmp_ge_u64_e32 vcc, v[8:9], v[48:49]
	s_orn2_b64 vcc, vcc, exec
	s_branch .LBB11_332
.LBB11_337:                             ;   in Loop: Header=BB11_296 Depth=2
	s_or_b64 exec, exec, s[56:57]
	s_and_saveexec_b64 s[56:57], s[58:59]
	s_xor_b64 s[56:57], exec, s[56:57]
	s_cbranch_execz .LBB11_339
; %bb.338:                              ;   in Loop: Header=BB11_296 Depth=2
	ds_write_b32 v0, v94
	s_trap 2
.LBB11_339:                             ;   in Loop: Header=BB11_296 Depth=2
	s_or_b64 exec, exec, s[42:43]
	;;#ASMSTART
	s_wakeup
	;;#ASMEND
.LBB11_340:                             ;   in Loop: Header=BB11_296 Depth=2
	s_or_b64 exec, exec, s[40:41]
.LBB11_341:                             ;   in Loop: Header=BB11_296 Depth=2
	s_andn2_saveexec_b64 s[28:29], s[28:29]
	s_cbranch_execz .LBB11_343
; %bb.342:                              ;   in Loop: Header=BB11_296 Depth=2
	s_waitcnt lgkmcnt(0)
	s_barrier
.LBB11_343:                             ;   in Loop: Header=BB11_296 Depth=2
	s_or_b64 exec, exec, s[28:29]
.LBB11_344:                             ;   in Loop: Header=BB11_296 Depth=2
	s_or_b64 exec, exec, s[26:27]
	s_trap 2
	ds_read_b32 v8, v0
	v_and_b32_e32 v2, 0x4000, v90
	v_cmp_ne_u32_e32 vcc, 0, v2
	s_xor_b64 s[26:27], s[4:5], -1
	s_and_b64 s[28:29], s[26:27], vcc
	s_and_saveexec_b64 s[26:27], s[28:29]
	s_cbranch_execz .LBB11_363
; %bb.345:                              ;   in Loop: Header=BB11_296 Depth=2
	s_and_saveexec_b64 s[28:29], s[78:79]
	s_xor_b64 s[28:29], exec, s[28:29]
	s_cbranch_execz .LBB11_360
; %bb.346:                              ;   in Loop: Header=BB11_296 Depth=2
	s_and_saveexec_b64 s[40:41], s[14:15]
	s_cbranch_execz .LBB11_359
; %bb.347:                              ;   in Loop: Header=BB11_296 Depth=2
	s_mov_b64 s[56:57], exec
	v_mbcnt_lo_u32_b32 v2, s56, 0
	v_mbcnt_hi_u32_b32 v2, s57, v2
	v_cmp_eq_u32_e32 vcc, 0, v2
	s_waitcnt lgkmcnt(0)
	s_and_saveexec_b64 s[42:43], vcc
	s_cbranch_execz .LBB11_349
; %bb.348:                              ;   in Loop: Header=BB11_296 Depth=2
	s_bcnt1_i32_b64 s56, s[56:57]
	v_mov_b32_e32 v2, s56
	ds_add_u64 v0, v[2:3]
	s_trap 2
.LBB11_349:                             ;   in Loop: Header=BB11_296 Depth=2
	s_or_b64 exec, exec, s[42:43]
	s_trap 2
	ds_read_b64 v[10:11], v0
	s_waitcnt lgkmcnt(0)
	v_lshl_add_u64 v[48:49], v[48:49], 0, v[52:53]
	v_cmp_lt_u64_e32 vcc, v[10:11], v[48:49]
	s_and_saveexec_b64 s[42:43], vcc
	s_cbranch_execz .LBB11_358
; %bb.350:                              ;   in Loop: Header=BB11_296 Depth=2
	s_mov_b32 s48, 0
	s_mov_b64 s[56:57], 0
                                        ; implicit-def: $sgpr58_sgpr59
                                        ; implicit-def: $sgpr60_sgpr61
	s_branch .LBB11_352
.LBB11_351:                             ;   in Loop: Header=BB11_352 Depth=3
	s_or_b64 exec, exec, s[50:51]
	s_and_b64 s[62:63], exec, vcc
	s_or_b64 s[56:57], s[62:63], s[56:57]
	s_andn2_b64 s[58:59], s[58:59], exec
	s_and_b64 s[62:63], s[60:61], exec
	s_or_b64 s[58:59], s[58:59], s[62:63]
	s_andn2_b64 exec, exec, s[56:57]
	s_cbranch_execz .LBB11_356
.LBB11_352:                             ;   Parent Loop BB11_47 Depth=1
                                        ;     Parent Loop BB11_296 Depth=2
                                        ; =>    This Inner Loop Header: Depth=3
	s_add_i32 s48, s48, 1
	s_cmpk_lg_i32 s48, 0x2710
	s_cselect_b64 s[62:63], -1, 0
	s_and_b64 vcc, exec, s[62:63]
	s_cbranch_vccz .LBB11_354
; %bb.353:                              ;   in Loop: Header=BB11_352 Depth=3
	s_mov_b64 vcc, -1
	s_or_b64 s[60:61], s[60:61], exec
	s_and_saveexec_b64 s[50:51], s[62:63]
	s_cbranch_execz .LBB11_351
	s_branch .LBB11_355
.LBB11_354:                             ;   in Loop: Header=BB11_352 Depth=3
	s_trap 2
	ds_read_b64 v[10:11], v0
	s_andn2_b64 s[62:63], s[62:63], exec
	s_mov_b32 s48, 0
	s_waitcnt vmcnt(0) lgkmcnt(0)
	flat_load_dword v2, v[10:11] sc0 sc1
	s_waitcnt vmcnt(0) lgkmcnt(0)
	buffer_inv sc0 sc1
	v_cmp_eq_u32_e32 vcc, 0, v2
	s_and_b64 vcc, vcc, exec
	s_or_b64 s[62:63], s[62:63], vcc
	s_mov_b64 vcc, -1
	s_or_b64 s[60:61], s[60:61], exec
	s_and_saveexec_b64 s[50:51], s[62:63]
	s_cbranch_execz .LBB11_351
.LBB11_355:                             ;   in Loop: Header=BB11_352 Depth=3
	s_sleep 1
	s_trap 2
	ds_read_b64 v[10:11], v0
	s_waitcnt lgkmcnt(0)
	s_andn2_b64 s[60:61], s[60:61], exec
	v_cmp_ge_u64_e32 vcc, v[10:11], v[48:49]
	s_orn2_b64 vcc, vcc, exec
	s_branch .LBB11_351
.LBB11_356:                             ;   in Loop: Header=BB11_296 Depth=2
	s_or_b64 exec, exec, s[56:57]
	s_and_saveexec_b64 s[56:57], s[58:59]
	s_xor_b64 s[56:57], exec, s[56:57]
	s_cbranch_execz .LBB11_358
; %bb.357:                              ;   in Loop: Header=BB11_296 Depth=2
	ds_write_b32 v0, v94
	s_trap 2
.LBB11_358:                             ;   in Loop: Header=BB11_296 Depth=2
	s_or_b64 exec, exec, s[42:43]
	;;#ASMSTART
	s_wakeup
	;;#ASMEND
.LBB11_359:                             ;   in Loop: Header=BB11_296 Depth=2
	s_or_b64 exec, exec, s[40:41]
.LBB11_360:                             ;   in Loop: Header=BB11_296 Depth=2
	s_andn2_saveexec_b64 s[28:29], s[28:29]
	s_cbranch_execz .LBB11_362
; %bb.361:                              ;   in Loop: Header=BB11_296 Depth=2
	s_waitcnt lgkmcnt(0)
	s_barrier
.LBB11_362:                             ;   in Loop: Header=BB11_296 Depth=2
	s_or_b64 exec, exec, s[28:29]
.LBB11_363:                             ;   in Loop: Header=BB11_296 Depth=2
	s_or_b64 exec, exec, s[26:27]
	s_trap 2
	ds_read_b64 v[18:19], v0
	s_waitcnt lgkmcnt(0)
	v_cmp_eq_u64_e32 vcc, 0, v[18:19]
	s_cbranch_vccnz .LBB11_371
; %bb.364:                              ;   in Loop: Header=BB11_296 Depth=2
	s_trap 2
	ds_read_b64 v[20:21], v0
	s_waitcnt lgkmcnt(0)
	v_cmp_eq_u64_e32 vcc, 0, v[20:21]
	s_cbranch_vccnz .LBB11_371
; %bb.365:                              ;   in Loop: Header=BB11_296 Depth=2
	s_trap 2
	ds_read_b64 v[10:11], v0
	s_mov_b64 s[28:29], -1
	s_waitcnt lgkmcnt(0)
	v_readfirstlane_b32 s42, v10
	s_and_saveexec_b64 s[26:27], s[20:21]
	s_cbranch_execz .LBB11_367
; %bb.366:                              ;   in Loop: Header=BB11_296 Depth=2
	ds_read_b32 v2, v0 offset:720
	s_waitcnt lgkmcnt(0)
	v_and_b32_e32 v2, 15, v2
	v_cmp_eq_u32_e32 vcc, 0, v2
	s_orn2_b64 s[28:29], vcc, exec
.LBB11_367:                             ;   in Loop: Header=BB11_296 Depth=2
	s_or_b64 exec, exec, s[26:27]
	s_and_saveexec_b64 s[26:27], s[18:19]
	s_cbranch_execz .LBB11_369
; %bb.368:                              ;   in Loop: Header=BB11_296 Depth=2
	ds_read_b32 v2, v0 offset:784
	s_waitcnt lgkmcnt(0)
	v_and_b32_e32 v2, 15, v2
	v_cmp_eq_u32_e32 vcc, 0, v2
	s_and_b64 s[40:41], s[28:29], vcc
	s_andn2_b64 s[28:29], s[28:29], exec
	s_and_b64 s[40:41], s[40:41], exec
	s_or_b64 s[28:29], s[28:29], s[40:41]
.LBB11_369:                             ;   in Loop: Header=BB11_296 Depth=2
	s_or_b64 exec, exec, s[26:27]
	s_xor_b64 s[28:29], s[28:29], -1
	v_cndmask_b32_e64 v2, 0, 1, s[28:29]
	v_cmp_eq_u32_e64 s[26:27], 0, v8
	s_mov_b64 s[40:41], -1
	v_cmp_ne_u32_e32 vcc, 0, v2
	s_cbranch_vccz .LBB11_376
; %bb.370:                              ;   in Loop: Header=BB11_296 Depth=2
	s_and_b32 s48, s42, 1
	s_mov_b64 s[40:41], 0
	s_mov_b64 s[56:57], -1
	s_branch .LBB11_377
.LBB11_371:                             ;   in Loop: Header=BB11_296 Depth=2
	s_mov_b64 s[26:27], 0
	s_and_saveexec_b64 s[28:29], s[6:7]
	s_cbranch_execnz .LBB11_690
.LBB11_372:                             ;   in Loop: Header=BB11_296 Depth=2
	s_or_b64 exec, exec, s[28:29]
                                        ; implicit-def: $vgpr2
	s_and_saveexec_b64 s[28:29], s[22:23]
	s_xor_b64 s[28:29], exec, s[28:29]
	s_cbranch_execz .LBB11_708
.LBB11_373:                             ;   in Loop: Header=BB11_296 Depth=2
	v_and_b32_e32 v8, 16, v90
	v_cmp_ne_u32_e32 vcc, 0, v8
	v_and_b32_e32 v2, 16, v90
	s_and_b64 s[40:41], vcc, s[26:27]
	s_and_saveexec_b64 s[26:27], s[40:41]
	s_cbranch_execz .LBB11_375
; %bb.374:                              ;   in Loop: Header=BB11_296 Depth=2
	v_mov_b32_e32 v2, 1
	buffer_wbl2 sc1
	s_waitcnt vmcnt(0) lgkmcnt(0)
	buffer_inv sc1
.LBB11_375:                             ;   in Loop: Header=BB11_296 Depth=2
	s_or_b64 exec, exec, s[26:27]
	s_andn2_saveexec_b64 s[26:27], s[28:29]
	s_cbranch_execz .LBB11_727
	s_branch .LBB11_709
.LBB11_376:                             ;   in Loop: Header=BB11_296 Depth=2
	s_mov_b64 s[56:57], 0
                                        ; implicit-def: $sgpr48
.LBB11_377:                             ;   in Loop: Header=BB11_296 Depth=2
	v_cndmask_b32_e64 v2, 0, v16, s[26:27]
	v_lshlrev_b32_e32 v17, 1, v2
	s_andn2_b64 vcc, exec, s[40:41]
	v_mov_b32_e32 v14, 0
	s_cbranch_vccnz .LBB11_454
; %bb.378:                              ;   in Loop: Header=BB11_296 Depth=2
	v_ashrrev_i32_e32 v8, 31, v17
	v_lshrrev_b32_e32 v8, 22, v8
	v_add_u32_e32 v8, v17, v8
	v_and_b32_e32 v73, 0xfffffc00, v8
	s_trap 2
	ds_read_b64 v[22:23], v0
	v_ashrrev_i32_e32 v9, 10, v8
	v_sub_u32_e32 v74, v17, v73
	v_sub_u32_e32 v8, v9, v92
	v_cmp_lt_i32_e64 s[26:27], 15, v74
	v_sub_u32_e32 v76, v17, v54
	s_and_b32 s48, s42, 1
	v_addc_co_u32_e64 v75, vcc, 0, v8, s[26:27]
	v_lshl_add_u64 v[58:59], v[20:21], 0, v[54:55]
	v_cmp_lt_i32_e32 vcc, 15, v76
	s_mov_b64 s[28:29], 0
	s_and_saveexec_b64 s[58:59], vcc
	s_cbranch_execz .LBB11_456
; %bb.379:                              ;   in Loop: Header=BB11_296 Depth=2
	s_and_b32 s28, 0xffff, s48
	s_cmp_eq_u32 s28, 0
	v_lshl_add_u64 v[60:61], v[18:19], 0, v[54:55]
	s_waitcnt lgkmcnt(0)
	v_lshl_add_u64 v[62:63], v[22:23], 0, v[54:55]
	s_mov_b64 s[50:51], 0
	s_mov_b64 s[60:61], 0
	s_cselect_b64 s[28:29], -1, 0
                                        ; implicit-def: $sgpr62_sgpr63
	s_branch .LBB11_381
.LBB11_380:                             ;   in Loop: Header=BB11_381 Depth=3
	s_or_b64 exec, exec, s[40:41]
	v_cmp_gt_i32_e32 vcc, 16, v76
	s_or_b64 s[60:61], vcc, s[60:61]
	s_andn2_b64 s[40:41], s[62:63], exec
	s_and_b64 s[42:43], s[50:51], exec
	s_or_b64 s[62:63], s[40:41], s[42:43]
	s_andn2_b64 exec, exec, s[60:61]
	s_cbranch_execz .LBB11_455
.LBB11_381:                             ;   Parent Loop BB11_47 Depth=1
                                        ;     Parent Loop BB11_296 Depth=2
                                        ; =>    This Loop Header: Depth=3
                                        ;         Child Loop BB11_382 Depth 4
                                        ;         Child Loop BB11_419 Depth 4
	s_add_i32 s40, s33, 0xc0
	s_mov_b32 s49, s40
	s_mov_b64 s[52:53], -1
	s_mov_b64 s[54:55], 0
.LBB11_382:                             ;   Parent Loop BB11_47 Depth=1
                                        ;     Parent Loop BB11_296 Depth=2
                                        ;       Parent Loop BB11_381 Depth=3
                                        ; =>      This Inner Loop Header: Depth=4
	s_cmp_eq_u32 s54, 1
	s_cselect_b64 vcc, -1, 0
	v_cndmask_b32_e32 v13, v61, v63, vcc
	v_cndmask_b32_e32 v12, v60, v62, vcc
	global_load_dwordx4 v[8:11], v[12:13], off nt
	s_cmp_eq_u32 s54, 0
	v_lshl_add_u64 v[12:13], v[12:13], 0, s[90:91]
	s_cselect_b64 s[40:41], -1, 0
	s_and_b64 s[42:43], exec, s[52:53]
	s_mov_b64 s[54:55], 1
	s_mov_b64 s[52:53], 0
	v_cndmask_b32_e64 v61, v61, v13, s[40:41]
	v_cndmask_b32_e64 v60, v60, v12, s[40:41]
	v_cndmask_b32_e32 v63, v63, v13, vcc
	v_cndmask_b32_e32 v62, v62, v12, vcc
	s_mov_b64 vcc, s[42:43]
	s_waitcnt vmcnt(0)
	scratch_store_dwordx4 off, v[8:11], s49
	s_mov_b32 s49, s84
	s_cbranch_vccnz .LBB11_382
; %bb.383:                              ;   in Loop: Header=BB11_381 Depth=3
	s_and_saveexec_b64 s[40:41], s[50:51]
	s_cbranch_execz .LBB11_417
; %bb.384:                              ;   in Loop: Header=BB11_381 Depth=3
	scratch_load_dwordx4 v[8:11], off, s33 offset:224
	scratch_load_dwordx4 v[12:15], off, s33 offset:240
                                        ; implicit-def: $vgpr77
	s_waitcnt vmcnt(1)
	v_lshlrev_b32_e32 v28, 16, v8
	s_waitcnt vmcnt(0)
	v_lshlrev_b32_e32 v29, 16, v12
	v_max_f32_e32 v29, v29, v29
	v_max_f32_e32 v28, v28, v28
	v_min_f32_e32 v50, v28, v29
	v_max_f32_e32 v28, v28, v29
	v_cndmask_b32_e64 v78, v28, v50, s[28:29]
	v_and_b32_e32 v28, 0x7f800000, v78
	v_cmp_ne_u32_e32 vcc, s99, v28
	s_and_saveexec_b64 s[42:43], vcc
	s_xor_b64 s[42:43], exec, s[42:43]
; %bb.385:                              ;   in Loop: Header=BB11_381 Depth=3
	v_bfe_u32 v28, v78, 16, 1
	v_add3_u32 v77, v78, v28, s74
                                        ; implicit-def: $vgpr78
; %bb.386:                              ;   in Loop: Header=BB11_381 Depth=3
	s_andn2_saveexec_b64 s[42:43], s[42:43]
; %bb.387:                              ;   in Loop: Header=BB11_381 Depth=3
	v_or_b32_e32 v28, 0x10000, v78
	v_cmp_eq_u32_sdwa vcc, v78, v3 src0_sel:WORD_0 src1_sel:DWORD
	s_nop 1
	v_cndmask_b32_e32 v77, v28, v78, vcc
; %bb.388:                              ;   in Loop: Header=BB11_381 Depth=3
	s_or_b64 exec, exec, s[42:43]
	v_and_b32_e32 v8, 0xffff0000, v8
	v_and_b32_e32 v12, 0xffff0000, v12
	v_max_f32_e32 v12, v12, v12
	v_max_f32_e32 v8, v8, v8
	v_min_f32_e32 v28, v8, v12
	v_max_f32_e32 v8, v8, v12
	v_cndmask_b32_e64 v12, v8, v28, s[28:29]
	v_and_b32_e32 v8, 0x7f800000, v12
	v_cmp_ne_u32_e32 vcc, s99, v8
                                        ; implicit-def: $vgpr8
	s_and_saveexec_b64 s[42:43], vcc
	s_xor_b64 s[42:43], exec, s[42:43]
; %bb.389:                              ;   in Loop: Header=BB11_381 Depth=3
	v_bfe_u32 v8, v12, 16, 1
	v_add3_u32 v8, v12, v8, s74
                                        ; implicit-def: $vgpr12
; %bb.390:                              ;   in Loop: Header=BB11_381 Depth=3
	s_andn2_saveexec_b64 s[42:43], s[42:43]
; %bb.391:                              ;   in Loop: Header=BB11_381 Depth=3
	v_or_b32_e32 v8, 0x10000, v12
	v_cmp_eq_u32_sdwa vcc, v12, v3 src0_sel:WORD_0 src1_sel:DWORD
	s_nop 1
	v_cndmask_b32_e32 v8, v8, v12, vcc
; %bb.392:                              ;   in Loop: Header=BB11_381 Depth=3
	s_or_b64 exec, exec, s[42:43]
	v_lshlrev_b32_e32 v12, 16, v9
	v_lshlrev_b32_e32 v28, 16, v13
	v_max_f32_e32 v28, v28, v28
	v_max_f32_e32 v12, v12, v12
	v_min_f32_e32 v29, v12, v28
	v_max_f32_e32 v12, v12, v28
	v_cndmask_b32_e64 v78, v12, v29, s[28:29]
	v_and_b32_e32 v12, 0x7f800000, v78
	v_cmp_ne_u32_e32 vcc, s99, v12
                                        ; implicit-def: $vgpr12
	s_and_saveexec_b64 s[42:43], vcc
	s_xor_b64 s[42:43], exec, s[42:43]
; %bb.393:                              ;   in Loop: Header=BB11_381 Depth=3
	v_bfe_u32 v12, v78, 16, 1
	v_add3_u32 v12, v78, v12, s74
                                        ; implicit-def: $vgpr78
; %bb.394:                              ;   in Loop: Header=BB11_381 Depth=3
	s_andn2_saveexec_b64 s[42:43], s[42:43]
; %bb.395:                              ;   in Loop: Header=BB11_381 Depth=3
	v_or_b32_e32 v12, 0x10000, v78
	v_cmp_eq_u32_sdwa vcc, v78, v3 src0_sel:WORD_0 src1_sel:DWORD
	s_nop 1
	v_cndmask_b32_e32 v12, v12, v78, vcc
; %bb.396:                              ;   in Loop: Header=BB11_381 Depth=3
	s_or_b64 exec, exec, s[42:43]
	v_and_b32_e32 v9, 0xffff0000, v9
	v_and_b32_e32 v13, 0xffff0000, v13
	v_max_f32_e32 v13, v13, v13
	v_max_f32_e32 v9, v9, v9
	v_min_f32_e32 v28, v9, v13
	v_max_f32_e32 v9, v9, v13
	v_cndmask_b32_e64 v13, v9, v28, s[28:29]
	v_and_b32_e32 v9, 0x7f800000, v13
	v_cmp_ne_u32_e32 vcc, s99, v9
                                        ; implicit-def: $vgpr9
	s_and_saveexec_b64 s[42:43], vcc
	s_xor_b64 s[42:43], exec, s[42:43]
; %bb.397:                              ;   in Loop: Header=BB11_381 Depth=3
	v_bfe_u32 v9, v13, 16, 1
	v_add3_u32 v9, v13, v9, s74
                                        ; implicit-def: $vgpr13
; %bb.398:                              ;   in Loop: Header=BB11_381 Depth=3
	s_andn2_saveexec_b64 s[42:43], s[42:43]
; %bb.399:                              ;   in Loop: Header=BB11_381 Depth=3
	v_or_b32_e32 v9, 0x10000, v13
	v_cmp_eq_u32_sdwa vcc, v13, v3 src0_sel:WORD_0 src1_sel:DWORD
	s_nop 1
	v_cndmask_b32_e32 v9, v9, v13, vcc
; %bb.400:                              ;   in Loop: Header=BB11_381 Depth=3
	s_or_b64 exec, exec, s[42:43]
	v_lshlrev_b32_e32 v13, 16, v10
	v_lshlrev_b32_e32 v28, 16, v14
	v_max_f32_e32 v28, v28, v28
	v_max_f32_e32 v13, v13, v13
	v_min_f32_e32 v29, v13, v28
	v_max_f32_e32 v13, v13, v28
	v_cndmask_b32_e64 v78, v13, v29, s[28:29]
	v_and_b32_e32 v13, 0x7f800000, v78
	v_cmp_ne_u32_e32 vcc, s99, v13
                                        ; implicit-def: $vgpr13
	s_and_saveexec_b64 s[42:43], vcc
	s_xor_b64 s[42:43], exec, s[42:43]
; %bb.401:                              ;   in Loop: Header=BB11_381 Depth=3
	v_bfe_u32 v13, v78, 16, 1
	v_add3_u32 v13, v78, v13, s74
                                        ; implicit-def: $vgpr78
; %bb.402:                              ;   in Loop: Header=BB11_381 Depth=3
	s_andn2_saveexec_b64 s[42:43], s[42:43]
; %bb.403:                              ;   in Loop: Header=BB11_381 Depth=3
	v_or_b32_e32 v13, 0x10000, v78
	v_cmp_eq_u32_sdwa vcc, v78, v3 src0_sel:WORD_0 src1_sel:DWORD
	s_nop 1
	v_cndmask_b32_e32 v13, v13, v78, vcc
; %bb.404:                              ;   in Loop: Header=BB11_381 Depth=3
	s_or_b64 exec, exec, s[42:43]
	v_and_b32_e32 v10, 0xffff0000, v10
	v_and_b32_e32 v14, 0xffff0000, v14
	v_max_f32_e32 v14, v14, v14
	v_max_f32_e32 v10, v10, v10
	v_min_f32_e32 v28, v10, v14
	v_max_f32_e32 v10, v10, v14
	v_cndmask_b32_e64 v14, v10, v28, s[28:29]
	v_and_b32_e32 v10, 0x7f800000, v14
	v_cmp_ne_u32_e32 vcc, s99, v10
                                        ; implicit-def: $vgpr10
	s_and_saveexec_b64 s[42:43], vcc
	s_xor_b64 s[42:43], exec, s[42:43]
; %bb.405:                              ;   in Loop: Header=BB11_381 Depth=3
	v_bfe_u32 v10, v14, 16, 1
	v_add3_u32 v10, v14, v10, s74
                                        ; implicit-def: $vgpr14
; %bb.406:                              ;   in Loop: Header=BB11_381 Depth=3
	s_andn2_saveexec_b64 s[42:43], s[42:43]
; %bb.407:                              ;   in Loop: Header=BB11_381 Depth=3
	v_or_b32_e32 v10, 0x10000, v14
	v_cmp_eq_u32_sdwa vcc, v14, v3 src0_sel:WORD_0 src1_sel:DWORD
	s_nop 1
	v_cndmask_b32_e32 v10, v10, v14, vcc
; %bb.408:                              ;   in Loop: Header=BB11_381 Depth=3
	s_or_b64 exec, exec, s[42:43]
	v_lshlrev_b32_e32 v14, 16, v11
	v_lshlrev_b32_e32 v28, 16, v15
	v_max_f32_e32 v28, v28, v28
	v_max_f32_e32 v14, v14, v14
	v_min_f32_e32 v29, v14, v28
	v_max_f32_e32 v14, v14, v28
	v_cndmask_b32_e64 v78, v14, v29, s[28:29]
	v_and_b32_e32 v14, 0x7f800000, v78
	v_cmp_ne_u32_e32 vcc, s99, v14
                                        ; implicit-def: $vgpr14
	s_and_saveexec_b64 s[42:43], vcc
	s_xor_b64 s[42:43], exec, s[42:43]
; %bb.409:                              ;   in Loop: Header=BB11_381 Depth=3
	v_bfe_u32 v14, v78, 16, 1
	v_add3_u32 v14, v78, v14, s74
                                        ; implicit-def: $vgpr78
; %bb.410:                              ;   in Loop: Header=BB11_381 Depth=3
	s_andn2_saveexec_b64 s[42:43], s[42:43]
; %bb.411:                              ;   in Loop: Header=BB11_381 Depth=3
	v_or_b32_e32 v14, 0x10000, v78
	v_cmp_eq_u32_sdwa vcc, v78, v3 src0_sel:WORD_0 src1_sel:DWORD
	s_nop 1
	v_cndmask_b32_e32 v14, v14, v78, vcc
; %bb.412:                              ;   in Loop: Header=BB11_381 Depth=3
	s_or_b64 exec, exec, s[42:43]
	v_and_b32_e32 v11, 0xffff0000, v11
	v_and_b32_e32 v15, 0xffff0000, v15
	v_max_f32_e32 v15, v15, v15
	v_max_f32_e32 v11, v11, v11
	v_min_f32_e32 v28, v11, v15
	v_max_f32_e32 v11, v11, v15
	v_cndmask_b32_e64 v15, v11, v28, s[28:29]
	v_and_b32_e32 v11, 0x7f800000, v15
	v_cmp_ne_u32_e32 vcc, s99, v11
                                        ; implicit-def: $vgpr11
	s_and_saveexec_b64 s[42:43], vcc
	s_xor_b64 s[42:43], exec, s[42:43]
; %bb.413:                              ;   in Loop: Header=BB11_381 Depth=3
	v_bfe_u32 v11, v15, 16, 1
	v_add3_u32 v11, v15, v11, s74
                                        ; implicit-def: $vgpr15
; %bb.414:                              ;   in Loop: Header=BB11_381 Depth=3
	s_andn2_saveexec_b64 s[42:43], s[42:43]
; %bb.415:                              ;   in Loop: Header=BB11_381 Depth=3
	v_or_b32_e32 v11, 0x10000, v15
	v_cmp_eq_u32_sdwa vcc, v15, v3 src0_sel:WORD_0 src1_sel:DWORD
	s_nop 1
	v_cndmask_b32_e32 v11, v11, v15, vcc
; %bb.416:                              ;   in Loop: Header=BB11_381 Depth=3
	s_or_b64 exec, exec, s[42:43]
	v_lshrrev_b32_e32 v12, 16, v12
	v_and_or_b32 v9, v9, s75, v12
	v_lshrrev_b32_e32 v12, 16, v77
	v_and_or_b32 v8, v8, s75, v12
	;; [unrolled: 2-line block ×4, first 2 shown]
	scratch_store_dwordx4 off, v[8:11], s33 offset:224
	global_store_dwordx4 v[58:59], v[8:11], off
	v_lshl_add_u64 v[58:59], v[102:103], 0, v[58:59]
.LBB11_417:                             ;   in Loop: Header=BB11_381 Depth=3
	s_or_b64 exec, exec, s[40:41]
	v_sub_u32_e32 v76, v76, v70
	v_lshl_add_u64 v[60:61], v[60:61], 0, v[86:87]
	v_lshl_add_u64 v[62:63], v[62:63], 0, v[86:87]
	v_cmp_lt_i32_e64 s[50:51], 15, v76
	s_and_saveexec_b64 s[52:53], s[50:51]
	s_cbranch_execz .LBB11_420
; %bb.418:                              ;   in Loop: Header=BB11_381 Depth=3
	s_add_i32 s40, s33, 0xe0
	s_mov_b32 s49, s40
	s_mov_b64 s[64:65], 0
	s_mov_b64 s[54:55], -1
.LBB11_419:                             ;   Parent Loop BB11_47 Depth=1
                                        ;     Parent Loop BB11_296 Depth=2
                                        ;       Parent Loop BB11_381 Depth=3
                                        ; =>      This Inner Loop Header: Depth=4
	s_cmp_eq_u32 s64, 1
	s_cselect_b64 vcc, -1, 0
	v_cndmask_b32_e32 v13, v61, v63, vcc
	v_cndmask_b32_e32 v12, v60, v62, vcc
	global_load_dwordx4 v[8:11], v[12:13], off nt
	s_cmp_eq_u32 s64, 0
	v_lshl_add_u64 v[12:13], v[12:13], 0, s[90:91]
	s_cselect_b64 s[40:41], -1, 0
	s_and_b64 s[42:43], exec, s[54:55]
	s_mov_b64 s[64:65], 1
	s_mov_b64 s[54:55], 0
	v_cndmask_b32_e64 v61, v61, v13, s[40:41]
	v_cndmask_b32_e64 v60, v60, v12, s[40:41]
	v_cndmask_b32_e32 v63, v63, v13, vcc
	v_cndmask_b32_e32 v62, v62, v12, vcc
	s_mov_b64 vcc, s[42:43]
	s_waitcnt vmcnt(0)
	scratch_store_dwordx4 off, v[8:11], s49
	s_mov_b32 s49, s83
	s_cbranch_vccnz .LBB11_419
.LBB11_420:                             ;   in Loop: Header=BB11_381 Depth=3
	s_or_b64 exec, exec, s[52:53]
	scratch_load_dwordx4 v[8:11], off, s33 offset:192
	scratch_load_dwordx4 v[12:15], off, s33 offset:208
                                        ; implicit-def: $vgpr77
	s_waitcnt vmcnt(1)
	v_lshlrev_b32_e32 v28, 16, v8
	s_waitcnt vmcnt(0)
	v_lshlrev_b32_e32 v29, 16, v12
	v_max_f32_e32 v29, v29, v29
	v_max_f32_e32 v28, v28, v28
	v_min_f32_e32 v50, v28, v29
	v_max_f32_e32 v28, v28, v29
	v_cndmask_b32_e64 v78, v28, v50, s[28:29]
	v_and_b32_e32 v28, 0x7f800000, v78
	v_cmp_ne_u32_e32 vcc, s99, v28
	s_and_saveexec_b64 s[40:41], vcc
	s_xor_b64 s[40:41], exec, s[40:41]
; %bb.421:                              ;   in Loop: Header=BB11_381 Depth=3
	v_bfe_u32 v28, v78, 16, 1
	v_add3_u32 v77, v78, v28, s74
                                        ; implicit-def: $vgpr78
; %bb.422:                              ;   in Loop: Header=BB11_381 Depth=3
	s_andn2_saveexec_b64 s[40:41], s[40:41]
; %bb.423:                              ;   in Loop: Header=BB11_381 Depth=3
	v_or_b32_e32 v28, 0x10000, v78
	v_cmp_eq_u32_sdwa vcc, v78, v3 src0_sel:WORD_0 src1_sel:DWORD
	s_nop 1
	v_cndmask_b32_e32 v77, v28, v78, vcc
; %bb.424:                              ;   in Loop: Header=BB11_381 Depth=3
	s_or_b64 exec, exec, s[40:41]
	v_and_b32_e32 v8, 0xffff0000, v8
	v_and_b32_e32 v12, 0xffff0000, v12
	v_max_f32_e32 v12, v12, v12
	v_max_f32_e32 v8, v8, v8
	v_min_f32_e32 v28, v8, v12
	v_max_f32_e32 v8, v8, v12
	v_cndmask_b32_e64 v12, v8, v28, s[28:29]
	v_and_b32_e32 v8, 0x7f800000, v12
	v_cmp_ne_u32_e32 vcc, s99, v8
                                        ; implicit-def: $vgpr8
	s_and_saveexec_b64 s[40:41], vcc
	s_xor_b64 s[40:41], exec, s[40:41]
; %bb.425:                              ;   in Loop: Header=BB11_381 Depth=3
	v_bfe_u32 v8, v12, 16, 1
	v_add3_u32 v8, v12, v8, s74
                                        ; implicit-def: $vgpr12
; %bb.426:                              ;   in Loop: Header=BB11_381 Depth=3
	s_andn2_saveexec_b64 s[40:41], s[40:41]
; %bb.427:                              ;   in Loop: Header=BB11_381 Depth=3
	v_or_b32_e32 v8, 0x10000, v12
	v_cmp_eq_u32_sdwa vcc, v12, v3 src0_sel:WORD_0 src1_sel:DWORD
	s_nop 1
	v_cndmask_b32_e32 v8, v8, v12, vcc
; %bb.428:                              ;   in Loop: Header=BB11_381 Depth=3
	s_or_b64 exec, exec, s[40:41]
	v_lshlrev_b32_e32 v12, 16, v9
	v_lshlrev_b32_e32 v28, 16, v13
	v_max_f32_e32 v28, v28, v28
	v_max_f32_e32 v12, v12, v12
	v_min_f32_e32 v29, v12, v28
	v_max_f32_e32 v12, v12, v28
	v_cndmask_b32_e64 v78, v12, v29, s[28:29]
	v_and_b32_e32 v12, 0x7f800000, v78
	v_cmp_ne_u32_e32 vcc, s99, v12
                                        ; implicit-def: $vgpr12
	s_and_saveexec_b64 s[40:41], vcc
	s_xor_b64 s[40:41], exec, s[40:41]
; %bb.429:                              ;   in Loop: Header=BB11_381 Depth=3
	v_bfe_u32 v12, v78, 16, 1
	v_add3_u32 v12, v78, v12, s74
                                        ; implicit-def: $vgpr78
; %bb.430:                              ;   in Loop: Header=BB11_381 Depth=3
	s_andn2_saveexec_b64 s[40:41], s[40:41]
; %bb.431:                              ;   in Loop: Header=BB11_381 Depth=3
	v_or_b32_e32 v12, 0x10000, v78
	v_cmp_eq_u32_sdwa vcc, v78, v3 src0_sel:WORD_0 src1_sel:DWORD
	s_nop 1
	v_cndmask_b32_e32 v12, v12, v78, vcc
; %bb.432:                              ;   in Loop: Header=BB11_381 Depth=3
	s_or_b64 exec, exec, s[40:41]
	v_and_b32_e32 v9, 0xffff0000, v9
	v_and_b32_e32 v13, 0xffff0000, v13
	v_max_f32_e32 v13, v13, v13
	v_max_f32_e32 v9, v9, v9
	v_min_f32_e32 v28, v9, v13
	v_max_f32_e32 v9, v9, v13
	v_cndmask_b32_e64 v13, v9, v28, s[28:29]
	v_and_b32_e32 v9, 0x7f800000, v13
	v_cmp_ne_u32_e32 vcc, s99, v9
                                        ; implicit-def: $vgpr9
	s_and_saveexec_b64 s[40:41], vcc
	s_xor_b64 s[40:41], exec, s[40:41]
; %bb.433:                              ;   in Loop: Header=BB11_381 Depth=3
	v_bfe_u32 v9, v13, 16, 1
	v_add3_u32 v9, v13, v9, s74
                                        ; implicit-def: $vgpr13
; %bb.434:                              ;   in Loop: Header=BB11_381 Depth=3
	s_andn2_saveexec_b64 s[40:41], s[40:41]
; %bb.435:                              ;   in Loop: Header=BB11_381 Depth=3
	v_or_b32_e32 v9, 0x10000, v13
	v_cmp_eq_u32_sdwa vcc, v13, v3 src0_sel:WORD_0 src1_sel:DWORD
	s_nop 1
	v_cndmask_b32_e32 v9, v9, v13, vcc
; %bb.436:                              ;   in Loop: Header=BB11_381 Depth=3
	s_or_b64 exec, exec, s[40:41]
	v_lshlrev_b32_e32 v13, 16, v10
	v_lshlrev_b32_e32 v28, 16, v14
	v_max_f32_e32 v28, v28, v28
	v_max_f32_e32 v13, v13, v13
	v_min_f32_e32 v29, v13, v28
	v_max_f32_e32 v13, v13, v28
	v_cndmask_b32_e64 v78, v13, v29, s[28:29]
	v_and_b32_e32 v13, 0x7f800000, v78
	v_cmp_ne_u32_e32 vcc, s99, v13
                                        ; implicit-def: $vgpr13
	s_and_saveexec_b64 s[40:41], vcc
	s_xor_b64 s[40:41], exec, s[40:41]
; %bb.437:                              ;   in Loop: Header=BB11_381 Depth=3
	v_bfe_u32 v13, v78, 16, 1
	v_add3_u32 v13, v78, v13, s74
                                        ; implicit-def: $vgpr78
; %bb.438:                              ;   in Loop: Header=BB11_381 Depth=3
	s_andn2_saveexec_b64 s[40:41], s[40:41]
; %bb.439:                              ;   in Loop: Header=BB11_381 Depth=3
	v_or_b32_e32 v13, 0x10000, v78
	v_cmp_eq_u32_sdwa vcc, v78, v3 src0_sel:WORD_0 src1_sel:DWORD
	s_nop 1
	v_cndmask_b32_e32 v13, v13, v78, vcc
; %bb.440:                              ;   in Loop: Header=BB11_381 Depth=3
	s_or_b64 exec, exec, s[40:41]
	v_and_b32_e32 v10, 0xffff0000, v10
	v_and_b32_e32 v14, 0xffff0000, v14
	v_max_f32_e32 v14, v14, v14
	v_max_f32_e32 v10, v10, v10
	v_min_f32_e32 v28, v10, v14
	v_max_f32_e32 v10, v10, v14
	v_cndmask_b32_e64 v14, v10, v28, s[28:29]
	v_and_b32_e32 v10, 0x7f800000, v14
	v_cmp_ne_u32_e32 vcc, s99, v10
                                        ; implicit-def: $vgpr10
	s_and_saveexec_b64 s[40:41], vcc
	s_xor_b64 s[40:41], exec, s[40:41]
; %bb.441:                              ;   in Loop: Header=BB11_381 Depth=3
	v_bfe_u32 v10, v14, 16, 1
	v_add3_u32 v10, v14, v10, s74
                                        ; implicit-def: $vgpr14
; %bb.442:                              ;   in Loop: Header=BB11_381 Depth=3
	s_andn2_saveexec_b64 s[40:41], s[40:41]
; %bb.443:                              ;   in Loop: Header=BB11_381 Depth=3
	v_or_b32_e32 v10, 0x10000, v14
	v_cmp_eq_u32_sdwa vcc, v14, v3 src0_sel:WORD_0 src1_sel:DWORD
	s_nop 1
	v_cndmask_b32_e32 v10, v10, v14, vcc
; %bb.444:                              ;   in Loop: Header=BB11_381 Depth=3
	s_or_b64 exec, exec, s[40:41]
	v_lshlrev_b32_e32 v14, 16, v11
	v_lshlrev_b32_e32 v28, 16, v15
	v_max_f32_e32 v28, v28, v28
	v_max_f32_e32 v14, v14, v14
	v_min_f32_e32 v29, v14, v28
	v_max_f32_e32 v14, v14, v28
	v_cndmask_b32_e64 v78, v14, v29, s[28:29]
	v_and_b32_e32 v14, 0x7f800000, v78
	v_cmp_ne_u32_e32 vcc, s99, v14
                                        ; implicit-def: $vgpr14
	s_and_saveexec_b64 s[40:41], vcc
	s_xor_b64 s[40:41], exec, s[40:41]
; %bb.445:                              ;   in Loop: Header=BB11_381 Depth=3
	v_bfe_u32 v14, v78, 16, 1
	v_add3_u32 v14, v78, v14, s74
                                        ; implicit-def: $vgpr78
; %bb.446:                              ;   in Loop: Header=BB11_381 Depth=3
	s_andn2_saveexec_b64 s[40:41], s[40:41]
; %bb.447:                              ;   in Loop: Header=BB11_381 Depth=3
	v_or_b32_e32 v14, 0x10000, v78
	v_cmp_eq_u32_sdwa vcc, v78, v3 src0_sel:WORD_0 src1_sel:DWORD
	s_nop 1
	v_cndmask_b32_e32 v14, v14, v78, vcc
; %bb.448:                              ;   in Loop: Header=BB11_381 Depth=3
	s_or_b64 exec, exec, s[40:41]
	v_and_b32_e32 v11, 0xffff0000, v11
	v_and_b32_e32 v15, 0xffff0000, v15
	v_max_f32_e32 v15, v15, v15
	v_max_f32_e32 v11, v11, v11
	v_min_f32_e32 v28, v11, v15
	v_max_f32_e32 v11, v11, v15
	v_cndmask_b32_e64 v15, v11, v28, s[28:29]
	v_and_b32_e32 v11, 0x7f800000, v15
	v_cmp_ne_u32_e32 vcc, s99, v11
                                        ; implicit-def: $vgpr11
	s_and_saveexec_b64 s[40:41], vcc
	s_xor_b64 s[40:41], exec, s[40:41]
; %bb.449:                              ;   in Loop: Header=BB11_381 Depth=3
	v_bfe_u32 v11, v15, 16, 1
	v_add3_u32 v11, v15, v11, s74
                                        ; implicit-def: $vgpr15
; %bb.450:                              ;   in Loop: Header=BB11_381 Depth=3
	s_andn2_saveexec_b64 s[40:41], s[40:41]
; %bb.451:                              ;   in Loop: Header=BB11_381 Depth=3
	v_or_b32_e32 v11, 0x10000, v15
	v_cmp_eq_u32_sdwa vcc, v15, v3 src0_sel:WORD_0 src1_sel:DWORD
	s_nop 1
	v_cndmask_b32_e32 v11, v11, v15, vcc
; %bb.452:                              ;   in Loop: Header=BB11_381 Depth=3
	s_or_b64 exec, exec, s[40:41]
	v_lshrrev_b32_e32 v12, 16, v12
	v_and_or_b32 v9, v9, s75, v12
	v_lshrrev_b32_e32 v12, 16, v77
	v_and_or_b32 v8, v8, s75, v12
	;; [unrolled: 2-line block ×4, first 2 shown]
	v_sub_u32_e32 v75, v75, v52
	scratch_store_dwordx4 off, v[8:11], s33 offset:192
	global_store_dwordx4 v[58:59], v[8:11], off
	v_lshl_add_u64 v[58:59], v[58:59], 0, s[90:91]
	s_and_saveexec_b64 s[40:41], s[50:51]
	s_cbranch_execz .LBB11_380
; %bb.453:                              ;   in Loop: Header=BB11_381 Depth=3
	v_lshl_add_u64 v[60:61], v[60:61], 0, v[86:87]
	v_lshl_add_u64 v[62:63], v[62:63], 0, v[86:87]
	;; [unrolled: 1-line block ×3, first 2 shown]
	v_sub_u32_e32 v76, v76, v70
	v_sub_u32_e32 v75, v75, v52
	s_branch .LBB11_380
.LBB11_454:                             ;   in Loop: Header=BB11_296 Depth=2
	v_mov_b32_e32 v8, v0
	v_mov_b32_e32 v15, v91
	s_and_saveexec_b64 s[42:43], s[56:57]
	s_cbranch_execnz .LBB11_606
	s_branch .LBB11_689
.LBB11_455:                             ;   in Loop: Header=BB11_296 Depth=2
	s_or_b64 exec, exec, s[60:61]
	s_and_b64 s[28:29], s[62:63], exec
.LBB11_456:                             ;   in Loop: Header=BB11_296 Depth=2
	s_or_b64 exec, exec, s[58:59]
	s_and_saveexec_b64 s[40:41], s[28:29]
	s_cbranch_execz .LBB11_490
; %bb.457:                              ;   in Loop: Header=BB11_296 Depth=2
	scratch_load_dwordx4 v[8:11], off, s33 offset:224
	scratch_load_dwordx4 v[12:15], off, s33 offset:240
	s_and_b32 s28, 0xffff, s48
	s_cmp_eq_u32 s28, 0
	s_cselect_b64 vcc, -1, 0
                                        ; implicit-def: $vgpr60
	s_waitcnt vmcnt(0)
	v_lshlrev_b32_e32 v28, 16, v8
	v_lshlrev_b32_e32 v29, 16, v12
	v_max_f32_e32 v29, v29, v29
	v_max_f32_e32 v28, v28, v28
	v_min_f32_e32 v50, v28, v29
	v_max_f32_e32 v28, v28, v29
	v_cndmask_b32_e32 v61, v28, v50, vcc
	v_and_b32_e32 v28, 0x7f800000, v61
	v_cmp_ne_u32_e64 s[28:29], s99, v28
	s_and_saveexec_b64 s[42:43], s[28:29]
	s_xor_b64 s[28:29], exec, s[42:43]
; %bb.458:                              ;   in Loop: Header=BB11_296 Depth=2
	v_bfe_u32 v28, v61, 16, 1
	v_add3_u32 v60, v61, v28, s74
                                        ; implicit-def: $vgpr61
; %bb.459:                              ;   in Loop: Header=BB11_296 Depth=2
	s_andn2_saveexec_b64 s[42:43], s[28:29]
; %bb.460:                              ;   in Loop: Header=BB11_296 Depth=2
	v_or_b32_e32 v28, 0x10000, v61
	v_cmp_eq_u32_sdwa s[28:29], v61, v3 src0_sel:WORD_0 src1_sel:DWORD
	s_nop 1
	v_cndmask_b32_e64 v60, v28, v61, s[28:29]
; %bb.461:                              ;   in Loop: Header=BB11_296 Depth=2
	s_or_b64 exec, exec, s[42:43]
	v_and_b32_e32 v8, 0xffff0000, v8
	v_and_b32_e32 v12, 0xffff0000, v12
	v_max_f32_e32 v12, v12, v12
	v_max_f32_e32 v8, v8, v8
	v_min_f32_e32 v28, v8, v12
	v_max_f32_e32 v8, v8, v12
	v_cndmask_b32_e32 v12, v8, v28, vcc
	v_and_b32_e32 v8, 0x7f800000, v12
	v_cmp_ne_u32_e64 s[28:29], s99, v8
                                        ; implicit-def: $vgpr8
	s_and_saveexec_b64 s[42:43], s[28:29]
	s_xor_b64 s[28:29], exec, s[42:43]
; %bb.462:                              ;   in Loop: Header=BB11_296 Depth=2
	v_bfe_u32 v8, v12, 16, 1
	v_add3_u32 v8, v12, v8, s74
                                        ; implicit-def: $vgpr12
; %bb.463:                              ;   in Loop: Header=BB11_296 Depth=2
	s_andn2_saveexec_b64 s[42:43], s[28:29]
; %bb.464:                              ;   in Loop: Header=BB11_296 Depth=2
	v_or_b32_e32 v8, 0x10000, v12
	v_cmp_eq_u32_sdwa s[28:29], v12, v3 src0_sel:WORD_0 src1_sel:DWORD
	s_nop 1
	v_cndmask_b32_e64 v8, v8, v12, s[28:29]
; %bb.465:                              ;   in Loop: Header=BB11_296 Depth=2
	s_or_b64 exec, exec, s[42:43]
	v_lshlrev_b32_e32 v12, 16, v9
	v_lshlrev_b32_e32 v28, 16, v13
	v_max_f32_e32 v28, v28, v28
	v_max_f32_e32 v12, v12, v12
	v_min_f32_e32 v29, v12, v28
	v_max_f32_e32 v12, v12, v28
	v_cndmask_b32_e32 v61, v12, v29, vcc
	v_and_b32_e32 v12, 0x7f800000, v61
	v_cmp_ne_u32_e64 s[28:29], s99, v12
                                        ; implicit-def: $vgpr12
	s_and_saveexec_b64 s[42:43], s[28:29]
	s_xor_b64 s[28:29], exec, s[42:43]
; %bb.466:                              ;   in Loop: Header=BB11_296 Depth=2
	v_bfe_u32 v12, v61, 16, 1
	v_add3_u32 v12, v61, v12, s74
                                        ; implicit-def: $vgpr61
; %bb.467:                              ;   in Loop: Header=BB11_296 Depth=2
	s_andn2_saveexec_b64 s[42:43], s[28:29]
; %bb.468:                              ;   in Loop: Header=BB11_296 Depth=2
	v_or_b32_e32 v12, 0x10000, v61
	v_cmp_eq_u32_sdwa s[28:29], v61, v3 src0_sel:WORD_0 src1_sel:DWORD
	s_nop 1
	v_cndmask_b32_e64 v12, v12, v61, s[28:29]
; %bb.469:                              ;   in Loop: Header=BB11_296 Depth=2
	s_or_b64 exec, exec, s[42:43]
	v_and_b32_e32 v9, 0xffff0000, v9
	v_and_b32_e32 v13, 0xffff0000, v13
	v_max_f32_e32 v13, v13, v13
	v_max_f32_e32 v9, v9, v9
	v_min_f32_e32 v28, v9, v13
	v_max_f32_e32 v9, v9, v13
	v_cndmask_b32_e32 v13, v9, v28, vcc
	v_and_b32_e32 v9, 0x7f800000, v13
	v_cmp_ne_u32_e64 s[28:29], s99, v9
                                        ; implicit-def: $vgpr9
	s_and_saveexec_b64 s[42:43], s[28:29]
	s_xor_b64 s[28:29], exec, s[42:43]
; %bb.470:                              ;   in Loop: Header=BB11_296 Depth=2
	v_bfe_u32 v9, v13, 16, 1
	v_add3_u32 v9, v13, v9, s74
                                        ; implicit-def: $vgpr13
; %bb.471:                              ;   in Loop: Header=BB11_296 Depth=2
	s_andn2_saveexec_b64 s[42:43], s[28:29]
; %bb.472:                              ;   in Loop: Header=BB11_296 Depth=2
	v_or_b32_e32 v9, 0x10000, v13
	v_cmp_eq_u32_sdwa s[28:29], v13, v3 src0_sel:WORD_0 src1_sel:DWORD
	s_nop 1
	v_cndmask_b32_e64 v9, v9, v13, s[28:29]
; %bb.473:                              ;   in Loop: Header=BB11_296 Depth=2
	s_or_b64 exec, exec, s[42:43]
	v_lshlrev_b32_e32 v13, 16, v10
	v_lshlrev_b32_e32 v28, 16, v14
	v_max_f32_e32 v28, v28, v28
	v_max_f32_e32 v13, v13, v13
	v_min_f32_e32 v29, v13, v28
	v_max_f32_e32 v13, v13, v28
	v_cndmask_b32_e32 v61, v13, v29, vcc
	v_and_b32_e32 v13, 0x7f800000, v61
	v_cmp_ne_u32_e64 s[28:29], s99, v13
                                        ; implicit-def: $vgpr13
	s_and_saveexec_b64 s[42:43], s[28:29]
	s_xor_b64 s[28:29], exec, s[42:43]
; %bb.474:                              ;   in Loop: Header=BB11_296 Depth=2
	v_bfe_u32 v13, v61, 16, 1
	v_add3_u32 v13, v61, v13, s74
                                        ; implicit-def: $vgpr61
; %bb.475:                              ;   in Loop: Header=BB11_296 Depth=2
	s_andn2_saveexec_b64 s[42:43], s[28:29]
; %bb.476:                              ;   in Loop: Header=BB11_296 Depth=2
	v_or_b32_e32 v13, 0x10000, v61
	v_cmp_eq_u32_sdwa s[28:29], v61, v3 src0_sel:WORD_0 src1_sel:DWORD
	s_nop 1
	v_cndmask_b32_e64 v13, v13, v61, s[28:29]
; %bb.477:                              ;   in Loop: Header=BB11_296 Depth=2
	s_or_b64 exec, exec, s[42:43]
	v_and_b32_e32 v10, 0xffff0000, v10
	v_and_b32_e32 v14, 0xffff0000, v14
	v_max_f32_e32 v14, v14, v14
	v_max_f32_e32 v10, v10, v10
	v_min_f32_e32 v28, v10, v14
	v_max_f32_e32 v10, v10, v14
	v_cndmask_b32_e32 v14, v10, v28, vcc
	v_and_b32_e32 v10, 0x7f800000, v14
	v_cmp_ne_u32_e64 s[28:29], s99, v10
                                        ; implicit-def: $vgpr10
	s_and_saveexec_b64 s[42:43], s[28:29]
	s_xor_b64 s[28:29], exec, s[42:43]
; %bb.478:                              ;   in Loop: Header=BB11_296 Depth=2
	v_bfe_u32 v10, v14, 16, 1
	v_add3_u32 v10, v14, v10, s74
                                        ; implicit-def: $vgpr14
; %bb.479:                              ;   in Loop: Header=BB11_296 Depth=2
	s_andn2_saveexec_b64 s[42:43], s[28:29]
; %bb.480:                              ;   in Loop: Header=BB11_296 Depth=2
	v_or_b32_e32 v10, 0x10000, v14
	v_cmp_eq_u32_sdwa s[28:29], v14, v3 src0_sel:WORD_0 src1_sel:DWORD
	s_nop 1
	v_cndmask_b32_e64 v10, v10, v14, s[28:29]
; %bb.481:                              ;   in Loop: Header=BB11_296 Depth=2
	s_or_b64 exec, exec, s[42:43]
	v_lshlrev_b32_e32 v14, 16, v11
	v_lshlrev_b32_e32 v28, 16, v15
	v_max_f32_e32 v28, v28, v28
	v_max_f32_e32 v14, v14, v14
	v_min_f32_e32 v29, v14, v28
	v_max_f32_e32 v14, v14, v28
	v_cndmask_b32_e32 v61, v14, v29, vcc
	v_and_b32_e32 v14, 0x7f800000, v61
	v_cmp_ne_u32_e64 s[28:29], s99, v14
                                        ; implicit-def: $vgpr14
	s_and_saveexec_b64 s[42:43], s[28:29]
	s_xor_b64 s[28:29], exec, s[42:43]
; %bb.482:                              ;   in Loop: Header=BB11_296 Depth=2
	v_bfe_u32 v14, v61, 16, 1
	v_add3_u32 v14, v61, v14, s74
                                        ; implicit-def: $vgpr61
; %bb.483:                              ;   in Loop: Header=BB11_296 Depth=2
	s_andn2_saveexec_b64 s[42:43], s[28:29]
; %bb.484:                              ;   in Loop: Header=BB11_296 Depth=2
	v_or_b32_e32 v14, 0x10000, v61
	v_cmp_eq_u32_sdwa s[28:29], v61, v3 src0_sel:WORD_0 src1_sel:DWORD
	s_nop 1
	v_cndmask_b32_e64 v14, v14, v61, s[28:29]
; %bb.485:                              ;   in Loop: Header=BB11_296 Depth=2
	s_or_b64 exec, exec, s[42:43]
	v_and_b32_e32 v11, 0xffff0000, v11
	v_and_b32_e32 v15, 0xffff0000, v15
	v_max_f32_e32 v15, v15, v15
	v_max_f32_e32 v11, v11, v11
	v_min_f32_e32 v28, v11, v15
	v_max_f32_e32 v11, v11, v15
	v_cndmask_b32_e32 v15, v11, v28, vcc
	v_and_b32_e32 v11, 0x7f800000, v15
	v_cmp_ne_u32_e32 vcc, s99, v11
                                        ; implicit-def: $vgpr11
	s_and_saveexec_b64 s[28:29], vcc
	s_xor_b64 s[28:29], exec, s[28:29]
; %bb.486:                              ;   in Loop: Header=BB11_296 Depth=2
	v_bfe_u32 v11, v15, 16, 1
	v_add3_u32 v11, v15, v11, s74
                                        ; implicit-def: $vgpr15
; %bb.487:                              ;   in Loop: Header=BB11_296 Depth=2
	s_andn2_saveexec_b64 s[28:29], s[28:29]
; %bb.488:                              ;   in Loop: Header=BB11_296 Depth=2
	v_or_b32_e32 v11, 0x10000, v15
	v_cmp_eq_u32_sdwa vcc, v15, v3 src0_sel:WORD_0 src1_sel:DWORD
	s_nop 1
	v_cndmask_b32_e32 v11, v11, v15, vcc
; %bb.489:                              ;   in Loop: Header=BB11_296 Depth=2
	s_or_b64 exec, exec, s[28:29]
	v_lshrrev_b32_e32 v12, 16, v12
	v_and_or_b32 v9, v9, s75, v12
	v_lshrrev_b32_e32 v12, 16, v60
	v_and_or_b32 v8, v8, s75, v12
	v_lshrrev_b32_e32 v12, 16, v13
	v_and_or_b32 v10, v10, s75, v12
	v_lshrrev_b32_e32 v12, 16, v14
	v_and_or_b32 v11, v11, s75, v12
	global_store_dwordx4 v[58:59], v[8:11], off
.LBB11_490:                             ;   in Loop: Header=BB11_296 Depth=2
	s_or_b64 exec, exec, s[40:41]
	s_nop 0
	v_and_b32_e32 v9, 14, v17
	v_cndmask_b32_e64 v62, v74, v9, s[26:27]
	v_cmp_ne_u32_e32 vcc, 0, v62
                                        ; implicit-def: $vgpr17
                                        ; implicit-def: $vgpr14
                                        ; implicit-def: $vgpr8
                                        ; implicit-def: $vgpr15
	s_and_saveexec_b64 s[58:59], vcc
	s_cbranch_execz .LBB11_605
; %bb.491:                              ;   in Loop: Header=BB11_296 Depth=2
	v_sub_u32_e32 v8, v74, v9
	v_cndmask_b32_e64 v8, 0, v8, s[26:27]
	v_cmp_lt_i32_e32 vcc, 0, v75
	v_add_u32_e32 v63, v8, v73
	s_mov_b64 s[28:29], 0
	v_cndmask_b32_e32 v8, 0, v52, vcc
	v_sub_u32_e32 v8, v8, v75
	v_lshl_or_b32 v8, v8, 6, v91
	v_ashrrev_i32_e32 v9, 31, v8
	v_lshrrev_b32_e32 v9, 26, v9
	v_add_u32_e32 v9, v8, v9
	v_ashrrev_i32_e32 v10, 6, v9
	v_and_b32_e32 v9, 0xffffffc0, v9
	v_sub_u32_e32 v73, v8, v9
	v_lshlrev_b32_e32 v8, 4, v73
	v_lshl_add_u32 v9, v10, 10, v8
	v_add_u32_e32 v8, v9, v63
	v_sub_u32_e32 v17, v62, v9
	v_ashrrev_i32_e32 v9, 31, v62
	v_lshrrev_b32_e32 v9, 22, v9
	v_add_u32_e32 v9, v62, v9
	v_and_b32_e32 v74, 0xfffffc00, v9
	v_sub_u32_e32 v75, v62, v74
	v_ashrrev_i32_e32 v11, 10, v9
	v_cmp_lt_i32_e64 s[26:27], 15, v75
	v_ashrrev_i32_e32 v9, 31, v8
	v_lshl_add_u64 v[58:59], v[8:9], 0, v[20:21]
	v_addc_co_u32_e64 v11, vcc, 0, v11, s[26:27]
	v_sub_u32_e32 v76, v11, v10
	v_cmp_lt_i32_e32 vcc, 15, v17
	s_and_saveexec_b64 s[60:61], vcc
	s_cbranch_execz .LBB11_568
; %bb.492:                              ;   in Loop: Header=BB11_296 Depth=2
	s_and_b32 s28, 0xffff, s48
	s_cmp_eq_u32 s28, 0
	v_lshl_add_u64 v[60:61], v[8:9], 0, v[18:19]
	s_waitcnt lgkmcnt(0)
	v_lshl_add_u64 v[22:23], v[8:9], 0, v[22:23]
	s_mov_b64 s[52:53], 0
	s_mov_b64 s[62:63], 0
	s_cselect_b64 s[28:29], -1, 0
                                        ; implicit-def: $sgpr50_sgpr51
	s_branch .LBB11_494
.LBB11_493:                             ;   in Loop: Header=BB11_494 Depth=3
	s_or_b64 exec, exec, s[40:41]
	v_cmp_gt_i32_e32 vcc, 16, v17
	s_or_b64 s[62:63], vcc, s[62:63]
	s_andn2_b64 s[40:41], s[50:51], exec
	s_and_b64 s[42:43], s[52:53], exec
	s_or_b64 s[50:51], s[40:41], s[42:43]
	s_andn2_b64 exec, exec, s[62:63]
	s_cbranch_execz .LBB11_567
.LBB11_494:                             ;   Parent Loop BB11_47 Depth=1
                                        ;     Parent Loop BB11_296 Depth=2
                                        ; =>    This Loop Header: Depth=3
                                        ;         Child Loop BB11_495 Depth 4
                                        ;         Child Loop BB11_532 Depth 4
	s_add_i32 s40, s33, 0xc0
	s_mov_b32 s49, s40
	s_mov_b64 s[54:55], -1
	s_mov_b64 s[64:65], 0
.LBB11_495:                             ;   Parent Loop BB11_47 Depth=1
                                        ;     Parent Loop BB11_296 Depth=2
                                        ;       Parent Loop BB11_494 Depth=3
                                        ; =>      This Inner Loop Header: Depth=4
	s_cmp_eq_u32 s64, 1
	s_cselect_b64 vcc, -1, 0
	v_cndmask_b32_e32 v13, v61, v23, vcc
	v_cndmask_b32_e32 v12, v60, v22, vcc
	global_load_dwordx4 v[8:11], v[12:13], off nt
	s_cmp_eq_u32 s64, 0
	v_lshl_add_u64 v[12:13], v[12:13], 0, s[90:91]
	s_cselect_b64 s[40:41], -1, 0
	s_and_b64 s[42:43], exec, s[54:55]
	s_mov_b64 s[64:65], 1
	s_mov_b64 s[54:55], 0
	v_cndmask_b32_e64 v61, v61, v13, s[40:41]
	v_cndmask_b32_e64 v60, v60, v12, s[40:41]
	v_cndmask_b32_e32 v23, v23, v13, vcc
	v_cndmask_b32_e32 v22, v22, v12, vcc
	s_mov_b64 vcc, s[42:43]
	s_waitcnt vmcnt(0)
	scratch_store_dwordx4 off, v[8:11], s49
	s_mov_b32 s49, s86
	s_cbranch_vccnz .LBB11_495
; %bb.496:                              ;   in Loop: Header=BB11_494 Depth=3
	s_and_saveexec_b64 s[40:41], s[52:53]
	s_cbranch_execz .LBB11_530
; %bb.497:                              ;   in Loop: Header=BB11_494 Depth=3
	scratch_load_dwordx4 v[8:11], off, s33 offset:224
	scratch_load_dwordx4 v[12:15], off, s33 offset:240
                                        ; implicit-def: $vgpr77
	s_waitcnt vmcnt(1)
	v_lshlrev_b32_e32 v28, 16, v8
	s_waitcnt vmcnt(0)
	v_lshlrev_b32_e32 v29, 16, v12
	v_max_f32_e32 v29, v29, v29
	v_max_f32_e32 v28, v28, v28
	v_min_f32_e32 v50, v28, v29
	v_max_f32_e32 v28, v28, v29
	v_cndmask_b32_e64 v78, v28, v50, s[28:29]
	v_and_b32_e32 v28, 0x7f800000, v78
	v_cmp_ne_u32_e32 vcc, s99, v28
	s_and_saveexec_b64 s[42:43], vcc
	s_xor_b64 s[42:43], exec, s[42:43]
; %bb.498:                              ;   in Loop: Header=BB11_494 Depth=3
	v_bfe_u32 v28, v78, 16, 1
	v_add3_u32 v77, v78, v28, s74
                                        ; implicit-def: $vgpr78
; %bb.499:                              ;   in Loop: Header=BB11_494 Depth=3
	s_andn2_saveexec_b64 s[42:43], s[42:43]
; %bb.500:                              ;   in Loop: Header=BB11_494 Depth=3
	v_or_b32_e32 v28, 0x10000, v78
	v_cmp_eq_u32_sdwa vcc, v78, v3 src0_sel:WORD_0 src1_sel:DWORD
	s_nop 1
	v_cndmask_b32_e32 v77, v28, v78, vcc
; %bb.501:                              ;   in Loop: Header=BB11_494 Depth=3
	s_or_b64 exec, exec, s[42:43]
	v_and_b32_e32 v8, 0xffff0000, v8
	v_and_b32_e32 v12, 0xffff0000, v12
	v_max_f32_e32 v12, v12, v12
	v_max_f32_e32 v8, v8, v8
	v_min_f32_e32 v28, v8, v12
	v_max_f32_e32 v8, v8, v12
	v_cndmask_b32_e64 v12, v8, v28, s[28:29]
	v_and_b32_e32 v8, 0x7f800000, v12
	v_cmp_ne_u32_e32 vcc, s99, v8
                                        ; implicit-def: $vgpr8
	s_and_saveexec_b64 s[42:43], vcc
	s_xor_b64 s[42:43], exec, s[42:43]
; %bb.502:                              ;   in Loop: Header=BB11_494 Depth=3
	v_bfe_u32 v8, v12, 16, 1
	v_add3_u32 v8, v12, v8, s74
                                        ; implicit-def: $vgpr12
; %bb.503:                              ;   in Loop: Header=BB11_494 Depth=3
	s_andn2_saveexec_b64 s[42:43], s[42:43]
; %bb.504:                              ;   in Loop: Header=BB11_494 Depth=3
	v_or_b32_e32 v8, 0x10000, v12
	v_cmp_eq_u32_sdwa vcc, v12, v3 src0_sel:WORD_0 src1_sel:DWORD
	s_nop 1
	v_cndmask_b32_e32 v8, v8, v12, vcc
; %bb.505:                              ;   in Loop: Header=BB11_494 Depth=3
	s_or_b64 exec, exec, s[42:43]
	v_lshlrev_b32_e32 v12, 16, v9
	v_lshlrev_b32_e32 v28, 16, v13
	v_max_f32_e32 v28, v28, v28
	v_max_f32_e32 v12, v12, v12
	v_min_f32_e32 v29, v12, v28
	v_max_f32_e32 v12, v12, v28
	v_cndmask_b32_e64 v78, v12, v29, s[28:29]
	v_and_b32_e32 v12, 0x7f800000, v78
	v_cmp_ne_u32_e32 vcc, s99, v12
                                        ; implicit-def: $vgpr12
	s_and_saveexec_b64 s[42:43], vcc
	s_xor_b64 s[42:43], exec, s[42:43]
; %bb.506:                              ;   in Loop: Header=BB11_494 Depth=3
	v_bfe_u32 v12, v78, 16, 1
	v_add3_u32 v12, v78, v12, s74
                                        ; implicit-def: $vgpr78
; %bb.507:                              ;   in Loop: Header=BB11_494 Depth=3
	s_andn2_saveexec_b64 s[42:43], s[42:43]
; %bb.508:                              ;   in Loop: Header=BB11_494 Depth=3
	v_or_b32_e32 v12, 0x10000, v78
	v_cmp_eq_u32_sdwa vcc, v78, v3 src0_sel:WORD_0 src1_sel:DWORD
	s_nop 1
	v_cndmask_b32_e32 v12, v12, v78, vcc
; %bb.509:                              ;   in Loop: Header=BB11_494 Depth=3
	s_or_b64 exec, exec, s[42:43]
	v_and_b32_e32 v9, 0xffff0000, v9
	v_and_b32_e32 v13, 0xffff0000, v13
	v_max_f32_e32 v13, v13, v13
	v_max_f32_e32 v9, v9, v9
	v_min_f32_e32 v28, v9, v13
	v_max_f32_e32 v9, v9, v13
	v_cndmask_b32_e64 v13, v9, v28, s[28:29]
	v_and_b32_e32 v9, 0x7f800000, v13
	v_cmp_ne_u32_e32 vcc, s99, v9
                                        ; implicit-def: $vgpr9
	s_and_saveexec_b64 s[42:43], vcc
	s_xor_b64 s[42:43], exec, s[42:43]
; %bb.510:                              ;   in Loop: Header=BB11_494 Depth=3
	v_bfe_u32 v9, v13, 16, 1
	v_add3_u32 v9, v13, v9, s74
                                        ; implicit-def: $vgpr13
; %bb.511:                              ;   in Loop: Header=BB11_494 Depth=3
	s_andn2_saveexec_b64 s[42:43], s[42:43]
; %bb.512:                              ;   in Loop: Header=BB11_494 Depth=3
	v_or_b32_e32 v9, 0x10000, v13
	v_cmp_eq_u32_sdwa vcc, v13, v3 src0_sel:WORD_0 src1_sel:DWORD
	s_nop 1
	v_cndmask_b32_e32 v9, v9, v13, vcc
; %bb.513:                              ;   in Loop: Header=BB11_494 Depth=3
	s_or_b64 exec, exec, s[42:43]
	v_lshlrev_b32_e32 v13, 16, v10
	v_lshlrev_b32_e32 v28, 16, v14
	v_max_f32_e32 v28, v28, v28
	v_max_f32_e32 v13, v13, v13
	v_min_f32_e32 v29, v13, v28
	v_max_f32_e32 v13, v13, v28
	v_cndmask_b32_e64 v78, v13, v29, s[28:29]
	v_and_b32_e32 v13, 0x7f800000, v78
	v_cmp_ne_u32_e32 vcc, s99, v13
                                        ; implicit-def: $vgpr13
	s_and_saveexec_b64 s[42:43], vcc
	s_xor_b64 s[42:43], exec, s[42:43]
; %bb.514:                              ;   in Loop: Header=BB11_494 Depth=3
	v_bfe_u32 v13, v78, 16, 1
	v_add3_u32 v13, v78, v13, s74
                                        ; implicit-def: $vgpr78
; %bb.515:                              ;   in Loop: Header=BB11_494 Depth=3
	s_andn2_saveexec_b64 s[42:43], s[42:43]
; %bb.516:                              ;   in Loop: Header=BB11_494 Depth=3
	v_or_b32_e32 v13, 0x10000, v78
	v_cmp_eq_u32_sdwa vcc, v78, v3 src0_sel:WORD_0 src1_sel:DWORD
	s_nop 1
	v_cndmask_b32_e32 v13, v13, v78, vcc
; %bb.517:                              ;   in Loop: Header=BB11_494 Depth=3
	s_or_b64 exec, exec, s[42:43]
	v_and_b32_e32 v10, 0xffff0000, v10
	v_and_b32_e32 v14, 0xffff0000, v14
	v_max_f32_e32 v14, v14, v14
	v_max_f32_e32 v10, v10, v10
	v_min_f32_e32 v28, v10, v14
	v_max_f32_e32 v10, v10, v14
	v_cndmask_b32_e64 v14, v10, v28, s[28:29]
	v_and_b32_e32 v10, 0x7f800000, v14
	v_cmp_ne_u32_e32 vcc, s99, v10
                                        ; implicit-def: $vgpr10
	s_and_saveexec_b64 s[42:43], vcc
	s_xor_b64 s[42:43], exec, s[42:43]
; %bb.518:                              ;   in Loop: Header=BB11_494 Depth=3
	v_bfe_u32 v10, v14, 16, 1
	v_add3_u32 v10, v14, v10, s74
                                        ; implicit-def: $vgpr14
; %bb.519:                              ;   in Loop: Header=BB11_494 Depth=3
	s_andn2_saveexec_b64 s[42:43], s[42:43]
; %bb.520:                              ;   in Loop: Header=BB11_494 Depth=3
	v_or_b32_e32 v10, 0x10000, v14
	v_cmp_eq_u32_sdwa vcc, v14, v3 src0_sel:WORD_0 src1_sel:DWORD
	s_nop 1
	v_cndmask_b32_e32 v10, v10, v14, vcc
; %bb.521:                              ;   in Loop: Header=BB11_494 Depth=3
	s_or_b64 exec, exec, s[42:43]
	v_lshlrev_b32_e32 v14, 16, v11
	v_lshlrev_b32_e32 v28, 16, v15
	v_max_f32_e32 v28, v28, v28
	v_max_f32_e32 v14, v14, v14
	v_min_f32_e32 v29, v14, v28
	v_max_f32_e32 v14, v14, v28
	v_cndmask_b32_e64 v78, v14, v29, s[28:29]
	v_and_b32_e32 v14, 0x7f800000, v78
	v_cmp_ne_u32_e32 vcc, s99, v14
                                        ; implicit-def: $vgpr14
	s_and_saveexec_b64 s[42:43], vcc
	s_xor_b64 s[42:43], exec, s[42:43]
; %bb.522:                              ;   in Loop: Header=BB11_494 Depth=3
	v_bfe_u32 v14, v78, 16, 1
	v_add3_u32 v14, v78, v14, s74
                                        ; implicit-def: $vgpr78
; %bb.523:                              ;   in Loop: Header=BB11_494 Depth=3
	s_andn2_saveexec_b64 s[42:43], s[42:43]
; %bb.524:                              ;   in Loop: Header=BB11_494 Depth=3
	v_or_b32_e32 v14, 0x10000, v78
	v_cmp_eq_u32_sdwa vcc, v78, v3 src0_sel:WORD_0 src1_sel:DWORD
	s_nop 1
	v_cndmask_b32_e32 v14, v14, v78, vcc
; %bb.525:                              ;   in Loop: Header=BB11_494 Depth=3
	s_or_b64 exec, exec, s[42:43]
	v_and_b32_e32 v11, 0xffff0000, v11
	v_and_b32_e32 v15, 0xffff0000, v15
	v_max_f32_e32 v15, v15, v15
	v_max_f32_e32 v11, v11, v11
	v_min_f32_e32 v28, v11, v15
	v_max_f32_e32 v11, v11, v15
	v_cndmask_b32_e64 v15, v11, v28, s[28:29]
	v_and_b32_e32 v11, 0x7f800000, v15
	v_cmp_ne_u32_e32 vcc, s99, v11
                                        ; implicit-def: $vgpr11
	s_and_saveexec_b64 s[42:43], vcc
	s_xor_b64 s[42:43], exec, s[42:43]
; %bb.526:                              ;   in Loop: Header=BB11_494 Depth=3
	v_bfe_u32 v11, v15, 16, 1
	v_add3_u32 v11, v15, v11, s74
                                        ; implicit-def: $vgpr15
; %bb.527:                              ;   in Loop: Header=BB11_494 Depth=3
	s_andn2_saveexec_b64 s[42:43], s[42:43]
; %bb.528:                              ;   in Loop: Header=BB11_494 Depth=3
	v_or_b32_e32 v11, 0x10000, v15
	v_cmp_eq_u32_sdwa vcc, v15, v3 src0_sel:WORD_0 src1_sel:DWORD
	s_nop 1
	v_cndmask_b32_e32 v11, v11, v15, vcc
; %bb.529:                              ;   in Loop: Header=BB11_494 Depth=3
	s_or_b64 exec, exec, s[42:43]
	v_lshrrev_b32_e32 v12, 16, v12
	v_and_or_b32 v9, v9, s75, v12
	v_lshrrev_b32_e32 v12, 16, v77
	v_and_or_b32 v8, v8, s75, v12
	;; [unrolled: 2-line block ×4, first 2 shown]
	scratch_store_dwordx4 off, v[8:11], s33 offset:224
	global_store_dwordx4 v[58:59], v[8:11], off
	v_lshl_add_u64 v[58:59], v[102:103], 0, v[58:59]
.LBB11_530:                             ;   in Loop: Header=BB11_494 Depth=3
	s_or_b64 exec, exec, s[40:41]
	v_sub_u32_e32 v17, v17, v70
	v_lshl_add_u64 v[60:61], v[60:61], 0, v[86:87]
	v_lshl_add_u64 v[22:23], v[22:23], 0, v[86:87]
	v_cmp_lt_i32_e64 s[52:53], 15, v17
	s_and_saveexec_b64 s[42:43], s[52:53]
	s_cbranch_execz .LBB11_533
; %bb.531:                              ;   in Loop: Header=BB11_494 Depth=3
	s_add_i32 s40, s33, 0xe0
	s_mov_b32 s49, s40
	s_mov_b64 s[40:41], 0
	s_mov_b64 s[54:55], -1
.LBB11_532:                             ;   Parent Loop BB11_47 Depth=1
                                        ;     Parent Loop BB11_296 Depth=2
                                        ;       Parent Loop BB11_494 Depth=3
                                        ; =>      This Inner Loop Header: Depth=4
	s_cmp_eq_u32 s40, 1
	s_cselect_b64 vcc, -1, 0
	v_cndmask_b32_e32 v13, v61, v23, vcc
	v_cndmask_b32_e32 v12, v60, v22, vcc
	global_load_dwordx4 v[8:11], v[12:13], off nt
	s_cmp_eq_u32 s40, 0
	s_cselect_b64 s[40:41], -1, 0
	s_waitcnt vmcnt(0)
	scratch_store_dwordx4 off, v[8:11], s49
	s_nop 1
	v_lshl_add_u64 v[8:9], v[12:13], 0, s[90:91]
	v_cndmask_b32_e64 v61, v61, v9, s[40:41]
	v_cndmask_b32_e64 v60, v60, v8, s[40:41]
	v_cndmask_b32_e32 v23, v23, v9, vcc
	v_cndmask_b32_e32 v22, v22, v8, vcc
	s_mov_b64 s[40:41], 1
	s_and_b64 vcc, exec, s[54:55]
	s_mov_b64 s[54:55], 0
	s_mov_b32 s49, s85
	s_cbranch_vccnz .LBB11_532
.LBB11_533:                             ;   in Loop: Header=BB11_494 Depth=3
	s_or_b64 exec, exec, s[42:43]
	scratch_load_dwordx4 v[8:11], off, s33 offset:192
	scratch_load_dwordx4 v[12:15], off, s33 offset:208
                                        ; implicit-def: $vgpr77
	s_waitcnt vmcnt(1)
	v_lshlrev_b32_e32 v28, 16, v8
	s_waitcnt vmcnt(0)
	v_lshlrev_b32_e32 v29, 16, v12
	v_max_f32_e32 v29, v29, v29
	v_max_f32_e32 v28, v28, v28
	v_min_f32_e32 v50, v28, v29
	v_max_f32_e32 v28, v28, v29
	v_cndmask_b32_e64 v78, v28, v50, s[28:29]
	v_and_b32_e32 v28, 0x7f800000, v78
	v_cmp_ne_u32_e32 vcc, s99, v28
	s_and_saveexec_b64 s[40:41], vcc
	s_xor_b64 s[40:41], exec, s[40:41]
; %bb.534:                              ;   in Loop: Header=BB11_494 Depth=3
	v_bfe_u32 v28, v78, 16, 1
	v_add3_u32 v77, v78, v28, s74
                                        ; implicit-def: $vgpr78
; %bb.535:                              ;   in Loop: Header=BB11_494 Depth=3
	s_andn2_saveexec_b64 s[40:41], s[40:41]
; %bb.536:                              ;   in Loop: Header=BB11_494 Depth=3
	v_or_b32_e32 v28, 0x10000, v78
	v_cmp_eq_u32_sdwa vcc, v78, v3 src0_sel:WORD_0 src1_sel:DWORD
	s_nop 1
	v_cndmask_b32_e32 v77, v28, v78, vcc
; %bb.537:                              ;   in Loop: Header=BB11_494 Depth=3
	s_or_b64 exec, exec, s[40:41]
	v_and_b32_e32 v8, 0xffff0000, v8
	v_and_b32_e32 v12, 0xffff0000, v12
	v_max_f32_e32 v12, v12, v12
	v_max_f32_e32 v8, v8, v8
	v_min_f32_e32 v28, v8, v12
	v_max_f32_e32 v8, v8, v12
	v_cndmask_b32_e64 v12, v8, v28, s[28:29]
	v_and_b32_e32 v8, 0x7f800000, v12
	v_cmp_ne_u32_e32 vcc, s99, v8
                                        ; implicit-def: $vgpr8
	s_and_saveexec_b64 s[40:41], vcc
	s_xor_b64 s[40:41], exec, s[40:41]
; %bb.538:                              ;   in Loop: Header=BB11_494 Depth=3
	v_bfe_u32 v8, v12, 16, 1
	v_add3_u32 v8, v12, v8, s74
                                        ; implicit-def: $vgpr12
; %bb.539:                              ;   in Loop: Header=BB11_494 Depth=3
	s_andn2_saveexec_b64 s[40:41], s[40:41]
; %bb.540:                              ;   in Loop: Header=BB11_494 Depth=3
	v_or_b32_e32 v8, 0x10000, v12
	v_cmp_eq_u32_sdwa vcc, v12, v3 src0_sel:WORD_0 src1_sel:DWORD
	s_nop 1
	v_cndmask_b32_e32 v8, v8, v12, vcc
; %bb.541:                              ;   in Loop: Header=BB11_494 Depth=3
	s_or_b64 exec, exec, s[40:41]
	v_lshlrev_b32_e32 v12, 16, v9
	v_lshlrev_b32_e32 v28, 16, v13
	v_max_f32_e32 v28, v28, v28
	v_max_f32_e32 v12, v12, v12
	v_min_f32_e32 v29, v12, v28
	v_max_f32_e32 v12, v12, v28
	v_cndmask_b32_e64 v78, v12, v29, s[28:29]
	v_and_b32_e32 v12, 0x7f800000, v78
	v_cmp_ne_u32_e32 vcc, s99, v12
                                        ; implicit-def: $vgpr12
	s_and_saveexec_b64 s[40:41], vcc
	s_xor_b64 s[40:41], exec, s[40:41]
; %bb.542:                              ;   in Loop: Header=BB11_494 Depth=3
	v_bfe_u32 v12, v78, 16, 1
	v_add3_u32 v12, v78, v12, s74
                                        ; implicit-def: $vgpr78
; %bb.543:                              ;   in Loop: Header=BB11_494 Depth=3
	s_andn2_saveexec_b64 s[40:41], s[40:41]
; %bb.544:                              ;   in Loop: Header=BB11_494 Depth=3
	v_or_b32_e32 v12, 0x10000, v78
	v_cmp_eq_u32_sdwa vcc, v78, v3 src0_sel:WORD_0 src1_sel:DWORD
	s_nop 1
	v_cndmask_b32_e32 v12, v12, v78, vcc
; %bb.545:                              ;   in Loop: Header=BB11_494 Depth=3
	s_or_b64 exec, exec, s[40:41]
	v_and_b32_e32 v9, 0xffff0000, v9
	v_and_b32_e32 v13, 0xffff0000, v13
	v_max_f32_e32 v13, v13, v13
	v_max_f32_e32 v9, v9, v9
	v_min_f32_e32 v28, v9, v13
	v_max_f32_e32 v9, v9, v13
	v_cndmask_b32_e64 v13, v9, v28, s[28:29]
	v_and_b32_e32 v9, 0x7f800000, v13
	v_cmp_ne_u32_e32 vcc, s99, v9
                                        ; implicit-def: $vgpr9
	s_and_saveexec_b64 s[40:41], vcc
	s_xor_b64 s[40:41], exec, s[40:41]
; %bb.546:                              ;   in Loop: Header=BB11_494 Depth=3
	v_bfe_u32 v9, v13, 16, 1
	v_add3_u32 v9, v13, v9, s74
                                        ; implicit-def: $vgpr13
; %bb.547:                              ;   in Loop: Header=BB11_494 Depth=3
	s_andn2_saveexec_b64 s[40:41], s[40:41]
; %bb.548:                              ;   in Loop: Header=BB11_494 Depth=3
	v_or_b32_e32 v9, 0x10000, v13
	v_cmp_eq_u32_sdwa vcc, v13, v3 src0_sel:WORD_0 src1_sel:DWORD
	s_nop 1
	v_cndmask_b32_e32 v9, v9, v13, vcc
; %bb.549:                              ;   in Loop: Header=BB11_494 Depth=3
	s_or_b64 exec, exec, s[40:41]
	v_lshlrev_b32_e32 v13, 16, v10
	v_lshlrev_b32_e32 v28, 16, v14
	v_max_f32_e32 v28, v28, v28
	v_max_f32_e32 v13, v13, v13
	v_min_f32_e32 v29, v13, v28
	v_max_f32_e32 v13, v13, v28
	v_cndmask_b32_e64 v78, v13, v29, s[28:29]
	v_and_b32_e32 v13, 0x7f800000, v78
	v_cmp_ne_u32_e32 vcc, s99, v13
                                        ; implicit-def: $vgpr13
	s_and_saveexec_b64 s[40:41], vcc
	s_xor_b64 s[40:41], exec, s[40:41]
; %bb.550:                              ;   in Loop: Header=BB11_494 Depth=3
	v_bfe_u32 v13, v78, 16, 1
	v_add3_u32 v13, v78, v13, s74
                                        ; implicit-def: $vgpr78
; %bb.551:                              ;   in Loop: Header=BB11_494 Depth=3
	s_andn2_saveexec_b64 s[40:41], s[40:41]
; %bb.552:                              ;   in Loop: Header=BB11_494 Depth=3
	v_or_b32_e32 v13, 0x10000, v78
	v_cmp_eq_u32_sdwa vcc, v78, v3 src0_sel:WORD_0 src1_sel:DWORD
	s_nop 1
	v_cndmask_b32_e32 v13, v13, v78, vcc
; %bb.553:                              ;   in Loop: Header=BB11_494 Depth=3
	s_or_b64 exec, exec, s[40:41]
	v_and_b32_e32 v10, 0xffff0000, v10
	v_and_b32_e32 v14, 0xffff0000, v14
	v_max_f32_e32 v14, v14, v14
	v_max_f32_e32 v10, v10, v10
	v_min_f32_e32 v28, v10, v14
	v_max_f32_e32 v10, v10, v14
	v_cndmask_b32_e64 v14, v10, v28, s[28:29]
	v_and_b32_e32 v10, 0x7f800000, v14
	v_cmp_ne_u32_e32 vcc, s99, v10
                                        ; implicit-def: $vgpr10
	s_and_saveexec_b64 s[40:41], vcc
	s_xor_b64 s[40:41], exec, s[40:41]
; %bb.554:                              ;   in Loop: Header=BB11_494 Depth=3
	v_bfe_u32 v10, v14, 16, 1
	v_add3_u32 v10, v14, v10, s74
                                        ; implicit-def: $vgpr14
; %bb.555:                              ;   in Loop: Header=BB11_494 Depth=3
	s_andn2_saveexec_b64 s[40:41], s[40:41]
; %bb.556:                              ;   in Loop: Header=BB11_494 Depth=3
	v_or_b32_e32 v10, 0x10000, v14
	v_cmp_eq_u32_sdwa vcc, v14, v3 src0_sel:WORD_0 src1_sel:DWORD
	s_nop 1
	v_cndmask_b32_e32 v10, v10, v14, vcc
; %bb.557:                              ;   in Loop: Header=BB11_494 Depth=3
	s_or_b64 exec, exec, s[40:41]
	v_lshlrev_b32_e32 v14, 16, v11
	v_lshlrev_b32_e32 v28, 16, v15
	v_max_f32_e32 v28, v28, v28
	v_max_f32_e32 v14, v14, v14
	v_min_f32_e32 v29, v14, v28
	v_max_f32_e32 v14, v14, v28
	v_cndmask_b32_e64 v78, v14, v29, s[28:29]
	v_and_b32_e32 v14, 0x7f800000, v78
	v_cmp_ne_u32_e32 vcc, s99, v14
                                        ; implicit-def: $vgpr14
	s_and_saveexec_b64 s[40:41], vcc
	s_xor_b64 s[40:41], exec, s[40:41]
; %bb.558:                              ;   in Loop: Header=BB11_494 Depth=3
	v_bfe_u32 v14, v78, 16, 1
	v_add3_u32 v14, v78, v14, s74
                                        ; implicit-def: $vgpr78
; %bb.559:                              ;   in Loop: Header=BB11_494 Depth=3
	s_andn2_saveexec_b64 s[40:41], s[40:41]
; %bb.560:                              ;   in Loop: Header=BB11_494 Depth=3
	v_or_b32_e32 v14, 0x10000, v78
	v_cmp_eq_u32_sdwa vcc, v78, v3 src0_sel:WORD_0 src1_sel:DWORD
	s_nop 1
	v_cndmask_b32_e32 v14, v14, v78, vcc
; %bb.561:                              ;   in Loop: Header=BB11_494 Depth=3
	s_or_b64 exec, exec, s[40:41]
	v_and_b32_e32 v11, 0xffff0000, v11
	v_and_b32_e32 v15, 0xffff0000, v15
	v_max_f32_e32 v15, v15, v15
	v_max_f32_e32 v11, v11, v11
	v_min_f32_e32 v28, v11, v15
	v_max_f32_e32 v11, v11, v15
	v_cndmask_b32_e64 v15, v11, v28, s[28:29]
	v_and_b32_e32 v11, 0x7f800000, v15
	v_cmp_ne_u32_e32 vcc, s99, v11
                                        ; implicit-def: $vgpr11
	s_and_saveexec_b64 s[40:41], vcc
	s_xor_b64 s[40:41], exec, s[40:41]
; %bb.562:                              ;   in Loop: Header=BB11_494 Depth=3
	v_bfe_u32 v11, v15, 16, 1
	v_add3_u32 v11, v15, v11, s74
                                        ; implicit-def: $vgpr15
; %bb.563:                              ;   in Loop: Header=BB11_494 Depth=3
	s_andn2_saveexec_b64 s[40:41], s[40:41]
; %bb.564:                              ;   in Loop: Header=BB11_494 Depth=3
	v_or_b32_e32 v11, 0x10000, v15
	v_cmp_eq_u32_sdwa vcc, v15, v3 src0_sel:WORD_0 src1_sel:DWORD
	s_nop 1
	v_cndmask_b32_e32 v11, v11, v15, vcc
; %bb.565:                              ;   in Loop: Header=BB11_494 Depth=3
	s_or_b64 exec, exec, s[40:41]
	v_lshrrev_b32_e32 v12, 16, v12
	v_and_or_b32 v9, v9, s75, v12
	v_lshrrev_b32_e32 v12, 16, v77
	v_and_or_b32 v8, v8, s75, v12
	;; [unrolled: 2-line block ×4, first 2 shown]
	v_sub_u32_e32 v76, v76, v52
	scratch_store_dwordx4 off, v[8:11], s33 offset:192
	global_store_dwordx4 v[58:59], v[8:11], off
	v_lshl_add_u64 v[58:59], v[58:59], 0, s[90:91]
	s_and_saveexec_b64 s[40:41], s[52:53]
	s_cbranch_execz .LBB11_493
; %bb.566:                              ;   in Loop: Header=BB11_494 Depth=3
	v_lshl_add_u64 v[60:61], v[60:61], 0, v[86:87]
	v_lshl_add_u64 v[22:23], v[22:23], 0, v[86:87]
	;; [unrolled: 1-line block ×3, first 2 shown]
	v_sub_u32_e32 v17, v17, v70
	v_sub_u32_e32 v76, v76, v52
	s_branch .LBB11_493
.LBB11_567:                             ;   in Loop: Header=BB11_296 Depth=2
	s_or_b64 exec, exec, s[62:63]
	s_and_b64 s[28:29], s[50:51], exec
.LBB11_568:                             ;   in Loop: Header=BB11_296 Depth=2
	s_or_b64 exec, exec, s[60:61]
	s_and_saveexec_b64 s[40:41], s[28:29]
	s_cbranch_execz .LBB11_602
; %bb.569:                              ;   in Loop: Header=BB11_296 Depth=2
	scratch_load_dwordx4 v[8:11], off, s33 offset:224
	scratch_load_dwordx4 v[12:15], off, s33 offset:240
	s_and_b32 s28, 0xffff, s48
	s_cmp_eq_u32 s28, 0
	s_cselect_b64 vcc, -1, 0
	s_waitcnt vmcnt(0)
	v_lshlrev_b32_e32 v17, 16, v8
	s_waitcnt lgkmcnt(0)
	v_lshlrev_b32_e32 v22, 16, v12
	v_max_f32_e32 v22, v22, v22
	v_max_f32_e32 v17, v17, v17
	v_min_f32_e32 v23, v17, v22
	v_max_f32_e32 v17, v17, v22
	v_cndmask_b32_e32 v22, v17, v23, vcc
	v_and_b32_e32 v17, 0x7f800000, v22
	v_cmp_ne_u32_e64 s[28:29], s99, v17
                                        ; implicit-def: $vgpr17
	s_and_saveexec_b64 s[42:43], s[28:29]
	s_xor_b64 s[28:29], exec, s[42:43]
; %bb.570:                              ;   in Loop: Header=BB11_296 Depth=2
	v_bfe_u32 v17, v22, 16, 1
	v_add3_u32 v17, v22, v17, s74
                                        ; implicit-def: $vgpr22
; %bb.571:                              ;   in Loop: Header=BB11_296 Depth=2
	s_andn2_saveexec_b64 s[42:43], s[28:29]
; %bb.572:                              ;   in Loop: Header=BB11_296 Depth=2
	v_or_b32_e32 v17, 0x10000, v22
	v_cmp_eq_u32_sdwa s[28:29], v22, v3 src0_sel:WORD_0 src1_sel:DWORD
	s_nop 1
	v_cndmask_b32_e64 v17, v17, v22, s[28:29]
; %bb.573:                              ;   in Loop: Header=BB11_296 Depth=2
	s_or_b64 exec, exec, s[42:43]
	v_and_b32_e32 v8, 0xffff0000, v8
	v_and_b32_e32 v12, 0xffff0000, v12
	v_max_f32_e32 v12, v12, v12
	v_max_f32_e32 v8, v8, v8
	v_min_f32_e32 v22, v8, v12
	v_max_f32_e32 v8, v8, v12
	v_cndmask_b32_e32 v12, v8, v22, vcc
	v_and_b32_e32 v8, 0x7f800000, v12
	v_cmp_ne_u32_e64 s[28:29], s99, v8
                                        ; implicit-def: $vgpr8
	s_and_saveexec_b64 s[42:43], s[28:29]
	s_xor_b64 s[28:29], exec, s[42:43]
; %bb.574:                              ;   in Loop: Header=BB11_296 Depth=2
	v_bfe_u32 v8, v12, 16, 1
	v_add3_u32 v8, v12, v8, s74
                                        ; implicit-def: $vgpr12
; %bb.575:                              ;   in Loop: Header=BB11_296 Depth=2
	s_andn2_saveexec_b64 s[42:43], s[28:29]
; %bb.576:                              ;   in Loop: Header=BB11_296 Depth=2
	v_or_b32_e32 v8, 0x10000, v12
	v_cmp_eq_u32_sdwa s[28:29], v12, v3 src0_sel:WORD_0 src1_sel:DWORD
	s_nop 1
	v_cndmask_b32_e64 v8, v8, v12, s[28:29]
; %bb.577:                              ;   in Loop: Header=BB11_296 Depth=2
	s_or_b64 exec, exec, s[42:43]
	v_lshlrev_b32_e32 v12, 16, v9
	v_lshlrev_b32_e32 v22, 16, v13
	v_max_f32_e32 v22, v22, v22
	v_max_f32_e32 v12, v12, v12
	v_min_f32_e32 v23, v12, v22
	v_max_f32_e32 v12, v12, v22
	v_cndmask_b32_e32 v22, v12, v23, vcc
	v_and_b32_e32 v12, 0x7f800000, v22
	v_cmp_ne_u32_e64 s[28:29], s99, v12
                                        ; implicit-def: $vgpr12
	s_and_saveexec_b64 s[42:43], s[28:29]
	s_xor_b64 s[28:29], exec, s[42:43]
; %bb.578:                              ;   in Loop: Header=BB11_296 Depth=2
	v_bfe_u32 v12, v22, 16, 1
	v_add3_u32 v12, v22, v12, s74
                                        ; implicit-def: $vgpr22
; %bb.579:                              ;   in Loop: Header=BB11_296 Depth=2
	s_andn2_saveexec_b64 s[42:43], s[28:29]
; %bb.580:                              ;   in Loop: Header=BB11_296 Depth=2
	v_or_b32_e32 v12, 0x10000, v22
	v_cmp_eq_u32_sdwa s[28:29], v22, v3 src0_sel:WORD_0 src1_sel:DWORD
	s_nop 1
	v_cndmask_b32_e64 v12, v12, v22, s[28:29]
; %bb.581:                              ;   in Loop: Header=BB11_296 Depth=2
	s_or_b64 exec, exec, s[42:43]
	v_and_b32_e32 v9, 0xffff0000, v9
	v_and_b32_e32 v13, 0xffff0000, v13
	v_max_f32_e32 v13, v13, v13
	v_max_f32_e32 v9, v9, v9
	v_min_f32_e32 v22, v9, v13
	v_max_f32_e32 v9, v9, v13
	v_cndmask_b32_e32 v13, v9, v22, vcc
	v_and_b32_e32 v9, 0x7f800000, v13
	v_cmp_ne_u32_e64 s[28:29], s99, v9
                                        ; implicit-def: $vgpr9
	s_and_saveexec_b64 s[42:43], s[28:29]
	s_xor_b64 s[28:29], exec, s[42:43]
; %bb.582:                              ;   in Loop: Header=BB11_296 Depth=2
	v_bfe_u32 v9, v13, 16, 1
	v_add3_u32 v9, v13, v9, s74
                                        ; implicit-def: $vgpr13
; %bb.583:                              ;   in Loop: Header=BB11_296 Depth=2
	s_andn2_saveexec_b64 s[42:43], s[28:29]
; %bb.584:                              ;   in Loop: Header=BB11_296 Depth=2
	v_or_b32_e32 v9, 0x10000, v13
	v_cmp_eq_u32_sdwa s[28:29], v13, v3 src0_sel:WORD_0 src1_sel:DWORD
	s_nop 1
	v_cndmask_b32_e64 v9, v9, v13, s[28:29]
; %bb.585:                              ;   in Loop: Header=BB11_296 Depth=2
	s_or_b64 exec, exec, s[42:43]
	v_lshlrev_b32_e32 v13, 16, v10
	v_lshlrev_b32_e32 v22, 16, v14
	v_max_f32_e32 v22, v22, v22
	v_max_f32_e32 v13, v13, v13
	v_min_f32_e32 v23, v13, v22
	v_max_f32_e32 v13, v13, v22
	v_cndmask_b32_e32 v22, v13, v23, vcc
	v_and_b32_e32 v13, 0x7f800000, v22
	v_cmp_ne_u32_e64 s[28:29], s99, v13
                                        ; implicit-def: $vgpr13
	s_and_saveexec_b64 s[42:43], s[28:29]
	s_xor_b64 s[28:29], exec, s[42:43]
; %bb.586:                              ;   in Loop: Header=BB11_296 Depth=2
	v_bfe_u32 v13, v22, 16, 1
	v_add3_u32 v13, v22, v13, s74
                                        ; implicit-def: $vgpr22
; %bb.587:                              ;   in Loop: Header=BB11_296 Depth=2
	s_andn2_saveexec_b64 s[42:43], s[28:29]
; %bb.588:                              ;   in Loop: Header=BB11_296 Depth=2
	v_or_b32_e32 v13, 0x10000, v22
	v_cmp_eq_u32_sdwa s[28:29], v22, v3 src0_sel:WORD_0 src1_sel:DWORD
	s_nop 1
	v_cndmask_b32_e64 v13, v13, v22, s[28:29]
; %bb.589:                              ;   in Loop: Header=BB11_296 Depth=2
	s_or_b64 exec, exec, s[42:43]
	v_and_b32_e32 v10, 0xffff0000, v10
	v_and_b32_e32 v14, 0xffff0000, v14
	v_max_f32_e32 v14, v14, v14
	v_max_f32_e32 v10, v10, v10
	v_min_f32_e32 v22, v10, v14
	v_max_f32_e32 v10, v10, v14
	v_cndmask_b32_e32 v14, v10, v22, vcc
	v_and_b32_e32 v10, 0x7f800000, v14
	v_cmp_ne_u32_e64 s[28:29], s99, v10
                                        ; implicit-def: $vgpr10
	s_and_saveexec_b64 s[42:43], s[28:29]
	s_xor_b64 s[28:29], exec, s[42:43]
; %bb.590:                              ;   in Loop: Header=BB11_296 Depth=2
	v_bfe_u32 v10, v14, 16, 1
	v_add3_u32 v10, v14, v10, s74
                                        ; implicit-def: $vgpr14
; %bb.591:                              ;   in Loop: Header=BB11_296 Depth=2
	s_andn2_saveexec_b64 s[42:43], s[28:29]
; %bb.592:                              ;   in Loop: Header=BB11_296 Depth=2
	v_or_b32_e32 v10, 0x10000, v14
	v_cmp_eq_u32_sdwa s[28:29], v14, v3 src0_sel:WORD_0 src1_sel:DWORD
	s_nop 1
	v_cndmask_b32_e64 v10, v10, v14, s[28:29]
; %bb.593:                              ;   in Loop: Header=BB11_296 Depth=2
	s_or_b64 exec, exec, s[42:43]
	v_lshlrev_b32_e32 v14, 16, v11
	v_lshlrev_b32_e32 v22, 16, v15
	v_max_f32_e32 v22, v22, v22
	v_max_f32_e32 v14, v14, v14
	v_min_f32_e32 v23, v14, v22
	v_max_f32_e32 v14, v14, v22
	v_cndmask_b32_e32 v22, v14, v23, vcc
	v_and_b32_e32 v14, 0x7f800000, v22
	v_cmp_ne_u32_e64 s[28:29], s99, v14
                                        ; implicit-def: $vgpr14
	s_and_saveexec_b64 s[42:43], s[28:29]
	s_xor_b64 s[28:29], exec, s[42:43]
; %bb.594:                              ;   in Loop: Header=BB11_296 Depth=2
	v_bfe_u32 v14, v22, 16, 1
	v_add3_u32 v14, v22, v14, s74
                                        ; implicit-def: $vgpr22
; %bb.595:                              ;   in Loop: Header=BB11_296 Depth=2
	s_andn2_saveexec_b64 s[42:43], s[28:29]
; %bb.596:                              ;   in Loop: Header=BB11_296 Depth=2
	v_or_b32_e32 v14, 0x10000, v22
	v_cmp_eq_u32_sdwa s[28:29], v22, v3 src0_sel:WORD_0 src1_sel:DWORD
	s_nop 1
	v_cndmask_b32_e64 v14, v14, v22, s[28:29]
; %bb.597:                              ;   in Loop: Header=BB11_296 Depth=2
	s_or_b64 exec, exec, s[42:43]
	v_and_b32_e32 v11, 0xffff0000, v11
	v_and_b32_e32 v15, 0xffff0000, v15
	v_max_f32_e32 v15, v15, v15
	v_max_f32_e32 v11, v11, v11
	v_min_f32_e32 v22, v11, v15
	v_max_f32_e32 v11, v11, v15
	v_cndmask_b32_e32 v15, v11, v22, vcc
	v_and_b32_e32 v11, 0x7f800000, v15
	v_cmp_ne_u32_e32 vcc, s99, v11
                                        ; implicit-def: $vgpr11
	s_and_saveexec_b64 s[28:29], vcc
	s_xor_b64 s[28:29], exec, s[28:29]
; %bb.598:                              ;   in Loop: Header=BB11_296 Depth=2
	v_bfe_u32 v11, v15, 16, 1
	v_add3_u32 v11, v15, v11, s74
                                        ; implicit-def: $vgpr15
; %bb.599:                              ;   in Loop: Header=BB11_296 Depth=2
	s_andn2_saveexec_b64 s[28:29], s[28:29]
; %bb.600:                              ;   in Loop: Header=BB11_296 Depth=2
	v_or_b32_e32 v11, 0x10000, v15
	v_cmp_eq_u32_sdwa vcc, v15, v3 src0_sel:WORD_0 src1_sel:DWORD
	s_nop 1
	v_cndmask_b32_e32 v11, v11, v15, vcc
; %bb.601:                              ;   in Loop: Header=BB11_296 Depth=2
	s_or_b64 exec, exec, s[28:29]
	v_lshrrev_b32_e32 v12, 16, v12
	v_and_or_b32 v9, v9, s75, v12
	v_lshrrev_b32_e32 v12, 16, v17
	v_and_or_b32 v8, v8, s75, v12
	;; [unrolled: 2-line block ×4, first 2 shown]
	global_store_dwordx4 v[58:59], v[8:11], off
.LBB11_602:                             ;   in Loop: Header=BB11_296 Depth=2
	s_or_b64 exec, exec, s[40:41]
	s_nop 0
	v_and_b32_e32 v9, 14, v62
	v_cndmask_b32_e64 v17, v75, v9, s[26:27]
	v_cmp_ne_u32_e32 vcc, 0, v17
	s_mov_b64 s[40:41], s[56:57]
                                        ; implicit-def: $vgpr14
                                        ; implicit-def: $vgpr8
                                        ; implicit-def: $vgpr15
	s_and_saveexec_b64 s[28:29], vcc
	s_cbranch_execz .LBB11_604
; %bb.603:                              ;   in Loop: Header=BB11_296 Depth=2
	v_sub_u32_e32 v8, v75, v9
	v_cndmask_b32_e64 v8, 0, v8, s[26:27]
	v_cmp_lt_i32_e32 vcc, 0, v76
	v_add3_u32 v14, v74, v63, v8
	s_or_b64 s[40:41], s[56:57], exec
	v_cndmask_b32_e32 v8, 0, v52, vcc
	v_sub_u32_e32 v8, v8, v76
	v_lshl_add_u32 v8, v8, 6, v73
	v_ashrrev_i32_e32 v9, 31, v8
	v_lshrrev_b32_e32 v9, 26, v9
	v_add_u32_e32 v9, v8, v9
	v_and_b32_e32 v9, 0xffffffc0, v9
	v_sub_u32_e32 v15, v8, v9
.LBB11_604:                             ;   in Loop: Header=BB11_296 Depth=2
	s_or_b64 exec, exec, s[28:29]
	s_andn2_b64 s[26:27], s[56:57], exec
	s_and_b64 s[28:29], s[40:41], exec
	s_or_b64 s[56:57], s[26:27], s[28:29]
.LBB11_605:                             ;   in Loop: Header=BB11_296 Depth=2
	s_or_b64 exec, exec, s[58:59]
	s_and_saveexec_b64 s[42:43], s[56:57]
	s_cbranch_execz .LBB11_689
.LBB11_606:                             ;   in Loop: Header=BB11_296 Depth=2
	v_ashrrev_i32_e32 v9, 31, v8
	v_lshrrev_b32_e32 v9, 26, v9
	v_add_u32_e32 v8, v8, v9
	v_ashrrev_i32_e32 v8, 6, v8
	v_lshlrev_b32_e32 v9, 9, v8
	v_lshlrev_b32_e32 v10, 1, v15
	v_add3_u32 v12, v14, v10, v9
	v_ashrrev_i32_e32 v9, 31, v17
	v_lshrrev_b32_e32 v9, 23, v9
	v_add_u32_e32 v9, v17, v9
	s_waitcnt lgkmcnt(0)
	v_ashrrev_i32_e32 v22, 9, v9
	v_ashrrev_i32_e32 v13, 31, v12
	v_sub_u32_e32 v23, v22, v8
	v_lshl_add_u64 v[8:9], v[20:21], 0, v[12:13]
	v_cmp_lt_i32_e32 vcc, 0, v23
	v_mov_b32_e32 v76, 0
	s_mov_b64 s[26:27], 0
	v_mov_b32_e32 v73, 0
	v_mov_b32_e32 v58, 0
	;; [unrolled: 1-line block ×7, first 2 shown]
	s_and_saveexec_b64 s[28:29], vcc
	s_cbranch_execz .LBB11_646
; %bb.607:                              ;   in Loop: Header=BB11_296 Depth=2
	s_trap 2
	ds_read_b64 v[58:59], v0
	s_and_b32 s26, s48, 0xff
	s_cmp_eq_u32 s26, 0
	v_lshl_add_u64 v[10:11], v[12:13], 0, v[18:19]
	s_mov_b64 s[58:59], 0
	s_waitcnt lgkmcnt(0)
	v_lshl_add_u64 v[12:13], v[58:59], 0, v[12:13]
	s_mov_b64 s[56:57], 0
	s_cselect_b64 vcc, -1, 0
                                        ; implicit-def: $sgpr40_sgpr41
                                        ; implicit-def: $vgpr78
                                        ; implicit-def: $vgpr75
                                        ; implicit-def: $vgpr63
                                        ; implicit-def: $vgpr62
                                        ; implicit-def: $vgpr58
                                        ; implicit-def: $vgpr59
                                        ; implicit-def: $vgpr60
                                        ; implicit-def: $vgpr61
	s_branch .LBB11_609
.LBB11_608:                             ;   in Loop: Header=BB11_609 Depth=3
	s_or_b64 exec, exec, s[60:61]
	v_mov_b32_e32 v28, 0x200
	v_cndmask_b32_e64 v108, v28, v112, s[58:59]
	v_cndmask_b32_e64 v28, 0, v52, s[58:59]
	v_sub_u32_e32 v23, v23, v28
	v_cmp_gt_i32_e64 s[26:27], 1, v23
	s_or_b64 s[56:57], s[26:27], s[56:57]
	flat_store_short_d16_hi v[8:9], v89 nt
	flat_store_short_d16_hi v[8:9], v79 offset:128 nt
	flat_store_short_d16_hi v[8:9], v76 offset:256 nt
	;; [unrolled: 1-line block ×3, first 2 shown]
	v_lshl_add_u64 v[76:77], v[10:11], 0, v[96:97]
	v_lshl_add_u64 v[88:89], v[12:13], 0, v[96:97]
	v_cndmask_b32_e64 v109, 0, v113, s[58:59]
	s_andn2_b64 s[26:27], s[40:41], exec
	s_and_b64 s[40:41], s[58:59], exec
	v_lshl_add_u64 v[8:9], v[8:9], 0, v[108:109]
	v_cndmask_b32_e64 v11, v11, v77, s[58:59]
	v_cndmask_b32_e64 v10, v10, v76, s[58:59]
	;; [unrolled: 1-line block ×4, first 2 shown]
	s_or_b64 s[40:41], s[26:27], s[40:41]
	s_andn2_b64 exec, exec, s[56:57]
	s_cbranch_execz .LBB11_645
.LBB11_609:                             ;   Parent Loop BB11_47 Depth=1
                                        ;     Parent Loop BB11_296 Depth=2
                                        ; =>    This Inner Loop Header: Depth=3
	flat_load_ushort v89, v[10:11] nt
	flat_load_ushort v79, v[10:11] offset:128 nt
	flat_load_ushort v76, v[10:11] offset:256 nt
	;; [unrolled: 1-line block ×3, first 2 shown]
	flat_load_ushort v107, v[12:13] nt
	flat_load_ushort v88, v[12:13] offset:128 nt
	flat_load_ushort v77, v[12:13] offset:256 nt
	;; [unrolled: 1-line block ×3, first 2 shown]
	s_and_saveexec_b64 s[60:61], s[58:59]
	s_cbranch_execz .LBB11_627
; %bb.610:                              ;   in Loop: Header=BB11_609 Depth=3
	v_lshlrev_b32_e32 v28, 16, v78
	v_lshlrev_b32_e32 v29, 16, v58
	v_max_f32_e32 v29, v29, v29
	v_max_f32_e32 v28, v28, v28
	v_min_f32_e32 v50, v28, v29
	v_max_f32_e32 v28, v28, v29
	v_cndmask_b32_e32 v108, v28, v50, vcc
	v_and_b32_e32 v28, 0x7f800000, v108
	v_cmp_ne_u32_e64 s[26:27], s99, v28
                                        ; implicit-def: $vgpr78
	s_and_saveexec_b64 s[58:59], s[26:27]
	s_xor_b64 s[26:27], exec, s[58:59]
; %bb.611:                              ;   in Loop: Header=BB11_609 Depth=3
	v_bfe_u32 v28, v108, 16, 1
	v_add3_u32 v78, v108, v28, s74
                                        ; implicit-def: $vgpr108
; %bb.612:                              ;   in Loop: Header=BB11_609 Depth=3
	s_andn2_saveexec_b64 s[58:59], s[26:27]
; %bb.613:                              ;   in Loop: Header=BB11_609 Depth=3
	v_or_b32_e32 v28, 0x10000, v108
	v_cmp_eq_u32_sdwa s[26:27], v108, v3 src0_sel:WORD_0 src1_sel:DWORD
	s_nop 1
	v_cndmask_b32_e64 v78, v28, v108, s[26:27]
; %bb.614:                              ;   in Loop: Header=BB11_609 Depth=3
	s_or_b64 exec, exec, s[58:59]
	v_lshlrev_b32_e32 v28, 16, v75
	v_lshlrev_b32_e32 v29, 16, v59
	v_max_f32_e32 v29, v29, v29
	v_max_f32_e32 v28, v28, v28
	v_min_f32_e32 v50, v28, v29
	v_max_f32_e32 v28, v28, v29
	v_cndmask_b32_e32 v108, v28, v50, vcc
	v_and_b32_e32 v28, 0x7f800000, v108
	v_cmp_ne_u32_e64 s[26:27], s99, v28
                                        ; implicit-def: $vgpr75
	s_and_saveexec_b64 s[58:59], s[26:27]
	s_xor_b64 s[26:27], exec, s[58:59]
; %bb.615:                              ;   in Loop: Header=BB11_609 Depth=3
	v_bfe_u32 v28, v108, 16, 1
	v_add3_u32 v75, v108, v28, s74
                                        ; implicit-def: $vgpr108
; %bb.616:                              ;   in Loop: Header=BB11_609 Depth=3
	s_andn2_saveexec_b64 s[58:59], s[26:27]
; %bb.617:                              ;   in Loop: Header=BB11_609 Depth=3
	v_or_b32_e32 v28, 0x10000, v108
	v_cmp_eq_u32_sdwa s[26:27], v108, v3 src0_sel:WORD_0 src1_sel:DWORD
	s_nop 1
	v_cndmask_b32_e64 v75, v28, v108, s[26:27]
; %bb.618:                              ;   in Loop: Header=BB11_609 Depth=3
	s_or_b64 exec, exec, s[58:59]
	v_lshlrev_b32_e32 v28, 16, v63
	v_lshlrev_b32_e32 v29, 16, v60
	v_max_f32_e32 v29, v29, v29
	v_max_f32_e32 v28, v28, v28
	v_min_f32_e32 v50, v28, v29
	v_max_f32_e32 v28, v28, v29
	v_cndmask_b32_e32 v108, v28, v50, vcc
	v_and_b32_e32 v28, 0x7f800000, v108
	v_cmp_ne_u32_e64 s[26:27], s99, v28
                                        ; implicit-def: $vgpr63
	s_and_saveexec_b64 s[58:59], s[26:27]
	s_xor_b64 s[26:27], exec, s[58:59]
; %bb.619:                              ;   in Loop: Header=BB11_609 Depth=3
	v_bfe_u32 v28, v108, 16, 1
	v_add3_u32 v63, v108, v28, s74
                                        ; implicit-def: $vgpr108
; %bb.620:                              ;   in Loop: Header=BB11_609 Depth=3
	s_andn2_saveexec_b64 s[58:59], s[26:27]
; %bb.621:                              ;   in Loop: Header=BB11_609 Depth=3
	v_or_b32_e32 v28, 0x10000, v108
	v_cmp_eq_u32_sdwa s[26:27], v108, v3 src0_sel:WORD_0 src1_sel:DWORD
	s_nop 1
	v_cndmask_b32_e64 v63, v28, v108, s[26:27]
; %bb.622:                              ;   in Loop: Header=BB11_609 Depth=3
	s_or_b64 exec, exec, s[58:59]
	v_lshlrev_b32_e32 v28, 16, v62
	v_lshlrev_b32_e32 v29, 16, v61
	v_max_f32_e32 v29, v29, v29
	v_max_f32_e32 v28, v28, v28
	v_min_f32_e32 v50, v28, v29
	v_max_f32_e32 v28, v28, v29
	v_cndmask_b32_e32 v108, v28, v50, vcc
	v_and_b32_e32 v28, 0x7f800000, v108
	v_cmp_ne_u32_e64 s[26:27], s99, v28
                                        ; implicit-def: $vgpr62
	s_and_saveexec_b64 s[58:59], s[26:27]
	s_xor_b64 s[26:27], exec, s[58:59]
; %bb.623:                              ;   in Loop: Header=BB11_609 Depth=3
	v_bfe_u32 v28, v108, 16, 1
	v_add3_u32 v62, v108, v28, s74
                                        ; implicit-def: $vgpr108
; %bb.624:                              ;   in Loop: Header=BB11_609 Depth=3
	s_andn2_saveexec_b64 s[58:59], s[26:27]
; %bb.625:                              ;   in Loop: Header=BB11_609 Depth=3
	v_or_b32_e32 v28, 0x10000, v108
	v_cmp_eq_u32_sdwa s[26:27], v108, v3 src0_sel:WORD_0 src1_sel:DWORD
	s_nop 1
	v_cndmask_b32_e64 v62, v28, v108, s[26:27]
; %bb.626:                              ;   in Loop: Header=BB11_609 Depth=3
	s_or_b64 exec, exec, s[58:59]
	v_lshrrev_b32_e32 v78, 16, v78
	v_lshrrev_b32_e32 v63, 16, v63
	;; [unrolled: 1-line block ×4, first 2 shown]
	flat_store_short v[8:9], v78 nt
	flat_store_short v[8:9], v75 offset:128 nt
	flat_store_short v[8:9], v63 offset:256 nt
	;; [unrolled: 1-line block ×3, first 2 shown]
	v_lshl_add_u64 v[8:9], v[8:9], 0, v[112:113]
.LBB11_627:                             ;   in Loop: Header=BB11_609 Depth=3
	s_or_b64 exec, exec, s[60:61]
	v_sub_u32_e32 v23, v23, v52
	v_lshl_add_u64 v[10:11], v[10:11], 0, v[112:113]
	v_lshl_add_u64 v[12:13], v[12:13], 0, v[112:113]
	v_cmp_lt_i32_e64 s[58:59], 0, v23
	s_and_saveexec_b64 s[26:27], s[58:59]
	s_cbranch_execz .LBB11_629
; %bb.628:                              ;   in Loop: Header=BB11_609 Depth=3
	flat_load_ushort v78, v[10:11] nt
	flat_load_ushort v75, v[10:11] offset:128 nt
	flat_load_ushort v63, v[10:11] offset:256 nt
	;; [unrolled: 1-line block ×3, first 2 shown]
	flat_load_ushort v58, v[12:13] nt
	flat_load_ushort v59, v[12:13] offset:128 nt
	flat_load_ushort v60, v[12:13] offset:256 nt
	flat_load_ushort v61, v[12:13] offset:384 nt
	v_lshl_add_u64 v[10:11], v[10:11], 0, s[92:93]
	v_lshl_add_u64 v[12:13], v[12:13], 0, s[92:93]
.LBB11_629:                             ;   in Loop: Header=BB11_609 Depth=3
	s_or_b64 exec, exec, s[26:27]
	s_waitcnt vmcnt(0) lgkmcnt(0)
	v_lshlrev_b32_e32 v28, 16, v89
	v_lshlrev_b32_e32 v29, 16, v107
	v_max_f32_e32 v29, v29, v29
	v_max_f32_e32 v28, v28, v28
	v_min_f32_e32 v50, v28, v29
	v_max_f32_e32 v28, v28, v29
	v_cndmask_b32_e32 v107, v28, v50, vcc
	v_and_b32_e32 v28, 0x7f800000, v107
	v_cmp_ne_u32_e64 s[26:27], s99, v28
                                        ; implicit-def: $vgpr89
	s_and_saveexec_b64 s[60:61], s[26:27]
	s_xor_b64 s[26:27], exec, s[60:61]
; %bb.630:                              ;   in Loop: Header=BB11_609 Depth=3
	v_bfe_u32 v28, v107, 16, 1
	v_add3_u32 v89, v107, v28, s74
                                        ; implicit-def: $vgpr107
; %bb.631:                              ;   in Loop: Header=BB11_609 Depth=3
	s_andn2_saveexec_b64 s[60:61], s[26:27]
; %bb.632:                              ;   in Loop: Header=BB11_609 Depth=3
	v_or_b32_e32 v28, 0x10000, v107
	v_cmp_eq_u32_sdwa s[26:27], v107, v3 src0_sel:WORD_0 src1_sel:DWORD
	s_nop 1
	v_cndmask_b32_e64 v89, v28, v107, s[26:27]
; %bb.633:                              ;   in Loop: Header=BB11_609 Depth=3
	s_or_b64 exec, exec, s[60:61]
	v_lshlrev_b32_e32 v28, 16, v79
	v_lshlrev_b32_e32 v29, 16, v88
	v_max_f32_e32 v29, v29, v29
	v_max_f32_e32 v28, v28, v28
	v_min_f32_e32 v50, v28, v29
	v_max_f32_e32 v28, v28, v29
	v_cndmask_b32_e32 v88, v28, v50, vcc
	v_and_b32_e32 v28, 0x7f800000, v88
	v_cmp_ne_u32_e64 s[26:27], s99, v28
                                        ; implicit-def: $vgpr79
	s_and_saveexec_b64 s[60:61], s[26:27]
	s_xor_b64 s[26:27], exec, s[60:61]
; %bb.634:                              ;   in Loop: Header=BB11_609 Depth=3
	v_bfe_u32 v28, v88, 16, 1
	v_add3_u32 v79, v88, v28, s74
                                        ; implicit-def: $vgpr88
; %bb.635:                              ;   in Loop: Header=BB11_609 Depth=3
	s_andn2_saveexec_b64 s[60:61], s[26:27]
; %bb.636:                              ;   in Loop: Header=BB11_609 Depth=3
	v_or_b32_e32 v28, 0x10000, v88
	v_cmp_eq_u32_sdwa s[26:27], v88, v3 src0_sel:WORD_0 src1_sel:DWORD
	s_nop 1
	v_cndmask_b32_e64 v79, v28, v88, s[26:27]
; %bb.637:                              ;   in Loop: Header=BB11_609 Depth=3
	s_or_b64 exec, exec, s[60:61]
	v_lshlrev_b32_e32 v28, 16, v76
	v_lshlrev_b32_e32 v29, 16, v77
	v_max_f32_e32 v29, v29, v29
	v_max_f32_e32 v28, v28, v28
	v_min_f32_e32 v50, v28, v29
	v_max_f32_e32 v28, v28, v29
	v_cndmask_b32_e32 v77, v28, v50, vcc
	v_and_b32_e32 v28, 0x7f800000, v77
	v_cmp_ne_u32_e64 s[26:27], s99, v28
                                        ; implicit-def: $vgpr76
	s_and_saveexec_b64 s[60:61], s[26:27]
	s_xor_b64 s[26:27], exec, s[60:61]
; %bb.638:                              ;   in Loop: Header=BB11_609 Depth=3
	v_bfe_u32 v28, v77, 16, 1
	v_add3_u32 v76, v77, v28, s74
                                        ; implicit-def: $vgpr77
; %bb.639:                              ;   in Loop: Header=BB11_609 Depth=3
	s_andn2_saveexec_b64 s[60:61], s[26:27]
; %bb.640:                              ;   in Loop: Header=BB11_609 Depth=3
	v_or_b32_e32 v28, 0x10000, v77
	v_cmp_eq_u32_sdwa s[26:27], v77, v3 src0_sel:WORD_0 src1_sel:DWORD
	s_nop 1
	v_cndmask_b32_e64 v76, v28, v77, s[26:27]
; %bb.641:                              ;   in Loop: Header=BB11_609 Depth=3
	s_or_b64 exec, exec, s[60:61]
	v_lshlrev_b32_e32 v28, 16, v73
	v_lshlrev_b32_e32 v29, 16, v74
	v_max_f32_e32 v29, v29, v29
	v_max_f32_e32 v28, v28, v28
	v_min_f32_e32 v50, v28, v29
	v_max_f32_e32 v28, v28, v29
	v_cndmask_b32_e32 v74, v28, v50, vcc
	v_and_b32_e32 v28, 0x7f800000, v74
	v_cmp_ne_u32_e64 s[26:27], s99, v28
                                        ; implicit-def: $vgpr73
	s_and_saveexec_b64 s[60:61], s[26:27]
	s_xor_b64 s[26:27], exec, s[60:61]
; %bb.642:                              ;   in Loop: Header=BB11_609 Depth=3
	v_bfe_u32 v28, v74, 16, 1
	v_add3_u32 v73, v74, v28, s74
                                        ; implicit-def: $vgpr74
; %bb.643:                              ;   in Loop: Header=BB11_609 Depth=3
	s_andn2_saveexec_b64 s[60:61], s[26:27]
	s_cbranch_execz .LBB11_608
; %bb.644:                              ;   in Loop: Header=BB11_609 Depth=3
	v_or_b32_e32 v28, 0x10000, v74
	v_cmp_eq_u32_sdwa s[26:27], v74, v3 src0_sel:WORD_0 src1_sel:DWORD
	s_nop 1
	v_cndmask_b32_e64 v73, v28, v74, s[26:27]
	s_branch .LBB11_608
.LBB11_645:                             ;   in Loop: Header=BB11_296 Depth=2
	s_or_b64 exec, exec, s[56:57]
	v_lshlrev_b32_e32 v76, 16, v78
	v_lshlrev_b32_e32 v77, 16, v58
	v_lshlrev_b32_e32 v73, 16, v75
	v_lshlrev_b32_e32 v74, 16, v59
	v_lshlrev_b32_e32 v58, 16, v63
	v_lshlrev_b32_e32 v59, 16, v60
	v_lshlrev_b32_e32 v10, 16, v62
	v_lshlrev_b32_e32 v11, 16, v61
	s_and_b64 s[26:27], s[40:41], exec
.LBB11_646:                             ;   in Loop: Header=BB11_296 Depth=2
	s_or_b64 exec, exec, s[28:29]
	s_and_saveexec_b64 s[28:29], s[26:27]
	s_cbranch_execz .LBB11_664
; %bb.647:                              ;   in Loop: Header=BB11_296 Depth=2
	s_and_b32 s26, s48, 0xff
	s_cmp_eq_u32 s26, 0
	v_max_f32_e32 v12, v77, v77
	v_max_f32_e32 v13, v76, v76
	v_min_f32_e32 v28, v13, v12
	v_max_f32_e32 v12, v13, v12
	s_cselect_b64 vcc, -1, 0
	v_cndmask_b32_e32 v13, v12, v28, vcc
	v_and_b32_e32 v12, 0x7f800000, v13
	v_cmp_ne_u32_e64 s[26:27], s99, v12
                                        ; implicit-def: $vgpr12
	s_and_saveexec_b64 s[40:41], s[26:27]
	s_xor_b64 s[26:27], exec, s[40:41]
; %bb.648:                              ;   in Loop: Header=BB11_296 Depth=2
	v_bfe_u32 v12, v13, 16, 1
	v_add3_u32 v12, v13, v12, s74
                                        ; implicit-def: $vgpr13
; %bb.649:                              ;   in Loop: Header=BB11_296 Depth=2
	s_andn2_saveexec_b64 s[40:41], s[26:27]
; %bb.650:                              ;   in Loop: Header=BB11_296 Depth=2
	v_or_b32_e32 v12, 0x10000, v13
	v_cmp_eq_u32_sdwa s[26:27], v13, v3 src0_sel:WORD_0 src1_sel:DWORD
	s_nop 1
	v_cndmask_b32_e64 v12, v12, v13, s[26:27]
; %bb.651:                              ;   in Loop: Header=BB11_296 Depth=2
	s_or_b64 exec, exec, s[40:41]
	v_max_f32_e32 v13, v74, v74
	v_max_f32_e32 v28, v73, v73
	v_min_f32_e32 v29, v28, v13
	v_max_f32_e32 v13, v28, v13
	v_cndmask_b32_e32 v60, v13, v29, vcc
	v_and_b32_e32 v13, 0x7f800000, v60
	v_cmp_ne_u32_e64 s[26:27], s99, v13
                                        ; implicit-def: $vgpr13
	s_and_saveexec_b64 s[40:41], s[26:27]
	s_xor_b64 s[26:27], exec, s[40:41]
; %bb.652:                              ;   in Loop: Header=BB11_296 Depth=2
	v_bfe_u32 v13, v60, 16, 1
	v_add3_u32 v13, v60, v13, s74
                                        ; implicit-def: $vgpr60
; %bb.653:                              ;   in Loop: Header=BB11_296 Depth=2
	s_andn2_saveexec_b64 s[40:41], s[26:27]
; %bb.654:                              ;   in Loop: Header=BB11_296 Depth=2
	v_or_b32_e32 v13, 0x10000, v60
	v_cmp_eq_u32_sdwa s[26:27], v60, v3 src0_sel:WORD_0 src1_sel:DWORD
	s_nop 1
	v_cndmask_b32_e64 v13, v13, v60, s[26:27]
; %bb.655:                              ;   in Loop: Header=BB11_296 Depth=2
	s_or_b64 exec, exec, s[40:41]
	v_max_f32_e32 v28, v59, v59
	v_max_f32_e32 v29, v58, v58
	v_min_f32_e32 v50, v29, v28
	v_max_f32_e32 v28, v29, v28
	v_cndmask_b32_e32 v59, v28, v50, vcc
	v_and_b32_e32 v28, 0x7f800000, v59
	v_cmp_ne_u32_e64 s[26:27], s99, v28
                                        ; implicit-def: $vgpr58
	s_and_saveexec_b64 s[40:41], s[26:27]
	s_xor_b64 s[26:27], exec, s[40:41]
; %bb.656:                              ;   in Loop: Header=BB11_296 Depth=2
	v_bfe_u32 v28, v59, 16, 1
	v_add3_u32 v58, v59, v28, s74
                                        ; implicit-def: $vgpr59
; %bb.657:                              ;   in Loop: Header=BB11_296 Depth=2
	s_andn2_saveexec_b64 s[40:41], s[26:27]
; %bb.658:                              ;   in Loop: Header=BB11_296 Depth=2
	v_or_b32_e32 v28, 0x10000, v59
	v_cmp_eq_u32_sdwa s[26:27], v59, v3 src0_sel:WORD_0 src1_sel:DWORD
	s_nop 1
	v_cndmask_b32_e64 v58, v28, v59, s[26:27]
; %bb.659:                              ;   in Loop: Header=BB11_296 Depth=2
	s_or_b64 exec, exec, s[40:41]
	v_max_f32_e32 v11, v11, v11
	v_max_f32_e32 v10, v10, v10
	v_min_f32_e32 v28, v10, v11
	v_max_f32_e32 v10, v10, v11
	v_cndmask_b32_e32 v11, v10, v28, vcc
	v_and_b32_e32 v10, 0x7f800000, v11
	v_cmp_ne_u32_e32 vcc, s99, v10
                                        ; implicit-def: $vgpr10
	s_and_saveexec_b64 s[26:27], vcc
	s_xor_b64 s[26:27], exec, s[26:27]
; %bb.660:                              ;   in Loop: Header=BB11_296 Depth=2
	v_bfe_u32 v10, v11, 16, 1
	v_add3_u32 v10, v11, v10, s74
                                        ; implicit-def: $vgpr11
; %bb.661:                              ;   in Loop: Header=BB11_296 Depth=2
	s_andn2_saveexec_b64 s[26:27], s[26:27]
; %bb.662:                              ;   in Loop: Header=BB11_296 Depth=2
	v_or_b32_e32 v10, 0x10000, v11
	v_cmp_eq_u32_sdwa vcc, v11, v3 src0_sel:WORD_0 src1_sel:DWORD
	s_nop 1
	v_cndmask_b32_e32 v10, v10, v11, vcc
; %bb.663:                              ;   in Loop: Header=BB11_296 Depth=2
	s_or_b64 exec, exec, s[26:27]
	flat_store_short_d16_hi v[8:9], v12 nt
	flat_store_short_d16_hi v[8:9], v13 offset:128 nt
	flat_store_short_d16_hi v[8:9], v58 offset:256 nt
	;; [unrolled: 1-line block ×3, first 2 shown]
.LBB11_664:                             ;   in Loop: Header=BB11_296 Depth=2
	s_or_b64 exec, exec, s[28:29]
	v_lshlrev_b32_e32 v8, 9, v22
	v_cmp_ne_u32_e32 vcc, v17, v8
	s_and_b64 exec, exec, vcc
	s_cbranch_execz .LBB11_689
; %bb.665:                              ;   in Loop: Header=BB11_296 Depth=2
	v_lshlrev_b32_e32 v9, 6, v23
	v_sub_u32_e32 v9, v15, v9
	v_ashrrev_i32_e32 v10, 31, v9
	v_lshrrev_b32_e32 v10, 26, v10
	v_add_u32_e32 v10, v9, v10
	v_and_b32_e32 v11, 0x7fffffc0, v10
	v_sub_u32_e32 v9, v9, v11
	v_lshlrev_b32_e32 v10, 1, v10
	v_and_b32_e32 v10, 0xffffff80, v10
	v_lshlrev_b32_e32 v9, 1, v9
	v_add3_u32 v8, v10, v9, v8
	v_sub_u32_e32 v15, v17, v8
	v_cmp_lt_i32_e32 vcc, 1, v15
	s_and_b64 exec, exec, vcc
	s_cbranch_execz .LBB11_689
; %bb.666:                              ;   in Loop: Header=BB11_296 Depth=2
	s_trap 2
	ds_read_b64 v[10:11], v0
	v_add_u32_e32 v22, v8, v14
	s_and_b32 s26, s48, 0xff
	v_ashrrev_i32_e32 v23, 31, v22
	s_cmp_eq_u32 s26, 0
	v_lshl_add_u64 v[8:9], v[20:21], 0, v[22:23]
	v_lshl_add_u64 v[12:13], v[22:23], 0, v[18:19]
	s_waitcnt lgkmcnt(0)
	v_lshl_add_u64 v[10:11], v[10:11], 0, v[22:23]
	s_mov_b64 s[60:61], 0
	s_mov_b64 s[56:57], 0
	s_cselect_b64 s[26:27], -1, 0
                                        ; implicit-def: $sgpr58_sgpr59
	s_branch .LBB11_668
.LBB11_667:                             ;   in Loop: Header=BB11_668 Depth=3
	s_or_b64 exec, exec, s[28:29]
	v_lshrrev_b32_e32 v15, 16, v17
	scratch_store_short off, v15, s33 offset:192
	flat_store_short v[8:9], v15 nt
	v_mov_b32_e32 v15, 0x80
	v_cndmask_b32_e64 v22, v15, v114, s[60:61]
	v_cndmask_b32_e64 v15, 0, v93, s[60:61]
	v_sub_u32_e32 v15, v14, v15
	v_cmp_gt_i32_e32 vcc, 2, v15
	s_or_b64 s[56:57], vcc, s[56:57]
	v_lshl_add_u64 v[18:19], v[12:13], 0, v[98:99]
	v_lshl_add_u64 v[20:21], v[10:11], 0, v[98:99]
	v_cndmask_b32_e64 v23, 0, v115, s[60:61]
	s_andn2_b64 s[28:29], s[58:59], exec
	s_and_b64 s[40:41], s[60:61], exec
	v_lshl_add_u64 v[8:9], v[8:9], 0, v[22:23]
	v_cndmask_b32_e64 v11, v11, v21, s[60:61]
	v_cndmask_b32_e64 v10, v10, v20, s[60:61]
	;; [unrolled: 1-line block ×4, first 2 shown]
	s_or_b64 s[58:59], s[28:29], s[40:41]
	s_andn2_b64 exec, exec, s[56:57]
	s_cbranch_execz .LBB11_683
.LBB11_668:                             ;   Parent Loop BB11_47 Depth=1
                                        ;     Parent Loop BB11_296 Depth=2
                                        ; =>    This Loop Header: Depth=3
                                        ;         Child Loop BB11_669 Depth 4
                                        ;         Child Loop BB11_678 Depth 4
	s_add_i32 s28, s33, 0xc0
	s_mov_b32 s48, s28
	s_mov_b64 s[62:63], -1
	s_mov_b64 s[50:51], 0
.LBB11_669:                             ;   Parent Loop BB11_47 Depth=1
                                        ;     Parent Loop BB11_296 Depth=2
                                        ;       Parent Loop BB11_668 Depth=3
                                        ; =>      This Inner Loop Header: Depth=4
	s_cmp_eq_u32 s50, 1
	s_cselect_b64 vcc, -1, 0
	v_cndmask_b32_e32 v19, v13, v11, vcc
	v_cndmask_b32_e32 v18, v12, v10, vcc
	flat_load_ushort v14, v[18:19] nt
	s_cmp_eq_u32 s50, 0
	v_lshl_add_u64 v[18:19], v[18:19], 0, s[94:95]
	s_cselect_b64 s[28:29], -1, 0
	s_and_b64 s[40:41], exec, s[62:63]
	v_cndmask_b32_e64 v13, v13, v19, s[28:29]
	v_cndmask_b32_e64 v12, v12, v18, s[28:29]
	s_add_i32 s28, s33, 0xe0
	s_mov_b64 s[50:51], 1
	s_mov_b64 s[62:63], 0
	v_cndmask_b32_e32 v11, v11, v19, vcc
	v_cndmask_b32_e32 v10, v10, v18, vcc
	s_mov_b64 vcc, s[40:41]
	s_waitcnt vmcnt(0) lgkmcnt(0)
	scratch_store_short off, v14, s48
	s_mov_b32 s48, s28
	s_cbranch_vccnz .LBB11_669
; %bb.670:                              ;   in Loop: Header=BB11_668 Depth=3
	s_and_saveexec_b64 s[28:29], s[60:61]
	s_cbranch_execz .LBB11_676
; %bb.671:                              ;   in Loop: Header=BB11_668 Depth=3
	scratch_load_ushort v14, off, s33 offset:184
	scratch_load_ushort v17, off, s33 offset:186
	s_waitcnt vmcnt(1)
	v_lshlrev_b32_e32 v14, 16, v14
	s_waitcnt vmcnt(0)
	v_lshlrev_b32_e32 v17, 16, v17
	v_max_f32_e32 v17, v17, v17
	v_max_f32_e32 v14, v14, v14
	v_min_f32_e32 v18, v14, v17
	v_max_f32_e32 v14, v14, v17
	v_cndmask_b32_e64 v14, v14, v18, s[26:27]
	v_and_b32_e32 v17, 0x7f800000, v14
	v_cmp_ne_u32_e32 vcc, s99, v17
                                        ; implicit-def: $vgpr17
	s_and_saveexec_b64 s[40:41], vcc
	s_xor_b64 s[40:41], exec, s[40:41]
; %bb.672:                              ;   in Loop: Header=BB11_668 Depth=3
	v_bfe_u32 v17, v14, 16, 1
	v_add3_u32 v17, v14, v17, s74
                                        ; implicit-def: $vgpr14
; %bb.673:                              ;   in Loop: Header=BB11_668 Depth=3
	s_andn2_saveexec_b64 s[40:41], s[40:41]
; %bb.674:                              ;   in Loop: Header=BB11_668 Depth=3
	v_or_b32_e32 v17, 0x10000, v14
	v_cmp_eq_u32_sdwa vcc, v14, v3 src0_sel:WORD_0 src1_sel:DWORD
	s_nop 1
	v_cndmask_b32_e32 v17, v17, v14, vcc
; %bb.675:                              ;   in Loop: Header=BB11_668 Depth=3
	s_or_b64 exec, exec, s[40:41]
	v_lshrrev_b32_e32 v14, 16, v17
	scratch_store_short off, v14, s33 offset:184
	flat_store_short v[8:9], v14 nt
	v_lshl_add_u64 v[8:9], v[8:9], 0, v[114:115]
.LBB11_676:                             ;   in Loop: Header=BB11_668 Depth=3
	s_or_b64 exec, exec, s[28:29]
	v_sub_u32_e32 v14, v15, v93
	v_lshl_add_u64 v[12:13], v[12:13], 0, v[98:99]
	v_lshl_add_u64 v[10:11], v[10:11], 0, v[98:99]
	v_cmp_lt_i32_e64 s[60:61], 1, v14
	s_and_saveexec_b64 s[62:63], s[60:61]
	s_cbranch_execz .LBB11_679
; %bb.677:                              ;   in Loop: Header=BB11_668 Depth=3
	s_add_i32 s28, s33, 0xb8
	s_mov_b32 s48, s28
	s_mov_b64 s[52:53], 0
	s_mov_b64 s[50:51], -1
.LBB11_678:                             ;   Parent Loop BB11_47 Depth=1
                                        ;     Parent Loop BB11_296 Depth=2
                                        ;       Parent Loop BB11_668 Depth=3
                                        ; =>      This Inner Loop Header: Depth=4
	s_cmp_eq_u32 s52, 1
	s_cselect_b64 vcc, -1, 0
	v_cndmask_b32_e32 v19, v13, v11, vcc
	v_cndmask_b32_e32 v18, v12, v10, vcc
	flat_load_ushort v15, v[18:19] nt
	s_cmp_eq_u32 s52, 0
	v_lshl_add_u64 v[18:19], v[18:19], 0, s[94:95]
	s_cselect_b64 s[28:29], -1, 0
	s_and_b64 s[40:41], exec, s[50:51]
	v_cndmask_b32_e64 v13, v13, v19, s[28:29]
	v_cndmask_b32_e64 v12, v12, v18, s[28:29]
	s_add_i32 s28, s33, 0xba
	s_mov_b64 s[52:53], 1
	s_mov_b64 s[50:51], 0
	v_cndmask_b32_e32 v11, v11, v19, vcc
	v_cndmask_b32_e32 v10, v10, v18, vcc
	s_mov_b64 vcc, s[40:41]
	s_waitcnt vmcnt(0) lgkmcnt(0)
	scratch_store_short off, v15, s48
	s_mov_b32 s48, s28
	s_cbranch_vccnz .LBB11_678
.LBB11_679:                             ;   in Loop: Header=BB11_668 Depth=3
	s_or_b64 exec, exec, s[62:63]
	scratch_load_ushort v15, off, s33 offset:192
	scratch_load_ushort v17, off, s33 offset:224
	s_waitcnt vmcnt(0)
	v_lshlrev_b32_e32 v15, 16, v15
	v_lshlrev_b32_e32 v17, 16, v17
	v_max_f32_e32 v17, v17, v17
	v_max_f32_e32 v15, v15, v15
	v_min_f32_e32 v18, v15, v17
	v_max_f32_e32 v15, v15, v17
	v_cndmask_b32_e64 v15, v15, v18, s[26:27]
	v_and_b32_e32 v17, 0x7f800000, v15
	v_cmp_ne_u32_e32 vcc, s99, v17
                                        ; implicit-def: $vgpr17
	s_and_saveexec_b64 s[28:29], vcc
	s_xor_b64 s[28:29], exec, s[28:29]
; %bb.680:                              ;   in Loop: Header=BB11_668 Depth=3
	v_bfe_u32 v17, v15, 16, 1
	v_add3_u32 v17, v15, v17, s74
                                        ; implicit-def: $vgpr15
; %bb.681:                              ;   in Loop: Header=BB11_668 Depth=3
	s_andn2_saveexec_b64 s[28:29], s[28:29]
	s_cbranch_execz .LBB11_667
; %bb.682:                              ;   in Loop: Header=BB11_668 Depth=3
	v_or_b32_e32 v17, 0x10000, v15
	v_cmp_eq_u32_sdwa vcc, v15, v3 src0_sel:WORD_0 src1_sel:DWORD
	s_nop 1
	v_cndmask_b32_e32 v17, v17, v15, vcc
	s_branch .LBB11_667
.LBB11_683:                             ;   in Loop: Header=BB11_296 Depth=2
	s_or_b64 exec, exec, s[56:57]
	s_and_b64 exec, exec, s[58:59]
	s_cbranch_execz .LBB11_689
; %bb.684:                              ;   in Loop: Header=BB11_296 Depth=2
	scratch_load_ushort v10, off, s33 offset:184
	scratch_load_ushort v11, off, s33 offset:186
	s_waitcnt vmcnt(0)
	v_lshlrev_b32_e32 v10, 16, v10
	v_lshlrev_b32_e32 v11, 16, v11
	v_max_f32_e32 v11, v11, v11
	v_max_f32_e32 v10, v10, v10
	v_min_f32_e32 v12, v10, v11
	v_max_f32_e32 v10, v10, v11
	v_cndmask_b32_e64 v10, v10, v12, s[26:27]
	v_and_b32_e32 v11, 0x7f800000, v10
	v_cmp_ne_u32_e32 vcc, s99, v11
                                        ; implicit-def: $vgpr11
	s_and_saveexec_b64 s[26:27], vcc
	s_xor_b64 s[26:27], exec, s[26:27]
; %bb.685:                              ;   in Loop: Header=BB11_296 Depth=2
	v_bfe_u32 v11, v10, 16, 1
	v_add3_u32 v11, v10, v11, s74
                                        ; implicit-def: $vgpr10
; %bb.686:                              ;   in Loop: Header=BB11_296 Depth=2
	s_andn2_saveexec_b64 s[26:27], s[26:27]
; %bb.687:                              ;   in Loop: Header=BB11_296 Depth=2
	v_or_b32_e32 v11, 0x10000, v10
	v_cmp_eq_u32_sdwa vcc, v10, v3 src0_sel:WORD_0 src1_sel:DWORD
	s_nop 1
	v_cndmask_b32_e32 v11, v11, v10, vcc
; %bb.688:                              ;   in Loop: Header=BB11_296 Depth=2
	s_or_b64 exec, exec, s[26:27]
	flat_store_short_d16_hi v[8:9], v11 nt
.LBB11_689:                             ;   in Loop: Header=BB11_296 Depth=2
	s_or_b64 exec, exec, s[42:43]
	v_cmp_lt_i32_e64 s[26:27], 0, v2
	s_and_saveexec_b64 s[28:29], s[6:7]
	s_cbranch_execz .LBB11_372
.LBB11_690:                             ;   in Loop: Header=BB11_296 Depth=2
	s_and_saveexec_b64 s[40:41], s[78:79]
	s_xor_b64 s[40:41], exec, s[40:41]
	s_cbranch_execz .LBB11_705
; %bb.691:                              ;   in Loop: Header=BB11_296 Depth=2
	s_and_saveexec_b64 s[42:43], s[14:15]
	s_cbranch_execz .LBB11_704
; %bb.692:                              ;   in Loop: Header=BB11_296 Depth=2
	s_mov_b64 s[58:59], exec
	v_mbcnt_lo_u32_b32 v2, s58, 0
	v_mbcnt_hi_u32_b32 v2, s59, v2
	v_cmp_eq_u32_e32 vcc, 0, v2
	s_waitcnt lgkmcnt(0)
	s_and_saveexec_b64 s[56:57], vcc
	s_cbranch_execz .LBB11_694
; %bb.693:                              ;   in Loop: Header=BB11_296 Depth=2
	s_bcnt1_i32_b64 s58, s[58:59]
	v_mov_b32_e32 v2, s58
	ds_add_u64 v0, v[2:3]
	s_trap 2
.LBB11_694:                             ;   in Loop: Header=BB11_296 Depth=2
	s_or_b64 exec, exec, s[56:57]
	s_trap 2
	ds_read_b64 v[8:9], v0
	s_waitcnt lgkmcnt(0)
	v_lshl_add_u64 v[48:49], v[48:49], 0, v[52:53]
	v_cmp_lt_u64_e32 vcc, v[8:9], v[48:49]
	s_and_saveexec_b64 s[56:57], vcc
	s_cbranch_execz .LBB11_703
; %bb.695:                              ;   in Loop: Header=BB11_296 Depth=2
	s_mov_b32 s48, 0
	s_mov_b64 s[58:59], 0
                                        ; implicit-def: $sgpr60_sgpr61
                                        ; implicit-def: $sgpr62_sgpr63
	s_branch .LBB11_697
.LBB11_696:                             ;   in Loop: Header=BB11_697 Depth=3
	s_or_b64 exec, exec, s[52:53]
	s_and_b64 vcc, exec, vcc
	s_or_b64 s[58:59], vcc, s[58:59]
	s_andn2_b64 s[60:61], s[60:61], exec
	s_and_b64 vcc, s[62:63], exec
	s_or_b64 s[60:61], s[60:61], vcc
	s_andn2_b64 exec, exec, s[58:59]
	s_cbranch_execz .LBB11_701
.LBB11_697:                             ;   Parent Loop BB11_47 Depth=1
                                        ;     Parent Loop BB11_296 Depth=2
                                        ; =>    This Inner Loop Header: Depth=3
	s_add_i32 s48, s48, 1
	s_cmpk_lg_i32 s48, 0x2710
	s_cselect_b64 s[50:51], -1, 0
	s_and_b64 vcc, exec, s[50:51]
	s_cbranch_vccz .LBB11_699
; %bb.698:                              ;   in Loop: Header=BB11_697 Depth=3
	s_mov_b64 vcc, -1
	s_or_b64 s[62:63], s[62:63], exec
	s_and_saveexec_b64 s[52:53], s[50:51]
	s_cbranch_execz .LBB11_696
	s_branch .LBB11_700
.LBB11_699:                             ;   in Loop: Header=BB11_697 Depth=3
	s_trap 2
	ds_read_b64 v[8:9], v0
	s_andn2_b64 s[50:51], s[50:51], exec
	s_mov_b32 s48, 0
	s_waitcnt vmcnt(0) lgkmcnt(0)
	flat_load_dword v2, v[8:9] sc0 sc1
	s_waitcnt vmcnt(0) lgkmcnt(0)
	buffer_inv sc0 sc1
	v_cmp_eq_u32_e32 vcc, 0, v2
	s_and_b64 vcc, vcc, exec
	s_or_b64 s[50:51], s[50:51], vcc
	s_mov_b64 vcc, -1
	s_or_b64 s[62:63], s[62:63], exec
	s_and_saveexec_b64 s[52:53], s[50:51]
	s_cbranch_execz .LBB11_696
.LBB11_700:                             ;   in Loop: Header=BB11_697 Depth=3
	s_sleep 1
	s_trap 2
	ds_read_b64 v[8:9], v0
	s_waitcnt lgkmcnt(0)
	s_andn2_b64 s[62:63], s[62:63], exec
	v_cmp_ge_u64_e32 vcc, v[8:9], v[48:49]
	s_orn2_b64 vcc, vcc, exec
	s_branch .LBB11_696
.LBB11_701:                             ;   in Loop: Header=BB11_296 Depth=2
	s_or_b64 exec, exec, s[58:59]
	s_and_saveexec_b64 s[58:59], s[60:61]
	s_xor_b64 s[58:59], exec, s[58:59]
	s_cbranch_execz .LBB11_703
; %bb.702:                              ;   in Loop: Header=BB11_296 Depth=2
	ds_write_b32 v0, v94
	s_trap 2
.LBB11_703:                             ;   in Loop: Header=BB11_296 Depth=2
	s_or_b64 exec, exec, s[56:57]
	;;#ASMSTART
	s_wakeup
	;;#ASMEND
.LBB11_704:                             ;   in Loop: Header=BB11_296 Depth=2
	s_or_b64 exec, exec, s[42:43]
.LBB11_705:                             ;   in Loop: Header=BB11_296 Depth=2
	s_andn2_saveexec_b64 s[40:41], s[40:41]
	s_cbranch_execz .LBB11_707
; %bb.706:                              ;   in Loop: Header=BB11_296 Depth=2
	s_waitcnt lgkmcnt(0)
	s_barrier
.LBB11_707:                             ;   in Loop: Header=BB11_296 Depth=2
	s_or_b64 exec, exec, s[40:41]
	s_or_b64 exec, exec, s[28:29]
                                        ; implicit-def: $vgpr2
	s_and_saveexec_b64 s[28:29], s[22:23]
	s_xor_b64 s[28:29], exec, s[28:29]
	s_cbranch_execnz .LBB11_373
.LBB11_708:                             ;   in Loop: Header=BB11_296 Depth=2
	s_andn2_saveexec_b64 s[26:27], s[28:29]
	s_cbranch_execz .LBB11_727
.LBB11_709:                             ;   in Loop: Header=BB11_296 Depth=2
	s_and_saveexec_b64 s[28:29], s[78:79]
	s_xor_b64 s[28:29], exec, s[28:29]
	s_cbranch_execz .LBB11_724
; %bb.710:                              ;   in Loop: Header=BB11_296 Depth=2
	s_and_saveexec_b64 s[40:41], s[14:15]
	s_cbranch_execz .LBB11_723
; %bb.711:                              ;   in Loop: Header=BB11_296 Depth=2
	s_mov_b64 s[56:57], exec
	v_mbcnt_lo_u32_b32 v2, s56, 0
	v_mbcnt_hi_u32_b32 v2, s57, v2
	v_cmp_eq_u32_e32 vcc, 0, v2
	;;#ASMSTART
	s_waitcnt lgkmcnt(0) vmcnt(0)
	;;#ASMEND
	s_and_saveexec_b64 s[42:43], vcc
	s_cbranch_execz .LBB11_713
; %bb.712:                              ;   in Loop: Header=BB11_296 Depth=2
	s_bcnt1_i32_b64 s56, s[56:57]
	v_mov_b32_e32 v2, s56
	s_waitcnt lgkmcnt(0)
	ds_add_u64 v0, v[2:3]
	s_trap 2
.LBB11_713:                             ;   in Loop: Header=BB11_296 Depth=2
	s_or_b64 exec, exec, s[42:43]
	s_trap 2
	ds_read_b64 v[8:9], v0
	s_waitcnt lgkmcnt(0)
	v_lshl_add_u64 v[48:49], v[48:49], 0, v[52:53]
	v_cmp_lt_u64_e32 vcc, v[8:9], v[48:49]
	s_and_saveexec_b64 s[42:43], vcc
	s_cbranch_execz .LBB11_722
; %bb.714:                              ;   in Loop: Header=BB11_296 Depth=2
	s_mov_b32 s48, 0
	s_mov_b64 s[56:57], 0
                                        ; implicit-def: $sgpr58_sgpr59
                                        ; implicit-def: $sgpr60_sgpr61
	s_branch .LBB11_716
.LBB11_715:                             ;   in Loop: Header=BB11_716 Depth=3
	s_or_b64 exec, exec, s[50:51]
	s_and_b64 s[62:63], exec, vcc
	s_or_b64 s[56:57], s[62:63], s[56:57]
	s_andn2_b64 s[58:59], s[58:59], exec
	s_and_b64 s[62:63], s[60:61], exec
	s_or_b64 s[58:59], s[58:59], s[62:63]
	s_andn2_b64 exec, exec, s[56:57]
	s_cbranch_execz .LBB11_720
.LBB11_716:                             ;   Parent Loop BB11_47 Depth=1
                                        ;     Parent Loop BB11_296 Depth=2
                                        ; =>    This Inner Loop Header: Depth=3
	s_add_i32 s48, s48, 1
	s_cmpk_lg_i32 s48, 0x2710
	s_cselect_b64 s[62:63], -1, 0
	s_and_b64 vcc, exec, s[62:63]
	s_cbranch_vccz .LBB11_718
; %bb.717:                              ;   in Loop: Header=BB11_716 Depth=3
	s_mov_b64 vcc, -1
	s_or_b64 s[60:61], s[60:61], exec
	s_and_saveexec_b64 s[50:51], s[62:63]
	s_cbranch_execz .LBB11_715
	s_branch .LBB11_719
.LBB11_718:                             ;   in Loop: Header=BB11_716 Depth=3
	s_trap 2
	ds_read_b64 v[8:9], v0
	s_andn2_b64 s[62:63], s[62:63], exec
	s_mov_b32 s48, 0
	s_waitcnt vmcnt(0) lgkmcnt(0)
	flat_load_dword v2, v[8:9] sc0 sc1
	s_waitcnt vmcnt(0) lgkmcnt(0)
	buffer_inv sc0 sc1
	v_cmp_eq_u32_e32 vcc, 0, v2
	s_and_b64 vcc, vcc, exec
	s_or_b64 s[62:63], s[62:63], vcc
	s_mov_b64 vcc, -1
	s_or_b64 s[60:61], s[60:61], exec
	s_and_saveexec_b64 s[50:51], s[62:63]
	s_cbranch_execz .LBB11_715
.LBB11_719:                             ;   in Loop: Header=BB11_716 Depth=3
	s_sleep 1
	s_trap 2
	ds_read_b64 v[8:9], v0
	s_waitcnt lgkmcnt(0)
	s_andn2_b64 s[60:61], s[60:61], exec
	v_cmp_ge_u64_e32 vcc, v[8:9], v[48:49]
	s_orn2_b64 vcc, vcc, exec
	s_branch .LBB11_715
.LBB11_720:                             ;   in Loop: Header=BB11_296 Depth=2
	s_or_b64 exec, exec, s[56:57]
	s_and_saveexec_b64 s[56:57], s[58:59]
	s_xor_b64 s[56:57], exec, s[56:57]
	s_cbranch_execz .LBB11_722
; %bb.721:                              ;   in Loop: Header=BB11_296 Depth=2
	ds_write_b32 v0, v94
	s_trap 2
.LBB11_722:                             ;   in Loop: Header=BB11_296 Depth=2
	s_or_b64 exec, exec, s[42:43]
	;;#ASMSTART
	s_wakeup
	;;#ASMEND
.LBB11_723:                             ;   in Loop: Header=BB11_296 Depth=2
	s_or_b64 exec, exec, s[40:41]
.LBB11_724:                             ;   in Loop: Header=BB11_296 Depth=2
	s_andn2_saveexec_b64 s[28:29], s[28:29]
	s_cbranch_execz .LBB11_726
; %bb.725:                              ;   in Loop: Header=BB11_296 Depth=2
	;;#ASMSTART
	s_waitcnt lgkmcnt(0) vmcnt(0)
	;;#ASMEND
	s_barrier
.LBB11_726:                             ;   in Loop: Header=BB11_296 Depth=2
	s_or_b64 exec, exec, s[28:29]
	v_and_b32_e32 v2, 16, v90
.LBB11_727:                             ;   in Loop: Header=BB11_296 Depth=2
	s_or_b64 exec, exec, s[26:27]
	v_cmp_ne_u32_e32 vcc, 0, v2
	s_xor_b64 s[26:27], s[10:11], -1
	s_and_b64 s[28:29], vcc, s[26:27]
	s_and_saveexec_b64 s[26:27], s[28:29]
	s_cbranch_execz .LBB11_729
; %bb.728:                              ;   in Loop: Header=BB11_296 Depth=2
	flat_store_dword v[36:37], v94 sc0 sc1
.LBB11_729:                             ;   in Loop: Header=BB11_296 Depth=2
	s_or_b64 exec, exec, s[26:27]
	v_and_b32_e32 v2, 48, v90
	v_cmp_ne_u32_e32 vcc, 0, v2
	s_and_saveexec_b64 s[26:27], vcc
	s_cbranch_execz .LBB11_731
; %bb.730:                              ;   in Loop: Header=BB11_296 Depth=2
	v_lshl_add_u64 v[44:45], v[44:45], 0, 4
	flat_store_dwordx2 v[32:33], v[44:45] sc0 sc1
.LBB11_731:                             ;   in Loop: Header=BB11_296 Depth=2
	s_or_b64 exec, exec, s[26:27]
	v_mov_b32_e32 v2, v16
.LBB11_732:                             ;   in Loop: Header=BB11_296 Depth=2
	s_or_b64 exec, exec, s[46:47]
	s_and_saveexec_b64 s[28:29], s[44:45]
	s_cbranch_execz .LBB11_295
; %bb.733:                              ;   in Loop: Header=BB11_296 Depth=2
	v_sub_u32_e32 v2, v72, v2
	v_min_i32_e32 v8, v16, v2
	v_and_b32_e32 v2, 12, v90
	v_cmp_ne_u32_e32 vcc, 0, v2
	s_and_saveexec_b64 s[40:41], vcc
	s_cbranch_execz .LBB11_743
; %bb.734:                              ;   in Loop: Header=BB11_296 Depth=2
	v_and_b32_e32 v2, 8, v90
	s_waitcnt vmcnt(0) lgkmcnt(0)
	v_lshl_add_u64 v[12:13], v[38:39], 0, v[2:3]
	v_lshl_add_u64 v[10:11], v[44:45], 0, 4
	v_cmp_lt_u64_e32 vcc, v[12:13], v[10:11]
	s_and_saveexec_b64 s[42:43], vcc
	s_cbranch_execz .LBB11_759
; %bb.735:                              ;   in Loop: Header=BB11_296 Depth=2
	v_and_b32_e32 v9, 64, v90
	s_mov_b32 s48, 0
	v_cmp_eq_u32_e32 vcc, 0, v9
	s_mov_b64 s[44:45], 0
                                        ; implicit-def: $sgpr46_sgpr47
                                        ; implicit-def: $sgpr56_sgpr57
                                        ; implicit-def: $sgpr58_sgpr59
	s_branch .LBB11_739
.LBB11_736:                             ;   in Loop: Header=BB11_739 Depth=3
	s_waitcnt vmcnt(0) lgkmcnt(0)
	v_lshl_add_u64 v[12:13], v[38:39], 0, v[2:3]
	v_cmp_ge_u64_e64 s[26:27], v[12:13], v[10:11]
	s_or_b64 s[50:51], s[50:51], exec
	s_orn2_b64 s[62:63], s[26:27], exec
.LBB11_737:                             ;   in Loop: Header=BB11_739 Depth=3
	s_or_b64 exec, exec, s[54:55]
	s_andn2_b64 s[26:27], s[58:59], exec
	s_and_b64 s[58:59], s[50:51], exec
	s_or_b64 s[58:59], s[26:27], s[58:59]
	s_andn2_b64 s[26:27], s[56:57], exec
	s_and_b64 s[56:57], s[62:63], exec
	s_or_b64 s[56:57], s[26:27], s[56:57]
.LBB11_738:                             ;   in Loop: Header=BB11_739 Depth=3
	s_or_b64 exec, exec, s[60:61]
	s_and_b64 s[26:27], exec, s[56:57]
	s_or_b64 s[44:45], s[26:27], s[44:45]
	s_andn2_b64 s[26:27], s[46:47], exec
	s_and_b64 s[46:47], s[58:59], exec
	s_or_b64 s[46:47], s[26:27], s[46:47]
	s_andn2_b64 exec, exec, s[44:45]
	s_cbranch_execz .LBB11_756
.LBB11_739:                             ;   Parent Loop BB11_47 Depth=1
                                        ;     Parent Loop BB11_296 Depth=2
                                        ; =>    This Inner Loop Header: Depth=3
	s_sleep 1
	s_waitcnt vmcnt(0) lgkmcnt(0)
	flat_load_dwordx2 v[38:39], v[32:33] sc0 sc1
	s_or_b64 s[58:59], s[58:59], exec
	s_or_b64 s[56:57], s[56:57], exec
                                        ; implicit-def: $vgpr9
	s_and_saveexec_b64 s[60:61], vcc
	s_cbranch_execz .LBB11_738
; %bb.740:                              ;   in Loop: Header=BB11_739 Depth=3
	s_cmpk_lt_i32 s48, 0x270f
	s_cselect_b64 s[52:53], -1, 0
	s_cmpk_gt_i32 s48, 0x270e
	s_mov_b64 s[62:63], -1
	s_cbranch_scc0 .LBB11_742
; %bb.741:                              ;   in Loop: Header=BB11_739 Depth=3
	s_trap 2
	ds_read_b64 v[12:13], v0
	s_andn2_b64 s[52:53], s[52:53], exec
	s_mov_b32 s48, 0
	s_mov_b64 s[50:51], 0
	s_waitcnt vmcnt(0) lgkmcnt(0)
	flat_load_dword v9, v[12:13] sc0 sc1
	s_waitcnt vmcnt(0) lgkmcnt(0)
	buffer_inv sc0 sc1
	v_cmp_eq_u32_e64 s[26:27], 0, v9
	s_and_b64 s[26:27], s[26:27], exec
	s_or_b64 s[52:53], s[52:53], s[26:27]
	s_and_saveexec_b64 s[54:55], s[52:53]
	s_cbranch_execz .LBB11_737
	s_branch .LBB11_736
.LBB11_742:                             ;   in Loop: Header=BB11_739 Depth=3
	s_add_i32 s48, s48, 1
	s_mov_b64 s[50:51], -1
                                        ; implicit-def: $vgpr9
	s_and_saveexec_b64 s[54:55], s[52:53]
	s_cbranch_execz .LBB11_737
	s_branch .LBB11_736
.LBB11_743:                             ;   in Loop: Header=BB11_296 Depth=2
	s_or_b64 exec, exec, s[40:41]
	s_and_saveexec_b64 s[26:27], s[6:7]
	s_cbranch_execnz .LBB11_772
.LBB11_744:                             ;   in Loop: Header=BB11_296 Depth=2
	s_or_b64 exec, exec, s[26:27]
                                        ; implicit-def: $vgpr2
	s_and_saveexec_b64 s[26:27], s[38:39]
	s_xor_b64 s[26:27], exec, s[26:27]
	s_cbranch_execz .LBB11_797
.LBB11_745:                             ;   in Loop: Header=BB11_296 Depth=2
	s_and_saveexec_b64 s[40:41], s[78:79]
	s_xor_b64 s[40:41], exec, s[40:41]
	s_cbranch_execz .LBB11_787
; %bb.746:                              ;   in Loop: Header=BB11_296 Depth=2
	s_and_saveexec_b64 s[42:43], s[14:15]
	s_cbranch_execz .LBB11_786
; %bb.747:                              ;   in Loop: Header=BB11_296 Depth=2
	s_mov_b64 s[46:47], exec
	v_mbcnt_lo_u32_b32 v2, s46, 0
	v_mbcnt_hi_u32_b32 v2, s47, v2
	v_cmp_eq_u32_e32 vcc, 0, v2
	;;#ASMSTART
	s_waitcnt lgkmcnt(0) vmcnt(0)
	;;#ASMEND
	s_and_saveexec_b64 s[44:45], vcc
	s_cbranch_execz .LBB11_749
; %bb.748:                              ;   in Loop: Header=BB11_296 Depth=2
	s_bcnt1_i32_b64 s46, s[46:47]
	v_mov_b32_e32 v2, s46
	s_waitcnt lgkmcnt(0)
	ds_add_u64 v0, v[2:3]
	s_trap 2
.LBB11_749:                             ;   in Loop: Header=BB11_296 Depth=2
	s_or_b64 exec, exec, s[44:45]
	s_trap 2
	ds_read_b64 v[8:9], v0
	s_waitcnt lgkmcnt(0)
	v_lshl_add_u64 v[48:49], v[48:49], 0, v[52:53]
	v_cmp_lt_u64_e32 vcc, v[8:9], v[48:49]
	s_and_saveexec_b64 s[44:45], vcc
	s_cbranch_execz .LBB11_785
; %bb.750:                              ;   in Loop: Header=BB11_296 Depth=2
	s_mov_b32 s48, 0
	s_mov_b64 s[46:47], 0
                                        ; implicit-def: $sgpr56_sgpr57
                                        ; implicit-def: $sgpr58_sgpr59
	s_branch .LBB11_752
.LBB11_751:                             ;   in Loop: Header=BB11_752 Depth=3
	s_or_b64 exec, exec, s[62:63]
	s_and_b64 s[60:61], exec, vcc
	s_or_b64 s[46:47], s[60:61], s[46:47]
	s_andn2_b64 s[56:57], s[56:57], exec
	s_and_b64 s[60:61], s[58:59], exec
	s_or_b64 s[56:57], s[56:57], s[60:61]
	s_andn2_b64 exec, exec, s[46:47]
	s_cbranch_execz .LBB11_783
.LBB11_752:                             ;   Parent Loop BB11_47 Depth=1
                                        ;     Parent Loop BB11_296 Depth=2
                                        ; =>    This Inner Loop Header: Depth=3
	s_add_i32 s48, s48, 1
	s_cmpk_lg_i32 s48, 0x2710
	s_cselect_b64 s[60:61], -1, 0
	s_and_b64 vcc, exec, s[60:61]
	s_cbranch_vccz .LBB11_754
; %bb.753:                              ;   in Loop: Header=BB11_752 Depth=3
	s_mov_b64 vcc, -1
	s_or_b64 s[58:59], s[58:59], exec
	s_and_saveexec_b64 s[62:63], s[60:61]
	s_cbranch_execz .LBB11_751
	s_branch .LBB11_755
.LBB11_754:                             ;   in Loop: Header=BB11_752 Depth=3
	s_trap 2
	ds_read_b64 v[8:9], v0
	s_andn2_b64 s[60:61], s[60:61], exec
	s_mov_b32 s48, 0
	s_waitcnt vmcnt(0) lgkmcnt(0)
	flat_load_dword v2, v[8:9] sc0 sc1
	s_waitcnt vmcnt(0) lgkmcnt(0)
	buffer_inv sc0 sc1
	v_cmp_eq_u32_e32 vcc, 0, v2
	s_and_b64 s[62:63], vcc, exec
	s_or_b64 s[60:61], s[60:61], s[62:63]
	s_mov_b64 vcc, -1
	s_or_b64 s[58:59], s[58:59], exec
	s_and_saveexec_b64 s[62:63], s[60:61]
	s_cbranch_execz .LBB11_751
.LBB11_755:                             ;   in Loop: Header=BB11_752 Depth=3
	s_sleep 1
	s_trap 2
	ds_read_b64 v[8:9], v0
	s_waitcnt lgkmcnt(0)
	s_andn2_b64 s[58:59], s[58:59], exec
	v_cmp_ge_u64_e32 vcc, v[8:9], v[48:49]
	s_orn2_b64 vcc, vcc, exec
	s_branch .LBB11_751
.LBB11_756:                             ;   in Loop: Header=BB11_296 Depth=2
	s_or_b64 exec, exec, s[44:45]
	s_xor_b64 s[26:27], s[46:47], -1
	s_and_saveexec_b64 s[44:45], s[26:27]
	s_xor_b64 s[26:27], exec, s[44:45]
	s_cbranch_execz .LBB11_758
; %bb.757:                              ;   in Loop: Header=BB11_296 Depth=2
	v_or_b32_e32 v90, 64, v90
	s_waitcnt lgkmcnt(0)
	ds_write_b32 v0, v9
	s_trap 2
.LBB11_758:                             ;   in Loop: Header=BB11_296 Depth=2
	s_or_b64 exec, exec, s[26:27]
.LBB11_759:                             ;   in Loop: Header=BB11_296 Depth=2
	s_or_b64 exec, exec, s[42:43]
	v_and_b32_e32 v9, 0x108, v90
	v_cmp_ne_u32_e32 vcc, s98, v9
	;;#ASMSTART
	s_wakeup
	;;#ASMEND
                                        ; implicit-def: $vgpr12_vgpr13
	s_and_saveexec_b64 s[26:27], vcc
	s_xor_b64 s[26:27], exec, s[26:27]
; %bb.760:                              ;   in Loop: Header=BB11_296 Depth=2
	v_and_b32_e32 v12, 7, v44
	v_mov_b32_e32 v13, v3
                                        ; implicit-def: $vgpr44_vgpr45
; %bb.761:                              ;   in Loop: Header=BB11_296 Depth=2
	s_andn2_saveexec_b64 s[26:27], s[26:27]
	s_cbranch_execz .LBB11_763
; %bb.762:                              ;   in Loop: Header=BB11_296 Depth=2
	v_and_b32_e32 v12, 7, v44
	v_ashrrev_i32_e32 v9, 31, v8
	v_mov_b32_e32 v13, v3
	v_mad_u64_u32 v[14:15], s[42:43], v12, 24, v[6:7]
	v_lshlrev_b64 v[16:17], 1, v[8:9]
	flat_store_dwordx2 v[14:15], v[16:17] offset:8
.LBB11_763:                             ;   in Loop: Header=BB11_296 Depth=2
	s_or_b64 exec, exec, s[26:27]
	v_and_b32_e32 v9, 0x100, v90
	v_cmp_ne_u32_e32 vcc, 0, v9
	s_mov_b64 s[26:27], -1
                                        ; implicit-def: $vgpr14_vgpr15
	s_and_saveexec_b64 s[42:43], vcc
	s_cbranch_execz .LBB11_767
; %bb.764:                              ;   in Loop: Header=BB11_296 Depth=2
	v_mad_u64_u32 v[16:17], s[26:27], v12, 24, v[6:7]
	v_mov_b32_e32 v14, v17
	v_mad_u64_u32 v[14:15], s[26:27], v13, 24, v[14:15]
	v_mov_b32_e32 v17, v14
	flat_load_dword v9, v[16:17]
                                        ; implicit-def: $vgpr14_vgpr15
	s_waitcnt vmcnt(0) lgkmcnt(0)
	v_cmp_ne_u32_e32 vcc, 1, v9
	v_cmp_eq_u32_e64 s[26:27], 1, v9
	s_and_saveexec_b64 s[44:45], s[26:27]
	s_cbranch_execz .LBB11_766
; %bb.765:                              ;   in Loop: Header=BB11_296 Depth=2
	flat_load_dword v14, v[16:17] offset:4 sc0 sc1
	s_waitcnt vmcnt(0) lgkmcnt(0)
	v_ashrrev_i32_e32 v15, 31, v14
	v_lshrrev_b64 v[14:15], 1, v[14:15]
.LBB11_766:                             ;   in Loop: Header=BB11_296 Depth=2
	s_or_b64 exec, exec, s[44:45]
	s_orn2_b64 s[26:27], vcc, exec
.LBB11_767:                             ;   in Loop: Header=BB11_296 Depth=2
	s_or_b64 exec, exec, s[42:43]
	s_and_saveexec_b64 s[42:43], s[26:27]
; %bb.768:                              ;   in Loop: Header=BB11_296 Depth=2
	v_mul_lo_u32 v9, v13, v30
	v_mul_lo_u32 v13, v12, v51
	v_mad_u64_u32 v[14:15], s[26:27], v12, v30, 0
	v_add3_u32 v15, v15, v13, v9
; %bb.769:                              ;   in Loop: Header=BB11_296 Depth=2
	s_or_b64 exec, exec, s[42:43]
	v_cmp_eq_u32_e32 vcc, 0, v2
	v_lshl_add_u64 v[12:13], v[14:15], 1, v[34:35]
	s_nop 0
	v_cndmask_b32_e32 v2, v95, v104, vcc
	v_add_u32_e32 v2, v0, v2
	ds_write_b64 v2, v[12:13] offset:584
	v_and_b32_e32 v2, 0x2000, v90
	v_cmp_ne_u32_e32 vcc, 0, v2
	s_and_saveexec_b64 s[26:27], vcc
	s_cbranch_execz .LBB11_771
; %bb.770:                              ;   in Loop: Header=BB11_296 Depth=2
	ds_read_b64 v[12:13], v0 offset:872
	s_waitcnt lgkmcnt(0)
	v_lshl_add_u64 v[12:13], v[12:13], 0, 1
	ds_write_b64 v0, v[12:13] offset:872
.LBB11_771:                             ;   in Loop: Header=BB11_296 Depth=2
	s_or_b64 exec, exec, s[26:27]
	v_mov_b64_e32 v[44:45], v[10:11]
	s_or_b64 exec, exec, s[40:41]
	s_and_saveexec_b64 s[26:27], s[6:7]
	s_cbranch_execz .LBB11_744
.LBB11_772:                             ;   in Loop: Header=BB11_296 Depth=2
	s_and_saveexec_b64 s[40:41], s[78:79]
	s_xor_b64 s[40:41], exec, s[40:41]
	s_cbranch_execz .LBB11_794
; %bb.773:                              ;   in Loop: Header=BB11_296 Depth=2
	s_and_saveexec_b64 s[42:43], s[14:15]
	s_cbranch_execz .LBB11_793
; %bb.774:                              ;   in Loop: Header=BB11_296 Depth=2
	s_mov_b64 s[46:47], exec
	v_mbcnt_lo_u32_b32 v2, s46, 0
	v_mbcnt_hi_u32_b32 v2, s47, v2
	v_cmp_eq_u32_e32 vcc, 0, v2
	s_waitcnt lgkmcnt(0)
	s_and_saveexec_b64 s[44:45], vcc
	s_cbranch_execz .LBB11_776
; %bb.775:                              ;   in Loop: Header=BB11_296 Depth=2
	s_bcnt1_i32_b64 s46, s[46:47]
	v_mov_b32_e32 v2, s46
	ds_add_u64 v0, v[2:3]
	s_trap 2
.LBB11_776:                             ;   in Loop: Header=BB11_296 Depth=2
	s_or_b64 exec, exec, s[44:45]
	s_trap 2
	ds_read_b64 v[10:11], v0
	s_waitcnt lgkmcnt(0)
	v_lshl_add_u64 v[48:49], v[48:49], 0, v[52:53]
	v_cmp_lt_u64_e32 vcc, v[10:11], v[48:49]
	s_and_saveexec_b64 s[44:45], vcc
	s_cbranch_execz .LBB11_792
; %bb.777:                              ;   in Loop: Header=BB11_296 Depth=2
	s_mov_b32 s48, 0
	s_mov_b64 s[46:47], 0
                                        ; implicit-def: $sgpr56_sgpr57
                                        ; implicit-def: $sgpr58_sgpr59
	s_branch .LBB11_779
.LBB11_778:                             ;   in Loop: Header=BB11_779 Depth=3
	s_or_b64 exec, exec, s[62:63]
	s_and_b64 s[60:61], exec, vcc
	s_or_b64 s[46:47], s[60:61], s[46:47]
	s_andn2_b64 s[56:57], s[56:57], exec
	s_and_b64 s[60:61], s[58:59], exec
	s_or_b64 s[56:57], s[56:57], s[60:61]
	s_andn2_b64 exec, exec, s[46:47]
	s_cbranch_execz .LBB11_790
.LBB11_779:                             ;   Parent Loop BB11_47 Depth=1
                                        ;     Parent Loop BB11_296 Depth=2
                                        ; =>    This Inner Loop Header: Depth=3
	s_add_i32 s48, s48, 1
	s_cmpk_lg_i32 s48, 0x2710
	s_cselect_b64 s[60:61], -1, 0
	s_and_b64 vcc, exec, s[60:61]
	s_cbranch_vccz .LBB11_781
; %bb.780:                              ;   in Loop: Header=BB11_779 Depth=3
	s_mov_b64 vcc, -1
	s_or_b64 s[58:59], s[58:59], exec
	s_and_saveexec_b64 s[62:63], s[60:61]
	s_cbranch_execz .LBB11_778
	s_branch .LBB11_782
.LBB11_781:                             ;   in Loop: Header=BB11_779 Depth=3
	s_trap 2
	ds_read_b64 v[10:11], v0
	s_andn2_b64 s[60:61], s[60:61], exec
	s_mov_b32 s48, 0
	s_waitcnt vmcnt(0) lgkmcnt(0)
	flat_load_dword v2, v[10:11] sc0 sc1
	s_waitcnt vmcnt(0) lgkmcnt(0)
	buffer_inv sc0 sc1
	v_cmp_eq_u32_e32 vcc, 0, v2
	s_and_b64 s[62:63], vcc, exec
	s_or_b64 s[60:61], s[60:61], s[62:63]
	s_mov_b64 vcc, -1
	s_or_b64 s[58:59], s[58:59], exec
	s_and_saveexec_b64 s[62:63], s[60:61]
	s_cbranch_execz .LBB11_778
.LBB11_782:                             ;   in Loop: Header=BB11_779 Depth=3
	s_sleep 1
	s_trap 2
	ds_read_b64 v[10:11], v0
	s_waitcnt lgkmcnt(0)
	s_andn2_b64 s[58:59], s[58:59], exec
	v_cmp_ge_u64_e32 vcc, v[10:11], v[48:49]
	s_orn2_b64 vcc, vcc, exec
	s_branch .LBB11_778
.LBB11_783:                             ;   in Loop: Header=BB11_296 Depth=2
	s_or_b64 exec, exec, s[46:47]
	s_and_saveexec_b64 s[46:47], s[56:57]
	s_xor_b64 s[46:47], exec, s[46:47]
	s_cbranch_execz .LBB11_785
; %bb.784:                              ;   in Loop: Header=BB11_296 Depth=2
	ds_write_b32 v0, v94
	s_trap 2
.LBB11_785:                             ;   in Loop: Header=BB11_296 Depth=2
	s_or_b64 exec, exec, s[44:45]
	;;#ASMSTART
	s_wakeup
	;;#ASMEND
.LBB11_786:                             ;   in Loop: Header=BB11_296 Depth=2
	s_or_b64 exec, exec, s[42:43]
.LBB11_787:                             ;   in Loop: Header=BB11_296 Depth=2
	s_andn2_saveexec_b64 s[40:41], s[40:41]
	s_cbranch_execz .LBB11_789
; %bb.788:                              ;   in Loop: Header=BB11_296 Depth=2
	;;#ASMSTART
	s_waitcnt lgkmcnt(0) vmcnt(0)
	;;#ASMEND
	s_barrier
.LBB11_789:                             ;   in Loop: Header=BB11_296 Depth=2
	s_or_b64 exec, exec, s[40:41]
	v_and_b32_e32 v2, 16, v90
                                        ; implicit-def: $vgpr8
	s_andn2_saveexec_b64 s[26:27], s[26:27]
	s_cbranch_execz .LBB11_801
	s_branch .LBB11_798
.LBB11_790:                             ;   in Loop: Header=BB11_296 Depth=2
	s_or_b64 exec, exec, s[46:47]
	s_and_saveexec_b64 s[46:47], s[56:57]
	s_xor_b64 s[46:47], exec, s[46:47]
	s_cbranch_execz .LBB11_792
; %bb.791:                              ;   in Loop: Header=BB11_296 Depth=2
	ds_write_b32 v0, v94
	s_trap 2
.LBB11_792:                             ;   in Loop: Header=BB11_296 Depth=2
	s_or_b64 exec, exec, s[44:45]
	;;#ASMSTART
	s_wakeup
	;;#ASMEND
.LBB11_793:                             ;   in Loop: Header=BB11_296 Depth=2
	s_or_b64 exec, exec, s[42:43]
.LBB11_794:                             ;   in Loop: Header=BB11_296 Depth=2
	s_andn2_saveexec_b64 s[40:41], s[40:41]
	s_cbranch_execz .LBB11_796
; %bb.795:                              ;   in Loop: Header=BB11_296 Depth=2
	s_waitcnt lgkmcnt(0)
	s_barrier
.LBB11_796:                             ;   in Loop: Header=BB11_296 Depth=2
	s_or_b64 exec, exec, s[40:41]
	s_or_b64 exec, exec, s[26:27]
                                        ; implicit-def: $vgpr2
	s_and_saveexec_b64 s[26:27], s[38:39]
	s_xor_b64 s[26:27], exec, s[26:27]
	s_cbranch_execnz .LBB11_745
.LBB11_797:                             ;   in Loop: Header=BB11_296 Depth=2
	s_andn2_saveexec_b64 s[26:27], s[26:27]
	s_cbranch_execz .LBB11_801
.LBB11_798:                             ;   in Loop: Header=BB11_296 Depth=2
	s_trap 2
	ds_read_b32 v9, v0
	v_cmp_lt_i32_e32 vcc, 0, v8
	v_and_b32_e32 v8, 16, v90
	v_and_b32_e32 v2, 16, v90
	s_waitcnt lgkmcnt(0)
	v_readfirstlane_b32 s40, v9
	s_cmp_eq_u32 s40, 0
	s_cselect_b64 s[40:41], -1, 0
	s_and_b64 s[40:41], vcc, s[40:41]
	v_cmp_ne_u32_e32 vcc, 0, v8
	s_and_b64 s[42:43], vcc, s[40:41]
	s_and_saveexec_b64 s[40:41], s[42:43]
	s_cbranch_execz .LBB11_800
; %bb.799:                              ;   in Loop: Header=BB11_296 Depth=2
	v_mov_b32_e32 v2, 1
	buffer_wbl2 sc1
	s_waitcnt vmcnt(0)
	buffer_inv sc1
.LBB11_800:                             ;   in Loop: Header=BB11_296 Depth=2
	s_or_b64 exec, exec, s[40:41]
.LBB11_801:                             ;   in Loop: Header=BB11_296 Depth=2
	s_or_b64 exec, exec, s[26:27]
	v_cmp_ne_u32_e32 vcc, 0, v2
	s_xor_b64 s[26:27], s[10:11], -1
	s_and_b64 s[40:41], vcc, s[26:27]
	s_and_saveexec_b64 s[26:27], s[40:41]
	s_cbranch_execz .LBB11_803
; %bb.802:                              ;   in Loop: Header=BB11_296 Depth=2
	flat_store_dword v[36:37], v94 sc0 sc1
.LBB11_803:                             ;   in Loop: Header=BB11_296 Depth=2
	s_or_b64 exec, exec, s[26:27]
	v_and_b32_e32 v2, 48, v90
	v_cmp_ne_u32_e32 vcc, 0, v2
	s_and_saveexec_b64 s[26:27], vcc
	s_cbranch_execz .LBB11_294
; %bb.804:                              ;   in Loop: Header=BB11_296 Depth=2
	v_lshl_add_u64 v[44:45], v[44:45], 0, 4
	flat_store_dwordx2 v[32:33], v[44:45] sc0 sc1
	s_branch .LBB11_294
.LBB11_805:                             ;   in Loop: Header=BB11_47 Depth=1
	v_mul_lo_u32 v2, v43, s68
	v_mul_lo_u32 v10, v42, s69
	v_mad_u64_u32 v[8:9], s[26:27], v42, s68, 0
	v_add3_u32 v9, v9, v10, v2
	v_sub_co_u32_e32 v10, vcc, v46, v8
	v_mov_b32_e32 v2, 0
	s_nop 0
	v_subb_co_u32_e32 v11, vcc, v47, v9, vcc
	v_cmp_lt_i64_e32 vcc, v[42:43], v[10:11]
	s_nop 1
	v_cndmask_b32_e32 v10, v10, v42, vcc
	v_max_i32_e32 v107, 0, v10
	v_add_u32_e32 v11, 15, v107
	v_ashrrev_i32_e32 v12, 31, v11
	v_lshrrev_b32_e32 v12, 28, v12
	v_add_u32_e32 v11, v11, v12
	v_cmp_gt_i32_e32 vcc, 1, v10
	v_and_b32_e32 v11, -16, v11
	s_or_b64 s[50:51], s[2:3], vcc
	v_max_i32_e32 v20, s82, v11
	s_xor_b64 s[26:27], s[50:51], -1
	s_and_saveexec_b64 s[52:53], s[26:27]
	s_cbranch_execz .LBB11_811
; %bb.806:                              ;   in Loop: Header=BB11_47 Depth=1
	s_and_saveexec_b64 s[26:27], s[0:1]
	s_cbranch_execz .LBB11_808
; %bb.807:                              ;   in Loop: Header=BB11_47 Depth=1
	s_trap 2
	ds_read2_b64 v[10:13], v0 offset1:1
	ds_read_b64 v[14:15], v0
	v_lshl_add_u64 v[8:9], v[8:9], 0, v[56:57]
	v_lshlrev_b64 v[8:9], 1, v[8:9]
	s_waitcnt lgkmcnt(0)
	v_lshl_add_u64 v[10:11], v[10:11], 0, v[8:9]
	ds_write_b64 v0, v[10:11]
	v_lshl_add_u64 v[10:11], v[12:13], 0, v[8:9]
	v_lshl_add_u64 v[8:9], v[14:15], 0, v[8:9]
	v_cmp_ne_u64_e32 vcc, 0, v[14:15]
	ds_write_b64 v0, v[10:11]
	s_nop 0
	v_cndmask_b32_e32 v9, 0, v9, vcc
	v_cndmask_b32_e32 v8, 0, v8, vcc
	ds_write_b64 v0, v[8:9]
.LBB11_808:                             ;   in Loop: Header=BB11_47 Depth=1
	s_or_b64 exec, exec, s[26:27]
	v_and_b32_e32 v2, 12, v90
	v_min_i32_e32 v20, v20, v107
	v_cmp_ne_u32_e32 vcc, 0, v2
	s_and_saveexec_b64 s[28:29], vcc
	s_cbranch_execz .LBB11_845
; %bb.809:                              ;   in Loop: Header=BB11_47 Depth=1
	v_and_b32_e32 v2, 8, v90
	s_waitcnt vmcnt(0) lgkmcnt(0)
	v_lshl_add_u64 v[10:11], v[38:39], 0, v[2:3]
	v_lshl_add_u64 v[8:9], v[44:45], 0, 4
	v_cmp_lt_u64_e32 vcc, v[10:11], v[8:9]
	s_and_saveexec_b64 s[40:41], vcc
	s_cbranch_execz .LBB11_832
; %bb.810:                              ;   in Loop: Header=BB11_47 Depth=1
	v_and_b32_e32 v10, 64, v90
	s_mov_b32 s76, 0
	v_cmp_eq_u32_e32 vcc, 0, v10
	s_mov_b64 s[42:43], 0
                                        ; implicit-def: $sgpr44_sgpr45
                                        ; implicit-def: $sgpr46_sgpr47
                                        ; implicit-def: $sgpr56_sgpr57
	s_branch .LBB11_818
.LBB11_811:                             ;   in Loop: Header=BB11_47 Depth=1
	s_or_b64 exec, exec, s[52:53]
	s_and_saveexec_b64 s[28:29], s[50:51]
	s_cbranch_execz .LBB11_1256
.LBB11_812:                             ;   in Loop: Header=BB11_47 Depth=1
	v_sub_u32_e32 v2, v107, v2
	v_min_i32_e32 v8, v20, v2
	v_and_b32_e32 v2, 12, v90
	v_cmp_ne_u32_e32 vcc, 0, v2
	s_and_saveexec_b64 s[40:41], vcc
	s_cbranch_execz .LBB11_873
; %bb.813:                              ;   in Loop: Header=BB11_47 Depth=1
	v_and_b32_e32 v2, 8, v90
	s_waitcnt vmcnt(0) lgkmcnt(0)
	v_lshl_add_u64 v[12:13], v[38:39], 0, v[2:3]
	v_lshl_add_u64 v[10:11], v[44:45], 0, 4
	v_cmp_lt_u64_e32 vcc, v[12:13], v[10:11]
	s_and_saveexec_b64 s[42:43], vcc
	s_cbranch_execz .LBB11_860
; %bb.814:                              ;   in Loop: Header=BB11_47 Depth=1
	v_and_b32_e32 v9, 64, v90
	s_mov_b32 s76, 0
	v_cmp_eq_u32_e32 vcc, 0, v9
	s_mov_b64 s[44:45], 0
                                        ; implicit-def: $sgpr46_sgpr47
                                        ; implicit-def: $sgpr56_sgpr57
                                        ; implicit-def: $sgpr58_sgpr59
	s_branch .LBB11_825
.LBB11_815:                             ;   in Loop: Header=BB11_818 Depth=2
	s_waitcnt vmcnt(0) lgkmcnt(0)
	v_lshl_add_u64 v[12:13], v[38:39], 0, v[2:3]
	v_cmp_ge_u64_e64 s[26:27], v[12:13], v[8:9]
	s_or_b64 s[62:63], s[62:63], exec
	s_orn2_b64 s[60:61], s[26:27], exec
.LBB11_816:                             ;   in Loop: Header=BB11_818 Depth=2
	s_or_b64 exec, exec, s[64:65]
	s_andn2_b64 s[26:27], s[56:57], exec
	s_and_b64 s[56:57], s[62:63], exec
	s_or_b64 s[56:57], s[26:27], s[56:57]
	s_andn2_b64 s[26:27], s[46:47], exec
	s_and_b64 s[46:47], s[60:61], exec
	s_or_b64 s[46:47], s[26:27], s[46:47]
.LBB11_817:                             ;   in Loop: Header=BB11_818 Depth=2
	s_or_b64 exec, exec, s[58:59]
	s_and_b64 s[26:27], exec, s[46:47]
	s_or_b64 s[42:43], s[26:27], s[42:43]
	s_andn2_b64 s[26:27], s[44:45], exec
	s_and_b64 s[44:45], s[56:57], exec
	s_or_b64 s[44:45], s[26:27], s[44:45]
	s_andn2_b64 exec, exec, s[42:43]
	s_cbranch_execz .LBB11_829
.LBB11_818:                             ;   Parent Loop BB11_47 Depth=1
                                        ; =>  This Inner Loop Header: Depth=2
	s_sleep 1
	s_waitcnt vmcnt(0) lgkmcnt(0)
	flat_load_dwordx2 v[38:39], v[32:33] sc0 sc1
	s_or_b64 s[56:57], s[56:57], exec
	s_or_b64 s[46:47], s[46:47], exec
                                        ; implicit-def: $vgpr10
	s_and_saveexec_b64 s[58:59], vcc
	s_cbranch_execz .LBB11_817
; %bb.819:                              ;   in Loop: Header=BB11_818 Depth=2
	s_cmpk_lt_i32 s76, 0x270f
	s_cselect_b64 s[54:55], -1, 0
	s_cmpk_gt_i32 s76, 0x270e
	s_mov_b64 s[60:61], -1
	s_cbranch_scc0 .LBB11_821
; %bb.820:                              ;   in Loop: Header=BB11_818 Depth=2
	s_trap 2
	ds_read_b64 v[10:11], v0
	s_andn2_b64 s[48:49], s[54:55], exec
	s_mov_b32 s76, 0
	s_mov_b64 s[62:63], 0
	s_waitcnt vmcnt(0) lgkmcnt(0)
	flat_load_dword v10, v[10:11] sc0 sc1
	s_waitcnt vmcnt(0) lgkmcnt(0)
	buffer_inv sc0 sc1
	v_cmp_eq_u32_e64 s[26:27], 0, v10
	s_and_b64 s[26:27], s[26:27], exec
	s_or_b64 s[54:55], s[48:49], s[26:27]
	s_and_saveexec_b64 s[64:65], s[54:55]
	s_cbranch_execz .LBB11_816
	s_branch .LBB11_815
.LBB11_821:                             ;   in Loop: Header=BB11_818 Depth=2
	s_add_i32 s76, s76, 1
	s_mov_b64 s[62:63], -1
                                        ; implicit-def: $vgpr10
	s_and_saveexec_b64 s[64:65], s[54:55]
	s_cbranch_execz .LBB11_816
	s_branch .LBB11_815
.LBB11_822:                             ;   in Loop: Header=BB11_825 Depth=2
	s_waitcnt vmcnt(0) lgkmcnt(0)
	v_lshl_add_u64 v[12:13], v[38:39], 0, v[2:3]
	v_cmp_ge_u64_e64 s[26:27], v[12:13], v[10:11]
	s_or_b64 s[50:51], s[50:51], exec
	s_orn2_b64 s[62:63], s[26:27], exec
.LBB11_823:                             ;   in Loop: Header=BB11_825 Depth=2
	s_or_b64 exec, exec, s[54:55]
	s_andn2_b64 s[26:27], s[58:59], exec
	s_and_b64 s[58:59], s[50:51], exec
	s_or_b64 s[58:59], s[26:27], s[58:59]
	s_andn2_b64 s[26:27], s[56:57], exec
	s_and_b64 s[56:57], s[62:63], exec
	s_or_b64 s[56:57], s[26:27], s[56:57]
.LBB11_824:                             ;   in Loop: Header=BB11_825 Depth=2
	s_or_b64 exec, exec, s[60:61]
	s_and_b64 s[26:27], exec, s[56:57]
	s_or_b64 s[44:45], s[26:27], s[44:45]
	s_andn2_b64 s[26:27], s[46:47], exec
	s_and_b64 s[46:47], s[58:59], exec
	s_or_b64 s[46:47], s[26:27], s[46:47]
	s_andn2_b64 exec, exec, s[44:45]
	s_cbranch_execz .LBB11_857
.LBB11_825:                             ;   Parent Loop BB11_47 Depth=1
                                        ; =>  This Inner Loop Header: Depth=2
	s_sleep 1
	s_waitcnt vmcnt(0) lgkmcnt(0)
	flat_load_dwordx2 v[38:39], v[32:33] sc0 sc1
	s_or_b64 s[58:59], s[58:59], exec
	s_or_b64 s[56:57], s[56:57], exec
                                        ; implicit-def: $vgpr9
	s_and_saveexec_b64 s[60:61], vcc
	s_cbranch_execz .LBB11_824
; %bb.826:                              ;   in Loop: Header=BB11_825 Depth=2
	s_cmpk_lt_i32 s76, 0x270f
	s_cselect_b64 s[52:53], -1, 0
	s_cmpk_gt_i32 s76, 0x270e
	s_mov_b64 s[62:63], -1
	s_cbranch_scc0 .LBB11_828
; %bb.827:                              ;   in Loop: Header=BB11_825 Depth=2
	s_trap 2
	ds_read_b64 v[12:13], v0
	s_andn2_b64 s[48:49], s[52:53], exec
	s_mov_b32 s76, 0
	s_mov_b64 s[50:51], 0
	s_waitcnt vmcnt(0) lgkmcnt(0)
	flat_load_dword v9, v[12:13] sc0 sc1
	s_waitcnt vmcnt(0) lgkmcnt(0)
	buffer_inv sc0 sc1
	v_cmp_eq_u32_e64 s[26:27], 0, v9
	s_and_b64 s[26:27], s[26:27], exec
	s_or_b64 s[52:53], s[48:49], s[26:27]
	s_and_saveexec_b64 s[54:55], s[52:53]
	s_cbranch_execz .LBB11_823
	s_branch .LBB11_822
.LBB11_828:                             ;   in Loop: Header=BB11_825 Depth=2
	s_add_i32 s76, s76, 1
	s_mov_b64 s[50:51], -1
                                        ; implicit-def: $vgpr9
	s_and_saveexec_b64 s[54:55], s[52:53]
	s_cbranch_execz .LBB11_823
	s_branch .LBB11_822
.LBB11_829:                             ;   in Loop: Header=BB11_47 Depth=1
	s_or_b64 exec, exec, s[42:43]
	s_xor_b64 s[26:27], s[44:45], -1
	s_and_saveexec_b64 s[42:43], s[26:27]
	s_xor_b64 s[26:27], exec, s[42:43]
	s_cbranch_execz .LBB11_831
; %bb.830:                              ;   in Loop: Header=BB11_47 Depth=1
	v_or_b32_e32 v90, 64, v90
	s_waitcnt lgkmcnt(0)
	ds_write_b32 v0, v10
	s_trap 2
.LBB11_831:                             ;   in Loop: Header=BB11_47 Depth=1
	s_or_b64 exec, exec, s[26:27]
.LBB11_832:                             ;   in Loop: Header=BB11_47 Depth=1
	s_or_b64 exec, exec, s[40:41]
	v_and_b32_e32 v10, 0x108, v90
	v_cmp_ne_u32_e32 vcc, s98, v10
	;;#ASMSTART
	s_wakeup
	;;#ASMEND
                                        ; implicit-def: $vgpr10_vgpr11
	s_and_saveexec_b64 s[26:27], vcc
	s_xor_b64 s[26:27], exec, s[26:27]
; %bb.833:                              ;   in Loop: Header=BB11_47 Depth=1
	v_and_b32_e32 v10, 7, v44
	v_mov_b32_e32 v11, v3
                                        ; implicit-def: $vgpr44_vgpr45
; %bb.834:                              ;   in Loop: Header=BB11_47 Depth=1
	s_andn2_saveexec_b64 s[26:27], s[26:27]
	s_cbranch_execz .LBB11_836
; %bb.835:                              ;   in Loop: Header=BB11_47 Depth=1
	v_and_b32_e32 v10, 7, v44
	v_ashrrev_i32_e32 v21, 31, v20
	v_mov_b32_e32 v11, v3
	v_mad_u64_u32 v[12:13], s[40:41], v10, 24, v[6:7]
	v_lshlrev_b64 v[14:15], 1, v[20:21]
	flat_store_dwordx2 v[12:13], v[14:15] offset:8
.LBB11_836:                             ;   in Loop: Header=BB11_47 Depth=1
	s_or_b64 exec, exec, s[26:27]
	v_and_b32_e32 v12, 0x100, v90
	v_cmp_ne_u32_e32 vcc, 0, v12
	s_mov_b64 s[26:27], -1
                                        ; implicit-def: $vgpr12_vgpr13
	s_and_saveexec_b64 s[40:41], vcc
	s_cbranch_execz .LBB11_840
; %bb.837:                              ;   in Loop: Header=BB11_47 Depth=1
	v_mad_u64_u32 v[14:15], s[26:27], v10, 24, v[6:7]
	v_mov_b32_e32 v12, v15
	v_mad_u64_u32 v[12:13], s[26:27], v11, 24, v[12:13]
	v_mov_b32_e32 v15, v12
	flat_load_dword v12, v[14:15]
	s_waitcnt vmcnt(0) lgkmcnt(0)
	v_cmp_ne_u32_e32 vcc, 1, v12
	v_cmp_eq_u32_e64 s[26:27], 1, v12
                                        ; implicit-def: $vgpr12_vgpr13
	s_and_saveexec_b64 s[42:43], s[26:27]
	s_cbranch_execz .LBB11_839
; %bb.838:                              ;   in Loop: Header=BB11_47 Depth=1
	flat_load_dword v12, v[14:15] offset:4 sc0 sc1
	s_waitcnt vmcnt(0) lgkmcnt(0)
	v_ashrrev_i32_e32 v13, 31, v12
	v_lshrrev_b64 v[12:13], 1, v[12:13]
.LBB11_839:                             ;   in Loop: Header=BB11_47 Depth=1
	s_or_b64 exec, exec, s[42:43]
	s_orn2_b64 s[26:27], vcc, exec
.LBB11_840:                             ;   in Loop: Header=BB11_47 Depth=1
	s_or_b64 exec, exec, s[40:41]
	s_and_saveexec_b64 s[40:41], s[26:27]
; %bb.841:                              ;   in Loop: Header=BB11_47 Depth=1
	v_mul_lo_u32 v11, v11, v30
	v_mul_lo_u32 v14, v10, v51
	v_mad_u64_u32 v[12:13], s[26:27], v10, v30, 0
	v_add3_u32 v13, v13, v14, v11
; %bb.842:                              ;   in Loop: Header=BB11_47 Depth=1
	s_or_b64 exec, exec, s[40:41]
	v_cmp_eq_u32_e32 vcc, 0, v2
	v_lshl_add_u64 v[10:11], v[12:13], 1, v[34:35]
	s_nop 0
	v_cndmask_b32_e32 v2, v105, v104, vcc
	v_add_u32_e32 v2, v0, v2
	ds_write_b64 v2, v[10:11] offset:584
	v_and_b32_e32 v2, 0x2000, v90
	v_cmp_ne_u32_e32 vcc, 0, v2
	s_and_saveexec_b64 s[26:27], vcc
	s_cbranch_execz .LBB11_844
; %bb.843:                              ;   in Loop: Header=BB11_47 Depth=1
	ds_read_b64 v[10:11], v0 offset:872
	s_waitcnt lgkmcnt(0)
	v_lshl_add_u64 v[10:11], v[10:11], 0, 1
	ds_write_b64 v0, v[10:11] offset:872
.LBB11_844:                             ;   in Loop: Header=BB11_47 Depth=1
	s_or_b64 exec, exec, s[26:27]
	v_mov_b64_e32 v[44:45], v[8:9]
.LBB11_845:                             ;   in Loop: Header=BB11_47 Depth=1
	s_or_b64 exec, exec, s[28:29]
	s_and_saveexec_b64 s[26:27], s[6:7]
	s_cbranch_execz .LBB11_892
; %bb.846:                              ;   in Loop: Header=BB11_47 Depth=1
	s_and_saveexec_b64 s[28:29], s[78:79]
	s_xor_b64 s[28:29], exec, s[28:29]
	s_cbranch_execz .LBB11_889
; %bb.847:                              ;   in Loop: Header=BB11_47 Depth=1
	s_and_saveexec_b64 s[40:41], s[14:15]
	s_cbranch_execz .LBB11_888
; %bb.848:                              ;   in Loop: Header=BB11_47 Depth=1
	s_mov_b64 s[44:45], exec
	v_mbcnt_lo_u32_b32 v2, s44, 0
	v_mbcnt_hi_u32_b32 v2, s45, v2
	v_cmp_eq_u32_e32 vcc, 0, v2
	s_waitcnt lgkmcnt(0)
	s_and_saveexec_b64 s[42:43], vcc
	s_cbranch_execz .LBB11_850
; %bb.849:                              ;   in Loop: Header=BB11_47 Depth=1
	s_bcnt1_i32_b64 s44, s[44:45]
	v_mov_b32_e32 v2, s44
	ds_add_u64 v0, v[2:3]
	s_trap 2
.LBB11_850:                             ;   in Loop: Header=BB11_47 Depth=1
	s_or_b64 exec, exec, s[42:43]
	s_trap 2
	ds_read_b64 v[8:9], v0
	s_waitcnt lgkmcnt(0)
	v_lshl_add_u64 v[48:49], v[48:49], 0, v[52:53]
	v_cmp_lt_u64_e32 vcc, v[8:9], v[48:49]
	s_and_saveexec_b64 s[42:43], vcc
	s_cbranch_execz .LBB11_887
; %bb.851:                              ;   in Loop: Header=BB11_47 Depth=1
	s_mov_b32 s76, 0
	s_mov_b64 s[44:45], 0
                                        ; implicit-def: $sgpr46_sgpr47
                                        ; implicit-def: $sgpr56_sgpr57
	s_branch .LBB11_853
.LBB11_852:                             ;   in Loop: Header=BB11_853 Depth=2
	s_or_b64 exec, exec, s[60:61]
	s_and_b64 s[58:59], exec, s[62:63]
	s_or_b64 s[44:45], s[58:59], s[44:45]
	s_andn2_b64 s[46:47], s[46:47], exec
	s_and_b64 s[58:59], s[56:57], exec
	s_or_b64 s[46:47], s[46:47], s[58:59]
	s_andn2_b64 exec, exec, s[44:45]
	s_cbranch_execz .LBB11_885
.LBB11_853:                             ;   Parent Loop BB11_47 Depth=1
                                        ; =>  This Inner Loop Header: Depth=2
	s_add_i32 s76, s76, 1
	s_cmpk_lg_i32 s76, 0x2710
	s_cselect_b64 s[58:59], -1, 0
	s_and_b64 vcc, exec, s[58:59]
	s_cbranch_vccz .LBB11_855
; %bb.854:                              ;   in Loop: Header=BB11_853 Depth=2
	s_mov_b64 s[62:63], -1
	s_or_b64 s[56:57], s[56:57], exec
	s_and_saveexec_b64 s[60:61], s[58:59]
	s_cbranch_execz .LBB11_852
	s_branch .LBB11_856
.LBB11_855:                             ;   in Loop: Header=BB11_853 Depth=2
	s_trap 2
	ds_read_b64 v[8:9], v0
	s_andn2_b64 s[58:59], s[58:59], exec
	s_mov_b32 s76, 0
	s_waitcnt vmcnt(0) lgkmcnt(0)
	flat_load_dword v2, v[8:9] sc0 sc1
	s_waitcnt vmcnt(0) lgkmcnt(0)
	buffer_inv sc0 sc1
	v_cmp_eq_u32_e32 vcc, 0, v2
	s_and_b64 s[60:61], vcc, exec
	s_or_b64 s[58:59], s[58:59], s[60:61]
	s_mov_b64 s[62:63], -1
	s_or_b64 s[56:57], s[56:57], exec
	s_and_saveexec_b64 s[60:61], s[58:59]
	s_cbranch_execz .LBB11_852
.LBB11_856:                             ;   in Loop: Header=BB11_853 Depth=2
	s_sleep 1
	s_trap 2
	ds_read_b64 v[8:9], v0
	s_waitcnt lgkmcnt(0)
	s_andn2_b64 s[56:57], s[56:57], exec
	v_cmp_ge_u64_e32 vcc, v[8:9], v[48:49]
	s_orn2_b64 s[62:63], vcc, exec
	s_branch .LBB11_852
.LBB11_857:                             ;   in Loop: Header=BB11_47 Depth=1
	s_or_b64 exec, exec, s[44:45]
	s_xor_b64 s[26:27], s[46:47], -1
	s_and_saveexec_b64 s[44:45], s[26:27]
	s_xor_b64 s[26:27], exec, s[44:45]
	s_cbranch_execz .LBB11_859
; %bb.858:                              ;   in Loop: Header=BB11_47 Depth=1
	v_or_b32_e32 v90, 64, v90
	s_waitcnt lgkmcnt(0)
	ds_write_b32 v0, v9
	s_trap 2
.LBB11_859:                             ;   in Loop: Header=BB11_47 Depth=1
	s_or_b64 exec, exec, s[26:27]
.LBB11_860:                             ;   in Loop: Header=BB11_47 Depth=1
	s_or_b64 exec, exec, s[42:43]
	v_and_b32_e32 v9, 0x108, v90
	v_cmp_ne_u32_e32 vcc, s98, v9
	;;#ASMSTART
	s_wakeup
	;;#ASMEND
                                        ; implicit-def: $vgpr12_vgpr13
	s_and_saveexec_b64 s[26:27], vcc
	s_xor_b64 s[26:27], exec, s[26:27]
; %bb.861:                              ;   in Loop: Header=BB11_47 Depth=1
	v_and_b32_e32 v12, 7, v44
	v_mov_b32_e32 v13, v3
                                        ; implicit-def: $vgpr44_vgpr45
; %bb.862:                              ;   in Loop: Header=BB11_47 Depth=1
	s_andn2_saveexec_b64 s[26:27], s[26:27]
	s_cbranch_execz .LBB11_864
; %bb.863:                              ;   in Loop: Header=BB11_47 Depth=1
	v_and_b32_e32 v12, 7, v44
	v_ashrrev_i32_e32 v9, 31, v8
	v_mov_b32_e32 v13, v3
	v_mad_u64_u32 v[14:15], s[42:43], v12, 24, v[6:7]
	v_lshlrev_b64 v[16:17], 1, v[8:9]
	flat_store_dwordx2 v[14:15], v[16:17] offset:8
.LBB11_864:                             ;   in Loop: Header=BB11_47 Depth=1
	s_or_b64 exec, exec, s[26:27]
	v_and_b32_e32 v9, 0x100, v90
	v_cmp_ne_u32_e32 vcc, 0, v9
	s_mov_b64 s[26:27], -1
                                        ; implicit-def: $vgpr14_vgpr15
	s_and_saveexec_b64 s[42:43], vcc
	s_cbranch_execz .LBB11_868
; %bb.865:                              ;   in Loop: Header=BB11_47 Depth=1
	v_mad_u64_u32 v[16:17], s[26:27], v12, 24, v[6:7]
	v_mov_b32_e32 v14, v17
	v_mad_u64_u32 v[14:15], s[26:27], v13, 24, v[14:15]
	v_mov_b32_e32 v17, v14
	flat_load_dword v9, v[16:17]
                                        ; implicit-def: $vgpr14_vgpr15
	s_waitcnt vmcnt(0) lgkmcnt(0)
	v_cmp_ne_u32_e32 vcc, 1, v9
	v_cmp_eq_u32_e64 s[26:27], 1, v9
	s_and_saveexec_b64 s[44:45], s[26:27]
	s_cbranch_execz .LBB11_867
; %bb.866:                              ;   in Loop: Header=BB11_47 Depth=1
	flat_load_dword v14, v[16:17] offset:4 sc0 sc1
	s_waitcnt vmcnt(0) lgkmcnt(0)
	v_ashrrev_i32_e32 v15, 31, v14
	v_lshrrev_b64 v[14:15], 1, v[14:15]
.LBB11_867:                             ;   in Loop: Header=BB11_47 Depth=1
	s_or_b64 exec, exec, s[44:45]
	s_orn2_b64 s[26:27], vcc, exec
.LBB11_868:                             ;   in Loop: Header=BB11_47 Depth=1
	s_or_b64 exec, exec, s[42:43]
	s_and_saveexec_b64 s[42:43], s[26:27]
; %bb.869:                              ;   in Loop: Header=BB11_47 Depth=1
	v_mul_lo_u32 v9, v13, v30
	v_mul_lo_u32 v13, v12, v51
	v_mad_u64_u32 v[14:15], s[26:27], v12, v30, 0
	v_add3_u32 v15, v15, v13, v9
; %bb.870:                              ;   in Loop: Header=BB11_47 Depth=1
	s_or_b64 exec, exec, s[42:43]
	v_cmp_eq_u32_e32 vcc, 0, v2
	v_lshl_add_u64 v[12:13], v[14:15], 1, v[34:35]
	s_nop 0
	v_cndmask_b32_e32 v2, v105, v104, vcc
	v_add_u32_e32 v2, v0, v2
	ds_write_b64 v2, v[12:13] offset:584
	v_and_b32_e32 v2, 0x2000, v90
	v_cmp_ne_u32_e32 vcc, 0, v2
	s_and_saveexec_b64 s[26:27], vcc
	s_cbranch_execz .LBB11_872
; %bb.871:                              ;   in Loop: Header=BB11_47 Depth=1
	ds_read_b64 v[12:13], v0 offset:872
	s_waitcnt lgkmcnt(0)
	v_lshl_add_u64 v[12:13], v[12:13], 0, 1
	ds_write_b64 v0, v[12:13] offset:872
.LBB11_872:                             ;   in Loop: Header=BB11_47 Depth=1
	s_or_b64 exec, exec, s[26:27]
	v_mov_b64_e32 v[44:45], v[10:11]
.LBB11_873:                             ;   in Loop: Header=BB11_47 Depth=1
	s_or_b64 exec, exec, s[40:41]
	s_and_saveexec_b64 s[26:27], s[6:7]
	s_cbranch_execz .LBB11_911
; %bb.874:                              ;   in Loop: Header=BB11_47 Depth=1
	s_and_saveexec_b64 s[40:41], s[78:79]
	s_xor_b64 s[40:41], exec, s[40:41]
	s_cbranch_execz .LBB11_908
; %bb.875:                              ;   in Loop: Header=BB11_47 Depth=1
	s_and_saveexec_b64 s[42:43], s[14:15]
	s_cbranch_execz .LBB11_907
; %bb.876:                              ;   in Loop: Header=BB11_47 Depth=1
	s_mov_b64 s[46:47], exec
	v_mbcnt_lo_u32_b32 v2, s46, 0
	v_mbcnt_hi_u32_b32 v2, s47, v2
	v_cmp_eq_u32_e32 vcc, 0, v2
	s_waitcnt lgkmcnt(0)
	s_and_saveexec_b64 s[44:45], vcc
	s_cbranch_execz .LBB11_878
; %bb.877:                              ;   in Loop: Header=BB11_47 Depth=1
	s_bcnt1_i32_b64 s46, s[46:47]
	v_mov_b32_e32 v2, s46
	ds_add_u64 v0, v[2:3]
	s_trap 2
.LBB11_878:                             ;   in Loop: Header=BB11_47 Depth=1
	s_or_b64 exec, exec, s[44:45]
	s_trap 2
	ds_read_b64 v[10:11], v0
	s_waitcnt lgkmcnt(0)
	v_lshl_add_u64 v[48:49], v[48:49], 0, v[52:53]
	v_cmp_lt_u64_e32 vcc, v[10:11], v[48:49]
	s_and_saveexec_b64 s[44:45], vcc
	s_cbranch_execz .LBB11_906
; %bb.879:                              ;   in Loop: Header=BB11_47 Depth=1
	s_mov_b32 s76, 0
	s_mov_b64 s[46:47], 0
                                        ; implicit-def: $sgpr56_sgpr57
                                        ; implicit-def: $sgpr58_sgpr59
	s_branch .LBB11_881
.LBB11_880:                             ;   in Loop: Header=BB11_881 Depth=2
	s_or_b64 exec, exec, s[62:63]
	s_and_b64 s[60:61], exec, vcc
	s_or_b64 s[46:47], s[60:61], s[46:47]
	s_andn2_b64 s[56:57], s[56:57], exec
	s_and_b64 s[60:61], s[58:59], exec
	s_or_b64 s[56:57], s[56:57], s[60:61]
	s_andn2_b64 exec, exec, s[46:47]
	s_cbranch_execz .LBB11_904
.LBB11_881:                             ;   Parent Loop BB11_47 Depth=1
                                        ; =>  This Inner Loop Header: Depth=2
	s_add_i32 s76, s76, 1
	s_cmpk_lg_i32 s76, 0x2710
	s_cselect_b64 s[60:61], -1, 0
	s_and_b64 vcc, exec, s[60:61]
	s_cbranch_vccz .LBB11_883
; %bb.882:                              ;   in Loop: Header=BB11_881 Depth=2
	s_mov_b64 vcc, -1
	s_or_b64 s[58:59], s[58:59], exec
	s_and_saveexec_b64 s[62:63], s[60:61]
	s_cbranch_execz .LBB11_880
	s_branch .LBB11_884
.LBB11_883:                             ;   in Loop: Header=BB11_881 Depth=2
	s_trap 2
	ds_read_b64 v[10:11], v0
	s_andn2_b64 s[60:61], s[60:61], exec
	s_mov_b32 s76, 0
	s_waitcnt vmcnt(0) lgkmcnt(0)
	flat_load_dword v2, v[10:11] sc0 sc1
	s_waitcnt vmcnt(0) lgkmcnt(0)
	buffer_inv sc0 sc1
	v_cmp_eq_u32_e32 vcc, 0, v2
	s_and_b64 s[62:63], vcc, exec
	s_or_b64 s[60:61], s[60:61], s[62:63]
	s_mov_b64 vcc, -1
	s_or_b64 s[58:59], s[58:59], exec
	s_and_saveexec_b64 s[62:63], s[60:61]
	s_cbranch_execz .LBB11_880
.LBB11_884:                             ;   in Loop: Header=BB11_881 Depth=2
	s_sleep 1
	s_trap 2
	ds_read_b64 v[10:11], v0
	s_waitcnt lgkmcnt(0)
	s_andn2_b64 s[58:59], s[58:59], exec
	v_cmp_ge_u64_e32 vcc, v[10:11], v[48:49]
	s_orn2_b64 vcc, vcc, exec
	s_branch .LBB11_880
.LBB11_885:                             ;   in Loop: Header=BB11_47 Depth=1
	s_or_b64 exec, exec, s[44:45]
	s_and_saveexec_b64 s[44:45], s[46:47]
	s_xor_b64 s[44:45], exec, s[44:45]
	s_cbranch_execz .LBB11_887
; %bb.886:                              ;   in Loop: Header=BB11_47 Depth=1
	ds_write_b32 v0, v94
	s_trap 2
.LBB11_887:                             ;   in Loop: Header=BB11_47 Depth=1
	s_or_b64 exec, exec, s[42:43]
	;;#ASMSTART
	s_wakeup
	;;#ASMEND
.LBB11_888:                             ;   in Loop: Header=BB11_47 Depth=1
	s_or_b64 exec, exec, s[40:41]
.LBB11_889:                             ;   in Loop: Header=BB11_47 Depth=1
	s_andn2_saveexec_b64 s[28:29], s[28:29]
	s_cbranch_execz .LBB11_891
; %bb.890:                              ;   in Loop: Header=BB11_47 Depth=1
	s_waitcnt lgkmcnt(0)
	s_barrier
.LBB11_891:                             ;   in Loop: Header=BB11_47 Depth=1
	s_or_b64 exec, exec, s[28:29]
.LBB11_892:                             ;   in Loop: Header=BB11_47 Depth=1
	s_or_b64 exec, exec, s[26:27]
	s_trap 2
	ds_read_b32 v8, v0
	v_and_b32_e32 v2, 0x4000, v90
	v_cmp_ne_u32_e32 vcc, 0, v2
	s_xor_b64 s[26:27], s[4:5], -1
	s_and_b64 s[28:29], s[26:27], vcc
	s_and_saveexec_b64 s[26:27], s[28:29]
	s_cbranch_execz .LBB11_934
; %bb.893:                              ;   in Loop: Header=BB11_47 Depth=1
	s_and_saveexec_b64 s[28:29], s[78:79]
	s_xor_b64 s[28:29], exec, s[28:29]
	s_cbranch_execz .LBB11_931
; %bb.894:                              ;   in Loop: Header=BB11_47 Depth=1
	s_and_saveexec_b64 s[40:41], s[14:15]
	s_cbranch_execz .LBB11_930
; %bb.895:                              ;   in Loop: Header=BB11_47 Depth=1
	s_mov_b64 s[44:45], exec
	v_mbcnt_lo_u32_b32 v2, s44, 0
	v_mbcnt_hi_u32_b32 v2, s45, v2
	v_cmp_eq_u32_e32 vcc, 0, v2
	s_waitcnt lgkmcnt(0)
	s_and_saveexec_b64 s[42:43], vcc
	s_cbranch_execz .LBB11_897
; %bb.896:                              ;   in Loop: Header=BB11_47 Depth=1
	s_bcnt1_i32_b64 s44, s[44:45]
	v_mov_b32_e32 v2, s44
	ds_add_u64 v0, v[2:3]
	s_trap 2
.LBB11_897:                             ;   in Loop: Header=BB11_47 Depth=1
	s_or_b64 exec, exec, s[42:43]
	s_trap 2
	ds_read_b64 v[10:11], v0
	s_waitcnt lgkmcnt(0)
	v_lshl_add_u64 v[48:49], v[48:49], 0, v[52:53]
	v_cmp_lt_u64_e32 vcc, v[10:11], v[48:49]
	s_and_saveexec_b64 s[42:43], vcc
	s_cbranch_execz .LBB11_929
; %bb.898:                              ;   in Loop: Header=BB11_47 Depth=1
	s_mov_b32 s76, 0
	s_mov_b64 s[44:45], 0
                                        ; implicit-def: $sgpr46_sgpr47
                                        ; implicit-def: $sgpr56_sgpr57
	s_branch .LBB11_900
.LBB11_899:                             ;   in Loop: Header=BB11_900 Depth=2
	s_or_b64 exec, exec, s[60:61]
	s_and_b64 s[58:59], exec, s[62:63]
	s_or_b64 s[44:45], s[58:59], s[44:45]
	s_andn2_b64 s[46:47], s[46:47], exec
	s_and_b64 s[58:59], s[56:57], exec
	s_or_b64 s[46:47], s[46:47], s[58:59]
	s_andn2_b64 exec, exec, s[44:45]
	s_cbranch_execz .LBB11_927
.LBB11_900:                             ;   Parent Loop BB11_47 Depth=1
                                        ; =>  This Inner Loop Header: Depth=2
	s_add_i32 s76, s76, 1
	s_cmpk_lg_i32 s76, 0x2710
	s_cselect_b64 s[58:59], -1, 0
	s_and_b64 vcc, exec, s[58:59]
	s_cbranch_vccz .LBB11_902
; %bb.901:                              ;   in Loop: Header=BB11_900 Depth=2
	s_mov_b64 s[62:63], -1
	s_or_b64 s[56:57], s[56:57], exec
	s_and_saveexec_b64 s[60:61], s[58:59]
	s_cbranch_execz .LBB11_899
	s_branch .LBB11_903
.LBB11_902:                             ;   in Loop: Header=BB11_900 Depth=2
	s_trap 2
	ds_read_b64 v[10:11], v0
	s_andn2_b64 s[58:59], s[58:59], exec
	s_mov_b32 s76, 0
	s_waitcnt vmcnt(0) lgkmcnt(0)
	flat_load_dword v2, v[10:11] sc0 sc1
	s_waitcnt vmcnt(0) lgkmcnt(0)
	buffer_inv sc0 sc1
	v_cmp_eq_u32_e32 vcc, 0, v2
	s_and_b64 s[60:61], vcc, exec
	s_or_b64 s[58:59], s[58:59], s[60:61]
	s_mov_b64 s[62:63], -1
	s_or_b64 s[56:57], s[56:57], exec
	s_and_saveexec_b64 s[60:61], s[58:59]
	s_cbranch_execz .LBB11_899
.LBB11_903:                             ;   in Loop: Header=BB11_900 Depth=2
	s_sleep 1
	s_trap 2
	ds_read_b64 v[10:11], v0
	s_waitcnt lgkmcnt(0)
	s_andn2_b64 s[56:57], s[56:57], exec
	v_cmp_ge_u64_e32 vcc, v[10:11], v[48:49]
	s_orn2_b64 s[62:63], vcc, exec
	s_branch .LBB11_899
.LBB11_904:                             ;   in Loop: Header=BB11_47 Depth=1
	s_or_b64 exec, exec, s[46:47]
	s_and_saveexec_b64 s[46:47], s[56:57]
	s_xor_b64 s[46:47], exec, s[46:47]
	s_cbranch_execz .LBB11_906
; %bb.905:                              ;   in Loop: Header=BB11_47 Depth=1
	ds_write_b32 v0, v94
	s_trap 2
.LBB11_906:                             ;   in Loop: Header=BB11_47 Depth=1
	s_or_b64 exec, exec, s[44:45]
	;;#ASMSTART
	s_wakeup
	;;#ASMEND
.LBB11_907:                             ;   in Loop: Header=BB11_47 Depth=1
	s_or_b64 exec, exec, s[42:43]
.LBB11_908:                             ;   in Loop: Header=BB11_47 Depth=1
	s_andn2_saveexec_b64 s[40:41], s[40:41]
	s_cbranch_execz .LBB11_910
; %bb.909:                              ;   in Loop: Header=BB11_47 Depth=1
	s_waitcnt lgkmcnt(0)
	s_barrier
.LBB11_910:                             ;   in Loop: Header=BB11_47 Depth=1
	s_or_b64 exec, exec, s[40:41]
.LBB11_911:                             ;   in Loop: Header=BB11_47 Depth=1
	s_or_b64 exec, exec, s[26:27]
	v_and_b32_e32 v9, 16, v90
	s_and_saveexec_b64 s[26:27], s[22:23]
	s_xor_b64 s[26:27], exec, s[26:27]
	s_cbranch_execz .LBB11_915
; %bb.912:                              ;   in Loop: Header=BB11_47 Depth=1
	s_trap 2
	ds_read_b32 v2, v0
	v_cmp_lt_i32_e32 vcc, 0, v8
	v_and_b32_e32 v8, 16, v90
	v_and_b32_e32 v9, 16, v90
	s_waitcnt lgkmcnt(0)
	v_readfirstlane_b32 s40, v2
	s_cmp_eq_u32 s40, 0
	s_cselect_b64 s[40:41], -1, 0
	s_and_b64 s[40:41], vcc, s[40:41]
	v_cmp_ne_u32_e32 vcc, 0, v8
	s_and_b64 s[42:43], vcc, s[40:41]
	s_and_saveexec_b64 s[40:41], s[42:43]
	s_cbranch_execz .LBB11_914
; %bb.913:                              ;   in Loop: Header=BB11_47 Depth=1
	v_mov_b32_e32 v9, 1
	buffer_wbl2 sc1
	s_waitcnt vmcnt(0)
	buffer_inv sc1
.LBB11_914:                             ;   in Loop: Header=BB11_47 Depth=1
	s_or_b64 exec, exec, s[40:41]
.LBB11_915:                             ;   in Loop: Header=BB11_47 Depth=1
	s_andn2_saveexec_b64 s[26:27], s[26:27]
	s_cbranch_execz .LBB11_1067
; %bb.916:                              ;   in Loop: Header=BB11_47 Depth=1
	s_and_saveexec_b64 s[40:41], s[78:79]
	s_xor_b64 s[40:41], exec, s[40:41]
	s_cbranch_execz .LBB11_1064
; %bb.917:                              ;   in Loop: Header=BB11_47 Depth=1
	s_and_saveexec_b64 s[42:43], s[14:15]
	s_cbranch_execz .LBB11_1063
; %bb.918:                              ;   in Loop: Header=BB11_47 Depth=1
	s_mov_b64 s[46:47], exec
	v_mbcnt_lo_u32_b32 v2, s46, 0
	v_mbcnt_hi_u32_b32 v2, s47, v2
	v_cmp_eq_u32_e32 vcc, 0, v2
	;;#ASMSTART
	s_waitcnt lgkmcnt(0) vmcnt(0)
	;;#ASMEND
	s_and_saveexec_b64 s[44:45], vcc
	s_cbranch_execz .LBB11_920
; %bb.919:                              ;   in Loop: Header=BB11_47 Depth=1
	s_bcnt1_i32_b64 s46, s[46:47]
	v_mov_b32_e32 v2, s46
	s_waitcnt lgkmcnt(0)
	ds_add_u64 v0, v[2:3]
	s_trap 2
.LBB11_920:                             ;   in Loop: Header=BB11_47 Depth=1
	s_or_b64 exec, exec, s[44:45]
	s_trap 2
	ds_read_b64 v[10:11], v0
	s_waitcnt lgkmcnt(0)
	v_lshl_add_u64 v[48:49], v[48:49], 0, v[52:53]
	v_cmp_lt_u64_e32 vcc, v[10:11], v[48:49]
	s_and_saveexec_b64 s[44:45], vcc
	s_cbranch_execz .LBB11_1062
; %bb.921:                              ;   in Loop: Header=BB11_47 Depth=1
	s_mov_b32 s76, 0
	s_mov_b64 s[46:47], 0
                                        ; implicit-def: $sgpr56_sgpr57
                                        ; implicit-def: $sgpr58_sgpr59
	s_branch .LBB11_923
.LBB11_922:                             ;   in Loop: Header=BB11_923 Depth=2
	s_or_b64 exec, exec, s[62:63]
	s_and_b64 s[60:61], exec, vcc
	s_or_b64 s[46:47], s[60:61], s[46:47]
	s_andn2_b64 s[56:57], s[56:57], exec
	s_and_b64 s[60:61], s[58:59], exec
	s_or_b64 s[56:57], s[56:57], s[60:61]
	s_andn2_b64 exec, exec, s[46:47]
	s_cbranch_execz .LBB11_1060
.LBB11_923:                             ;   Parent Loop BB11_47 Depth=1
                                        ; =>  This Inner Loop Header: Depth=2
	s_add_i32 s76, s76, 1
	s_cmpk_lg_i32 s76, 0x2710
	s_cselect_b64 s[60:61], -1, 0
	s_and_b64 vcc, exec, s[60:61]
	s_cbranch_vccz .LBB11_925
; %bb.924:                              ;   in Loop: Header=BB11_923 Depth=2
	s_mov_b64 vcc, -1
	s_or_b64 s[58:59], s[58:59], exec
	s_and_saveexec_b64 s[62:63], s[60:61]
	s_cbranch_execz .LBB11_922
	s_branch .LBB11_926
.LBB11_925:                             ;   in Loop: Header=BB11_923 Depth=2
	s_trap 2
	ds_read_b64 v[10:11], v0
	s_andn2_b64 s[60:61], s[60:61], exec
	s_mov_b32 s76, 0
	s_waitcnt vmcnt(0) lgkmcnt(0)
	flat_load_dword v2, v[10:11] sc0 sc1
	s_waitcnt vmcnt(0) lgkmcnt(0)
	buffer_inv sc0 sc1
	v_cmp_eq_u32_e32 vcc, 0, v2
	s_and_b64 s[62:63], vcc, exec
	s_or_b64 s[60:61], s[60:61], s[62:63]
	s_mov_b64 vcc, -1
	s_or_b64 s[58:59], s[58:59], exec
	s_and_saveexec_b64 s[62:63], s[60:61]
	s_cbranch_execz .LBB11_922
.LBB11_926:                             ;   in Loop: Header=BB11_923 Depth=2
	s_sleep 1
	s_trap 2
	ds_read_b64 v[10:11], v0
	s_waitcnt lgkmcnt(0)
	s_andn2_b64 s[58:59], s[58:59], exec
	v_cmp_ge_u64_e32 vcc, v[10:11], v[48:49]
	s_orn2_b64 vcc, vcc, exec
	s_branch .LBB11_922
.LBB11_927:                             ;   in Loop: Header=BB11_47 Depth=1
	s_or_b64 exec, exec, s[44:45]
	s_and_saveexec_b64 s[44:45], s[46:47]
	s_xor_b64 s[44:45], exec, s[44:45]
	s_cbranch_execz .LBB11_929
; %bb.928:                              ;   in Loop: Header=BB11_47 Depth=1
	ds_write_b32 v0, v94
	s_trap 2
.LBB11_929:                             ;   in Loop: Header=BB11_47 Depth=1
	s_or_b64 exec, exec, s[42:43]
	;;#ASMSTART
	s_wakeup
	;;#ASMEND
.LBB11_930:                             ;   in Loop: Header=BB11_47 Depth=1
	s_or_b64 exec, exec, s[40:41]
.LBB11_931:                             ;   in Loop: Header=BB11_47 Depth=1
	s_andn2_saveexec_b64 s[28:29], s[28:29]
	s_cbranch_execz .LBB11_933
; %bb.932:                              ;   in Loop: Header=BB11_47 Depth=1
	s_waitcnt lgkmcnt(0)
	s_barrier
.LBB11_933:                             ;   in Loop: Header=BB11_47 Depth=1
	s_or_b64 exec, exec, s[28:29]
.LBB11_934:                             ;   in Loop: Header=BB11_47 Depth=1
	s_or_b64 exec, exec, s[26:27]
	s_trap 2
	ds_read_b64 v[58:59], v0
	s_waitcnt lgkmcnt(0)
	v_cmp_eq_u64_e32 vcc, 0, v[58:59]
	s_cbranch_vccnz .LBB11_943
; %bb.935:                              ;   in Loop: Header=BB11_47 Depth=1
	s_trap 2
	ds_read_b64 v[22:23], v0
	s_waitcnt lgkmcnt(0)
	v_cmp_eq_u64_e32 vcc, 0, v[22:23]
	s_cbranch_vccnz .LBB11_943
; %bb.936:                              ;   in Loop: Header=BB11_47 Depth=1
	s_trap 2
	ds_read_b64 v[60:61], v0
	v_cmp_eq_u32_e32 vcc, 0, v8
	s_waitcnt lgkmcnt(0)
	v_readfirstlane_b32 s48, v60
	v_cndmask_b32_e32 v21, 0, v20, vcc
	v_cmp_ne_u64_e32 vcc, 0, v[60:61]
	s_cbranch_vccz .LBB11_944
; %bb.937:                              ;   in Loop: Header=BB11_47 Depth=1
	s_trap 2
	ds_read_b64 v[62:63], v0
	s_mov_b64 s[26:27], -1
	s_and_saveexec_b64 s[28:29], s[20:21]
	s_cbranch_execz .LBB11_939
; %bb.938:                              ;   in Loop: Header=BB11_47 Depth=1
	ds_read_b32 v2, v0 offset:720
	s_waitcnt lgkmcnt(0)
	v_and_b32_e32 v2, 15, v2
	v_cmp_eq_u32_e32 vcc, 0, v2
	s_orn2_b64 s[26:27], vcc, exec
.LBB11_939:                             ;   in Loop: Header=BB11_47 Depth=1
	s_or_b64 exec, exec, s[28:29]
	s_and_saveexec_b64 s[28:29], s[20:21]
	s_cbranch_execz .LBB11_941
; %bb.940:                              ;   in Loop: Header=BB11_47 Depth=1
	ds_read_b32 v2, v0 offset:784
	s_waitcnt lgkmcnt(0)
	v_and_b32_e32 v2, 15, v2
	v_cmp_eq_u32_e32 vcc, 0, v2
	s_and_b64 s[40:41], s[26:27], vcc
	s_andn2_b64 s[26:27], s[26:27], exec
	s_and_b64 s[40:41], s[40:41], exec
	s_or_b64 s[26:27], s[26:27], s[40:41]
.LBB11_941:                             ;   in Loop: Header=BB11_47 Depth=1
	s_or_b64 exec, exec, s[28:29]
	s_xor_b64 s[26:27], s[26:27], -1
	v_cndmask_b32_e64 v8, 0, 1, s[26:27]
	v_lshlrev_b32_e32 v108, 1, v21
	s_mov_b64 s[28:29], -1
	v_mov_b32_e32 v2, 0
	v_cmp_ne_u32_e32 vcc, 0, v8
	s_cbranch_vccz .LBB11_946
; %bb.942:                              ;   in Loop: Header=BB11_47 Depth=1
	v_mov_b32_e32 v18, v0
	s_and_saveexec_b64 s[42:43], s[28:29]
	s_cbranch_execnz .LBB11_1025
	s_branch .LBB11_1083
.LBB11_943:                             ;   in Loop: Header=BB11_47 Depth=1
	s_mov_b64 s[26:27], 0
	s_and_saveexec_b64 s[28:29], s[6:7]
	s_cbranch_execz .LBB11_1228
	s_branch .LBB11_1210
.LBB11_944:                             ;   in Loop: Header=BB11_47 Depth=1
	s_cbranch_execnz .LBB11_1084
.LBB11_945:                             ;   in Loop: Header=BB11_47 Depth=1
	v_cmp_lt_i32_e64 s[26:27], 0, v21
	s_and_saveexec_b64 s[28:29], s[6:7]
	s_cbranch_execnz .LBB11_1210
	s_branch .LBB11_1228
.LBB11_946:                             ;   in Loop: Header=BB11_47 Depth=1
	v_ashrrev_i32_e32 v2, 31, v108
	v_lshrrev_b32_e32 v2, 22, v2
	v_add_u32_e32 v2, v108, v2
	v_and_b32_e32 v110, 0xfffffc00, v2
	v_ashrrev_i32_e32 v8, 10, v2
	v_sub_u32_e32 v120, v108, v110
	v_sub_u32_e32 v2, v8, v92
	v_cmp_lt_i32_e64 s[26:27], 15, v120
	v_sub_u32_e32 v109, v108, v54
	s_nop 0
	v_addc_co_u32_e64 v111, vcc, 0, v2, s[26:27]
	v_cmp_lt_i32_e32 vcc, 15, v109
	s_and_saveexec_b64 s[54:55], vcc
	s_cbranch_execz .LBB11_984
; %bb.947:                              ;   in Loop: Header=BB11_47 Depth=1
	s_trap 2
	ds_read_b64 v[8:9], v0
	s_and_b32 s76, s48, 1
	s_cmp_eq_u64 s[76:77], 0
	s_waitcnt lgkmcnt(0)
	v_lshl_add_u64 v[72:73], v[62:63], 0, v[54:55]
	v_lshl_add_u64 v[74:75], v[22:23], 0, v[54:55]
	;; [unrolled: 1-line block ×5, first 2 shown]
	s_mov_b64 s[64:65], 0
	s_cselect_b64 s[28:29], -1, 0
.LBB11_948:                             ;   Parent Loop BB11_47 Depth=1
                                        ; =>  This Loop Header: Depth=2
                                        ;       Child Loop BB11_981 Depth 3
	global_load_dwordx4 v[12:15], v[88:89], off nt
	global_load_dwordx4 v[16:19], v[78:79], off nt
	;; [unrolled: 1-line block ×3, first 2 shown]
	s_waitcnt vmcnt(0)
	v_lshlrev_b32_e32 v2, 16, v12
	v_lshlrev_b32_e32 v121, 16, v16
	v_max_f32_e32 v2, v2, v2
	v_max_f32_e32 v121, v121, v121
	v_min_f32_e32 v122, v121, v2
	v_max_f32_e32 v2, v121, v2
	v_cndmask_b32_e64 v2, v2, v122, s[28:29]
	v_and_b32_e32 v121, 0x7f800000, v2
	v_cmp_ne_u32_e32 vcc, s99, v121
                                        ; implicit-def: $vgpr121
	s_and_saveexec_b64 s[40:41], vcc
	s_xor_b64 s[40:41], exec, s[40:41]
; %bb.949:                              ;   in Loop: Header=BB11_948 Depth=2
	v_bfe_u32 v121, v2, 16, 1
	v_add3_u32 v121, v2, v121, s74
                                        ; implicit-def: $vgpr2
; %bb.950:                              ;   in Loop: Header=BB11_948 Depth=2
	s_andn2_saveexec_b64 s[40:41], s[40:41]
; %bb.951:                              ;   in Loop: Header=BB11_948 Depth=2
	v_or_b32_e32 v121, 0x10000, v2
	v_cmp_eq_u32_sdwa vcc, v2, v3 src0_sel:WORD_0 src1_sel:DWORD
	s_nop 1
	v_cndmask_b32_e32 v121, v121, v2, vcc
; %bb.952:                              ;   in Loop: Header=BB11_948 Depth=2
	s_or_b64 exec, exec, s[40:41]
	v_and_b32_e32 v2, 0xffff0000, v12
	v_and_b32_e32 v12, 0xffff0000, v16
	v_max_f32_e32 v2, v2, v2
	v_max_f32_e32 v12, v12, v12
	v_min_f32_e32 v16, v12, v2
	v_max_f32_e32 v2, v12, v2
	v_cndmask_b32_e64 v12, v2, v16, s[28:29]
	v_and_b32_e32 v2, 0x7f800000, v12
	v_cmp_ne_u32_e32 vcc, s99, v2
                                        ; implicit-def: $vgpr2
	s_and_saveexec_b64 s[40:41], vcc
	s_xor_b64 s[40:41], exec, s[40:41]
; %bb.953:                              ;   in Loop: Header=BB11_948 Depth=2
	v_bfe_u32 v2, v12, 16, 1
	v_add3_u32 v2, v12, v2, s74
                                        ; implicit-def: $vgpr12
; %bb.954:                              ;   in Loop: Header=BB11_948 Depth=2
	s_andn2_saveexec_b64 s[40:41], s[40:41]
; %bb.955:                              ;   in Loop: Header=BB11_948 Depth=2
	v_or_b32_e32 v2, 0x10000, v12
	v_cmp_eq_u32_sdwa vcc, v12, v3 src0_sel:WORD_0 src1_sel:DWORD
	s_nop 1
	v_cndmask_b32_e32 v2, v2, v12, vcc
; %bb.956:                              ;   in Loop: Header=BB11_948 Depth=2
	s_or_b64 exec, exec, s[40:41]
	v_lshlrev_b32_e32 v12, 16, v13
	v_lshlrev_b32_e32 v16, 16, v17
	v_max_f32_e32 v12, v12, v12
	v_max_f32_e32 v16, v16, v16
	v_min_f32_e32 v122, v16, v12
	v_max_f32_e32 v12, v16, v12
	v_cndmask_b32_e64 v12, v12, v122, s[28:29]
	v_and_b32_e32 v16, 0x7f800000, v12
	v_cmp_ne_u32_e32 vcc, s99, v16
                                        ; implicit-def: $vgpr16
	s_and_saveexec_b64 s[40:41], vcc
	s_xor_b64 s[40:41], exec, s[40:41]
; %bb.957:                              ;   in Loop: Header=BB11_948 Depth=2
	v_bfe_u32 v16, v12, 16, 1
	v_add3_u32 v16, v12, v16, s74
                                        ; implicit-def: $vgpr12
; %bb.958:                              ;   in Loop: Header=BB11_948 Depth=2
	s_andn2_saveexec_b64 s[40:41], s[40:41]
; %bb.959:                              ;   in Loop: Header=BB11_948 Depth=2
	v_or_b32_e32 v16, 0x10000, v12
	v_cmp_eq_u32_sdwa vcc, v12, v3 src0_sel:WORD_0 src1_sel:DWORD
	s_nop 1
	v_cndmask_b32_e32 v16, v16, v12, vcc
; %bb.960:                              ;   in Loop: Header=BB11_948 Depth=2
	s_or_b64 exec, exec, s[40:41]
	v_and_b32_e32 v12, 0xffff0000, v17
	v_and_b32_e32 v13, 0xffff0000, v13
	v_max_f32_e32 v13, v13, v13
	v_max_f32_e32 v12, v12, v12
	v_min_f32_e32 v17, v12, v13
	v_max_f32_e32 v12, v12, v13
	v_cndmask_b32_e64 v13, v12, v17, s[28:29]
	v_and_b32_e32 v12, 0x7f800000, v13
	v_cmp_ne_u32_e32 vcc, s99, v12
                                        ; implicit-def: $vgpr12
	s_and_saveexec_b64 s[40:41], vcc
	s_xor_b64 s[40:41], exec, s[40:41]
; %bb.961:                              ;   in Loop: Header=BB11_948 Depth=2
	v_bfe_u32 v12, v13, 16, 1
	v_add3_u32 v12, v13, v12, s74
                                        ; implicit-def: $vgpr13
; %bb.962:                              ;   in Loop: Header=BB11_948 Depth=2
	s_andn2_saveexec_b64 s[40:41], s[40:41]
; %bb.963:                              ;   in Loop: Header=BB11_948 Depth=2
	v_or_b32_e32 v12, 0x10000, v13
	v_cmp_eq_u32_sdwa vcc, v13, v3 src0_sel:WORD_0 src1_sel:DWORD
	s_nop 1
	v_cndmask_b32_e32 v12, v12, v13, vcc
; %bb.964:                              ;   in Loop: Header=BB11_948 Depth=2
	s_or_b64 exec, exec, s[40:41]
	v_lshlrev_b32_e32 v13, 16, v14
	v_lshlrev_b32_e32 v17, 16, v18
	v_max_f32_e32 v13, v13, v13
	v_max_f32_e32 v17, v17, v17
	v_min_f32_e32 v122, v17, v13
	v_max_f32_e32 v13, v17, v13
	v_cndmask_b32_e64 v13, v13, v122, s[28:29]
	v_and_b32_e32 v17, 0x7f800000, v13
	v_cmp_ne_u32_e32 vcc, s99, v17
                                        ; implicit-def: $vgpr17
	s_and_saveexec_b64 s[40:41], vcc
	s_xor_b64 s[40:41], exec, s[40:41]
; %bb.965:                              ;   in Loop: Header=BB11_948 Depth=2
	v_bfe_u32 v17, v13, 16, 1
	v_add3_u32 v17, v13, v17, s74
                                        ; implicit-def: $vgpr13
; %bb.966:                              ;   in Loop: Header=BB11_948 Depth=2
	s_andn2_saveexec_b64 s[40:41], s[40:41]
; %bb.967:                              ;   in Loop: Header=BB11_948 Depth=2
	v_or_b32_e32 v17, 0x10000, v13
	v_cmp_eq_u32_sdwa vcc, v13, v3 src0_sel:WORD_0 src1_sel:DWORD
	s_nop 1
	v_cndmask_b32_e32 v17, v17, v13, vcc
; %bb.968:                              ;   in Loop: Header=BB11_948 Depth=2
	s_or_b64 exec, exec, s[40:41]
	v_and_b32_e32 v13, 0xffff0000, v18
	v_and_b32_e32 v14, 0xffff0000, v14
	v_max_f32_e32 v14, v14, v14
	v_max_f32_e32 v13, v13, v13
	v_min_f32_e32 v18, v13, v14
	v_max_f32_e32 v13, v13, v14
	v_cndmask_b32_e64 v13, v13, v18, s[28:29]
	v_and_b32_e32 v14, 0x7f800000, v13
	v_cmp_ne_u32_e32 vcc, s99, v14
                                        ; implicit-def: $vgpr18
	s_and_saveexec_b64 s[40:41], vcc
	s_xor_b64 s[40:41], exec, s[40:41]
; %bb.969:                              ;   in Loop: Header=BB11_948 Depth=2
	v_bfe_u32 v14, v13, 16, 1
	v_add3_u32 v18, v13, v14, s74
                                        ; implicit-def: $vgpr13
; %bb.970:                              ;   in Loop: Header=BB11_948 Depth=2
	s_andn2_saveexec_b64 s[40:41], s[40:41]
; %bb.971:                              ;   in Loop: Header=BB11_948 Depth=2
	v_or_b32_e32 v14, 0x10000, v13
	v_cmp_eq_u32_sdwa vcc, v13, v3 src0_sel:WORD_0 src1_sel:DWORD
	s_nop 1
	v_cndmask_b32_e32 v18, v14, v13, vcc
; %bb.972:                              ;   in Loop: Header=BB11_948 Depth=2
	s_or_b64 exec, exec, s[40:41]
	v_lshlrev_b32_e32 v13, 16, v15
	v_lshlrev_b32_e32 v14, 16, v19
	v_max_f32_e32 v13, v13, v13
	v_max_f32_e32 v14, v14, v14
	v_min_f32_e32 v122, v14, v13
	v_max_f32_e32 v13, v14, v13
	v_cndmask_b32_e64 v13, v13, v122, s[28:29]
	v_and_b32_e32 v14, 0x7f800000, v13
	v_cmp_ne_u32_e32 vcc, s99, v14
                                        ; implicit-def: $vgpr14
	s_and_saveexec_b64 s[40:41], vcc
	s_xor_b64 s[40:41], exec, s[40:41]
; %bb.973:                              ;   in Loop: Header=BB11_948 Depth=2
	v_bfe_u32 v14, v13, 16, 1
	v_add3_u32 v14, v13, v14, s74
                                        ; implicit-def: $vgpr13
; %bb.974:                              ;   in Loop: Header=BB11_948 Depth=2
	s_andn2_saveexec_b64 s[40:41], s[40:41]
; %bb.975:                              ;   in Loop: Header=BB11_948 Depth=2
	v_or_b32_e32 v14, 0x10000, v13
	v_cmp_eq_u32_sdwa vcc, v13, v3 src0_sel:WORD_0 src1_sel:DWORD
	s_nop 1
	v_cndmask_b32_e32 v14, v14, v13, vcc
; %bb.976:                              ;   in Loop: Header=BB11_948 Depth=2
	s_or_b64 exec, exec, s[40:41]
	v_and_b32_e32 v13, 0xffff0000, v19
	v_and_b32_e32 v15, 0xffff0000, v15
	v_max_f32_e32 v15, v15, v15
	v_max_f32_e32 v13, v13, v13
	v_min_f32_e32 v19, v13, v15
	v_max_f32_e32 v13, v13, v15
	v_cndmask_b32_e64 v13, v13, v19, s[28:29]
	v_and_b32_e32 v15, 0x7f800000, v13
	v_cmp_ne_u32_e32 vcc, s99, v15
                                        ; implicit-def: $vgpr15
	s_and_saveexec_b64 s[40:41], vcc
	s_xor_b64 s[40:41], exec, s[40:41]
; %bb.977:                              ;   in Loop: Header=BB11_948 Depth=2
	v_bfe_u32 v15, v13, 16, 1
	v_add3_u32 v15, v13, v15, s74
                                        ; implicit-def: $vgpr13
; %bb.978:                              ;   in Loop: Header=BB11_948 Depth=2
	s_andn2_saveexec_b64 s[40:41], s[40:41]
; %bb.979:                              ;   in Loop: Header=BB11_948 Depth=2
	v_or_b32_e32 v15, 0x10000, v13
	v_cmp_eq_u32_sdwa vcc, v13, v3 src0_sel:WORD_0 src1_sel:DWORD
	s_nop 1
	v_cndmask_b32_e32 v15, v15, v13, vcc
; %bb.980:                              ;   in Loop: Header=BB11_948 Depth=2
	s_or_b64 exec, exec, s[40:41]
	v_and_b32_e32 v122, 0xffff0000, v2
	v_or_b32_sdwa v2, v122, v121 dst_sel:DWORD dst_unused:UNUSED_PAD src0_sel:DWORD src1_sel:WORD_1
	v_and_b32_e32 v124, 0xffff0000, v8
	v_and_b32_e32 v121, 0xffff0000, v121
	v_lshlrev_b32_e32 v8, 16, v8
	v_max_f32_e32 v121, v121, v121
	v_max_f32_e32 v8, v8, v8
	v_min_f32_e32 v125, v121, v8
	v_max_f32_e32 v8, v121, v8
	v_cndmask_b32_e64 v8, v8, v125, s[28:29]
	v_and_b32_e32 v121, 0x7f800000, v8
	v_cmp_eq_u32_e32 vcc, s99, v121
	v_bfe_u32 v121, v8, 16, 1
	v_cmp_eq_u32_sdwa s[40:41], v8, v3 src0_sel:WORD_0 src1_sel:DWORD
	v_or_b32_e32 v125, 0x10000, v8
	v_max_f32_e32 v122, v122, v122
	v_max_f32_e32 v124, v124, v124
	v_add3_u32 v121, v8, v121, s74
	v_cndmask_b32_e64 v8, v125, v8, s[40:41]
	v_min_f32_e32 v125, v122, v124
	v_max_f32_e32 v122, v122, v124
	v_cndmask_b32_e64 v122, v122, v125, s[28:29]
	v_and_b32_e32 v124, 0x7f800000, v122
	v_and_b32_e32 v19, 0xffff0000, v12
	v_cmp_eq_u32_e64 s[40:41], s99, v124
	v_bfe_u32 v124, v122, 16, 1
	v_cmp_eq_u32_sdwa s[42:43], v122, v3 src0_sel:WORD_0 src1_sel:DWORD
	v_or_b32_e32 v125, 0x10000, v122
	v_or_b32_sdwa v13, v19, v16 dst_sel:DWORD dst_unused:UNUSED_PAD src0_sel:DWORD src1_sel:WORD_1
	v_add3_u32 v124, v122, v124, s74
	v_cndmask_b32_e64 v122, v125, v122, s[42:43]
	v_and_b32_e32 v125, 0xffff0000, v9
	v_and_b32_e32 v16, 0xffff0000, v16
	v_lshlrev_b32_e32 v9, 16, v9
	v_max_f32_e32 v16, v16, v16
	v_max_f32_e32 v9, v9, v9
	v_min_f32_e32 v50, v16, v9
	v_max_f32_e32 v9, v16, v9
	v_cndmask_b32_e64 v9, v9, v50, s[28:29]
	v_and_b32_e32 v16, 0x7f800000, v9
	v_cmp_eq_u32_e64 s[42:43], s99, v16
	v_bfe_u32 v16, v9, 16, 1
	v_cmp_eq_u32_sdwa s[44:45], v9, v3 src0_sel:WORD_0 src1_sel:DWORD
	v_or_b32_e32 v50, 0x10000, v9
	v_add3_u32 v16, v9, v16, s74
	v_cndmask_b32_e64 v9, v50, v9, s[44:45]
	v_max_f32_e32 v19, v19, v19
	v_max_f32_e32 v50, v125, v125
	v_min_f32_e32 v125, v19, v50
	v_max_f32_e32 v19, v19, v50
	v_cndmask_b32_e64 v19, v19, v125, s[28:29]
	v_and_b32_e32 v50, 0x7f800000, v19
	v_and_b32_e32 v18, 0xffff0000, v18
	v_cmp_eq_u32_e64 s[44:45], s99, v50
	v_bfe_u32 v50, v19, 16, 1
	v_cmp_eq_u32_sdwa s[46:47], v19, v3 src0_sel:WORD_0 src1_sel:DWORD
	v_or_b32_e32 v125, 0x10000, v19
	v_or_b32_sdwa v12, v18, v17 dst_sel:DWORD dst_unused:UNUSED_PAD src0_sel:DWORD src1_sel:WORD_1
	v_add3_u32 v50, v19, v50, s74
	v_cndmask_b32_e64 v19, v125, v19, s[46:47]
	v_and_b32_e32 v125, 0xffff0000, v10
	v_and_b32_e32 v17, 0xffff0000, v17
	v_lshlrev_b32_e32 v10, 16, v10
	v_max_f32_e32 v17, v17, v17
	v_max_f32_e32 v10, v10, v10
	v_min_f32_e32 v28, v17, v10
	v_max_f32_e32 v10, v17, v10
	v_cndmask_b32_e64 v10, v10, v28, s[28:29]
	v_and_b32_e32 v17, 0x7f800000, v10
	v_cmp_eq_u32_e64 s[46:47], s99, v17
	v_bfe_u32 v17, v10, 16, 1
	v_cmp_eq_u32_sdwa s[56:57], v10, v3 src0_sel:WORD_0 src1_sel:DWORD
	v_or_b32_e32 v28, 0x10000, v10
	v_add3_u32 v17, v10, v17, s74
	v_cndmask_b32_e64 v10, v28, v10, s[56:57]
	v_max_f32_e32 v18, v18, v18
	v_max_f32_e32 v28, v125, v125
	v_min_f32_e32 v29, v18, v28
	v_max_f32_e32 v18, v18, v28
	v_cndmask_b32_e64 v18, v18, v29, s[28:29]
	v_and_b32_e32 v28, 0x7f800000, v18
	v_and_b32_e32 v123, 0xffff0000, v15
	v_cmp_eq_u32_e64 s[56:57], s99, v28
	v_bfe_u32 v28, v18, 16, 1
	v_cmp_eq_u32_sdwa s[58:59], v18, v3 src0_sel:WORD_0 src1_sel:DWORD
	v_or_b32_e32 v29, 0x10000, v18
	v_or_b32_sdwa v15, v123, v14 dst_sel:DWORD dst_unused:UNUSED_PAD src0_sel:DWORD src1_sel:WORD_1
	v_add3_u32 v28, v18, v28, s74
	v_cndmask_b32_e64 v18, v29, v18, s[58:59]
	v_and_b32_e32 v29, 0xffff0000, v11
	v_and_b32_e32 v14, 0xffff0000, v14
	v_lshlrev_b32_e32 v11, 16, v11
	v_max_f32_e32 v14, v14, v14
	v_max_f32_e32 v11, v11, v11
	v_min_f32_e32 v125, v14, v11
	v_max_f32_e32 v11, v14, v11
	v_cndmask_b32_e64 v11, v11, v125, s[28:29]
	v_and_b32_e32 v14, 0x7f800000, v11
	v_cmp_eq_u32_e64 s[58:59], s99, v14
	v_bfe_u32 v14, v11, 16, 1
	v_cmp_eq_u32_sdwa s[60:61], v11, v3 src0_sel:WORD_0 src1_sel:DWORD
	v_or_b32_e32 v125, 0x10000, v11
	v_max_f32_e32 v123, v123, v123
	v_max_f32_e32 v29, v29, v29
	v_add3_u32 v14, v11, v14, s74
	v_cndmask_b32_e64 v11, v125, v11, s[60:61]
	v_min_f32_e32 v125, v123, v29
	v_max_f32_e32 v29, v123, v29
	v_cndmask_b32_e64 v29, v29, v125, s[28:29]
	v_and_b32_e32 v123, 0x7f800000, v29
	v_cmp_eq_u32_e64 s[60:61], s99, v123
	v_bfe_u32 v123, v29, 16, 1
	v_cmp_eq_u32_sdwa s[62:63], v29, v3 src0_sel:WORD_0 src1_sel:DWORD
	v_or_b32_e32 v125, 0x10000, v29
	v_add3_u32 v123, v29, v123, s74
	v_cndmask_b32_e64 v29, v125, v29, s[62:63]
	v_cndmask_b32_e32 v8, v121, v8, vcc
	v_cndmask_b32_e64 v9, v16, v9, s[42:43]
	v_cndmask_b32_e64 v10, v17, v10, s[46:47]
	;; [unrolled: 1-line block ×7, first 2 shown]
	v_lshrrev_b32_e32 v9, 16, v9
	v_lshrrev_b32_e32 v8, 16, v8
	;; [unrolled: 1-line block ×4, first 2 shown]
	v_and_or_b32 v9, v16, s75, v9
	v_and_or_b32 v8, v121, s75, v8
	;; [unrolled: 1-line block ×4, first 2 shown]
	s_mov_b64 s[46:47], 0
	s_mov_b64 s[44:45], -1
.LBB11_981:                             ;   Parent Loop BB11_47 Depth=1
                                        ;     Parent Loop BB11_948 Depth=2
                                        ; =>    This Inner Loop Header: Depth=3
	v_cndmask_b32_e64 v14, 0, 1, s[44:45]
	s_cmp_eq_u32 s46, 1
	v_cmp_ne_u32_e32 vcc, 1, v14
	s_cselect_b64 s[40:41], -1, 0
	v_cndmask_b32_e64 v17, v13, v9, s[44:45]
	v_cndmask_b32_e64 v16, v2, v8, s[44:45]
	;; [unrolled: 1-line block ×4, first 2 shown]
	v_cndmask_b32_e32 v123, v75, v77, vcc
	v_cndmask_b32_e64 v125, v75, v77, s[40:41]
	s_cmp_eq_u32 s46, 0
	v_cndmask_b32_e32 v122, v74, v76, vcc
	v_cndmask_b32_e64 v124, v74, v76, s[40:41]
	global_store_dwordx4 v[122:123], v[16:19], off
	s_cselect_b64 vcc, -1, 0
	s_and_b64 s[42:43], exec, s[44:45]
	v_lshl_add_u64 v[16:17], v[124:125], 0, s[90:91]
	s_mov_b64 s[46:47], 1
	s_mov_b64 s[44:45], 0
	v_cndmask_b32_e64 v77, v77, v17, s[40:41]
	v_cndmask_b32_e64 v76, v76, v16, s[40:41]
	v_cndmask_b32_e32 v75, v75, v17, vcc
	v_cndmask_b32_e32 v74, v74, v16, vcc
	s_mov_b64 vcc, s[42:43]
	s_cbranch_vccnz .LBB11_981
; %bb.982:                              ;   in Loop: Header=BB11_948 Depth=2
	v_sub_u32_e32 v109, v109, v70
	v_cmp_gt_i32_e32 vcc, 16, v109
	v_lshl_add_u64 v[78:79], v[78:79], 0, v[102:103]
	v_lshl_add_u64 v[88:89], v[88:89], 0, v[102:103]
	;; [unrolled: 1-line block ×5, first 2 shown]
	s_or_b64 s[64:65], vcc, s[64:65]
	v_sub_u32_e32 v111, v111, v52
	s_andn2_b64 exec, exec, s[64:65]
	s_cbranch_execnz .LBB11_948
; %bb.983:                              ;   in Loop: Header=BB11_47 Depth=1
	s_or_b64 exec, exec, s[64:65]
.LBB11_984:                             ;   in Loop: Header=BB11_47 Depth=1
	s_or_b64 exec, exec, s[54:55]
	v_and_b32_e32 v8, 14, v108
	v_cndmask_b32_e64 v109, v120, v8, s[26:27]
	v_mov_b32_e32 v2, 0
	v_cmp_ne_u32_e32 vcc, 0, v109
	s_mov_b64 s[28:29], 0
                                        ; implicit-def: $vgpr108
                                        ; implicit-def: $vgpr18
	s_and_saveexec_b64 s[54:55], vcc
	s_cbranch_execz .LBB11_1024
; %bb.985:                              ;   in Loop: Header=BB11_47 Depth=1
	v_sub_u32_e32 v2, v120, v8
	v_cndmask_b32_e64 v2, 0, v2, s[26:27]
	v_cmp_lt_i32_e32 vcc, 0, v111
	v_add_u32_e32 v108, v2, v110
	s_nop 0
	v_cndmask_b32_e32 v2, 0, v52, vcc
	v_sub_u32_e32 v2, v2, v111
	v_lshl_or_b32 v2, v2, 6, v91
	v_ashrrev_i32_e32 v8, 31, v2
	v_lshrrev_b32_e32 v8, 26, v8
	v_add_u32_e32 v8, v2, v8
	v_ashrrev_i32_e32 v9, 6, v8
	v_and_b32_e32 v8, 0xffffffc0, v8
	v_sub_u32_e32 v110, v2, v8
	v_ashrrev_i32_e32 v8, 31, v109
	v_lshrrev_b32_e32 v8, 22, v8
	v_add_u32_e32 v8, v109, v8
	v_and_b32_e32 v111, 0xfffffc00, v8
	v_lshlrev_b32_e32 v2, 4, v110
	v_sub_u32_e32 v120, v109, v111
	v_lshl_add_u32 v2, v9, 10, v2
	v_ashrrev_i32_e32 v10, 10, v8
	v_cmp_lt_i32_e64 s[26:27], 15, v120
	v_sub_u32_e32 v122, v109, v2
	s_nop 0
	v_addc_co_u32_e64 v8, vcc, 0, v10, s[26:27]
	v_sub_u32_e32 v121, v8, v9
	v_cmp_lt_i32_e32 vcc, 15, v122
	s_and_saveexec_b64 s[64:65], vcc
	s_cbranch_execz .LBB11_1023
; %bb.986:                              ;   in Loop: Header=BB11_47 Depth=1
	s_trap 2
	ds_read_b64 v[10:11], v0
	v_add_u32_e32 v8, v2, v108
	s_and_b32 s76, s48, 1
	v_ashrrev_i32_e32 v9, 31, v8
	s_cmp_eq_u64 s[76:77], 0
	s_waitcnt lgkmcnt(0)
	v_lshl_add_u64 v[72:73], v[8:9], 0, v[62:63]
	v_lshl_add_u64 v[74:75], v[8:9], 0, v[22:23]
	;; [unrolled: 1-line block ×5, first 2 shown]
	s_mov_b64 s[66:67], 0
	s_cselect_b64 s[28:29], -1, 0
.LBB11_987:                             ;   Parent Loop BB11_47 Depth=1
                                        ; =>  This Loop Header: Depth=2
                                        ;       Child Loop BB11_1020 Depth 3
	global_load_dwordx4 v[12:15], v[88:89], off nt
	global_load_dwordx4 v[16:19], v[78:79], off nt
	;; [unrolled: 1-line block ×3, first 2 shown]
                                        ; implicit-def: $vgpr123
	s_waitcnt vmcnt(0)
	v_lshlrev_b32_e32 v2, 16, v12
	v_lshlrev_b32_e32 v28, 16, v16
	v_max_f32_e32 v2, v2, v2
	v_max_f32_e32 v28, v28, v28
	v_min_f32_e32 v29, v28, v2
	v_max_f32_e32 v2, v28, v2
	v_cndmask_b32_e64 v2, v2, v29, s[28:29]
	v_and_b32_e32 v28, 0x7f800000, v2
	v_cmp_ne_u32_e32 vcc, s99, v28
	s_and_saveexec_b64 s[40:41], vcc
	s_xor_b64 s[40:41], exec, s[40:41]
; %bb.988:                              ;   in Loop: Header=BB11_987 Depth=2
	v_bfe_u32 v28, v2, 16, 1
	v_add3_u32 v123, v2, v28, s74
                                        ; implicit-def: $vgpr2
; %bb.989:                              ;   in Loop: Header=BB11_987 Depth=2
	s_andn2_saveexec_b64 s[40:41], s[40:41]
; %bb.990:                              ;   in Loop: Header=BB11_987 Depth=2
	v_or_b32_e32 v28, 0x10000, v2
	v_cmp_eq_u32_sdwa vcc, v2, v3 src0_sel:WORD_0 src1_sel:DWORD
	s_nop 1
	v_cndmask_b32_e32 v123, v28, v2, vcc
; %bb.991:                              ;   in Loop: Header=BB11_987 Depth=2
	s_or_b64 exec, exec, s[40:41]
	v_and_b32_e32 v2, 0xffff0000, v12
	v_and_b32_e32 v12, 0xffff0000, v16
	v_max_f32_e32 v2, v2, v2
	v_max_f32_e32 v12, v12, v12
	v_min_f32_e32 v16, v12, v2
	v_max_f32_e32 v2, v12, v2
	v_cndmask_b32_e64 v12, v2, v16, s[28:29]
	v_and_b32_e32 v2, 0x7f800000, v12
	v_cmp_ne_u32_e32 vcc, s99, v2
                                        ; implicit-def: $vgpr2
	s_and_saveexec_b64 s[40:41], vcc
	s_xor_b64 s[40:41], exec, s[40:41]
; %bb.992:                              ;   in Loop: Header=BB11_987 Depth=2
	v_bfe_u32 v2, v12, 16, 1
	v_add3_u32 v2, v12, v2, s74
                                        ; implicit-def: $vgpr12
; %bb.993:                              ;   in Loop: Header=BB11_987 Depth=2
	s_andn2_saveexec_b64 s[40:41], s[40:41]
; %bb.994:                              ;   in Loop: Header=BB11_987 Depth=2
	v_or_b32_e32 v2, 0x10000, v12
	v_cmp_eq_u32_sdwa vcc, v12, v3 src0_sel:WORD_0 src1_sel:DWORD
	s_nop 1
	v_cndmask_b32_e32 v2, v2, v12, vcc
; %bb.995:                              ;   in Loop: Header=BB11_987 Depth=2
	s_or_b64 exec, exec, s[40:41]
	v_lshlrev_b32_e32 v12, 16, v13
	v_lshlrev_b32_e32 v16, 16, v17
	v_max_f32_e32 v12, v12, v12
	v_max_f32_e32 v16, v16, v16
	v_min_f32_e32 v28, v16, v12
	v_max_f32_e32 v12, v16, v12
	v_cndmask_b32_e64 v12, v12, v28, s[28:29]
	v_and_b32_e32 v16, 0x7f800000, v12
	v_cmp_ne_u32_e32 vcc, s99, v16
                                        ; implicit-def: $vgpr16
	s_and_saveexec_b64 s[40:41], vcc
	s_xor_b64 s[40:41], exec, s[40:41]
; %bb.996:                              ;   in Loop: Header=BB11_987 Depth=2
	v_bfe_u32 v16, v12, 16, 1
	v_add3_u32 v16, v12, v16, s74
                                        ; implicit-def: $vgpr12
; %bb.997:                              ;   in Loop: Header=BB11_987 Depth=2
	s_andn2_saveexec_b64 s[40:41], s[40:41]
; %bb.998:                              ;   in Loop: Header=BB11_987 Depth=2
	v_or_b32_e32 v16, 0x10000, v12
	v_cmp_eq_u32_sdwa vcc, v12, v3 src0_sel:WORD_0 src1_sel:DWORD
	s_nop 1
	v_cndmask_b32_e32 v16, v16, v12, vcc
; %bb.999:                              ;   in Loop: Header=BB11_987 Depth=2
	s_or_b64 exec, exec, s[40:41]
	v_and_b32_e32 v12, 0xffff0000, v17
	v_and_b32_e32 v13, 0xffff0000, v13
	v_max_f32_e32 v13, v13, v13
	v_max_f32_e32 v12, v12, v12
	v_min_f32_e32 v17, v12, v13
	v_max_f32_e32 v12, v12, v13
	v_cndmask_b32_e64 v13, v12, v17, s[28:29]
	v_and_b32_e32 v12, 0x7f800000, v13
	v_cmp_ne_u32_e32 vcc, s99, v12
                                        ; implicit-def: $vgpr12
	s_and_saveexec_b64 s[40:41], vcc
	s_xor_b64 s[40:41], exec, s[40:41]
; %bb.1000:                             ;   in Loop: Header=BB11_987 Depth=2
	v_bfe_u32 v12, v13, 16, 1
	v_add3_u32 v12, v13, v12, s74
                                        ; implicit-def: $vgpr13
; %bb.1001:                             ;   in Loop: Header=BB11_987 Depth=2
	s_andn2_saveexec_b64 s[40:41], s[40:41]
; %bb.1002:                             ;   in Loop: Header=BB11_987 Depth=2
	v_or_b32_e32 v12, 0x10000, v13
	v_cmp_eq_u32_sdwa vcc, v13, v3 src0_sel:WORD_0 src1_sel:DWORD
	s_nop 1
	v_cndmask_b32_e32 v12, v12, v13, vcc
; %bb.1003:                             ;   in Loop: Header=BB11_987 Depth=2
	s_or_b64 exec, exec, s[40:41]
	v_lshlrev_b32_e32 v13, 16, v14
	v_lshlrev_b32_e32 v17, 16, v18
	v_max_f32_e32 v13, v13, v13
	v_max_f32_e32 v17, v17, v17
	v_min_f32_e32 v28, v17, v13
	v_max_f32_e32 v13, v17, v13
	v_cndmask_b32_e64 v13, v13, v28, s[28:29]
	v_and_b32_e32 v17, 0x7f800000, v13
	v_cmp_ne_u32_e32 vcc, s99, v17
                                        ; implicit-def: $vgpr17
	s_and_saveexec_b64 s[40:41], vcc
	s_xor_b64 s[40:41], exec, s[40:41]
; %bb.1004:                             ;   in Loop: Header=BB11_987 Depth=2
	v_bfe_u32 v17, v13, 16, 1
	v_add3_u32 v17, v13, v17, s74
                                        ; implicit-def: $vgpr13
; %bb.1005:                             ;   in Loop: Header=BB11_987 Depth=2
	s_andn2_saveexec_b64 s[40:41], s[40:41]
; %bb.1006:                             ;   in Loop: Header=BB11_987 Depth=2
	v_or_b32_e32 v17, 0x10000, v13
	v_cmp_eq_u32_sdwa vcc, v13, v3 src0_sel:WORD_0 src1_sel:DWORD
	s_nop 1
	v_cndmask_b32_e32 v17, v17, v13, vcc
; %bb.1007:                             ;   in Loop: Header=BB11_987 Depth=2
	s_or_b64 exec, exec, s[40:41]
	v_and_b32_e32 v13, 0xffff0000, v18
	v_and_b32_e32 v14, 0xffff0000, v14
	v_max_f32_e32 v14, v14, v14
	v_max_f32_e32 v13, v13, v13
	v_min_f32_e32 v18, v13, v14
	v_max_f32_e32 v13, v13, v14
	v_cndmask_b32_e64 v13, v13, v18, s[28:29]
	v_and_b32_e32 v14, 0x7f800000, v13
	v_cmp_ne_u32_e32 vcc, s99, v14
                                        ; implicit-def: $vgpr18
	s_and_saveexec_b64 s[40:41], vcc
	s_xor_b64 s[40:41], exec, s[40:41]
; %bb.1008:                             ;   in Loop: Header=BB11_987 Depth=2
	v_bfe_u32 v14, v13, 16, 1
	v_add3_u32 v18, v13, v14, s74
                                        ; implicit-def: $vgpr13
; %bb.1009:                             ;   in Loop: Header=BB11_987 Depth=2
	s_andn2_saveexec_b64 s[40:41], s[40:41]
; %bb.1010:                             ;   in Loop: Header=BB11_987 Depth=2
	v_or_b32_e32 v14, 0x10000, v13
	v_cmp_eq_u32_sdwa vcc, v13, v3 src0_sel:WORD_0 src1_sel:DWORD
	s_nop 1
	v_cndmask_b32_e32 v18, v14, v13, vcc
; %bb.1011:                             ;   in Loop: Header=BB11_987 Depth=2
	s_or_b64 exec, exec, s[40:41]
	v_lshlrev_b32_e32 v13, 16, v15
	v_lshlrev_b32_e32 v14, 16, v19
	v_max_f32_e32 v13, v13, v13
	v_max_f32_e32 v14, v14, v14
	v_min_f32_e32 v28, v14, v13
	v_max_f32_e32 v13, v14, v13
	v_cndmask_b32_e64 v13, v13, v28, s[28:29]
	v_and_b32_e32 v14, 0x7f800000, v13
	v_cmp_ne_u32_e32 vcc, s99, v14
                                        ; implicit-def: $vgpr14
	s_and_saveexec_b64 s[40:41], vcc
	s_xor_b64 s[40:41], exec, s[40:41]
; %bb.1012:                             ;   in Loop: Header=BB11_987 Depth=2
	v_bfe_u32 v14, v13, 16, 1
	v_add3_u32 v14, v13, v14, s74
                                        ; implicit-def: $vgpr13
; %bb.1013:                             ;   in Loop: Header=BB11_987 Depth=2
	s_andn2_saveexec_b64 s[40:41], s[40:41]
; %bb.1014:                             ;   in Loop: Header=BB11_987 Depth=2
	v_or_b32_e32 v14, 0x10000, v13
	v_cmp_eq_u32_sdwa vcc, v13, v3 src0_sel:WORD_0 src1_sel:DWORD
	s_nop 1
	v_cndmask_b32_e32 v14, v14, v13, vcc
; %bb.1015:                             ;   in Loop: Header=BB11_987 Depth=2
	s_or_b64 exec, exec, s[40:41]
	v_and_b32_e32 v13, 0xffff0000, v19
	v_and_b32_e32 v15, 0xffff0000, v15
	v_max_f32_e32 v15, v15, v15
	v_max_f32_e32 v13, v13, v13
	v_min_f32_e32 v19, v13, v15
	v_max_f32_e32 v13, v13, v15
	v_cndmask_b32_e64 v13, v13, v19, s[28:29]
	v_and_b32_e32 v15, 0x7f800000, v13
	v_cmp_ne_u32_e32 vcc, s99, v15
                                        ; implicit-def: $vgpr15
	s_and_saveexec_b64 s[40:41], vcc
	s_xor_b64 s[40:41], exec, s[40:41]
; %bb.1016:                             ;   in Loop: Header=BB11_987 Depth=2
	v_bfe_u32 v15, v13, 16, 1
	v_add3_u32 v15, v13, v15, s74
                                        ; implicit-def: $vgpr13
; %bb.1017:                             ;   in Loop: Header=BB11_987 Depth=2
	s_andn2_saveexec_b64 s[40:41], s[40:41]
; %bb.1018:                             ;   in Loop: Header=BB11_987 Depth=2
	v_or_b32_e32 v15, 0x10000, v13
	v_cmp_eq_u32_sdwa vcc, v13, v3 src0_sel:WORD_0 src1_sel:DWORD
	s_nop 1
	v_cndmask_b32_e32 v15, v15, v13, vcc
; %bb.1019:                             ;   in Loop: Header=BB11_987 Depth=2
	s_or_b64 exec, exec, s[40:41]
	v_and_b32_e32 v28, 0xffff0000, v2
	v_or_b32_sdwa v2, v28, v123 dst_sel:DWORD dst_unused:UNUSED_PAD src0_sel:DWORD src1_sel:WORD_1
	v_and_b32_e32 v50, 0xffff0000, v8
	v_and_b32_e32 v123, 0xffff0000, v123
	v_lshlrev_b32_e32 v8, 16, v8
	v_max_f32_e32 v123, v123, v123
	v_max_f32_e32 v8, v8, v8
	v_min_f32_e32 v124, v123, v8
	v_max_f32_e32 v8, v123, v8
	v_cndmask_b32_e64 v8, v8, v124, s[28:29]
	v_and_b32_e32 v123, 0x7f800000, v8
	v_cmp_eq_u32_e32 vcc, s99, v123
	v_bfe_u32 v123, v8, 16, 1
	v_cmp_eq_u32_sdwa s[40:41], v8, v3 src0_sel:WORD_0 src1_sel:DWORD
	v_or_b32_e32 v124, 0x10000, v8
	v_max_f32_e32 v28, v28, v28
	v_max_f32_e32 v50, v50, v50
	v_add3_u32 v123, v8, v123, s74
	v_cndmask_b32_e64 v8, v124, v8, s[40:41]
	v_min_f32_e32 v124, v28, v50
	v_max_f32_e32 v28, v28, v50
	v_cndmask_b32_e64 v28, v28, v124, s[28:29]
	v_and_b32_e32 v50, 0x7f800000, v28
	v_and_b32_e32 v19, 0xffff0000, v12
	v_cmp_eq_u32_e64 s[40:41], s99, v50
	v_bfe_u32 v50, v28, 16, 1
	v_cmp_eq_u32_sdwa s[42:43], v28, v3 src0_sel:WORD_0 src1_sel:DWORD
	v_or_b32_e32 v124, 0x10000, v28
	v_or_b32_sdwa v13, v19, v16 dst_sel:DWORD dst_unused:UNUSED_PAD src0_sel:DWORD src1_sel:WORD_1
	v_add3_u32 v50, v28, v50, s74
	v_cndmask_b32_e64 v28, v124, v28, s[42:43]
	v_and_b32_e32 v124, 0xffff0000, v9
	v_and_b32_e32 v16, 0xffff0000, v16
	v_lshlrev_b32_e32 v9, 16, v9
	v_max_f32_e32 v16, v16, v16
	v_max_f32_e32 v9, v9, v9
	v_min_f32_e32 v125, v16, v9
	v_max_f32_e32 v9, v16, v9
	v_cndmask_b32_e64 v9, v9, v125, s[28:29]
	v_and_b32_e32 v16, 0x7f800000, v9
	v_cmp_eq_u32_e64 s[42:43], s99, v16
	v_bfe_u32 v16, v9, 16, 1
	v_cmp_eq_u32_sdwa s[44:45], v9, v3 src0_sel:WORD_0 src1_sel:DWORD
	v_or_b32_e32 v125, 0x10000, v9
	v_max_f32_e32 v19, v19, v19
	v_max_f32_e32 v124, v124, v124
	v_add3_u32 v16, v9, v16, s74
	v_cndmask_b32_e64 v9, v125, v9, s[44:45]
	v_min_f32_e32 v125, v19, v124
	v_max_f32_e32 v19, v19, v124
	v_cndmask_b32_e64 v19, v19, v125, s[28:29]
	v_and_b32_e32 v124, 0x7f800000, v19
	v_and_b32_e32 v18, 0xffff0000, v18
	v_cmp_eq_u32_e64 s[44:45], s99, v124
	v_bfe_u32 v124, v19, 16, 1
	v_cmp_eq_u32_sdwa s[46:47], v19, v3 src0_sel:WORD_0 src1_sel:DWORD
	v_or_b32_e32 v125, 0x10000, v19
	v_or_b32_sdwa v12, v18, v17 dst_sel:DWORD dst_unused:UNUSED_PAD src0_sel:DWORD src1_sel:WORD_1
	v_add3_u32 v124, v19, v124, s74
	v_cndmask_b32_e64 v19, v125, v19, s[46:47]
	v_and_b32_e32 v125, 0xffff0000, v10
	v_and_b32_e32 v17, 0xffff0000, v17
	v_lshlrev_b32_e32 v10, 16, v10
	v_max_f32_e32 v17, v17, v17
	v_max_f32_e32 v10, v10, v10
	v_min_f32_e32 v66, v17, v10
	v_max_f32_e32 v10, v17, v10
	v_cndmask_b32_e64 v10, v10, v66, s[28:29]
	v_and_b32_e32 v17, 0x7f800000, v10
	v_cmp_eq_u32_e64 s[46:47], s99, v17
	v_bfe_u32 v17, v10, 16, 1
	v_cmp_eq_u32_sdwa s[56:57], v10, v3 src0_sel:WORD_0 src1_sel:DWORD
	v_or_b32_e32 v66, 0x10000, v10
	v_add3_u32 v17, v10, v17, s74
	v_cndmask_b32_e64 v10, v66, v10, s[56:57]
	v_max_f32_e32 v18, v18, v18
	v_max_f32_e32 v66, v125, v125
	v_min_f32_e32 v67, v18, v66
	v_max_f32_e32 v18, v18, v66
	v_cndmask_b32_e64 v18, v18, v67, s[28:29]
	v_and_b32_e32 v66, 0x7f800000, v18
	v_and_b32_e32 v29, 0xffff0000, v15
	v_cmp_eq_u32_e64 s[56:57], s99, v66
	v_bfe_u32 v66, v18, 16, 1
	v_cmp_eq_u32_sdwa s[58:59], v18, v3 src0_sel:WORD_0 src1_sel:DWORD
	v_or_b32_e32 v67, 0x10000, v18
	v_or_b32_sdwa v15, v29, v14 dst_sel:DWORD dst_unused:UNUSED_PAD src0_sel:DWORD src1_sel:WORD_1
	v_add3_u32 v66, v18, v66, s74
	v_cndmask_b32_e64 v18, v67, v18, s[58:59]
	v_and_b32_e32 v67, 0xffff0000, v11
	v_and_b32_e32 v14, 0xffff0000, v14
	v_lshlrev_b32_e32 v11, 16, v11
	v_max_f32_e32 v14, v14, v14
	v_max_f32_e32 v11, v11, v11
	v_min_f32_e32 v125, v14, v11
	v_max_f32_e32 v11, v14, v11
	v_cndmask_b32_e64 v11, v11, v125, s[28:29]
	v_and_b32_e32 v14, 0x7f800000, v11
	v_cmp_eq_u32_e64 s[58:59], s99, v14
	v_bfe_u32 v14, v11, 16, 1
	v_cmp_eq_u32_sdwa s[60:61], v11, v3 src0_sel:WORD_0 src1_sel:DWORD
	v_or_b32_e32 v125, 0x10000, v11
	v_max_f32_e32 v29, v29, v29
	v_max_f32_e32 v67, v67, v67
	v_add3_u32 v14, v11, v14, s74
	v_cndmask_b32_e64 v11, v125, v11, s[60:61]
	v_min_f32_e32 v125, v29, v67
	v_max_f32_e32 v29, v29, v67
	v_cndmask_b32_e64 v29, v29, v125, s[28:29]
	v_and_b32_e32 v67, 0x7f800000, v29
	v_cmp_eq_u32_e64 s[60:61], s99, v67
	v_bfe_u32 v67, v29, 16, 1
	v_cmp_eq_u32_sdwa s[62:63], v29, v3 src0_sel:WORD_0 src1_sel:DWORD
	v_or_b32_e32 v125, 0x10000, v29
	v_add3_u32 v67, v29, v67, s74
	v_cndmask_b32_e64 v29, v125, v29, s[62:63]
	v_cndmask_b32_e32 v8, v123, v8, vcc
	v_cndmask_b32_e64 v9, v16, v9, s[42:43]
	v_cndmask_b32_e64 v10, v17, v10, s[46:47]
	;; [unrolled: 1-line block ×7, first 2 shown]
	v_lshrrev_b32_e32 v9, 16, v9
	v_lshrrev_b32_e32 v8, 16, v8
	;; [unrolled: 1-line block ×4, first 2 shown]
	v_and_or_b32 v9, v16, s75, v9
	v_and_or_b32 v8, v28, s75, v8
	;; [unrolled: 1-line block ×4, first 2 shown]
	s_mov_b64 s[42:43], 0
	s_mov_b64 s[40:41], -1
.LBB11_1020:                            ;   Parent Loop BB11_47 Depth=1
                                        ;     Parent Loop BB11_987 Depth=2
                                        ; =>    This Inner Loop Header: Depth=3
	v_cndmask_b32_e64 v14, 0, 1, s[40:41]
	v_cmp_ne_u32_e32 vcc, 1, v14
	s_cmp_eq_u32 s42, 1
	v_cndmask_b32_e64 v17, v13, v9, s[40:41]
	v_cndmask_b32_e64 v16, v2, v8, s[40:41]
	;; [unrolled: 1-line block ×4, first 2 shown]
	v_cndmask_b32_e32 v125, v75, v77, vcc
	v_cndmask_b32_e32 v124, v74, v76, vcc
	s_cselect_b64 vcc, -1, 0
	global_store_dwordx4 v[124:125], v[16:19], off
	s_cmp_eq_u32 s42, 0
	s_mov_b64 s[42:43], 1
	v_cndmask_b32_e32 v17, v75, v77, vcc
	v_cndmask_b32_e32 v16, v74, v76, vcc
	v_lshl_add_u64 v[16:17], v[16:17], 0, s[90:91]
	v_cndmask_b32_e32 v77, v77, v17, vcc
	v_cndmask_b32_e32 v76, v76, v16, vcc
	s_cselect_b64 vcc, -1, 0
	v_cndmask_b32_e32 v75, v75, v17, vcc
	v_cndmask_b32_e32 v74, v74, v16, vcc
	s_and_b64 vcc, exec, s[40:41]
	s_mov_b64 s[40:41], 0
	s_cbranch_vccnz .LBB11_1020
; %bb.1021:                             ;   in Loop: Header=BB11_987 Depth=2
	v_sub_u32_e32 v122, v122, v70
	v_cmp_gt_i32_e32 vcc, 16, v122
	v_lshl_add_u64 v[78:79], v[78:79], 0, v[102:103]
	v_lshl_add_u64 v[88:89], v[88:89], 0, v[102:103]
	;; [unrolled: 1-line block ×5, first 2 shown]
	s_or_b64 s[66:67], vcc, s[66:67]
	v_sub_u32_e32 v121, v121, v52
	s_andn2_b64 exec, exec, s[66:67]
	s_cbranch_execnz .LBB11_987
; %bb.1022:                             ;   in Loop: Header=BB11_47 Depth=1
	s_or_b64 exec, exec, s[66:67]
.LBB11_1023:                            ;   in Loop: Header=BB11_47 Depth=1
	s_or_b64 exec, exec, s[64:65]
	v_and_b32_e32 v8, 14, v109
	v_sub_u32_e32 v2, v120, v8
	v_cndmask_b32_e64 v2, 0, v2, s[26:27]
	v_cmp_lt_i32_e32 vcc, 0, v121
	v_add3_u32 v2, v111, v108, v2
	v_cndmask_b32_e64 v108, v120, v8, s[26:27]
	v_cndmask_b32_e32 v8, 0, v52, vcc
	v_sub_u32_e32 v8, v8, v121
	v_cmp_ne_u32_e32 vcc, 0, v108
	v_lshl_add_u32 v18, v8, 6, v110
	s_and_b64 s[28:29], vcc, exec
.LBB11_1024:                            ;   in Loop: Header=BB11_47 Depth=1
	s_or_b64 exec, exec, s[54:55]
	s_and_saveexec_b64 s[42:43], s[28:29]
	s_cbranch_execz .LBB11_1083
.LBB11_1025:                            ;   in Loop: Header=BB11_47 Depth=1
	v_ashrrev_i32_e32 v8, 31, v18
	v_ashrrev_i32_e32 v9, 31, v108
	v_lshrrev_b32_e32 v8, 26, v8
	v_lshrrev_b32_e32 v9, 23, v9
	v_add_u32_e32 v8, v18, v8
	v_add_u32_e32 v9, v108, v9
	v_ashrrev_i32_e32 v19, 6, v8
	v_ashrrev_i32_e32 v73, 9, v9
	v_sub_u32_e32 v72, v73, v19
	v_cmp_lt_i32_e32 vcc, 0, v72
	s_and_saveexec_b64 s[28:29], vcc
	s_cbranch_execz .LBB11_1073
; %bb.1026:                             ;   in Loop: Header=BB11_47 Depth=1
	v_and_b32_e32 v8, 0x7fffffc0, v8
	s_trap 2
	ds_read_b64 v[74:75], v0
	v_sub_u32_e32 v8, v18, v8
	v_lshlrev_b32_e32 v8, 1, v8
	v_lshlrev_b32_e32 v9, 9, v19
	v_add3_u32 v16, v8, v2, v9
	s_and_b32 s76, s48, 1
	v_ashrrev_i32_e32 v17, 31, v16
	s_cmp_eq_u64 s[76:77], 0
	s_waitcnt lgkmcnt(0)
	v_lshl_add_u64 v[8:9], v[16:17], 0, v[62:63]
	v_lshl_add_u64 v[10:11], v[16:17], 0, v[22:23]
	;; [unrolled: 1-line block ×5, first 2 shown]
	s_mov_b64 s[40:41], 0
	s_cselect_b64 vcc, -1, 0
	s_branch .LBB11_1028
.LBB11_1027:                            ;   in Loop: Header=BB11_1028 Depth=2
	s_or_b64 exec, exec, s[44:45]
	v_sub_u32_e32 v72, v72, v52
	v_cmp_gt_i32_e64 s[26:27], 1, v72
	flat_store_short_d16_hi v[10:11], v77 offset:384 nt
	flat_store_short_d16_hi v[12:13], v74 nt
	flat_store_short_d16_hi v[12:13], v76 offset:128 nt
	flat_store_short_d16_hi v[12:13], v78 offset:256 nt
	;; [unrolled: 1-line block ×3, first 2 shown]
	v_lshl_add_u64 v[14:15], v[14:15], 0, v[80:81]
	v_lshl_add_u64 v[16:17], v[16:17], 0, v[80:81]
	;; [unrolled: 1-line block ×4, first 2 shown]
	s_or_b64 s[40:41], s[26:27], s[40:41]
	v_lshl_add_u64 v[8:9], v[8:9], 0, v[80:81]
	s_andn2_b64 exec, exec, s[40:41]
	s_cbranch_execz .LBB11_1072
.LBB11_1028:                            ;   Parent Loop BB11_47 Depth=1
                                        ; =>  This Inner Loop Header: Depth=2
	flat_load_ushort v28, v[16:17] nt
	flat_load_ushort v78, v[14:15] offset:256 nt
	flat_load_ushort v29, v[14:15] nt
	flat_load_ushort v88, v[14:15] offset:384 nt
	flat_load_ushort v76, v[14:15] offset:128 nt
	flat_load_ushort v110, v[16:17] offset:256 nt
	flat_load_ushort v109, v[16:17] offset:384 nt
	flat_load_ushort v111, v[16:17] offset:128 nt
	flat_load_ushort v89, v[8:9] nt
	flat_load_ushort v79, v[8:9] offset:128 nt
	flat_load_ushort v77, v[8:9] offset:256 nt
	;; [unrolled: 1-line block ×3, first 2 shown]
                                        ; implicit-def: $vgpr74
	s_waitcnt vmcnt(0) lgkmcnt(0)
	v_lshlrev_b32_e32 v28, 16, v28
	v_max_f32_e32 v28, v28, v28
	v_lshlrev_b32_e32 v29, 16, v29
	v_max_f32_e32 v29, v29, v29
	v_min_f32_e32 v50, v29, v28
	v_max_f32_e32 v28, v29, v28
	v_cndmask_b32_e32 v120, v28, v50, vcc
	v_and_b32_e32 v28, 0x7f800000, v120
	v_cmp_ne_u32_e64 s[26:27], s99, v28
	s_and_saveexec_b64 s[44:45], s[26:27]
	s_xor_b64 s[26:27], exec, s[44:45]
; %bb.1029:                             ;   in Loop: Header=BB11_1028 Depth=2
	v_bfe_u32 v28, v120, 16, 1
	v_add3_u32 v74, v120, v28, s74
                                        ; implicit-def: $vgpr120
; %bb.1030:                             ;   in Loop: Header=BB11_1028 Depth=2
	s_andn2_saveexec_b64 s[44:45], s[26:27]
; %bb.1031:                             ;   in Loop: Header=BB11_1028 Depth=2
	v_or_b32_e32 v28, 0x10000, v120
	v_cmp_eq_u32_sdwa s[26:27], v120, v3 src0_sel:WORD_0 src1_sel:DWORD
	s_nop 1
	v_cndmask_b32_e64 v74, v28, v120, s[26:27]
; %bb.1032:                             ;   in Loop: Header=BB11_1028 Depth=2
	s_or_b64 exec, exec, s[44:45]
	v_lshlrev_b32_e32 v28, 16, v76
	v_lshlrev_b32_e32 v29, 16, v111
	v_max_f32_e32 v29, v29, v29
	v_max_f32_e32 v28, v28, v28
	v_min_f32_e32 v50, v28, v29
	v_max_f32_e32 v28, v28, v29
	v_cndmask_b32_e32 v111, v28, v50, vcc
	v_and_b32_e32 v28, 0x7f800000, v111
	v_cmp_ne_u32_e64 s[26:27], s99, v28
                                        ; implicit-def: $vgpr76
	s_and_saveexec_b64 s[44:45], s[26:27]
	s_xor_b64 s[26:27], exec, s[44:45]
; %bb.1033:                             ;   in Loop: Header=BB11_1028 Depth=2
	v_bfe_u32 v28, v111, 16, 1
	v_add3_u32 v76, v111, v28, s74
                                        ; implicit-def: $vgpr111
; %bb.1034:                             ;   in Loop: Header=BB11_1028 Depth=2
	s_andn2_saveexec_b64 s[44:45], s[26:27]
; %bb.1035:                             ;   in Loop: Header=BB11_1028 Depth=2
	v_or_b32_e32 v28, 0x10000, v111
	v_cmp_eq_u32_sdwa s[26:27], v111, v3 src0_sel:WORD_0 src1_sel:DWORD
	s_nop 1
	v_cndmask_b32_e64 v76, v28, v111, s[26:27]
; %bb.1036:                             ;   in Loop: Header=BB11_1028 Depth=2
	s_or_b64 exec, exec, s[44:45]
	v_lshlrev_b32_e32 v28, 16, v78
	v_lshlrev_b32_e32 v29, 16, v110
	v_max_f32_e32 v29, v29, v29
	v_max_f32_e32 v28, v28, v28
	v_min_f32_e32 v50, v28, v29
	v_max_f32_e32 v28, v28, v29
	v_cndmask_b32_e32 v110, v28, v50, vcc
	v_and_b32_e32 v28, 0x7f800000, v110
	v_cmp_ne_u32_e64 s[26:27], s99, v28
                                        ; implicit-def: $vgpr78
	s_and_saveexec_b64 s[44:45], s[26:27]
	s_xor_b64 s[26:27], exec, s[44:45]
; %bb.1037:                             ;   in Loop: Header=BB11_1028 Depth=2
	v_bfe_u32 v28, v110, 16, 1
	v_add3_u32 v78, v110, v28, s74
                                        ; implicit-def: $vgpr110
; %bb.1038:                             ;   in Loop: Header=BB11_1028 Depth=2
	s_andn2_saveexec_b64 s[44:45], s[26:27]
; %bb.1039:                             ;   in Loop: Header=BB11_1028 Depth=2
	v_or_b32_e32 v28, 0x10000, v110
	v_cmp_eq_u32_sdwa s[26:27], v110, v3 src0_sel:WORD_0 src1_sel:DWORD
	s_nop 1
	v_cndmask_b32_e64 v78, v28, v110, s[26:27]
; %bb.1040:                             ;   in Loop: Header=BB11_1028 Depth=2
	s_or_b64 exec, exec, s[44:45]
	v_lshlrev_b32_e32 v28, 16, v88
	v_lshlrev_b32_e32 v29, 16, v109
	v_max_f32_e32 v29, v29, v29
	v_max_f32_e32 v28, v28, v28
	v_min_f32_e32 v50, v28, v29
	v_max_f32_e32 v28, v28, v29
	v_cndmask_b32_e32 v109, v28, v50, vcc
	v_and_b32_e32 v28, 0x7f800000, v109
	v_cmp_ne_u32_e64 s[26:27], s99, v28
                                        ; implicit-def: $vgpr88
	s_and_saveexec_b64 s[44:45], s[26:27]
	s_xor_b64 s[26:27], exec, s[44:45]
; %bb.1041:                             ;   in Loop: Header=BB11_1028 Depth=2
	v_bfe_u32 v28, v109, 16, 1
	v_add3_u32 v88, v109, v28, s74
                                        ; implicit-def: $vgpr109
; %bb.1042:                             ;   in Loop: Header=BB11_1028 Depth=2
	s_andn2_saveexec_b64 s[44:45], s[26:27]
; %bb.1043:                             ;   in Loop: Header=BB11_1028 Depth=2
	v_or_b32_e32 v28, 0x10000, v109
	v_cmp_eq_u32_sdwa s[26:27], v109, v3 src0_sel:WORD_0 src1_sel:DWORD
	s_nop 1
	v_cndmask_b32_e64 v88, v28, v109, s[26:27]
; %bb.1044:                             ;   in Loop: Header=BB11_1028 Depth=2
	s_or_b64 exec, exec, s[44:45]
	v_and_b32_e32 v28, 0xffff0000, v74
	v_lshlrev_b32_e32 v29, 16, v89
	v_max_f32_e32 v28, v28, v28
	v_max_f32_e32 v29, v29, v29
	v_min_f32_e32 v50, v28, v29
	v_max_f32_e32 v28, v28, v29
	v_cndmask_b32_e32 v89, v28, v50, vcc
	v_and_b32_e32 v28, 0x7f800000, v89
	v_cmp_ne_u32_e64 s[26:27], s99, v28
                                        ; implicit-def: $vgpr109
	s_and_saveexec_b64 s[44:45], s[26:27]
	s_xor_b64 s[26:27], exec, s[44:45]
; %bb.1045:                             ;   in Loop: Header=BB11_1028 Depth=2
	v_bfe_u32 v28, v89, 16, 1
	v_add3_u32 v109, v89, v28, s74
                                        ; implicit-def: $vgpr89
; %bb.1046:                             ;   in Loop: Header=BB11_1028 Depth=2
	s_andn2_saveexec_b64 s[44:45], s[26:27]
; %bb.1047:                             ;   in Loop: Header=BB11_1028 Depth=2
	v_or_b32_e32 v28, 0x10000, v89
	v_cmp_eq_u32_sdwa s[26:27], v89, v3 src0_sel:WORD_0 src1_sel:DWORD
	s_nop 1
	v_cndmask_b32_e64 v109, v28, v89, s[26:27]
; %bb.1048:                             ;   in Loop: Header=BB11_1028 Depth=2
	s_or_b64 exec, exec, s[44:45]
	v_and_b32_e32 v28, 0xffff0000, v76
	v_lshlrev_b32_e32 v29, 16, v79
	v_max_f32_e32 v28, v28, v28
	v_max_f32_e32 v29, v29, v29
	v_min_f32_e32 v50, v28, v29
	v_max_f32_e32 v28, v28, v29
	v_cndmask_b32_e32 v79, v28, v50, vcc
	v_and_b32_e32 v28, 0x7f800000, v79
	v_cmp_ne_u32_e64 s[26:27], s99, v28
	flat_store_short_d16_hi v[10:11], v109 nt
                                        ; implicit-def: $vgpr89
	s_and_saveexec_b64 s[44:45], s[26:27]
	s_xor_b64 s[26:27], exec, s[44:45]
; %bb.1049:                             ;   in Loop: Header=BB11_1028 Depth=2
	v_bfe_u32 v28, v79, 16, 1
	v_add3_u32 v89, v79, v28, s74
                                        ; implicit-def: $vgpr79
; %bb.1050:                             ;   in Loop: Header=BB11_1028 Depth=2
	s_andn2_saveexec_b64 s[44:45], s[26:27]
; %bb.1051:                             ;   in Loop: Header=BB11_1028 Depth=2
	v_or_b32_e32 v28, 0x10000, v79
	v_cmp_eq_u32_sdwa s[26:27], v79, v3 src0_sel:WORD_0 src1_sel:DWORD
	s_nop 1
	v_cndmask_b32_e64 v89, v28, v79, s[26:27]
; %bb.1052:                             ;   in Loop: Header=BB11_1028 Depth=2
	s_or_b64 exec, exec, s[44:45]
	v_and_b32_e32 v28, 0xffff0000, v78
	v_lshlrev_b32_e32 v29, 16, v77
	v_max_f32_e32 v28, v28, v28
	v_max_f32_e32 v29, v29, v29
	v_min_f32_e32 v50, v28, v29
	v_max_f32_e32 v28, v28, v29
	v_cndmask_b32_e32 v77, v28, v50, vcc
	v_and_b32_e32 v28, 0x7f800000, v77
	v_cmp_ne_u32_e64 s[26:27], s99, v28
	flat_store_short_d16_hi v[10:11], v89 offset:128 nt
                                        ; implicit-def: $vgpr79
	s_and_saveexec_b64 s[44:45], s[26:27]
	s_xor_b64 s[26:27], exec, s[44:45]
; %bb.1053:                             ;   in Loop: Header=BB11_1028 Depth=2
	v_bfe_u32 v28, v77, 16, 1
	v_add3_u32 v79, v77, v28, s74
                                        ; implicit-def: $vgpr77
; %bb.1054:                             ;   in Loop: Header=BB11_1028 Depth=2
	s_andn2_saveexec_b64 s[44:45], s[26:27]
; %bb.1055:                             ;   in Loop: Header=BB11_1028 Depth=2
	v_or_b32_e32 v28, 0x10000, v77
	v_cmp_eq_u32_sdwa s[26:27], v77, v3 src0_sel:WORD_0 src1_sel:DWORD
	s_nop 1
	v_cndmask_b32_e64 v79, v28, v77, s[26:27]
; %bb.1056:                             ;   in Loop: Header=BB11_1028 Depth=2
	s_or_b64 exec, exec, s[44:45]
	v_and_b32_e32 v28, 0xffff0000, v88
	v_lshlrev_b32_e32 v29, 16, v75
	v_max_f32_e32 v28, v28, v28
	v_max_f32_e32 v29, v29, v29
	v_min_f32_e32 v50, v28, v29
	v_max_f32_e32 v28, v28, v29
	v_cndmask_b32_e32 v75, v28, v50, vcc
	v_and_b32_e32 v28, 0x7f800000, v75
	v_cmp_ne_u32_e64 s[26:27], s99, v28
	flat_store_short_d16_hi v[10:11], v79 offset:256 nt
                                        ; implicit-def: $vgpr77
	s_and_saveexec_b64 s[44:45], s[26:27]
	s_xor_b64 s[26:27], exec, s[44:45]
; %bb.1057:                             ;   in Loop: Header=BB11_1028 Depth=2
	v_bfe_u32 v28, v75, 16, 1
	v_add3_u32 v77, v75, v28, s74
                                        ; implicit-def: $vgpr75
; %bb.1058:                             ;   in Loop: Header=BB11_1028 Depth=2
	s_andn2_saveexec_b64 s[44:45], s[26:27]
	s_cbranch_execz .LBB11_1027
; %bb.1059:                             ;   in Loop: Header=BB11_1028 Depth=2
	v_or_b32_e32 v28, 0x10000, v75
	v_cmp_eq_u32_sdwa s[26:27], v75, v3 src0_sel:WORD_0 src1_sel:DWORD
	s_nop 1
	v_cndmask_b32_e64 v77, v28, v75, s[26:27]
	s_branch .LBB11_1027
.LBB11_1060:                            ;   in Loop: Header=BB11_47 Depth=1
	s_or_b64 exec, exec, s[46:47]
	s_and_saveexec_b64 s[46:47], s[56:57]
	s_xor_b64 s[46:47], exec, s[46:47]
	s_cbranch_execz .LBB11_1062
; %bb.1061:                             ;   in Loop: Header=BB11_47 Depth=1
	ds_write_b32 v0, v94
	s_trap 2
.LBB11_1062:                            ;   in Loop: Header=BB11_47 Depth=1
	s_or_b64 exec, exec, s[44:45]
	;;#ASMSTART
	s_wakeup
	;;#ASMEND
.LBB11_1063:                            ;   in Loop: Header=BB11_47 Depth=1
	s_or_b64 exec, exec, s[42:43]
.LBB11_1064:                            ;   in Loop: Header=BB11_47 Depth=1
	s_andn2_saveexec_b64 s[40:41], s[40:41]
	s_cbranch_execz .LBB11_1066
; %bb.1065:                             ;   in Loop: Header=BB11_47 Depth=1
	;;#ASMSTART
	s_waitcnt lgkmcnt(0) vmcnt(0)
	;;#ASMEND
	s_barrier
.LBB11_1066:                            ;   in Loop: Header=BB11_47 Depth=1
	s_or_b64 exec, exec, s[40:41]
.LBB11_1067:                            ;   in Loop: Header=BB11_47 Depth=1
	s_or_b64 exec, exec, s[26:27]
	v_cmp_ne_u32_e32 vcc, 0, v9
	s_xor_b64 s[26:27], s[10:11], -1
	s_and_b64 s[40:41], vcc, s[26:27]
	s_and_saveexec_b64 s[26:27], s[40:41]
	s_cbranch_execz .LBB11_1069
; %bb.1068:                             ;   in Loop: Header=BB11_47 Depth=1
	flat_store_dword v[36:37], v94 sc0 sc1
.LBB11_1069:                            ;   in Loop: Header=BB11_47 Depth=1
	s_or_b64 exec, exec, s[26:27]
	v_and_b32_e32 v2, 48, v90
	v_cmp_ne_u32_e32 vcc, 0, v2
	s_and_saveexec_b64 s[26:27], vcc
	s_cbranch_execz .LBB11_1071
; %bb.1070:                             ;   in Loop: Header=BB11_47 Depth=1
	v_lshl_add_u64 v[44:45], v[44:45], 0, 4
	flat_store_dwordx2 v[32:33], v[44:45] sc0 sc1
.LBB11_1071:                            ;   in Loop: Header=BB11_47 Depth=1
	s_or_b64 exec, exec, s[26:27]
	s_or_b64 exec, exec, s[28:29]
	s_and_b64 vcc, exec, s[24:25]
	s_cbranch_vccnz .LBB11_1607
	s_branch .LBB11_1257
.LBB11_1072:                            ;   in Loop: Header=BB11_47 Depth=1
	s_or_b64 exec, exec, s[40:41]
.LBB11_1073:                            ;   in Loop: Header=BB11_47 Depth=1
	s_or_b64 exec, exec, s[28:29]
	v_lshlrev_b32_e32 v8, 9, v73
	v_cmp_ne_u32_e32 vcc, v108, v8
	s_and_b64 exec, exec, vcc
	s_cbranch_execz .LBB11_1083
; %bb.1074:                             ;   in Loop: Header=BB11_47 Depth=1
	v_lshlrev_b32_e32 v9, 6, v19
	v_sub_u32_e32 v9, v18, v9
	v_lshlrev_b32_e32 v10, 6, v72
	v_sub_u32_e32 v9, v9, v10
	v_ashrrev_i32_e32 v10, 31, v9
	v_lshrrev_b32_e32 v10, 26, v10
	v_add_u32_e32 v10, v9, v10
	v_and_b32_e32 v11, 0x7fffffc0, v10
	v_sub_u32_e32 v9, v9, v11
	v_lshlrev_b32_e32 v10, 1, v10
	v_and_b32_e32 v10, 0xffffff80, v10
	v_lshlrev_b32_e32 v9, 1, v9
	v_add3_u32 v8, v10, v9, v8
	v_sub_u32_e32 v18, v108, v8
	v_cmp_lt_i32_e32 vcc, 1, v18
	s_and_b64 exec, exec, vcc
	s_cbranch_execz .LBB11_1083
; %bb.1075:                             ;   in Loop: Header=BB11_47 Depth=1
	s_trap 2
	ds_read_b64 v[72:73], v0
	v_add_u32_e32 v16, v8, v2
	s_and_b32 s76, s48, 1
	v_ashrrev_i32_e32 v17, 31, v16
	s_cmp_eq_u64 s[76:77], 0
	s_waitcnt lgkmcnt(0)
	v_lshl_add_u64 v[8:9], v[16:17], 0, v[62:63]
	v_lshl_add_u64 v[10:11], v[16:17], 0, v[22:23]
	v_lshl_add_u64 v[12:13], v[16:17], 0, v[60:61]
	v_lshl_add_u64 v[14:15], v[16:17], 0, v[58:59]
	v_lshl_add_u64 v[16:17], v[72:73], 0, v[16:17]
	s_mov_b64 s[44:45], 0
	s_cselect_b64 s[26:27], -1, 0
.LBB11_1076:                            ;   Parent Loop BB11_47 Depth=1
                                        ; =>  This Loop Header: Depth=2
                                        ;       Child Loop BB11_1081 Depth 3
	flat_load_ushort v2, v[16:17] nt
	flat_load_ushort v28, v[14:15] nt
	;; [unrolled: 1-line block ×3, first 2 shown]
	s_waitcnt vmcnt(0) lgkmcnt(0)
	v_lshlrev_b32_e32 v2, 16, v2
	v_lshlrev_b32_e32 v28, 16, v28
	v_max_f32_e32 v2, v2, v2
	v_max_f32_e32 v28, v28, v28
	v_min_f32_e32 v29, v28, v2
	v_max_f32_e32 v2, v28, v2
	v_cndmask_b32_e64 v60, v2, v29, s[26:27]
	v_and_b32_e32 v2, 0x7f800000, v60
	v_cmp_ne_u32_e32 vcc, s99, v2
                                        ; implicit-def: $vgpr2
	s_and_saveexec_b64 s[28:29], vcc
	s_xor_b64 s[28:29], exec, s[28:29]
; %bb.1077:                             ;   in Loop: Header=BB11_1076 Depth=2
	v_bfe_u32 v2, v60, 16, 1
	v_add3_u32 v2, v60, v2, s74
                                        ; implicit-def: $vgpr60
; %bb.1078:                             ;   in Loop: Header=BB11_1076 Depth=2
	s_andn2_saveexec_b64 s[28:29], s[28:29]
; %bb.1079:                             ;   in Loop: Header=BB11_1076 Depth=2
	v_or_b32_e32 v2, 0x10000, v60
	v_cmp_eq_u32_sdwa vcc, v60, v3 src0_sel:WORD_0 src1_sel:DWORD
	s_nop 1
	v_cndmask_b32_e32 v2, v2, v60, vcc
; %bb.1080:                             ;   in Loop: Header=BB11_1076 Depth=2
	s_or_b64 exec, exec, s[28:29]
	v_and_b32_e32 v28, 0xffff0000, v2
	v_lshlrev_b32_e32 v19, 16, v19
	v_max_f32_e32 v28, v28, v28
	v_max_f32_e32 v19, v19, v19
	v_min_f32_e32 v29, v28, v19
	v_max_f32_e32 v19, v28, v19
	v_cndmask_b32_e64 v19, v19, v29, s[26:27]
	v_and_b32_e32 v28, 0x7f800000, v19
	v_bfe_u32 v29, v19, 16, 1
	v_or_b32_e32 v50, 0x10000, v19
	v_cmp_eq_u32_sdwa vcc, v19, v3 src0_sel:WORD_0 src1_sel:DWORD
	v_add3_u32 v29, v19, v29, s74
	s_mov_b64 s[56:57], 0
	v_cndmask_b32_e32 v19, v50, v19, vcc
	v_cmp_eq_u32_e32 vcc, s99, v28
	s_mov_b64 s[46:47], -1
	s_nop 0
	v_cndmask_b32_e32 v19, v29, v19, vcc
.LBB11_1081:                            ;   Parent Loop BB11_47 Depth=1
                                        ;     Parent Loop BB11_1076 Depth=2
                                        ; =>    This Inner Loop Header: Depth=3
	v_cndmask_b32_e64 v29, 0, 1, s[46:47]
	s_cmp_eq_u32 s56, 1
	v_cmp_ne_u32_e32 vcc, 1, v29
	s_cselect_b64 s[28:29], -1, 0
	v_cndmask_b32_e64 v28, v2, v19, s[46:47]
	v_cndmask_b32_e32 v61, v11, v13, vcc
	v_cndmask_b32_e64 v63, v11, v13, s[28:29]
	s_cmp_eq_u32 s56, 0
	v_cndmask_b32_e32 v60, v10, v12, vcc
	v_cndmask_b32_e64 v62, v10, v12, s[28:29]
	flat_store_short_d16_hi v[60:61], v28 nt
	v_lshl_add_u64 v[60:61], v[62:63], 0, s[94:95]
	s_cselect_b64 vcc, -1, 0
	s_and_b64 s[40:41], exec, s[46:47]
	s_mov_b64 s[56:57], 1
	s_mov_b64 s[46:47], 0
	v_cndmask_b32_e64 v13, v13, v61, s[28:29]
	v_cndmask_b32_e64 v12, v12, v60, s[28:29]
	v_cndmask_b32_e32 v11, v11, v61, vcc
	v_cndmask_b32_e32 v10, v10, v60, vcc
	s_mov_b64 vcc, s[40:41]
	s_cbranch_vccnz .LBB11_1081
; %bb.1082:                             ;   in Loop: Header=BB11_1076 Depth=2
	v_sub_u32_e32 v18, v18, v82
	v_cmp_gt_i32_e32 vcc, 2, v18
	v_lshl_add_u64 v[14:15], v[14:15], 0, v[118:119]
	v_lshl_add_u64 v[16:17], v[16:17], 0, v[118:119]
	;; [unrolled: 1-line block ×4, first 2 shown]
	s_or_b64 s[44:45], vcc, s[44:45]
	v_lshl_add_u64 v[8:9], v[8:9], 0, v[118:119]
	s_andn2_b64 exec, exec, s[44:45]
	s_cbranch_execnz .LBB11_1076
.LBB11_1083:                            ;   in Loop: Header=BB11_47 Depth=1
	s_or_b64 exec, exec, s[42:43]
	s_branch .LBB11_945
.LBB11_1084:                            ;   in Loop: Header=BB11_47 Depth=1
	s_mov_b64 s[26:27], -1
	s_and_saveexec_b64 s[28:29], s[20:21]
	s_cbranch_execz .LBB11_1086
; %bb.1085:                             ;   in Loop: Header=BB11_47 Depth=1
	ds_read_b32 v2, v0 offset:720
	s_waitcnt lgkmcnt(0)
	v_and_b32_e32 v2, 15, v2
	v_cmp_eq_u32_e32 vcc, 0, v2
	s_orn2_b64 s[26:27], vcc, exec
.LBB11_1086:                            ;   in Loop: Header=BB11_47 Depth=1
	s_or_b64 exec, exec, s[28:29]
	s_and_saveexec_b64 s[28:29], s[16:17]
	s_cbranch_execz .LBB11_1088
; %bb.1087:                             ;   in Loop: Header=BB11_47 Depth=1
	ds_read_b32 v2, v0 offset:784
	s_waitcnt lgkmcnt(0)
	v_and_b32_e32 v2, 15, v2
	v_cmp_eq_u32_e32 vcc, 0, v2
	s_and_b64 s[40:41], s[26:27], vcc
	s_andn2_b64 s[26:27], s[26:27], exec
	s_and_b64 s[40:41], s[40:41], exec
	s_or_b64 s[26:27], s[26:27], s[40:41]
.LBB11_1088:                            ;   in Loop: Header=BB11_47 Depth=1
	s_or_b64 exec, exec, s[28:29]
	s_xor_b64 s[26:27], s[26:27], -1
	v_cndmask_b32_e64 v8, 0, 1, s[26:27]
	v_lshlrev_b32_e32 v2, 1, v21
	s_mov_b64 s[40:41], -1
	v_mov_b32_e32 v16, 0
	v_cmp_ne_u32_e32 vcc, 0, v8
	s_cbranch_vccz .LBB11_1090
; %bb.1089:                             ;   in Loop: Header=BB11_47 Depth=1
	v_mov_b32_e32 v17, v0
	s_and_saveexec_b64 s[28:29], s[40:41]
	s_cbranch_execnz .LBB11_1165
	s_branch .LBB11_1209
.LBB11_1090:                            ;   in Loop: Header=BB11_47 Depth=1
	v_ashrrev_i32_e32 v8, 31, v2
	v_lshrrev_b32_e32 v8, 22, v8
	v_add_u32_e32 v8, v2, v8
	v_and_b32_e32 v75, 0xfffffc00, v8
	v_ashrrev_i32_e32 v9, 10, v8
	v_sub_u32_e32 v77, v2, v75
	v_sub_u32_e32 v8, v9, v92
	v_cmp_lt_i32_e32 vcc, 15, v77
	v_sub_u32_e32 v74, v2, v54
	s_nop 0
	v_addc_co_u32_e64 v76, s[26:27], 0, v8, vcc
	v_cmp_lt_i32_e64 s[26:27], 15, v74
	s_and_saveexec_b64 s[54:55], s[26:27]
	s_cbranch_execz .LBB11_1126
; %bb.1091:                             ;   in Loop: Header=BB11_47 Depth=1
	s_trap 2
	ds_read_b64 v[8:9], v0
	s_and_b32 s76, s48, 1
	s_cmp_eq_u64 s[76:77], 0
	v_lshl_add_u64 v[60:61], v[58:59], 0, v[54:55]
	s_mov_b64 s[64:65], 0
	s_waitcnt lgkmcnt(0)
	v_lshl_add_u64 v[62:63], v[8:9], 0, v[54:55]
	s_cselect_b64 s[26:27], -1, 0
	v_mov_b64_e32 v[72:73], v[54:55]
	s_branch .LBB11_1093
.LBB11_1092:                            ;   in Loop: Header=BB11_1093 Depth=2
	s_or_b64 exec, exec, s[40:41]
	v_and_b32_e32 v19, 0xffff0000, v79
	v_and_b32_e32 v78, 0xffff0000, v78
	;; [unrolled: 1-line block ×4, first 2 shown]
	v_lshlrev_b32_e32 v8, 16, v8
	v_max_f32_e32 v78, v78, v78
	v_max_f32_e32 v8, v8, v8
	v_min_f32_e32 v89, v78, v8
	v_max_f32_e32 v8, v78, v8
	v_cndmask_b32_e64 v8, v8, v89, s[26:27]
	v_and_b32_e32 v16, 0xffff0000, v16
	v_and_b32_e32 v78, 0x7f800000, v8
	v_cmp_eq_u32_e64 s[28:29], s99, v78
	v_bfe_u32 v78, v8, 16, 1
	v_cmp_eq_u32_sdwa s[40:41], v8, v3 src0_sel:WORD_0 src1_sel:DWORD
	v_or_b32_e32 v89, 0x10000, v8
	v_max_f32_e32 v16, v16, v16
	v_max_f32_e32 v88, v88, v88
	v_add3_u32 v78, v8, v78, s74
	v_cndmask_b32_e64 v8, v89, v8, s[40:41]
	v_min_f32_e32 v89, v16, v88
	v_max_f32_e32 v16, v16, v88
	v_cndmask_b32_e64 v16, v16, v89, s[26:27]
	v_and_b32_e32 v88, 0x7f800000, v16
	v_cmp_eq_u32_e64 s[40:41], s99, v88
	v_bfe_u32 v88, v16, 16, 1
	v_cmp_eq_u32_sdwa s[42:43], v16, v3 src0_sel:WORD_0 src1_sel:DWORD
	v_or_b32_e32 v89, 0x10000, v16
	v_add3_u32 v88, v16, v88, s74
	v_cndmask_b32_e64 v16, v89, v16, s[42:43]
	v_and_b32_e32 v89, 0xffff0000, v9
	v_lshlrev_b32_e32 v9, 16, v9
	v_max_f32_e32 v19, v19, v19
	v_max_f32_e32 v9, v9, v9
	v_min_f32_e32 v108, v19, v9
	v_max_f32_e32 v9, v19, v9
	v_cndmask_b32_e64 v9, v9, v108, s[26:27]
	v_and_b32_e32 v17, 0xffff0000, v17
	v_and_b32_e32 v19, 0x7f800000, v9
	v_cmp_eq_u32_e64 s[42:43], s99, v19
	v_bfe_u32 v19, v9, 16, 1
	v_cmp_eq_u32_sdwa s[44:45], v9, v3 src0_sel:WORD_0 src1_sel:DWORD
	v_or_b32_e32 v108, 0x10000, v9
	v_max_f32_e32 v17, v17, v17
	v_max_f32_e32 v89, v89, v89
	v_add3_u32 v19, v9, v19, s74
	v_cndmask_b32_e64 v9, v108, v9, s[44:45]
	v_min_f32_e32 v108, v17, v89
	v_max_f32_e32 v17, v17, v89
	v_cndmask_b32_e64 v17, v17, v108, s[26:27]
	v_and_b32_e32 v89, 0x7f800000, v17
	v_cmp_eq_u32_e64 s[44:45], s99, v89
	v_bfe_u32 v89, v17, 16, 1
	v_cmp_eq_u32_sdwa s[46:47], v17, v3 src0_sel:WORD_0 src1_sel:DWORD
	v_or_b32_e32 v108, 0x10000, v17
	v_add3_u32 v89, v17, v89, s74
	v_cndmask_b32_e64 v17, v108, v17, s[46:47]
	v_and_b32_e32 v108, 0xffff0000, v10
	v_lshlrev_b32_e32 v10, 16, v10
	v_max_f32_e32 v79, v79, v79
	v_max_f32_e32 v10, v10, v10
	v_min_f32_e32 v109, v79, v10
	v_max_f32_e32 v10, v79, v10
	v_cndmask_b32_e64 v10, v10, v109, s[26:27]
	v_and_b32_e32 v14, 0xffff0000, v14
	v_and_b32_e32 v79, 0x7f800000, v10
	v_cmp_eq_u32_e64 s[46:47], s99, v79
	v_bfe_u32 v79, v10, 16, 1
	v_cmp_eq_u32_sdwa s[56:57], v10, v3 src0_sel:WORD_0 src1_sel:DWORD
	v_or_b32_e32 v109, 0x10000, v10
	v_max_f32_e32 v14, v14, v14
	v_max_f32_e32 v108, v108, v108
	v_add3_u32 v79, v10, v79, s74
	v_cndmask_b32_e64 v10, v109, v10, s[56:57]
	v_min_f32_e32 v109, v14, v108
	v_max_f32_e32 v14, v14, v108
	v_cndmask_b32_e64 v14, v14, v109, s[26:27]
	v_and_b32_e32 v108, 0x7f800000, v14
	v_cmp_eq_u32_e64 s[56:57], s99, v108
	v_bfe_u32 v108, v14, 16, 1
	v_cmp_eq_u32_sdwa s[58:59], v14, v3 src0_sel:WORD_0 src1_sel:DWORD
	v_or_b32_e32 v109, 0x10000, v14
	v_and_b32_e32 v18, 0xffff0000, v18
	v_add3_u32 v108, v14, v108, s74
	v_cndmask_b32_e64 v14, v109, v14, s[58:59]
	v_and_b32_e32 v109, 0xffff0000, v11
	v_lshlrev_b32_e32 v11, 16, v11
	v_max_f32_e32 v18, v18, v18
	v_max_f32_e32 v11, v11, v11
	v_min_f32_e32 v110, v18, v11
	v_max_f32_e32 v11, v18, v11
	v_cndmask_b32_e64 v11, v11, v110, s[26:27]
	v_and_b32_e32 v15, 0xffff0000, v15
	v_and_b32_e32 v18, 0x7f800000, v11
	v_cmp_eq_u32_e64 s[58:59], s99, v18
	v_bfe_u32 v18, v11, 16, 1
	v_cmp_eq_u32_sdwa s[60:61], v11, v3 src0_sel:WORD_0 src1_sel:DWORD
	v_or_b32_e32 v110, 0x10000, v11
	v_max_f32_e32 v15, v15, v15
	v_max_f32_e32 v109, v109, v109
	v_add3_u32 v18, v11, v18, s74
	v_cndmask_b32_e64 v11, v110, v11, s[60:61]
	v_min_f32_e32 v110, v15, v109
	v_max_f32_e32 v15, v15, v109
	v_cndmask_b32_e64 v15, v15, v110, s[26:27]
	v_and_b32_e32 v109, 0x7f800000, v15
	v_cmp_eq_u32_e64 s[60:61], s99, v109
	v_bfe_u32 v109, v15, 16, 1
	v_cmp_eq_u32_sdwa s[62:63], v15, v3 src0_sel:WORD_0 src1_sel:DWORD
	v_or_b32_e32 v110, 0x10000, v15
	v_add3_u32 v109, v15, v109, s74
	v_cndmask_b32_e64 v15, v110, v15, s[62:63]
	v_cndmask_b32_e64 v8, v78, v8, s[28:29]
	v_cndmask_b32_e64 v9, v19, v9, s[42:43]
	v_cndmask_b32_e64 v10, v79, v10, s[46:47]
	v_cndmask_b32_e64 v11, v18, v11, s[58:59]
	v_sub_u32_e32 v74, v74, v70
	v_cndmask_b32_e64 v16, v88, v16, s[40:41]
	v_cndmask_b32_e64 v17, v89, v17, s[44:45]
	;; [unrolled: 1-line block ×4, first 2 shown]
	v_lshrrev_b32_e32 v9, 16, v9
	v_lshrrev_b32_e32 v8, 16, v8
	;; [unrolled: 1-line block ×4, first 2 shown]
	v_cmp_gt_i32_e64 s[28:29], 16, v74
	v_lshl_add_u64 v[12:13], v[22:23], 0, v[72:73]
	v_and_or_b32 v9, v17, s75, v9
	v_and_or_b32 v8, v16, s75, v8
	;; [unrolled: 1-line block ×4, first 2 shown]
	v_lshl_add_u64 v[60:61], v[60:61], 0, v[70:71]
	v_lshl_add_u64 v[62:63], v[62:63], 0, v[70:71]
	;; [unrolled: 1-line block ×3, first 2 shown]
	v_sub_u32_e32 v76, v76, v52
	s_or_b64 s[64:65], s[28:29], s[64:65]
	global_store_dwordx4 v[12:13], v[8:11], off
	s_andn2_b64 exec, exec, s[64:65]
	s_cbranch_execz .LBB11_1125
.LBB11_1093:                            ;   Parent Loop BB11_47 Depth=1
                                        ; =>  This Inner Loop Header: Depth=2
	global_load_dwordx4 v[12:15], v[62:63], off nt
	global_load_dwordx4 v[16:19], v[60:61], off nt
	;; [unrolled: 1-line block ×3, first 2 shown]
	s_waitcnt vmcnt(0)
	v_lshlrev_b32_e32 v78, 16, v12
	v_lshlrev_b32_e32 v79, 16, v16
	v_max_f32_e32 v78, v78, v78
	v_max_f32_e32 v79, v79, v79
	v_min_f32_e32 v88, v79, v78
	v_max_f32_e32 v78, v79, v78
	v_cndmask_b32_e64 v79, v78, v88, s[26:27]
	v_and_b32_e32 v78, 0x7f800000, v79
	v_cmp_ne_u32_e64 s[28:29], s99, v78
                                        ; implicit-def: $vgpr78
	s_and_saveexec_b64 s[40:41], s[28:29]
	s_xor_b64 s[28:29], exec, s[40:41]
; %bb.1094:                             ;   in Loop: Header=BB11_1093 Depth=2
	v_bfe_u32 v78, v79, 16, 1
	v_add3_u32 v78, v79, v78, s74
                                        ; implicit-def: $vgpr79
; %bb.1095:                             ;   in Loop: Header=BB11_1093 Depth=2
	s_andn2_saveexec_b64 s[40:41], s[28:29]
; %bb.1096:                             ;   in Loop: Header=BB11_1093 Depth=2
	v_or_b32_e32 v78, 0x10000, v79
	v_cmp_eq_u32_sdwa s[28:29], v79, v3 src0_sel:WORD_0 src1_sel:DWORD
	s_nop 1
	v_cndmask_b32_e64 v78, v78, v79, s[28:29]
; %bb.1097:                             ;   in Loop: Header=BB11_1093 Depth=2
	s_or_b64 exec, exec, s[40:41]
	v_and_b32_e32 v12, 0xffff0000, v12
	v_and_b32_e32 v16, 0xffff0000, v16
	v_max_f32_e32 v12, v12, v12
	v_max_f32_e32 v16, v16, v16
	v_min_f32_e32 v79, v16, v12
	v_max_f32_e32 v12, v16, v12
	v_cndmask_b32_e64 v12, v12, v79, s[26:27]
	v_and_b32_e32 v16, 0x7f800000, v12
	v_cmp_ne_u32_e64 s[28:29], s99, v16
                                        ; implicit-def: $vgpr16
	s_and_saveexec_b64 s[40:41], s[28:29]
	s_xor_b64 s[28:29], exec, s[40:41]
; %bb.1098:                             ;   in Loop: Header=BB11_1093 Depth=2
	v_bfe_u32 v16, v12, 16, 1
	v_add3_u32 v16, v12, v16, s74
                                        ; implicit-def: $vgpr12
; %bb.1099:                             ;   in Loop: Header=BB11_1093 Depth=2
	s_andn2_saveexec_b64 s[40:41], s[28:29]
; %bb.1100:                             ;   in Loop: Header=BB11_1093 Depth=2
	v_or_b32_e32 v16, 0x10000, v12
	v_cmp_eq_u32_sdwa s[28:29], v12, v3 src0_sel:WORD_0 src1_sel:DWORD
	s_nop 1
	v_cndmask_b32_e64 v16, v16, v12, s[28:29]
; %bb.1101:                             ;   in Loop: Header=BB11_1093 Depth=2
	s_or_b64 exec, exec, s[40:41]
	v_lshlrev_b32_e32 v12, 16, v13
	v_lshlrev_b32_e32 v79, 16, v17
	v_max_f32_e32 v12, v12, v12
	v_max_f32_e32 v79, v79, v79
	v_min_f32_e32 v88, v79, v12
	v_max_f32_e32 v12, v79, v12
	v_cndmask_b32_e64 v12, v12, v88, s[26:27]
	v_and_b32_e32 v79, 0x7f800000, v12
	v_cmp_ne_u32_e64 s[28:29], s99, v79
                                        ; implicit-def: $vgpr79
	s_and_saveexec_b64 s[40:41], s[28:29]
	s_xor_b64 s[28:29], exec, s[40:41]
; %bb.1102:                             ;   in Loop: Header=BB11_1093 Depth=2
	v_bfe_u32 v79, v12, 16, 1
	v_add3_u32 v79, v12, v79, s74
                                        ; implicit-def: $vgpr12
; %bb.1103:                             ;   in Loop: Header=BB11_1093 Depth=2
	s_andn2_saveexec_b64 s[40:41], s[28:29]
; %bb.1104:                             ;   in Loop: Header=BB11_1093 Depth=2
	v_or_b32_e32 v79, 0x10000, v12
	v_cmp_eq_u32_sdwa s[28:29], v12, v3 src0_sel:WORD_0 src1_sel:DWORD
	s_nop 1
	v_cndmask_b32_e64 v79, v79, v12, s[28:29]
; %bb.1105:                             ;   in Loop: Header=BB11_1093 Depth=2
	s_or_b64 exec, exec, s[40:41]
	v_and_b32_e32 v12, 0xffff0000, v17
	v_and_b32_e32 v13, 0xffff0000, v13
	v_max_f32_e32 v13, v13, v13
	v_max_f32_e32 v12, v12, v12
	v_min_f32_e32 v17, v12, v13
	v_max_f32_e32 v12, v12, v13
	v_cndmask_b32_e64 v12, v12, v17, s[26:27]
	v_and_b32_e32 v13, 0x7f800000, v12
	v_cmp_ne_u32_e64 s[28:29], s99, v13
                                        ; implicit-def: $vgpr17
	s_and_saveexec_b64 s[40:41], s[28:29]
	s_xor_b64 s[28:29], exec, s[40:41]
; %bb.1106:                             ;   in Loop: Header=BB11_1093 Depth=2
	v_bfe_u32 v13, v12, 16, 1
	v_add3_u32 v17, v12, v13, s74
                                        ; implicit-def: $vgpr12
; %bb.1107:                             ;   in Loop: Header=BB11_1093 Depth=2
	s_andn2_saveexec_b64 s[40:41], s[28:29]
; %bb.1108:                             ;   in Loop: Header=BB11_1093 Depth=2
	v_or_b32_e32 v13, 0x10000, v12
	v_cmp_eq_u32_sdwa s[28:29], v12, v3 src0_sel:WORD_0 src1_sel:DWORD
	s_nop 1
	v_cndmask_b32_e64 v17, v13, v12, s[28:29]
; %bb.1109:                             ;   in Loop: Header=BB11_1093 Depth=2
	s_or_b64 exec, exec, s[40:41]
	v_lshlrev_b32_e32 v12, 16, v14
	v_lshlrev_b32_e32 v13, 16, v18
	v_max_f32_e32 v12, v12, v12
	v_max_f32_e32 v13, v13, v13
	v_min_f32_e32 v88, v13, v12
	v_max_f32_e32 v12, v13, v12
	v_cndmask_b32_e64 v12, v12, v88, s[26:27]
	v_and_b32_e32 v13, 0x7f800000, v12
	v_cmp_ne_u32_e64 s[28:29], s99, v13
                                        ; implicit-def: $vgpr88
	s_and_saveexec_b64 s[40:41], s[28:29]
	s_xor_b64 s[28:29], exec, s[40:41]
; %bb.1110:                             ;   in Loop: Header=BB11_1093 Depth=2
	v_bfe_u32 v13, v12, 16, 1
	v_add3_u32 v88, v12, v13, s74
                                        ; implicit-def: $vgpr12
; %bb.1111:                             ;   in Loop: Header=BB11_1093 Depth=2
	s_andn2_saveexec_b64 s[40:41], s[28:29]
; %bb.1112:                             ;   in Loop: Header=BB11_1093 Depth=2
	v_or_b32_e32 v13, 0x10000, v12
	v_cmp_eq_u32_sdwa s[28:29], v12, v3 src0_sel:WORD_0 src1_sel:DWORD
	s_nop 1
	v_cndmask_b32_e64 v88, v13, v12, s[28:29]
; %bb.1113:                             ;   in Loop: Header=BB11_1093 Depth=2
	s_or_b64 exec, exec, s[40:41]
	v_and_b32_e32 v12, 0xffff0000, v18
	v_and_b32_e32 v13, 0xffff0000, v14
	v_max_f32_e32 v13, v13, v13
	v_max_f32_e32 v12, v12, v12
	v_min_f32_e32 v14, v12, v13
	v_max_f32_e32 v12, v12, v13
	v_cndmask_b32_e64 v12, v12, v14, s[26:27]
	v_and_b32_e32 v13, 0x7f800000, v12
	v_cmp_ne_u32_e64 s[28:29], s99, v13
                                        ; implicit-def: $vgpr14
	s_and_saveexec_b64 s[40:41], s[28:29]
	s_xor_b64 s[28:29], exec, s[40:41]
; %bb.1114:                             ;   in Loop: Header=BB11_1093 Depth=2
	v_bfe_u32 v13, v12, 16, 1
	v_add3_u32 v14, v12, v13, s74
                                        ; implicit-def: $vgpr12
; %bb.1115:                             ;   in Loop: Header=BB11_1093 Depth=2
	s_andn2_saveexec_b64 s[40:41], s[28:29]
; %bb.1116:                             ;   in Loop: Header=BB11_1093 Depth=2
	v_or_b32_e32 v13, 0x10000, v12
	v_cmp_eq_u32_sdwa s[28:29], v12, v3 src0_sel:WORD_0 src1_sel:DWORD
	s_nop 1
	v_cndmask_b32_e64 v14, v13, v12, s[28:29]
; %bb.1117:                             ;   in Loop: Header=BB11_1093 Depth=2
	s_or_b64 exec, exec, s[40:41]
	v_lshlrev_b32_e32 v12, 16, v15
	v_lshlrev_b32_e32 v13, 16, v19
	v_max_f32_e32 v12, v12, v12
	v_max_f32_e32 v13, v13, v13
	v_min_f32_e32 v18, v13, v12
	v_max_f32_e32 v12, v13, v12
	v_cndmask_b32_e64 v12, v12, v18, s[26:27]
	v_and_b32_e32 v13, 0x7f800000, v12
	v_cmp_ne_u32_e64 s[28:29], s99, v13
                                        ; implicit-def: $vgpr18
	s_and_saveexec_b64 s[40:41], s[28:29]
	s_xor_b64 s[28:29], exec, s[40:41]
; %bb.1118:                             ;   in Loop: Header=BB11_1093 Depth=2
	v_bfe_u32 v13, v12, 16, 1
	v_add3_u32 v18, v12, v13, s74
                                        ; implicit-def: $vgpr12
; %bb.1119:                             ;   in Loop: Header=BB11_1093 Depth=2
	s_andn2_saveexec_b64 s[40:41], s[28:29]
; %bb.1120:                             ;   in Loop: Header=BB11_1093 Depth=2
	v_or_b32_e32 v13, 0x10000, v12
	v_cmp_eq_u32_sdwa s[28:29], v12, v3 src0_sel:WORD_0 src1_sel:DWORD
	s_nop 1
	v_cndmask_b32_e64 v18, v13, v12, s[28:29]
; %bb.1121:                             ;   in Loop: Header=BB11_1093 Depth=2
	s_or_b64 exec, exec, s[40:41]
	v_and_b32_e32 v12, 0xffff0000, v19
	v_and_b32_e32 v13, 0xffff0000, v15
	v_max_f32_e32 v13, v13, v13
	v_max_f32_e32 v12, v12, v12
	v_min_f32_e32 v15, v12, v13
	v_max_f32_e32 v12, v12, v13
	v_cndmask_b32_e64 v12, v12, v15, s[26:27]
	v_and_b32_e32 v13, 0x7f800000, v12
	v_cmp_ne_u32_e64 s[28:29], s99, v13
                                        ; implicit-def: $vgpr15
	s_and_saveexec_b64 s[40:41], s[28:29]
	s_xor_b64 s[28:29], exec, s[40:41]
; %bb.1122:                             ;   in Loop: Header=BB11_1093 Depth=2
	v_bfe_u32 v13, v12, 16, 1
	v_add3_u32 v15, v12, v13, s74
                                        ; implicit-def: $vgpr12
; %bb.1123:                             ;   in Loop: Header=BB11_1093 Depth=2
	s_andn2_saveexec_b64 s[40:41], s[28:29]
	s_cbranch_execz .LBB11_1092
; %bb.1124:                             ;   in Loop: Header=BB11_1093 Depth=2
	v_or_b32_e32 v13, 0x10000, v12
	v_cmp_eq_u32_sdwa s[28:29], v12, v3 src0_sel:WORD_0 src1_sel:DWORD
	s_nop 1
	v_cndmask_b32_e64 v15, v13, v12, s[28:29]
	s_branch .LBB11_1092
.LBB11_1125:                            ;   in Loop: Header=BB11_47 Depth=1
	s_or_b64 exec, exec, s[64:65]
.LBB11_1126:                            ;   in Loop: Header=BB11_47 Depth=1
	s_or_b64 exec, exec, s[54:55]
	v_and_b32_e32 v8, 14, v2
	v_cndmask_b32_e32 v74, v77, v8, vcc
	v_mov_b32_e32 v16, 0
	v_cmp_ne_u32_e64 s[26:27], 0, v74
	s_mov_b64 s[40:41], 0
                                        ; implicit-def: $vgpr2
                                        ; implicit-def: $vgpr17
	s_and_saveexec_b64 s[54:55], s[26:27]
	s_cbranch_execz .LBB11_1164
; %bb.1127:                             ;   in Loop: Header=BB11_47 Depth=1
	v_sub_u32_e32 v2, v77, v8
	v_cndmask_b32_e32 v2, 0, v2, vcc
	v_cmp_lt_i32_e32 vcc, 0, v76
	v_add_u32_e32 v2, v2, v75
	s_nop 0
	v_cndmask_b32_e32 v8, 0, v52, vcc
	v_sub_u32_e32 v8, v8, v76
	v_lshl_or_b32 v8, v8, 6, v91
	v_ashrrev_i32_e32 v9, 31, v8
	v_lshrrev_b32_e32 v9, 26, v9
	v_add_u32_e32 v9, v8, v9
	v_ashrrev_i32_e32 v10, 6, v9
	v_and_b32_e32 v9, 0xffffffc0, v9
	v_sub_u32_e32 v75, v8, v9
	v_ashrrev_i32_e32 v9, 31, v74
	v_lshrrev_b32_e32 v9, 22, v9
	v_add_u32_e32 v9, v74, v9
	v_and_b32_e32 v76, 0xfffffc00, v9
	v_lshlrev_b32_e32 v8, 4, v75
	v_sub_u32_e32 v77, v74, v76
	v_lshl_add_u32 v8, v10, 10, v8
	v_ashrrev_i32_e32 v11, 10, v9
	v_cmp_lt_i32_e32 vcc, 15, v77
	v_sub_u32_e32 v79, v74, v8
	s_nop 0
	v_addc_co_u32_e64 v9, s[26:27], 0, v11, vcc
	v_sub_u32_e32 v78, v9, v10
	v_cmp_lt_i32_e64 s[26:27], 15, v79
	s_and_saveexec_b64 s[64:65], s[26:27]
	s_cbranch_execz .LBB11_1163
; %bb.1128:                             ;   in Loop: Header=BB11_47 Depth=1
	s_trap 2
	ds_read_b64 v[10:11], v0
	v_add_u32_e32 v60, v8, v2
	s_and_b32 s76, s48, 1
	v_ashrrev_i32_e32 v61, 31, v60
	s_cmp_eq_u64 s[76:77], 0
	s_waitcnt lgkmcnt(0)
	v_lshl_add_u64 v[62:63], v[60:61], 0, v[58:59]
	v_lshl_add_u64 v[72:73], v[10:11], 0, v[60:61]
	s_mov_b64 s[66:67], 0
	s_cselect_b64 s[26:27], -1, 0
	s_branch .LBB11_1130
.LBB11_1129:                            ;   in Loop: Header=BB11_1130 Depth=2
	s_or_b64 exec, exec, s[40:41]
	v_and_b32_e32 v19, 0xffff0000, v89
	v_and_b32_e32 v88, 0xffff0000, v88
	;; [unrolled: 1-line block ×4, first 2 shown]
	v_lshlrev_b32_e32 v8, 16, v8
	v_max_f32_e32 v88, v88, v88
	v_max_f32_e32 v8, v8, v8
	v_min_f32_e32 v109, v88, v8
	v_max_f32_e32 v8, v88, v8
	v_cndmask_b32_e64 v8, v8, v109, s[26:27]
	v_and_b32_e32 v16, 0xffff0000, v16
	v_and_b32_e32 v88, 0x7f800000, v8
	v_cmp_eq_u32_e64 s[28:29], s99, v88
	v_bfe_u32 v88, v8, 16, 1
	v_cmp_eq_u32_sdwa s[40:41], v8, v3 src0_sel:WORD_0 src1_sel:DWORD
	v_or_b32_e32 v109, 0x10000, v8
	v_max_f32_e32 v16, v16, v16
	v_max_f32_e32 v108, v108, v108
	v_add3_u32 v88, v8, v88, s74
	v_cndmask_b32_e64 v8, v109, v8, s[40:41]
	v_min_f32_e32 v109, v16, v108
	v_max_f32_e32 v16, v16, v108
	v_cndmask_b32_e64 v16, v16, v109, s[26:27]
	v_and_b32_e32 v108, 0x7f800000, v16
	v_cmp_eq_u32_e64 s[40:41], s99, v108
	v_bfe_u32 v108, v16, 16, 1
	v_cmp_eq_u32_sdwa s[42:43], v16, v3 src0_sel:WORD_0 src1_sel:DWORD
	v_or_b32_e32 v109, 0x10000, v16
	v_add3_u32 v108, v16, v108, s74
	v_cndmask_b32_e64 v16, v109, v16, s[42:43]
	v_and_b32_e32 v109, 0xffff0000, v9
	v_lshlrev_b32_e32 v9, 16, v9
	v_max_f32_e32 v19, v19, v19
	v_max_f32_e32 v9, v9, v9
	v_min_f32_e32 v110, v19, v9
	v_max_f32_e32 v9, v19, v9
	v_cndmask_b32_e64 v9, v9, v110, s[26:27]
	v_and_b32_e32 v17, 0xffff0000, v17
	v_and_b32_e32 v19, 0x7f800000, v9
	v_cmp_eq_u32_e64 s[42:43], s99, v19
	v_bfe_u32 v19, v9, 16, 1
	v_cmp_eq_u32_sdwa s[44:45], v9, v3 src0_sel:WORD_0 src1_sel:DWORD
	v_or_b32_e32 v110, 0x10000, v9
	v_max_f32_e32 v17, v17, v17
	v_max_f32_e32 v109, v109, v109
	v_add3_u32 v19, v9, v19, s74
	v_cndmask_b32_e64 v9, v110, v9, s[44:45]
	v_min_f32_e32 v110, v17, v109
	v_max_f32_e32 v17, v17, v109
	v_cndmask_b32_e64 v17, v17, v110, s[26:27]
	v_and_b32_e32 v109, 0x7f800000, v17
	v_cmp_eq_u32_e64 s[44:45], s99, v109
	v_bfe_u32 v109, v17, 16, 1
	v_cmp_eq_u32_sdwa s[46:47], v17, v3 src0_sel:WORD_0 src1_sel:DWORD
	v_or_b32_e32 v110, 0x10000, v17
	v_add3_u32 v109, v17, v109, s74
	v_cndmask_b32_e64 v17, v110, v17, s[46:47]
	v_and_b32_e32 v110, 0xffff0000, v10
	v_lshlrev_b32_e32 v10, 16, v10
	v_max_f32_e32 v89, v89, v89
	v_max_f32_e32 v10, v10, v10
	v_min_f32_e32 v111, v89, v10
	v_max_f32_e32 v10, v89, v10
	v_cndmask_b32_e64 v10, v10, v111, s[26:27]
	v_and_b32_e32 v14, 0xffff0000, v14
	v_and_b32_e32 v89, 0x7f800000, v10
	v_cmp_eq_u32_e64 s[46:47], s99, v89
	v_bfe_u32 v89, v10, 16, 1
	v_cmp_eq_u32_sdwa s[56:57], v10, v3 src0_sel:WORD_0 src1_sel:DWORD
	v_or_b32_e32 v111, 0x10000, v10
	v_max_f32_e32 v14, v14, v14
	v_max_f32_e32 v110, v110, v110
	v_add3_u32 v89, v10, v89, s74
	v_cndmask_b32_e64 v10, v111, v10, s[56:57]
	v_min_f32_e32 v111, v14, v110
	v_max_f32_e32 v14, v14, v110
	v_cndmask_b32_e64 v14, v14, v111, s[26:27]
	v_and_b32_e32 v110, 0x7f800000, v14
	v_cmp_eq_u32_e64 s[56:57], s99, v110
	v_bfe_u32 v110, v14, 16, 1
	v_cmp_eq_u32_sdwa s[58:59], v14, v3 src0_sel:WORD_0 src1_sel:DWORD
	v_or_b32_e32 v111, 0x10000, v14
	v_and_b32_e32 v18, 0xffff0000, v18
	v_add3_u32 v110, v14, v110, s74
	v_cndmask_b32_e64 v14, v111, v14, s[58:59]
	v_and_b32_e32 v111, 0xffff0000, v11
	v_lshlrev_b32_e32 v11, 16, v11
	v_max_f32_e32 v18, v18, v18
	v_max_f32_e32 v11, v11, v11
	v_min_f32_e32 v120, v18, v11
	v_max_f32_e32 v11, v18, v11
	v_cndmask_b32_e64 v11, v11, v120, s[26:27]
	v_and_b32_e32 v15, 0xffff0000, v15
	v_and_b32_e32 v18, 0x7f800000, v11
	v_cmp_eq_u32_e64 s[58:59], s99, v18
	v_bfe_u32 v18, v11, 16, 1
	v_cmp_eq_u32_sdwa s[60:61], v11, v3 src0_sel:WORD_0 src1_sel:DWORD
	v_or_b32_e32 v120, 0x10000, v11
	v_max_f32_e32 v15, v15, v15
	v_max_f32_e32 v111, v111, v111
	v_add3_u32 v18, v11, v18, s74
	v_cndmask_b32_e64 v11, v120, v11, s[60:61]
	v_min_f32_e32 v120, v15, v111
	v_max_f32_e32 v15, v15, v111
	v_cndmask_b32_e64 v15, v15, v120, s[26:27]
	v_and_b32_e32 v111, 0x7f800000, v15
	v_cmp_eq_u32_e64 s[60:61], s99, v111
	v_bfe_u32 v111, v15, 16, 1
	v_cmp_eq_u32_sdwa s[62:63], v15, v3 src0_sel:WORD_0 src1_sel:DWORD
	v_or_b32_e32 v120, 0x10000, v15
	v_add3_u32 v111, v15, v111, s74
	v_cndmask_b32_e64 v15, v120, v15, s[62:63]
	v_cndmask_b32_e64 v8, v88, v8, s[28:29]
	;; [unrolled: 1-line block ×5, first 2 shown]
	v_sub_u32_e32 v79, v79, v70
	v_cndmask_b32_e64 v16, v108, v16, s[40:41]
	v_cndmask_b32_e64 v17, v109, v17, s[44:45]
	;; [unrolled: 1-line block ×4, first 2 shown]
	v_lshrrev_b32_e32 v9, 16, v9
	v_lshrrev_b32_e32 v8, 16, v8
	;; [unrolled: 1-line block ×4, first 2 shown]
	v_cmp_gt_i32_e64 s[28:29], 16, v79
	v_lshl_add_u64 v[12:13], v[22:23], 0, v[60:61]
	v_and_or_b32 v9, v17, s75, v9
	v_and_or_b32 v8, v16, s75, v8
	;; [unrolled: 1-line block ×4, first 2 shown]
	v_lshl_add_u64 v[62:63], v[62:63], 0, v[70:71]
	v_lshl_add_u64 v[72:73], v[72:73], 0, v[70:71]
	;; [unrolled: 1-line block ×3, first 2 shown]
	v_sub_u32_e32 v78, v78, v52
	s_or_b64 s[66:67], s[28:29], s[66:67]
	global_store_dwordx4 v[12:13], v[8:11], off
	s_andn2_b64 exec, exec, s[66:67]
	s_cbranch_execz .LBB11_1162
.LBB11_1130:                            ;   Parent Loop BB11_47 Depth=1
                                        ; =>  This Inner Loop Header: Depth=2
	global_load_dwordx4 v[12:15], v[72:73], off nt
	global_load_dwordx4 v[16:19], v[62:63], off nt
	;; [unrolled: 1-line block ×3, first 2 shown]
	s_waitcnt vmcnt(0)
	v_lshlrev_b32_e32 v88, 16, v12
	v_lshlrev_b32_e32 v89, 16, v16
	v_max_f32_e32 v88, v88, v88
	v_max_f32_e32 v89, v89, v89
	v_min_f32_e32 v108, v89, v88
	v_max_f32_e32 v88, v89, v88
	v_cndmask_b32_e64 v89, v88, v108, s[26:27]
	v_and_b32_e32 v88, 0x7f800000, v89
	v_cmp_ne_u32_e64 s[28:29], s99, v88
                                        ; implicit-def: $vgpr88
	s_and_saveexec_b64 s[40:41], s[28:29]
	s_xor_b64 s[28:29], exec, s[40:41]
; %bb.1131:                             ;   in Loop: Header=BB11_1130 Depth=2
	v_bfe_u32 v88, v89, 16, 1
	v_add3_u32 v88, v89, v88, s74
                                        ; implicit-def: $vgpr89
; %bb.1132:                             ;   in Loop: Header=BB11_1130 Depth=2
	s_andn2_saveexec_b64 s[40:41], s[28:29]
; %bb.1133:                             ;   in Loop: Header=BB11_1130 Depth=2
	v_or_b32_e32 v88, 0x10000, v89
	v_cmp_eq_u32_sdwa s[28:29], v89, v3 src0_sel:WORD_0 src1_sel:DWORD
	s_nop 1
	v_cndmask_b32_e64 v88, v88, v89, s[28:29]
; %bb.1134:                             ;   in Loop: Header=BB11_1130 Depth=2
	s_or_b64 exec, exec, s[40:41]
	v_and_b32_e32 v12, 0xffff0000, v12
	v_and_b32_e32 v16, 0xffff0000, v16
	v_max_f32_e32 v12, v12, v12
	v_max_f32_e32 v16, v16, v16
	v_min_f32_e32 v89, v16, v12
	v_max_f32_e32 v12, v16, v12
	v_cndmask_b32_e64 v12, v12, v89, s[26:27]
	v_and_b32_e32 v16, 0x7f800000, v12
	v_cmp_ne_u32_e64 s[28:29], s99, v16
                                        ; implicit-def: $vgpr16
	s_and_saveexec_b64 s[40:41], s[28:29]
	s_xor_b64 s[28:29], exec, s[40:41]
; %bb.1135:                             ;   in Loop: Header=BB11_1130 Depth=2
	v_bfe_u32 v16, v12, 16, 1
	v_add3_u32 v16, v12, v16, s74
                                        ; implicit-def: $vgpr12
; %bb.1136:                             ;   in Loop: Header=BB11_1130 Depth=2
	s_andn2_saveexec_b64 s[40:41], s[28:29]
; %bb.1137:                             ;   in Loop: Header=BB11_1130 Depth=2
	v_or_b32_e32 v16, 0x10000, v12
	v_cmp_eq_u32_sdwa s[28:29], v12, v3 src0_sel:WORD_0 src1_sel:DWORD
	s_nop 1
	v_cndmask_b32_e64 v16, v16, v12, s[28:29]
; %bb.1138:                             ;   in Loop: Header=BB11_1130 Depth=2
	s_or_b64 exec, exec, s[40:41]
	v_lshlrev_b32_e32 v12, 16, v13
	v_lshlrev_b32_e32 v89, 16, v17
	v_max_f32_e32 v12, v12, v12
	v_max_f32_e32 v89, v89, v89
	v_min_f32_e32 v108, v89, v12
	v_max_f32_e32 v12, v89, v12
	v_cndmask_b32_e64 v12, v12, v108, s[26:27]
	v_and_b32_e32 v89, 0x7f800000, v12
	v_cmp_ne_u32_e64 s[28:29], s99, v89
                                        ; implicit-def: $vgpr89
	s_and_saveexec_b64 s[40:41], s[28:29]
	s_xor_b64 s[28:29], exec, s[40:41]
; %bb.1139:                             ;   in Loop: Header=BB11_1130 Depth=2
	v_bfe_u32 v89, v12, 16, 1
	v_add3_u32 v89, v12, v89, s74
                                        ; implicit-def: $vgpr12
; %bb.1140:                             ;   in Loop: Header=BB11_1130 Depth=2
	s_andn2_saveexec_b64 s[40:41], s[28:29]
; %bb.1141:                             ;   in Loop: Header=BB11_1130 Depth=2
	v_or_b32_e32 v89, 0x10000, v12
	v_cmp_eq_u32_sdwa s[28:29], v12, v3 src0_sel:WORD_0 src1_sel:DWORD
	s_nop 1
	v_cndmask_b32_e64 v89, v89, v12, s[28:29]
; %bb.1142:                             ;   in Loop: Header=BB11_1130 Depth=2
	s_or_b64 exec, exec, s[40:41]
	v_and_b32_e32 v12, 0xffff0000, v17
	v_and_b32_e32 v13, 0xffff0000, v13
	v_max_f32_e32 v13, v13, v13
	v_max_f32_e32 v12, v12, v12
	v_min_f32_e32 v17, v12, v13
	v_max_f32_e32 v12, v12, v13
	v_cndmask_b32_e64 v12, v12, v17, s[26:27]
	v_and_b32_e32 v13, 0x7f800000, v12
	v_cmp_ne_u32_e64 s[28:29], s99, v13
                                        ; implicit-def: $vgpr17
	s_and_saveexec_b64 s[40:41], s[28:29]
	s_xor_b64 s[28:29], exec, s[40:41]
; %bb.1143:                             ;   in Loop: Header=BB11_1130 Depth=2
	v_bfe_u32 v13, v12, 16, 1
	v_add3_u32 v17, v12, v13, s74
                                        ; implicit-def: $vgpr12
; %bb.1144:                             ;   in Loop: Header=BB11_1130 Depth=2
	s_andn2_saveexec_b64 s[40:41], s[28:29]
; %bb.1145:                             ;   in Loop: Header=BB11_1130 Depth=2
	v_or_b32_e32 v13, 0x10000, v12
	v_cmp_eq_u32_sdwa s[28:29], v12, v3 src0_sel:WORD_0 src1_sel:DWORD
	s_nop 1
	v_cndmask_b32_e64 v17, v13, v12, s[28:29]
; %bb.1146:                             ;   in Loop: Header=BB11_1130 Depth=2
	s_or_b64 exec, exec, s[40:41]
	v_lshlrev_b32_e32 v12, 16, v14
	v_lshlrev_b32_e32 v13, 16, v18
	v_max_f32_e32 v12, v12, v12
	v_max_f32_e32 v13, v13, v13
	v_min_f32_e32 v108, v13, v12
	v_max_f32_e32 v12, v13, v12
	v_cndmask_b32_e64 v12, v12, v108, s[26:27]
	v_and_b32_e32 v13, 0x7f800000, v12
	v_cmp_ne_u32_e64 s[28:29], s99, v13
                                        ; implicit-def: $vgpr108
	s_and_saveexec_b64 s[40:41], s[28:29]
	s_xor_b64 s[28:29], exec, s[40:41]
; %bb.1147:                             ;   in Loop: Header=BB11_1130 Depth=2
	v_bfe_u32 v13, v12, 16, 1
	v_add3_u32 v108, v12, v13, s74
                                        ; implicit-def: $vgpr12
; %bb.1148:                             ;   in Loop: Header=BB11_1130 Depth=2
	s_andn2_saveexec_b64 s[40:41], s[28:29]
; %bb.1149:                             ;   in Loop: Header=BB11_1130 Depth=2
	v_or_b32_e32 v13, 0x10000, v12
	v_cmp_eq_u32_sdwa s[28:29], v12, v3 src0_sel:WORD_0 src1_sel:DWORD
	s_nop 1
	v_cndmask_b32_e64 v108, v13, v12, s[28:29]
; %bb.1150:                             ;   in Loop: Header=BB11_1130 Depth=2
	s_or_b64 exec, exec, s[40:41]
	v_and_b32_e32 v12, 0xffff0000, v18
	v_and_b32_e32 v13, 0xffff0000, v14
	v_max_f32_e32 v13, v13, v13
	v_max_f32_e32 v12, v12, v12
	v_min_f32_e32 v14, v12, v13
	v_max_f32_e32 v12, v12, v13
	v_cndmask_b32_e64 v12, v12, v14, s[26:27]
	v_and_b32_e32 v13, 0x7f800000, v12
	v_cmp_ne_u32_e64 s[28:29], s99, v13
                                        ; implicit-def: $vgpr14
	s_and_saveexec_b64 s[40:41], s[28:29]
	s_xor_b64 s[28:29], exec, s[40:41]
; %bb.1151:                             ;   in Loop: Header=BB11_1130 Depth=2
	v_bfe_u32 v13, v12, 16, 1
	v_add3_u32 v14, v12, v13, s74
                                        ; implicit-def: $vgpr12
; %bb.1152:                             ;   in Loop: Header=BB11_1130 Depth=2
	s_andn2_saveexec_b64 s[40:41], s[28:29]
; %bb.1153:                             ;   in Loop: Header=BB11_1130 Depth=2
	v_or_b32_e32 v13, 0x10000, v12
	v_cmp_eq_u32_sdwa s[28:29], v12, v3 src0_sel:WORD_0 src1_sel:DWORD
	s_nop 1
	v_cndmask_b32_e64 v14, v13, v12, s[28:29]
; %bb.1154:                             ;   in Loop: Header=BB11_1130 Depth=2
	s_or_b64 exec, exec, s[40:41]
	v_lshlrev_b32_e32 v12, 16, v15
	v_lshlrev_b32_e32 v13, 16, v19
	v_max_f32_e32 v12, v12, v12
	v_max_f32_e32 v13, v13, v13
	v_min_f32_e32 v18, v13, v12
	v_max_f32_e32 v12, v13, v12
	v_cndmask_b32_e64 v12, v12, v18, s[26:27]
	v_and_b32_e32 v13, 0x7f800000, v12
	v_cmp_ne_u32_e64 s[28:29], s99, v13
                                        ; implicit-def: $vgpr18
	s_and_saveexec_b64 s[40:41], s[28:29]
	s_xor_b64 s[28:29], exec, s[40:41]
; %bb.1155:                             ;   in Loop: Header=BB11_1130 Depth=2
	v_bfe_u32 v13, v12, 16, 1
	v_add3_u32 v18, v12, v13, s74
                                        ; implicit-def: $vgpr12
; %bb.1156:                             ;   in Loop: Header=BB11_1130 Depth=2
	s_andn2_saveexec_b64 s[40:41], s[28:29]
; %bb.1157:                             ;   in Loop: Header=BB11_1130 Depth=2
	v_or_b32_e32 v13, 0x10000, v12
	v_cmp_eq_u32_sdwa s[28:29], v12, v3 src0_sel:WORD_0 src1_sel:DWORD
	s_nop 1
	v_cndmask_b32_e64 v18, v13, v12, s[28:29]
; %bb.1158:                             ;   in Loop: Header=BB11_1130 Depth=2
	s_or_b64 exec, exec, s[40:41]
	v_and_b32_e32 v12, 0xffff0000, v19
	v_and_b32_e32 v13, 0xffff0000, v15
	v_max_f32_e32 v13, v13, v13
	v_max_f32_e32 v12, v12, v12
	v_min_f32_e32 v15, v12, v13
	v_max_f32_e32 v12, v12, v13
	v_cndmask_b32_e64 v12, v12, v15, s[26:27]
	v_and_b32_e32 v13, 0x7f800000, v12
	v_cmp_ne_u32_e64 s[28:29], s99, v13
                                        ; implicit-def: $vgpr15
	s_and_saveexec_b64 s[40:41], s[28:29]
	s_xor_b64 s[28:29], exec, s[40:41]
; %bb.1159:                             ;   in Loop: Header=BB11_1130 Depth=2
	v_bfe_u32 v13, v12, 16, 1
	v_add3_u32 v15, v12, v13, s74
                                        ; implicit-def: $vgpr12
; %bb.1160:                             ;   in Loop: Header=BB11_1130 Depth=2
	s_andn2_saveexec_b64 s[40:41], s[28:29]
	s_cbranch_execz .LBB11_1129
; %bb.1161:                             ;   in Loop: Header=BB11_1130 Depth=2
	v_or_b32_e32 v13, 0x10000, v12
	v_cmp_eq_u32_sdwa s[28:29], v12, v3 src0_sel:WORD_0 src1_sel:DWORD
	s_nop 1
	v_cndmask_b32_e64 v15, v13, v12, s[28:29]
	s_branch .LBB11_1129
.LBB11_1162:                            ;   in Loop: Header=BB11_47 Depth=1
	s_or_b64 exec, exec, s[66:67]
.LBB11_1163:                            ;   in Loop: Header=BB11_47 Depth=1
	s_or_b64 exec, exec, s[64:65]
	v_and_b32_e32 v8, 14, v74
	v_sub_u32_e32 v9, v77, v8
	v_cndmask_b32_e32 v9, 0, v9, vcc
	v_add3_u32 v16, v76, v2, v9
	v_cndmask_b32_e32 v2, v77, v8, vcc
	v_cmp_lt_i32_e32 vcc, 0, v78
	s_nop 1
	v_cndmask_b32_e32 v8, 0, v52, vcc
	v_sub_u32_e32 v8, v8, v78
	v_cmp_ne_u32_e32 vcc, 0, v2
	v_lshl_add_u32 v17, v8, 6, v75
	s_and_b64 s[40:41], vcc, exec
.LBB11_1164:                            ;   in Loop: Header=BB11_47 Depth=1
	s_or_b64 exec, exec, s[54:55]
	s_and_saveexec_b64 s[28:29], s[40:41]
	s_cbranch_execz .LBB11_1209
.LBB11_1165:                            ;   in Loop: Header=BB11_47 Depth=1
	v_ashrrev_i32_e32 v8, 31, v17
	v_ashrrev_i32_e32 v9, 31, v2
	v_lshrrev_b32_e32 v8, 26, v8
	v_lshrrev_b32_e32 v9, 23, v9
	v_add_u32_e32 v8, v17, v8
	v_add_u32_e32 v9, v2, v9
	v_ashrrev_i32_e32 v18, 6, v8
	v_ashrrev_i32_e32 v60, 9, v9
	v_sub_u32_e32 v19, v60, v18
	v_cmp_lt_i32_e32 vcc, 0, v19
	s_and_saveexec_b64 s[40:41], vcc
	s_cbranch_execz .LBB11_1201
; %bb.1166:                             ;   in Loop: Header=BB11_47 Depth=1
	v_and_b32_e32 v8, 0x7fffffc0, v8
	s_trap 2
	ds_read_b64 v[10:11], v0
	v_sub_u32_e32 v8, v17, v8
	v_lshlrev_b32_e32 v8, 1, v8
	v_lshlrev_b32_e32 v9, 9, v18
	v_add3_u32 v12, v8, v16, v9
	s_and_b32 s76, s48, 1
	v_ashrrev_i32_e32 v13, 31, v12
	s_cmp_eq_u64 s[76:77], 0
	s_mov_b64 s[44:45], 0x180
	v_lshl_add_u64 v[8:9], v[12:13], 0, v[58:59]
	s_waitcnt lgkmcnt(0)
	v_lshl_add_u64 v[10:11], v[10:11], 0, v[12:13]
	s_mov_b64 s[42:43], 0
	s_cselect_b64 s[26:27], -1, 0
	v_lshl_add_u64 v[12:13], v[12:13], 0, s[44:45]
	s_branch .LBB11_1168
.LBB11_1167:                            ;   in Loop: Header=BB11_1168 Depth=2
	s_or_b64 exec, exec, s[44:45]
	v_sub_u32_e32 v19, v19, v52
	v_cmp_gt_i32_e32 vcc, 1, v19
	v_lshl_add_u64 v[8:9], v[8:9], 0, v[80:81]
	v_lshl_add_u64 v[10:11], v[10:11], 0, v[80:81]
	s_or_b64 s[42:43], vcc, s[42:43]
	v_lshl_add_u64 v[12:13], v[12:13], 0, v[112:113]
	flat_store_short_d16_hi v[14:15], v62 nt
	s_andn2_b64 exec, exec, s[42:43]
	s_cbranch_execz .LBB11_1200
.LBB11_1168:                            ;   Parent Loop BB11_47 Depth=1
                                        ; =>  This Inner Loop Header: Depth=2
	v_add_co_u32_e32 v14, vcc, 0xfffffe80, v12
	s_nop 1
	v_addc_co_u32_e32 v15, vcc, -1, v13, vcc
	flat_load_ushort v14, v[14:15] nt
	s_nop 0
	flat_load_ushort v74, v[8:9] offset:128 nt
	flat_load_ushort v73, v[8:9] offset:256 nt
	;; [unrolled: 1-line block ×3, first 2 shown]
	flat_load_ushort v15, v[8:9] nt
	flat_load_ushort v77, v[10:11] offset:128 nt
	flat_load_ushort v76, v[10:11] offset:256 nt
	;; [unrolled: 1-line block ×3, first 2 shown]
	flat_load_ushort v88, v[10:11] nt
	v_add_co_u32_e32 v78, vcc, 0xffffff00, v12
	s_waitcnt vmcnt(0) lgkmcnt(0)
	v_lshlrev_b32_e32 v15, 16, v15
	v_addc_co_u32_e32 v79, vcc, -1, v13, vcc
	v_add_co_u32_e32 v62, vcc, s70, v12
	v_max_f32_e32 v15, v15, v15
	s_nop 0
	v_addc_co_u32_e32 v63, vcc, -1, v13, vcc
	flat_load_ushort v62, v[62:63] nt
	s_nop 0
	flat_load_ushort v61, v[12:13] nt
	flat_load_ushort v63, v[78:79] nt
	v_lshlrev_b32_e32 v78, 16, v88
	v_max_f32_e32 v78, v78, v78
	v_min_f32_e32 v79, v15, v78
	v_max_f32_e32 v15, v15, v78
	v_cndmask_b32_e64 v78, v15, v79, s[26:27]
	v_and_b32_e32 v15, 0x7f800000, v78
	v_cmp_ne_u32_e32 vcc, s99, v15
                                        ; implicit-def: $vgpr15
	s_and_saveexec_b64 s[44:45], vcc
	s_xor_b64 s[44:45], exec, s[44:45]
; %bb.1169:                             ;   in Loop: Header=BB11_1168 Depth=2
	v_bfe_u32 v15, v78, 16, 1
	v_add3_u32 v15, v78, v15, s74
                                        ; implicit-def: $vgpr78
; %bb.1170:                             ;   in Loop: Header=BB11_1168 Depth=2
	s_andn2_saveexec_b64 s[44:45], s[44:45]
; %bb.1171:                             ;   in Loop: Header=BB11_1168 Depth=2
	v_or_b32_e32 v15, 0x10000, v78
	v_cmp_eq_u32_sdwa vcc, v78, v3 src0_sel:WORD_0 src1_sel:DWORD
	s_nop 1
	v_cndmask_b32_e32 v15, v15, v78, vcc
; %bb.1172:                             ;   in Loop: Header=BB11_1168 Depth=2
	s_or_b64 exec, exec, s[44:45]
	v_lshlrev_b32_e32 v74, 16, v74
	v_lshlrev_b32_e32 v77, 16, v77
	v_max_f32_e32 v77, v77, v77
	v_max_f32_e32 v74, v74, v74
	v_min_f32_e32 v78, v74, v77
	v_max_f32_e32 v74, v74, v77
	v_cndmask_b32_e64 v77, v74, v78, s[26:27]
	v_and_b32_e32 v74, 0x7f800000, v77
	v_cmp_ne_u32_e32 vcc, s99, v74
                                        ; implicit-def: $vgpr74
	s_and_saveexec_b64 s[44:45], vcc
	s_xor_b64 s[44:45], exec, s[44:45]
; %bb.1173:                             ;   in Loop: Header=BB11_1168 Depth=2
	v_bfe_u32 v74, v77, 16, 1
	v_add3_u32 v74, v77, v74, s74
                                        ; implicit-def: $vgpr77
; %bb.1174:                             ;   in Loop: Header=BB11_1168 Depth=2
	s_andn2_saveexec_b64 s[44:45], s[44:45]
; %bb.1175:                             ;   in Loop: Header=BB11_1168 Depth=2
	v_or_b32_e32 v74, 0x10000, v77
	v_cmp_eq_u32_sdwa vcc, v77, v3 src0_sel:WORD_0 src1_sel:DWORD
	s_nop 1
	v_cndmask_b32_e32 v74, v74, v77, vcc
; %bb.1176:                             ;   in Loop: Header=BB11_1168 Depth=2
	s_or_b64 exec, exec, s[44:45]
	v_lshlrev_b32_e32 v73, 16, v73
	v_lshlrev_b32_e32 v76, 16, v76
	v_max_f32_e32 v76, v76, v76
	v_max_f32_e32 v73, v73, v73
	v_min_f32_e32 v77, v73, v76
	v_max_f32_e32 v73, v73, v76
	v_cndmask_b32_e64 v76, v73, v77, s[26:27]
	v_and_b32_e32 v73, 0x7f800000, v76
	v_cmp_ne_u32_e32 vcc, s99, v73
                                        ; implicit-def: $vgpr73
	s_and_saveexec_b64 s[44:45], vcc
	s_xor_b64 s[44:45], exec, s[44:45]
; %bb.1177:                             ;   in Loop: Header=BB11_1168 Depth=2
	v_bfe_u32 v73, v76, 16, 1
	v_add3_u32 v73, v76, v73, s74
                                        ; implicit-def: $vgpr76
; %bb.1178:                             ;   in Loop: Header=BB11_1168 Depth=2
	s_andn2_saveexec_b64 s[44:45], s[44:45]
; %bb.1179:                             ;   in Loop: Header=BB11_1168 Depth=2
	v_or_b32_e32 v73, 0x10000, v76
	v_cmp_eq_u32_sdwa vcc, v76, v3 src0_sel:WORD_0 src1_sel:DWORD
	s_nop 1
	v_cndmask_b32_e32 v73, v73, v76, vcc
; %bb.1180:                             ;   in Loop: Header=BB11_1168 Depth=2
	s_or_b64 exec, exec, s[44:45]
	v_lshlrev_b32_e32 v72, 16, v72
	v_lshlrev_b32_e32 v75, 16, v75
	v_max_f32_e32 v75, v75, v75
	v_max_f32_e32 v72, v72, v72
	v_min_f32_e32 v76, v72, v75
	v_max_f32_e32 v72, v72, v75
	v_cndmask_b32_e64 v75, v72, v76, s[26:27]
	v_and_b32_e32 v72, 0x7f800000, v75
	v_cmp_ne_u32_e32 vcc, s99, v72
                                        ; implicit-def: $vgpr72
	s_and_saveexec_b64 s[44:45], vcc
	s_xor_b64 s[44:45], exec, s[44:45]
; %bb.1181:                             ;   in Loop: Header=BB11_1168 Depth=2
	v_bfe_u32 v72, v75, 16, 1
	v_add3_u32 v72, v75, v72, s74
                                        ; implicit-def: $vgpr75
; %bb.1182:                             ;   in Loop: Header=BB11_1168 Depth=2
	s_andn2_saveexec_b64 s[44:45], s[44:45]
; %bb.1183:                             ;   in Loop: Header=BB11_1168 Depth=2
	v_or_b32_e32 v72, 0x10000, v75
	v_cmp_eq_u32_sdwa vcc, v75, v3 src0_sel:WORD_0 src1_sel:DWORD
	s_nop 1
	v_cndmask_b32_e32 v72, v72, v75, vcc
; %bb.1184:                             ;   in Loop: Header=BB11_1168 Depth=2
	s_or_b64 exec, exec, s[44:45]
	v_and_b32_e32 v15, 0xffff0000, v15
	v_lshlrev_b32_e32 v14, 16, v14
	v_max_f32_e32 v15, v15, v15
	v_max_f32_e32 v14, v14, v14
	v_min_f32_e32 v75, v15, v14
	v_max_f32_e32 v14, v15, v14
	v_cndmask_b32_e64 v14, v14, v75, s[26:27]
	v_and_b32_e32 v15, 0x7f800000, v14
	v_cmp_ne_u32_e32 vcc, s99, v15
                                        ; implicit-def: $vgpr75
	s_and_saveexec_b64 s[44:45], vcc
	s_xor_b64 s[44:45], exec, s[44:45]
; %bb.1185:                             ;   in Loop: Header=BB11_1168 Depth=2
	v_bfe_u32 v15, v14, 16, 1
	v_add3_u32 v75, v14, v15, s74
                                        ; implicit-def: $vgpr14
; %bb.1186:                             ;   in Loop: Header=BB11_1168 Depth=2
	s_andn2_saveexec_b64 s[44:45], s[44:45]
; %bb.1187:                             ;   in Loop: Header=BB11_1168 Depth=2
	v_or_b32_e32 v15, 0x10000, v14
	v_cmp_eq_u32_sdwa vcc, v14, v3 src0_sel:WORD_0 src1_sel:DWORD
	s_nop 1
	v_cndmask_b32_e32 v75, v15, v14, vcc
; %bb.1188:                             ;   in Loop: Header=BB11_1168 Depth=2
	s_or_b64 exec, exec, s[44:45]
	v_lshl_add_u64 v[14:15], v[22:23], 0, v[12:13]
	v_and_b32_e32 v74, 0xffff0000, v74
	v_add_co_u32_e32 v76, vcc, 0xfffffe80, v14
	s_waitcnt vmcnt(0) lgkmcnt(0)
	v_lshlrev_b32_e32 v63, 16, v63
	v_addc_co_u32_e32 v77, vcc, -1, v15, vcc
	v_max_f32_e32 v74, v74, v74
	v_max_f32_e32 v63, v63, v63
	flat_store_short_d16_hi v[76:77], v75 nt
	v_min_f32_e32 v75, v74, v63
	v_max_f32_e32 v63, v74, v63
	v_cndmask_b32_e64 v74, v63, v75, s[26:27]
	v_and_b32_e32 v63, 0x7f800000, v74
	v_cmp_ne_u32_e32 vcc, s99, v63
                                        ; implicit-def: $vgpr63
	s_and_saveexec_b64 s[44:45], vcc
	s_xor_b64 s[44:45], exec, s[44:45]
; %bb.1189:                             ;   in Loop: Header=BB11_1168 Depth=2
	v_bfe_u32 v63, v74, 16, 1
	v_add3_u32 v63, v74, v63, s74
                                        ; implicit-def: $vgpr74
; %bb.1190:                             ;   in Loop: Header=BB11_1168 Depth=2
	s_andn2_saveexec_b64 s[44:45], s[44:45]
; %bb.1191:                             ;   in Loop: Header=BB11_1168 Depth=2
	v_or_b32_e32 v63, 0x10000, v74
	v_cmp_eq_u32_sdwa vcc, v74, v3 src0_sel:WORD_0 src1_sel:DWORD
	s_nop 1
	v_cndmask_b32_e32 v63, v63, v74, vcc
; %bb.1192:                             ;   in Loop: Header=BB11_1168 Depth=2
	s_or_b64 exec, exec, s[44:45]
	v_add_co_u32_e32 v74, vcc, 0xffffff00, v14
	v_and_b32_e32 v73, 0xffff0000, v73
	s_nop 0
	v_addc_co_u32_e32 v75, vcc, -1, v15, vcc
	v_lshlrev_b32_e32 v62, 16, v62
	flat_store_short_d16_hi v[74:75], v63 nt
	v_max_f32_e32 v63, v73, v73
	v_max_f32_e32 v62, v62, v62
	v_min_f32_e32 v73, v63, v62
	v_max_f32_e32 v62, v63, v62
	v_cndmask_b32_e64 v63, v62, v73, s[26:27]
	v_and_b32_e32 v62, 0x7f800000, v63
	v_cmp_ne_u32_e32 vcc, s99, v62
                                        ; implicit-def: $vgpr62
	s_and_saveexec_b64 s[44:45], vcc
	s_xor_b64 s[44:45], exec, s[44:45]
; %bb.1193:                             ;   in Loop: Header=BB11_1168 Depth=2
	v_bfe_u32 v62, v63, 16, 1
	v_add3_u32 v62, v63, v62, s74
                                        ; implicit-def: $vgpr63
; %bb.1194:                             ;   in Loop: Header=BB11_1168 Depth=2
	s_andn2_saveexec_b64 s[44:45], s[44:45]
; %bb.1195:                             ;   in Loop: Header=BB11_1168 Depth=2
	v_or_b32_e32 v62, 0x10000, v63
	v_cmp_eq_u32_sdwa vcc, v63, v3 src0_sel:WORD_0 src1_sel:DWORD
	s_nop 1
	v_cndmask_b32_e32 v62, v62, v63, vcc
; %bb.1196:                             ;   in Loop: Header=BB11_1168 Depth=2
	s_or_b64 exec, exec, s[44:45]
	v_and_b32_e32 v63, 0xffff0000, v72
	v_add_co_u32_e32 v72, vcc, 0xffffff80, v14
	v_lshlrev_b32_e32 v61, 16, v61
	s_nop 0
	v_addc_co_u32_e32 v73, vcc, -1, v15, vcc
	flat_store_short_d16_hi v[72:73], v62 nt
	v_max_f32_e32 v62, v63, v63
	v_max_f32_e32 v61, v61, v61
	v_min_f32_e32 v63, v62, v61
	v_max_f32_e32 v61, v62, v61
	v_cndmask_b32_e64 v61, v61, v63, s[26:27]
	v_and_b32_e32 v62, 0x7f800000, v61
	v_cmp_ne_u32_e32 vcc, s99, v62
                                        ; implicit-def: $vgpr62
	s_and_saveexec_b64 s[44:45], vcc
	s_xor_b64 s[44:45], exec, s[44:45]
; %bb.1197:                             ;   in Loop: Header=BB11_1168 Depth=2
	v_bfe_u32 v62, v61, 16, 1
	v_add3_u32 v62, v61, v62, s74
                                        ; implicit-def: $vgpr61
; %bb.1198:                             ;   in Loop: Header=BB11_1168 Depth=2
	s_andn2_saveexec_b64 s[44:45], s[44:45]
	s_cbranch_execz .LBB11_1167
; %bb.1199:                             ;   in Loop: Header=BB11_1168 Depth=2
	v_or_b32_e32 v62, 0x10000, v61
	v_cmp_eq_u32_sdwa vcc, v61, v3 src0_sel:WORD_0 src1_sel:DWORD
	s_nop 1
	v_cndmask_b32_e32 v62, v62, v61, vcc
	s_branch .LBB11_1167
.LBB11_1200:                            ;   in Loop: Header=BB11_47 Depth=1
	s_or_b64 exec, exec, s[42:43]
.LBB11_1201:                            ;   in Loop: Header=BB11_47 Depth=1
	s_or_b64 exec, exec, s[40:41]
	v_lshlrev_b32_e32 v8, 9, v60
	v_cmp_ne_u32_e32 vcc, v2, v8
	s_and_b64 exec, exec, vcc
	s_cbranch_execz .LBB11_1209
; %bb.1202:                             ;   in Loop: Header=BB11_47 Depth=1
	v_lshlrev_b32_e32 v9, 6, v18
	v_sub_u32_e32 v9, v17, v9
	v_lshlrev_b32_e32 v10, 6, v19
	v_sub_u32_e32 v9, v9, v10
	v_ashrrev_i32_e32 v10, 31, v9
	v_lshrrev_b32_e32 v10, 26, v10
	v_add_u32_e32 v10, v9, v10
	v_and_b32_e32 v11, 0x7fffffc0, v10
	v_sub_u32_e32 v9, v9, v11
	v_lshlrev_b32_e32 v10, 1, v10
	v_and_b32_e32 v10, 0xffffff80, v10
	v_lshlrev_b32_e32 v9, 1, v9
	v_add3_u32 v8, v10, v9, v8
	v_sub_u32_e32 v2, v2, v8
	v_cmp_lt_i32_e32 vcc, 1, v2
	s_and_b64 exec, exec, vcc
	s_cbranch_execz .LBB11_1209
; %bb.1203:                             ;   in Loop: Header=BB11_47 Depth=1
	s_trap 2
	ds_read_b64 v[12:13], v0
	v_add_u32_e32 v8, v8, v16
	s_and_b32 s76, s48, 1
	v_ashrrev_i32_e32 v9, 31, v8
	s_cmp_eq_u64 s[76:77], 0
	v_lshl_add_u64 v[10:11], v[8:9], 0, v[58:59]
	s_waitcnt lgkmcnt(0)
	v_lshl_add_u64 v[12:13], v[12:13], 0, v[8:9]
	s_mov_b64 s[40:41], 0
	s_cselect_b64 vcc, -1, 0
	s_branch .LBB11_1205
.LBB11_1204:                            ;   in Loop: Header=BB11_1205 Depth=2
	s_or_b64 exec, exec, s[42:43]
	v_and_b32_e32 v15, 0xffff0000, v16
	v_lshlrev_b32_e32 v14, 16, v14
	v_max_f32_e32 v15, v15, v15
	v_max_f32_e32 v14, v14, v14
	v_min_f32_e32 v16, v15, v14
	v_max_f32_e32 v14, v15, v14
	v_cndmask_b32_e32 v14, v14, v16, vcc
	v_and_b32_e32 v15, 0x7f800000, v14
	v_bfe_u32 v16, v14, 16, 1
	v_or_b32_e32 v17, 0x10000, v14
	v_cmp_eq_u32_sdwa s[26:27], v14, v3 src0_sel:WORD_0 src1_sel:DWORD
	v_add3_u32 v16, v14, v16, s74
	v_sub_u32_e32 v2, v2, v82
	v_cndmask_b32_e64 v14, v17, v14, s[26:27]
	v_cmp_eq_u32_e64 s[26:27], s99, v15
	v_lshl_add_u64 v[18:19], v[22:23], 0, v[8:9]
	v_lshl_add_u64 v[10:11], v[10:11], 0, v[82:83]
	v_cndmask_b32_e64 v14, v16, v14, s[26:27]
	v_cmp_gt_i32_e64 s[26:27], 2, v2
	v_lshl_add_u64 v[12:13], v[12:13], 0, v[82:83]
	s_or_b64 s[40:41], s[26:27], s[40:41]
	v_lshl_add_u64 v[8:9], v[8:9], 0, v[82:83]
	flat_store_short_d16_hi v[18:19], v14 nt
	s_andn2_b64 exec, exec, s[40:41]
	s_cbranch_execz .LBB11_1209
.LBB11_1205:                            ;   Parent Loop BB11_47 Depth=1
                                        ; =>  This Inner Loop Header: Depth=2
	flat_load_ushort v15, v[12:13] nt
	flat_load_ushort v16, v[10:11] nt
	;; [unrolled: 1-line block ×3, first 2 shown]
	s_waitcnt vmcnt(0) lgkmcnt(0)
	v_lshlrev_b32_e32 v15, 16, v15
	v_lshlrev_b32_e32 v16, 16, v16
	v_max_f32_e32 v15, v15, v15
	v_max_f32_e32 v16, v16, v16
	v_min_f32_e32 v17, v16, v15
	v_max_f32_e32 v15, v16, v15
	v_cndmask_b32_e32 v15, v15, v17, vcc
	v_and_b32_e32 v16, 0x7f800000, v15
	v_cmp_ne_u32_e64 s[26:27], s99, v16
                                        ; implicit-def: $vgpr16
	s_and_saveexec_b64 s[42:43], s[26:27]
	s_xor_b64 s[26:27], exec, s[42:43]
; %bb.1206:                             ;   in Loop: Header=BB11_1205 Depth=2
	v_bfe_u32 v16, v15, 16, 1
	v_add3_u32 v16, v15, v16, s74
                                        ; implicit-def: $vgpr15
; %bb.1207:                             ;   in Loop: Header=BB11_1205 Depth=2
	s_andn2_saveexec_b64 s[42:43], s[26:27]
	s_cbranch_execz .LBB11_1204
; %bb.1208:                             ;   in Loop: Header=BB11_1205 Depth=2
	v_or_b32_e32 v16, 0x10000, v15
	v_cmp_eq_u32_sdwa s[26:27], v15, v3 src0_sel:WORD_0 src1_sel:DWORD
	s_nop 1
	v_cndmask_b32_e64 v16, v16, v15, s[26:27]
	s_branch .LBB11_1204
.LBB11_1209:                            ;   in Loop: Header=BB11_47 Depth=1
	s_or_b64 exec, exec, s[28:29]
	v_cmp_lt_i32_e64 s[26:27], 0, v21
	s_and_saveexec_b64 s[28:29], s[6:7]
	s_cbranch_execz .LBB11_1228
.LBB11_1210:                            ;   in Loop: Header=BB11_47 Depth=1
	s_and_saveexec_b64 s[40:41], s[78:79]
	s_xor_b64 s[40:41], exec, s[40:41]
	s_cbranch_execz .LBB11_1225
; %bb.1211:                             ;   in Loop: Header=BB11_47 Depth=1
	s_and_saveexec_b64 s[42:43], s[14:15]
	s_cbranch_execz .LBB11_1224
; %bb.1212:                             ;   in Loop: Header=BB11_47 Depth=1
	s_mov_b64 s[46:47], exec
	v_mbcnt_lo_u32_b32 v2, s46, 0
	v_mbcnt_hi_u32_b32 v2, s47, v2
	v_cmp_eq_u32_e32 vcc, 0, v2
	s_waitcnt lgkmcnt(0)
	s_and_saveexec_b64 s[44:45], vcc
	s_cbranch_execz .LBB11_1214
; %bb.1213:                             ;   in Loop: Header=BB11_47 Depth=1
	s_bcnt1_i32_b64 s46, s[46:47]
	v_mov_b32_e32 v2, s46
	ds_add_u64 v0, v[2:3]
	s_trap 2
.LBB11_1214:                            ;   in Loop: Header=BB11_47 Depth=1
	s_or_b64 exec, exec, s[44:45]
	s_trap 2
	ds_read_b64 v[8:9], v0
	s_waitcnt lgkmcnt(0)
	v_lshl_add_u64 v[48:49], v[48:49], 0, v[52:53]
	v_cmp_lt_u64_e32 vcc, v[8:9], v[48:49]
	s_and_saveexec_b64 s[44:45], vcc
	s_cbranch_execz .LBB11_1223
; %bb.1215:                             ;   in Loop: Header=BB11_47 Depth=1
	s_mov_b32 s76, 0
	s_mov_b64 s[46:47], 0
                                        ; implicit-def: $sgpr56_sgpr57
                                        ; implicit-def: $sgpr58_sgpr59
	s_branch .LBB11_1217
.LBB11_1216:                            ;   in Loop: Header=BB11_1217 Depth=2
	s_or_b64 exec, exec, s[62:63]
	s_and_b64 s[60:61], exec, vcc
	s_or_b64 s[46:47], s[60:61], s[46:47]
	s_andn2_b64 s[56:57], s[56:57], exec
	s_and_b64 s[60:61], s[58:59], exec
	s_or_b64 s[56:57], s[56:57], s[60:61]
	s_andn2_b64 exec, exec, s[46:47]
	s_cbranch_execz .LBB11_1221
.LBB11_1217:                            ;   Parent Loop BB11_47 Depth=1
                                        ; =>  This Inner Loop Header: Depth=2
	s_add_i32 s76, s76, 1
	s_cmpk_lg_i32 s76, 0x2710
	s_cselect_b64 s[60:61], -1, 0
	s_and_b64 vcc, exec, s[60:61]
	s_cbranch_vccz .LBB11_1219
; %bb.1218:                             ;   in Loop: Header=BB11_1217 Depth=2
	s_mov_b64 vcc, -1
	s_or_b64 s[58:59], s[58:59], exec
	s_and_saveexec_b64 s[62:63], s[60:61]
	s_cbranch_execz .LBB11_1216
	s_branch .LBB11_1220
.LBB11_1219:                            ;   in Loop: Header=BB11_1217 Depth=2
	s_trap 2
	ds_read_b64 v[8:9], v0
	s_andn2_b64 s[60:61], s[60:61], exec
	s_mov_b32 s76, 0
	s_waitcnt vmcnt(0) lgkmcnt(0)
	flat_load_dword v2, v[8:9] sc0 sc1
	s_waitcnt vmcnt(0) lgkmcnt(0)
	buffer_inv sc0 sc1
	v_cmp_eq_u32_e32 vcc, 0, v2
	s_and_b64 s[62:63], vcc, exec
	s_or_b64 s[60:61], s[60:61], s[62:63]
	s_mov_b64 vcc, -1
	s_or_b64 s[58:59], s[58:59], exec
	s_and_saveexec_b64 s[62:63], s[60:61]
	s_cbranch_execz .LBB11_1216
.LBB11_1220:                            ;   in Loop: Header=BB11_1217 Depth=2
	s_sleep 1
	s_trap 2
	ds_read_b64 v[8:9], v0
	s_waitcnt lgkmcnt(0)
	s_andn2_b64 s[58:59], s[58:59], exec
	v_cmp_ge_u64_e32 vcc, v[8:9], v[48:49]
	s_orn2_b64 vcc, vcc, exec
	s_branch .LBB11_1216
.LBB11_1221:                            ;   in Loop: Header=BB11_47 Depth=1
	s_or_b64 exec, exec, s[46:47]
	s_and_saveexec_b64 s[46:47], s[56:57]
	s_xor_b64 s[46:47], exec, s[46:47]
	s_cbranch_execz .LBB11_1223
; %bb.1222:                             ;   in Loop: Header=BB11_47 Depth=1
	ds_write_b32 v0, v94
	s_trap 2
.LBB11_1223:                            ;   in Loop: Header=BB11_47 Depth=1
	s_or_b64 exec, exec, s[44:45]
	;;#ASMSTART
	s_wakeup
	;;#ASMEND
.LBB11_1224:                            ;   in Loop: Header=BB11_47 Depth=1
	s_or_b64 exec, exec, s[42:43]
.LBB11_1225:                            ;   in Loop: Header=BB11_47 Depth=1
	s_andn2_saveexec_b64 s[40:41], s[40:41]
	s_cbranch_execz .LBB11_1227
; %bb.1226:                             ;   in Loop: Header=BB11_47 Depth=1
	s_waitcnt lgkmcnt(0)
	s_barrier
.LBB11_1227:                            ;   in Loop: Header=BB11_47 Depth=1
	s_or_b64 exec, exec, s[40:41]
.LBB11_1228:                            ;   in Loop: Header=BB11_47 Depth=1
	s_or_b64 exec, exec, s[28:29]
	v_and_b32_e32 v8, 16, v90
	s_and_saveexec_b64 s[28:29], s[22:23]
	s_xor_b64 s[28:29], exec, s[28:29]
	s_cbranch_execz .LBB11_1232
; %bb.1229:                             ;   in Loop: Header=BB11_47 Depth=1
	v_and_b32_e32 v2, 16, v90
	v_cmp_ne_u32_e32 vcc, 0, v2
	v_and_b32_e32 v8, 16, v90
	s_and_b64 s[40:41], vcc, s[26:27]
	s_and_saveexec_b64 s[26:27], s[40:41]
	s_cbranch_execz .LBB11_1231
; %bb.1230:                             ;   in Loop: Header=BB11_47 Depth=1
	v_mov_b32_e32 v8, 1
	buffer_wbl2 sc1
	s_waitcnt vmcnt(0) lgkmcnt(0)
	buffer_inv sc1
.LBB11_1231:                            ;   in Loop: Header=BB11_47 Depth=1
	s_or_b64 exec, exec, s[26:27]
.LBB11_1232:                            ;   in Loop: Header=BB11_47 Depth=1
	s_andn2_saveexec_b64 s[26:27], s[28:29]
	s_cbranch_execz .LBB11_1251
; %bb.1233:                             ;   in Loop: Header=BB11_47 Depth=1
	s_and_saveexec_b64 s[28:29], s[78:79]
	s_xor_b64 s[28:29], exec, s[28:29]
	s_cbranch_execz .LBB11_1248
; %bb.1234:                             ;   in Loop: Header=BB11_47 Depth=1
	s_and_saveexec_b64 s[40:41], s[14:15]
	s_cbranch_execz .LBB11_1247
; %bb.1235:                             ;   in Loop: Header=BB11_47 Depth=1
	s_mov_b64 s[44:45], exec
	v_mbcnt_lo_u32_b32 v2, s44, 0
	v_mbcnt_hi_u32_b32 v2, s45, v2
	v_cmp_eq_u32_e32 vcc, 0, v2
	;;#ASMSTART
	s_waitcnt lgkmcnt(0) vmcnt(0)
	;;#ASMEND
	s_and_saveexec_b64 s[42:43], vcc
	s_cbranch_execz .LBB11_1237
; %bb.1236:                             ;   in Loop: Header=BB11_47 Depth=1
	s_bcnt1_i32_b64 s44, s[44:45]
	v_mov_b32_e32 v2, s44
	s_waitcnt lgkmcnt(0)
	ds_add_u64 v0, v[2:3]
	s_trap 2
.LBB11_1237:                            ;   in Loop: Header=BB11_47 Depth=1
	s_or_b64 exec, exec, s[42:43]
	s_trap 2
	ds_read_b64 v[10:11], v0
	s_waitcnt lgkmcnt(0)
	v_lshl_add_u64 v[48:49], v[48:49], 0, v[52:53]
	v_cmp_lt_u64_e32 vcc, v[10:11], v[48:49]
	s_and_saveexec_b64 s[42:43], vcc
	s_cbranch_execz .LBB11_1246
; %bb.1238:                             ;   in Loop: Header=BB11_47 Depth=1
	s_mov_b32 s76, 0
	s_mov_b64 s[44:45], 0
                                        ; implicit-def: $sgpr46_sgpr47
                                        ; implicit-def: $sgpr56_sgpr57
	s_branch .LBB11_1240
.LBB11_1239:                            ;   in Loop: Header=BB11_1240 Depth=2
	s_or_b64 exec, exec, s[60:61]
	s_and_b64 s[58:59], exec, s[62:63]
	s_or_b64 s[44:45], s[58:59], s[44:45]
	s_andn2_b64 s[46:47], s[46:47], exec
	s_and_b64 s[58:59], s[56:57], exec
	s_or_b64 s[46:47], s[46:47], s[58:59]
	s_andn2_b64 exec, exec, s[44:45]
	s_cbranch_execz .LBB11_1244
.LBB11_1240:                            ;   Parent Loop BB11_47 Depth=1
                                        ; =>  This Inner Loop Header: Depth=2
	s_add_i32 s76, s76, 1
	s_cmpk_lg_i32 s76, 0x2710
	s_cselect_b64 s[58:59], -1, 0
	s_and_b64 vcc, exec, s[58:59]
	s_cbranch_vccz .LBB11_1242
; %bb.1241:                             ;   in Loop: Header=BB11_1240 Depth=2
	s_mov_b64 s[62:63], -1
	s_or_b64 s[56:57], s[56:57], exec
	s_and_saveexec_b64 s[60:61], s[58:59]
	s_cbranch_execz .LBB11_1239
	s_branch .LBB11_1243
.LBB11_1242:                            ;   in Loop: Header=BB11_1240 Depth=2
	s_trap 2
	ds_read_b64 v[10:11], v0
	s_andn2_b64 s[58:59], s[58:59], exec
	s_mov_b32 s76, 0
	s_waitcnt vmcnt(0) lgkmcnt(0)
	flat_load_dword v2, v[10:11] sc0 sc1
	s_waitcnt vmcnt(0) lgkmcnt(0)
	buffer_inv sc0 sc1
	v_cmp_eq_u32_e32 vcc, 0, v2
	s_and_b64 s[60:61], vcc, exec
	s_or_b64 s[58:59], s[58:59], s[60:61]
	s_mov_b64 s[62:63], -1
	s_or_b64 s[56:57], s[56:57], exec
	s_and_saveexec_b64 s[60:61], s[58:59]
	s_cbranch_execz .LBB11_1239
.LBB11_1243:                            ;   in Loop: Header=BB11_1240 Depth=2
	s_sleep 1
	s_trap 2
	ds_read_b64 v[10:11], v0
	s_waitcnt lgkmcnt(0)
	s_andn2_b64 s[56:57], s[56:57], exec
	v_cmp_ge_u64_e32 vcc, v[10:11], v[48:49]
	s_orn2_b64 s[62:63], vcc, exec
	s_branch .LBB11_1239
.LBB11_1244:                            ;   in Loop: Header=BB11_47 Depth=1
	s_or_b64 exec, exec, s[44:45]
	s_and_saveexec_b64 s[44:45], s[46:47]
	s_xor_b64 s[44:45], exec, s[44:45]
	s_cbranch_execz .LBB11_1246
; %bb.1245:                             ;   in Loop: Header=BB11_47 Depth=1
	ds_write_b32 v0, v94
	s_trap 2
.LBB11_1246:                            ;   in Loop: Header=BB11_47 Depth=1
	s_or_b64 exec, exec, s[42:43]
	;;#ASMSTART
	s_wakeup
	;;#ASMEND
.LBB11_1247:                            ;   in Loop: Header=BB11_47 Depth=1
	s_or_b64 exec, exec, s[40:41]
.LBB11_1248:                            ;   in Loop: Header=BB11_47 Depth=1
	s_andn2_saveexec_b64 s[28:29], s[28:29]
	s_cbranch_execz .LBB11_1250
; %bb.1249:                             ;   in Loop: Header=BB11_47 Depth=1
	;;#ASMSTART
	s_waitcnt lgkmcnt(0) vmcnt(0)
	;;#ASMEND
	s_barrier
.LBB11_1250:                            ;   in Loop: Header=BB11_47 Depth=1
	s_or_b64 exec, exec, s[28:29]
.LBB11_1251:                            ;   in Loop: Header=BB11_47 Depth=1
	s_or_b64 exec, exec, s[26:27]
	v_cmp_ne_u32_e32 vcc, 0, v8
	s_xor_b64 s[26:27], s[10:11], -1
	s_and_b64 s[28:29], vcc, s[26:27]
	s_and_saveexec_b64 s[26:27], s[28:29]
	s_cbranch_execz .LBB11_1253
; %bb.1252:                             ;   in Loop: Header=BB11_47 Depth=1
	flat_store_dword v[36:37], v94 sc0 sc1
.LBB11_1253:                            ;   in Loop: Header=BB11_47 Depth=1
	s_or_b64 exec, exec, s[26:27]
	v_and_b32_e32 v2, 48, v90
	v_cmp_ne_u32_e32 vcc, 0, v2
	s_and_saveexec_b64 s[26:27], vcc
	s_cbranch_execz .LBB11_1255
; %bb.1254:                             ;   in Loop: Header=BB11_47 Depth=1
	v_lshl_add_u64 v[44:45], v[44:45], 0, 4
	flat_store_dwordx2 v[32:33], v[44:45] sc0 sc1
.LBB11_1255:                            ;   in Loop: Header=BB11_47 Depth=1
	s_or_b64 exec, exec, s[26:27]
	v_mov_b32_e32 v2, v20
	s_or_b64 exec, exec, s[52:53]
	s_and_saveexec_b64 s[28:29], s[50:51]
	s_cbranch_execnz .LBB11_812
.LBB11_1256:                            ;   in Loop: Header=BB11_47 Depth=1
	s_or_b64 exec, exec, s[28:29]
	s_and_b64 vcc, exec, s[24:25]
	s_cbranch_vccnz .LBB11_1607
.LBB11_1257:                            ;   in Loop: Header=BB11_47 Depth=1
	s_mov_b32 s66, 1
.LBB11_1258:                            ;   Parent Loop BB11_47 Depth=1
                                        ; =>  This Loop Header: Depth=2
                                        ;       Child Loop BB11_1271 Depth 3
                                        ;       Child Loop BB11_1311 Depth 3
	;; [unrolled: 1-line block ×8, first 2 shown]
                                        ;         Child Loop BB11_1406 Depth 4
                                        ;       Child Loop BB11_1412 Depth 3
                                        ;         Child Loop BB11_1413 Depth 4
                                        ;       Child Loop BB11_1421 Depth 3
                                        ;       Child Loop BB11_1453 Depth 3
                                        ;         Child Loop BB11_1454 Depth 4
                                        ;       Child Loop BB11_1570 Depth 3
                                        ;       Child Loop BB11_1589 Depth 3
	;; [unrolled: 1-line block ×5, first 2 shown]
	s_sub_i32 s24, s71, s66
	s_cmp_ge_i32 s24, s68
	s_cselect_b32 s25, s68, 0
	s_sub_i32 s24, s24, s25
	s_ashr_i32 s25, s24, 31
	v_mul_lo_u32 v2, v42, s25
	v_mul_lo_u32 v10, v43, s24
	v_mad_u64_u32 v[8:9], s[24:25], v42, s24, 0
	v_add3_u32 v9, v9, v2, v10
	v_sub_co_u32_e32 v10, vcc, v46, v8
	s_nop 1
	v_subb_co_u32_e32 v11, vcc, v47, v9, vcc
	v_cmp_lt_i64_e32 vcc, v[42:43], v[10:11]
	s_nop 1
	v_cndmask_b32_e32 v2, v10, v42, vcc
	v_max_i32_e32 v76, 0, v2
	v_add_u32_e32 v10, 15, v76
	v_ashrrev_i32_e32 v11, 31, v10
	v_lshrrev_b32_e32 v11, 28, v11
	v_add_u32_e32 v10, v10, v11
	v_cmp_gt_i32_e32 vcc, 1, v2
	v_and_b32_e32 v10, -16, v10
	s_or_b64 s[62:63], s[2:3], vcc
	v_max_i32_e32 v58, s82, v10
	s_xor_b64 s[24:25], s[62:63], -1
	v_mov_b32_e32 v2, 0
	s_and_saveexec_b64 s[50:51], s[24:25]
	s_cbranch_execz .LBB11_1264
; %bb.1259:                             ;   in Loop: Header=BB11_1258 Depth=2
	s_and_saveexec_b64 s[24:25], s[0:1]
	s_cbranch_execz .LBB11_1261
; %bb.1260:                             ;   in Loop: Header=BB11_1258 Depth=2
	s_trap 2
	ds_read_b128 v[10:13], v0
	v_lshl_add_u64 v[8:9], v[8:9], 0, v[56:57]
	v_lshlrev_b64 v[8:9], 1, v[8:9]
	s_waitcnt lgkmcnt(0)
	v_lshl_add_u64 v[10:11], v[10:11], 0, v[8:9]
	v_lshl_add_u64 v[8:9], v[12:13], 0, v[8:9]
	v_cmp_ne_u64_e32 vcc, 0, v[12:13]
	ds_write_b64 v0, v[10:11]
	s_nop 0
	v_cndmask_b32_e32 v9, 0, v9, vcc
	v_cndmask_b32_e32 v8, 0, v8, vcc
	ds_write_b64 v0, v[8:9]
.LBB11_1261:                            ;   in Loop: Header=BB11_1258 Depth=2
	s_or_b64 exec, exec, s[24:25]
	v_and_b32_e32 v2, 12, v90
	v_min_i32_e32 v58, v58, v76
	v_cmp_ne_u32_e32 vcc, 0, v2
	s_and_saveexec_b64 s[26:27], vcc
	s_cbranch_execz .LBB11_1303
; %bb.1262:                             ;   in Loop: Header=BB11_1258 Depth=2
	v_and_b32_e32 v2, 8, v90
	s_waitcnt vmcnt(0) lgkmcnt(0)
	v_lshl_add_u64 v[10:11], v[38:39], 0, v[2:3]
	v_lshl_add_u64 v[8:9], v[44:45], 0, 4
	v_cmp_lt_u64_e32 vcc, v[10:11], v[8:9]
	s_and_saveexec_b64 s[28:29], vcc
	s_cbranch_execz .LBB11_1290
; %bb.1263:                             ;   in Loop: Header=BB11_1258 Depth=2
	v_and_b32_e32 v10, 64, v90
	s_mov_b32 s76, 0
	v_cmp_eq_u32_e32 vcc, 0, v10
	s_mov_b64 s[40:41], 0
                                        ; implicit-def: $sgpr42_sgpr43
                                        ; implicit-def: $sgpr44_sgpr45
                                        ; implicit-def: $sgpr46_sgpr47
	s_branch .LBB11_1271
.LBB11_1264:                            ;   in Loop: Header=BB11_1258 Depth=2
	s_or_b64 exec, exec, s[50:51]
	s_and_saveexec_b64 s[26:27], s[62:63]
	s_cbranch_execz .LBB11_1605
.LBB11_1265:                            ;   in Loop: Header=BB11_1258 Depth=2
	v_sub_u32_e32 v2, v76, v2
	v_min_i32_e32 v8, v58, v2
	v_and_b32_e32 v2, 12, v90
	v_cmp_ne_u32_e32 vcc, 0, v2
	s_and_saveexec_b64 s[28:29], vcc
	s_cbranch_execz .LBB11_1282
; %bb.1266:                             ;   in Loop: Header=BB11_1258 Depth=2
	v_and_b32_e32 v2, 8, v90
	s_waitcnt vmcnt(0) lgkmcnt(0)
	v_lshl_add_u64 v[12:13], v[38:39], 0, v[2:3]
	v_lshl_add_u64 v[10:11], v[44:45], 0, 4
	v_cmp_lt_u64_e32 vcc, v[12:13], v[10:11]
	s_and_saveexec_b64 s[40:41], vcc
	s_cbranch_execz .LBB11_1318
; %bb.1267:                             ;   in Loop: Header=BB11_1258 Depth=2
	v_and_b32_e32 v9, 64, v90
	s_mov_b32 s76, 0
	v_cmp_eq_u32_e32 vcc, 0, v9
	s_mov_b64 s[42:43], 0
                                        ; implicit-def: $sgpr44_sgpr45
                                        ; implicit-def: $sgpr46_sgpr47
                                        ; implicit-def: $sgpr56_sgpr57
	s_branch .LBB11_1278
.LBB11_1268:                            ;   in Loop: Header=BB11_1271 Depth=3
	s_waitcnt vmcnt(0) lgkmcnt(0)
	v_lshl_add_u64 v[12:13], v[38:39], 0, v[2:3]
	v_cmp_ge_u64_e64 s[24:25], v[12:13], v[8:9]
	s_or_b64 s[60:61], s[60:61], exec
	s_orn2_b64 s[58:59], s[24:25], exec
.LBB11_1269:                            ;   in Loop: Header=BB11_1271 Depth=3
	s_or_b64 exec, exec, s[54:55]
	s_andn2_b64 s[24:25], s[46:47], exec
	s_and_b64 s[46:47], s[60:61], exec
	s_or_b64 s[46:47], s[24:25], s[46:47]
	s_andn2_b64 s[24:25], s[44:45], exec
	s_and_b64 s[44:45], s[58:59], exec
	s_or_b64 s[44:45], s[24:25], s[44:45]
.LBB11_1270:                            ;   in Loop: Header=BB11_1271 Depth=3
	s_or_b64 exec, exec, s[56:57]
	s_and_b64 s[24:25], exec, s[44:45]
	s_or_b64 s[40:41], s[24:25], s[40:41]
	s_andn2_b64 s[24:25], s[42:43], exec
	s_and_b64 s[42:43], s[46:47], exec
	s_or_b64 s[42:43], s[24:25], s[42:43]
	s_andn2_b64 exec, exec, s[40:41]
	s_cbranch_execz .LBB11_1287
.LBB11_1271:                            ;   Parent Loop BB11_47 Depth=1
                                        ;     Parent Loop BB11_1258 Depth=2
                                        ; =>    This Inner Loop Header: Depth=3
	s_sleep 1
	s_waitcnt vmcnt(0) lgkmcnt(0)
	flat_load_dwordx2 v[38:39], v[32:33] sc0 sc1
	s_or_b64 s[46:47], s[46:47], exec
	s_or_b64 s[44:45], s[44:45], exec
                                        ; implicit-def: $vgpr10
	s_and_saveexec_b64 s[56:57], vcc
	s_cbranch_execz .LBB11_1270
; %bb.1272:                             ;   in Loop: Header=BB11_1271 Depth=3
	s_cmpk_lt_i32 s76, 0x270f
	s_cselect_b64 s[52:53], -1, 0
	s_cmpk_gt_i32 s76, 0x270e
	s_mov_b64 s[58:59], -1
	s_cbranch_scc0 .LBB11_1274
; %bb.1273:                             ;   in Loop: Header=BB11_1271 Depth=3
	s_trap 2
	ds_read_b64 v[10:11], v0
	s_andn2_b64 s[48:49], s[52:53], exec
	s_mov_b32 s76, 0
	s_mov_b64 s[60:61], 0
	s_waitcnt vmcnt(0) lgkmcnt(0)
	flat_load_dword v10, v[10:11] sc0 sc1
	s_waitcnt vmcnt(0) lgkmcnt(0)
	buffer_inv sc0 sc1
	v_cmp_eq_u32_e64 s[24:25], 0, v10
	s_and_b64 s[24:25], s[24:25], exec
	s_or_b64 s[52:53], s[48:49], s[24:25]
	s_and_saveexec_b64 s[54:55], s[52:53]
	s_cbranch_execz .LBB11_1269
	s_branch .LBB11_1268
.LBB11_1274:                            ;   in Loop: Header=BB11_1271 Depth=3
	s_add_i32 s76, s76, 1
	s_mov_b64 s[60:61], -1
                                        ; implicit-def: $vgpr10
	s_and_saveexec_b64 s[54:55], s[52:53]
	s_cbranch_execz .LBB11_1269
	s_branch .LBB11_1268
.LBB11_1275:                            ;   in Loop: Header=BB11_1278 Depth=3
	s_waitcnt vmcnt(0) lgkmcnt(0)
	v_lshl_add_u64 v[12:13], v[38:39], 0, v[2:3]
	v_cmp_ge_u64_e64 s[24:25], v[12:13], v[10:11]
	s_or_b64 s[62:63], s[62:63], exec
	s_orn2_b64 s[60:61], s[24:25], exec
.LBB11_1276:                            ;   in Loop: Header=BB11_1278 Depth=3
	s_or_b64 exec, exec, s[52:53]
	s_andn2_b64 s[24:25], s[56:57], exec
	s_and_b64 s[56:57], s[62:63], exec
	s_or_b64 s[56:57], s[24:25], s[56:57]
	s_andn2_b64 s[24:25], s[46:47], exec
	s_and_b64 s[46:47], s[60:61], exec
	s_or_b64 s[46:47], s[24:25], s[46:47]
.LBB11_1277:                            ;   in Loop: Header=BB11_1278 Depth=3
	s_or_b64 exec, exec, s[58:59]
	s_and_b64 s[24:25], exec, s[46:47]
	s_or_b64 s[42:43], s[24:25], s[42:43]
	s_andn2_b64 s[24:25], s[44:45], exec
	s_and_b64 s[44:45], s[56:57], exec
	s_or_b64 s[44:45], s[24:25], s[44:45]
	s_andn2_b64 exec, exec, s[42:43]
	s_cbranch_execz .LBB11_1315
.LBB11_1278:                            ;   Parent Loop BB11_47 Depth=1
                                        ;     Parent Loop BB11_1258 Depth=2
                                        ; =>    This Inner Loop Header: Depth=3
	s_sleep 1
	s_waitcnt vmcnt(0) lgkmcnt(0)
	flat_load_dwordx2 v[38:39], v[32:33] sc0 sc1
	s_or_b64 s[56:57], s[56:57], exec
	s_or_b64 s[46:47], s[46:47], exec
                                        ; implicit-def: $vgpr9
	s_and_saveexec_b64 s[58:59], vcc
	s_cbranch_execz .LBB11_1277
; %bb.1279:                             ;   in Loop: Header=BB11_1278 Depth=3
	s_cmpk_lt_i32 s76, 0x270f
	s_cselect_b64 s[50:51], -1, 0
	s_cmpk_gt_i32 s76, 0x270e
	s_mov_b64 s[60:61], -1
	s_cbranch_scc0 .LBB11_1281
; %bb.1280:                             ;   in Loop: Header=BB11_1278 Depth=3
	s_trap 2
	ds_read_b64 v[12:13], v0
	s_andn2_b64 s[48:49], s[50:51], exec
	s_mov_b32 s76, 0
	s_mov_b64 s[62:63], 0
	s_waitcnt vmcnt(0) lgkmcnt(0)
	flat_load_dword v9, v[12:13] sc0 sc1
	s_waitcnt vmcnt(0) lgkmcnt(0)
	buffer_inv sc0 sc1
	v_cmp_eq_u32_e64 s[24:25], 0, v9
	s_and_b64 s[24:25], s[24:25], exec
	s_or_b64 s[50:51], s[48:49], s[24:25]
	s_and_saveexec_b64 s[52:53], s[50:51]
	s_cbranch_execz .LBB11_1276
	s_branch .LBB11_1275
.LBB11_1281:                            ;   in Loop: Header=BB11_1278 Depth=3
	s_add_i32 s76, s76, 1
	s_mov_b64 s[62:63], -1
                                        ; implicit-def: $vgpr9
	s_and_saveexec_b64 s[52:53], s[50:51]
	s_cbranch_execz .LBB11_1276
	s_branch .LBB11_1275
.LBB11_1282:                            ;   in Loop: Header=BB11_1258 Depth=2
	s_or_b64 exec, exec, s[28:29]
	s_and_saveexec_b64 s[24:25], s[6:7]
	s_cbranch_execnz .LBB11_1331
.LBB11_1283:                            ;   in Loop: Header=BB11_1258 Depth=2
	s_or_b64 exec, exec, s[24:25]
                                        ; implicit-def: $vgpr2
	s_and_saveexec_b64 s[24:25], s[22:23]
	s_xor_b64 s[24:25], exec, s[24:25]
	s_cbranch_execz .LBB11_1368
.LBB11_1284:                            ;   in Loop: Header=BB11_1258 Depth=2
	s_trap 2
	ds_read_b32 v9, v0
	v_cmp_lt_i32_e32 vcc, 0, v8
	v_and_b32_e32 v8, 16, v90
	v_and_b32_e32 v2, 16, v90
	s_waitcnt lgkmcnt(0)
	v_readfirstlane_b32 s28, v9
	s_cmp_eq_u32 s28, 0
	s_cselect_b64 s[28:29], -1, 0
	s_and_b64 s[28:29], vcc, s[28:29]
	v_cmp_ne_u32_e32 vcc, 0, v8
	s_and_b64 s[40:41], vcc, s[28:29]
	s_and_saveexec_b64 s[28:29], s[40:41]
	s_cbranch_execz .LBB11_1286
; %bb.1285:                             ;   in Loop: Header=BB11_1258 Depth=2
	v_mov_b32_e32 v2, 1
	buffer_wbl2 sc1
	s_waitcnt vmcnt(0)
	buffer_inv sc1
.LBB11_1286:                            ;   in Loop: Header=BB11_1258 Depth=2
	s_or_b64 exec, exec, s[28:29]
	s_andn2_saveexec_b64 s[24:25], s[24:25]
	s_cbranch_execz .LBB11_1444
	s_branch .LBB11_1369
.LBB11_1287:                            ;   in Loop: Header=BB11_1258 Depth=2
	s_or_b64 exec, exec, s[40:41]
	s_xor_b64 s[24:25], s[42:43], -1
	s_and_saveexec_b64 s[40:41], s[24:25]
	s_xor_b64 s[24:25], exec, s[40:41]
	s_cbranch_execz .LBB11_1289
; %bb.1288:                             ;   in Loop: Header=BB11_1258 Depth=2
	v_or_b32_e32 v90, 64, v90
	s_waitcnt lgkmcnt(0)
	ds_write_b32 v0, v10
	s_trap 2
.LBB11_1289:                            ;   in Loop: Header=BB11_1258 Depth=2
	s_or_b64 exec, exec, s[24:25]
.LBB11_1290:                            ;   in Loop: Header=BB11_1258 Depth=2
	s_or_b64 exec, exec, s[28:29]
	v_and_b32_e32 v10, 0x108, v90
	v_cmp_ne_u32_e32 vcc, s98, v10
	;;#ASMSTART
	s_wakeup
	;;#ASMEND
                                        ; implicit-def: $vgpr10_vgpr11
	s_and_saveexec_b64 s[24:25], vcc
	s_xor_b64 s[24:25], exec, s[24:25]
; %bb.1291:                             ;   in Loop: Header=BB11_1258 Depth=2
	v_and_b32_e32 v10, 7, v44
	v_mov_b32_e32 v11, v3
                                        ; implicit-def: $vgpr44_vgpr45
; %bb.1292:                             ;   in Loop: Header=BB11_1258 Depth=2
	s_andn2_saveexec_b64 s[24:25], s[24:25]
	s_cbranch_execz .LBB11_1294
; %bb.1293:                             ;   in Loop: Header=BB11_1258 Depth=2
	v_and_b32_e32 v10, 7, v44
	v_ashrrev_i32_e32 v59, 31, v58
	v_mov_b32_e32 v11, v3
	v_mad_u64_u32 v[12:13], s[28:29], v10, 24, v[6:7]
	v_lshlrev_b64 v[14:15], 1, v[58:59]
	flat_store_dwordx2 v[12:13], v[14:15] offset:8
.LBB11_1294:                            ;   in Loop: Header=BB11_1258 Depth=2
	s_or_b64 exec, exec, s[24:25]
	v_and_b32_e32 v12, 0x100, v90
	v_cmp_ne_u32_e32 vcc, 0, v12
	s_mov_b64 s[24:25], -1
                                        ; implicit-def: $vgpr12_vgpr13
	s_and_saveexec_b64 s[28:29], vcc
	s_cbranch_execz .LBB11_1298
; %bb.1295:                             ;   in Loop: Header=BB11_1258 Depth=2
	v_mad_u64_u32 v[14:15], s[24:25], v10, 24, v[6:7]
	v_mov_b32_e32 v12, v15
	v_mad_u64_u32 v[12:13], s[24:25], v11, 24, v[12:13]
	v_mov_b32_e32 v15, v12
	flat_load_dword v12, v[14:15]
	s_waitcnt vmcnt(0) lgkmcnt(0)
	v_cmp_ne_u32_e32 vcc, 1, v12
	v_cmp_eq_u32_e64 s[24:25], 1, v12
                                        ; implicit-def: $vgpr12_vgpr13
	s_and_saveexec_b64 s[40:41], s[24:25]
	s_cbranch_execz .LBB11_1297
; %bb.1296:                             ;   in Loop: Header=BB11_1258 Depth=2
	flat_load_dword v12, v[14:15] offset:4 sc0 sc1
	s_waitcnt vmcnt(0) lgkmcnt(0)
	v_ashrrev_i32_e32 v13, 31, v12
	v_lshrrev_b64 v[12:13], 1, v[12:13]
.LBB11_1297:                            ;   in Loop: Header=BB11_1258 Depth=2
	s_or_b64 exec, exec, s[40:41]
	s_orn2_b64 s[24:25], vcc, exec
.LBB11_1298:                            ;   in Loop: Header=BB11_1258 Depth=2
	s_or_b64 exec, exec, s[28:29]
	s_and_saveexec_b64 s[28:29], s[24:25]
; %bb.1299:                             ;   in Loop: Header=BB11_1258 Depth=2
	v_mul_lo_u32 v11, v11, v30
	v_mul_lo_u32 v14, v10, v51
	v_mad_u64_u32 v[12:13], s[24:25], v10, v30, 0
	v_add3_u32 v13, v13, v14, v11
; %bb.1300:                             ;   in Loop: Header=BB11_1258 Depth=2
	s_or_b64 exec, exec, s[28:29]
	v_cmp_eq_u32_e32 vcc, 0, v2
	v_lshl_add_u64 v[10:11], v[12:13], 1, v[34:35]
	s_nop 0
	v_cndmask_b32_e32 v2, v105, v106, vcc
	v_add_u32_e32 v2, v0, v2
	ds_write_b64 v2, v[10:11] offset:584
	v_and_b32_e32 v2, 0x2000, v90
	v_cmp_ne_u32_e32 vcc, 0, v2
	s_and_saveexec_b64 s[24:25], vcc
	s_cbranch_execz .LBB11_1302
; %bb.1301:                             ;   in Loop: Header=BB11_1258 Depth=2
	ds_read_b64 v[10:11], v0 offset:872
	s_waitcnt lgkmcnt(0)
	v_lshl_add_u64 v[10:11], v[10:11], 0, 1
	ds_write_b64 v0, v[10:11] offset:872
.LBB11_1302:                            ;   in Loop: Header=BB11_1258 Depth=2
	s_or_b64 exec, exec, s[24:25]
	v_mov_b64_e32 v[44:45], v[8:9]
.LBB11_1303:                            ;   in Loop: Header=BB11_1258 Depth=2
	s_or_b64 exec, exec, s[26:27]
	s_and_saveexec_b64 s[24:25], s[6:7]
	s_cbranch_execz .LBB11_1349
; %bb.1304:                             ;   in Loop: Header=BB11_1258 Depth=2
	s_and_saveexec_b64 s[26:27], s[78:79]
	s_xor_b64 s[26:27], exec, s[26:27]
	s_cbranch_execz .LBB11_1346
; %bb.1305:                             ;   in Loop: Header=BB11_1258 Depth=2
	s_and_saveexec_b64 s[28:29], s[14:15]
	s_cbranch_execz .LBB11_1345
; %bb.1306:                             ;   in Loop: Header=BB11_1258 Depth=2
	s_mov_b64 s[42:43], exec
	v_mbcnt_lo_u32_b32 v2, s42, 0
	v_mbcnt_hi_u32_b32 v2, s43, v2
	v_cmp_eq_u32_e32 vcc, 0, v2
	s_waitcnt lgkmcnt(0)
	s_and_saveexec_b64 s[40:41], vcc
	s_cbranch_execz .LBB11_1308
; %bb.1307:                             ;   in Loop: Header=BB11_1258 Depth=2
	s_bcnt1_i32_b64 s42, s[42:43]
	v_mov_b32_e32 v2, s42
	ds_add_u64 v0, v[2:3]
	s_trap 2
.LBB11_1308:                            ;   in Loop: Header=BB11_1258 Depth=2
	s_or_b64 exec, exec, s[40:41]
	s_trap 2
	ds_read_b64 v[8:9], v0
	s_waitcnt lgkmcnt(0)
	v_lshl_add_u64 v[48:49], v[48:49], 0, v[52:53]
	v_cmp_lt_u64_e32 vcc, v[8:9], v[48:49]
	s_and_saveexec_b64 s[40:41], vcc
	s_cbranch_execz .LBB11_1344
; %bb.1309:                             ;   in Loop: Header=BB11_1258 Depth=2
	s_mov_b32 s76, 0
	s_mov_b64 s[42:43], 0
                                        ; implicit-def: $sgpr44_sgpr45
                                        ; implicit-def: $sgpr46_sgpr47
	s_branch .LBB11_1311
.LBB11_1310:                            ;   in Loop: Header=BB11_1311 Depth=3
	s_or_b64 exec, exec, s[58:59]
	s_and_b64 s[56:57], exec, s[60:61]
	s_or_b64 s[42:43], s[56:57], s[42:43]
	s_andn2_b64 s[44:45], s[44:45], exec
	s_and_b64 s[56:57], s[46:47], exec
	s_or_b64 s[44:45], s[44:45], s[56:57]
	s_andn2_b64 exec, exec, s[42:43]
	s_cbranch_execz .LBB11_1342
.LBB11_1311:                            ;   Parent Loop BB11_47 Depth=1
                                        ;     Parent Loop BB11_1258 Depth=2
                                        ; =>    This Inner Loop Header: Depth=3
	s_add_i32 s76, s76, 1
	s_cmpk_lg_i32 s76, 0x2710
	s_cselect_b64 s[56:57], -1, 0
	s_and_b64 vcc, exec, s[56:57]
	s_cbranch_vccz .LBB11_1313
; %bb.1312:                             ;   in Loop: Header=BB11_1311 Depth=3
	s_mov_b64 s[60:61], -1
	s_or_b64 s[46:47], s[46:47], exec
	s_and_saveexec_b64 s[58:59], s[56:57]
	s_cbranch_execz .LBB11_1310
	s_branch .LBB11_1314
.LBB11_1313:                            ;   in Loop: Header=BB11_1311 Depth=3
	s_trap 2
	ds_read_b64 v[8:9], v0
	s_andn2_b64 s[56:57], s[56:57], exec
	s_mov_b32 s76, 0
	s_waitcnt vmcnt(0) lgkmcnt(0)
	flat_load_dword v2, v[8:9] sc0 sc1
	s_waitcnt vmcnt(0) lgkmcnt(0)
	buffer_inv sc0 sc1
	v_cmp_eq_u32_e32 vcc, 0, v2
	s_and_b64 s[58:59], vcc, exec
	s_or_b64 s[56:57], s[56:57], s[58:59]
	s_mov_b64 s[60:61], -1
	s_or_b64 s[46:47], s[46:47], exec
	s_and_saveexec_b64 s[58:59], s[56:57]
	s_cbranch_execz .LBB11_1310
.LBB11_1314:                            ;   in Loop: Header=BB11_1311 Depth=3
	s_sleep 1
	s_trap 2
	ds_read_b64 v[8:9], v0
	s_waitcnt lgkmcnt(0)
	s_andn2_b64 s[46:47], s[46:47], exec
	v_cmp_ge_u64_e32 vcc, v[8:9], v[48:49]
	s_orn2_b64 s[60:61], vcc, exec
	s_branch .LBB11_1310
.LBB11_1315:                            ;   in Loop: Header=BB11_1258 Depth=2
	s_or_b64 exec, exec, s[42:43]
	s_xor_b64 s[24:25], s[44:45], -1
	s_and_saveexec_b64 s[42:43], s[24:25]
	s_xor_b64 s[24:25], exec, s[42:43]
	s_cbranch_execz .LBB11_1317
; %bb.1316:                             ;   in Loop: Header=BB11_1258 Depth=2
	v_or_b32_e32 v90, 64, v90
	s_waitcnt lgkmcnt(0)
	ds_write_b32 v0, v9
	s_trap 2
.LBB11_1317:                            ;   in Loop: Header=BB11_1258 Depth=2
	s_or_b64 exec, exec, s[24:25]
.LBB11_1318:                            ;   in Loop: Header=BB11_1258 Depth=2
	s_or_b64 exec, exec, s[40:41]
	v_and_b32_e32 v9, 0x108, v90
	v_cmp_ne_u32_e32 vcc, s98, v9
	;;#ASMSTART
	s_wakeup
	;;#ASMEND
                                        ; implicit-def: $vgpr12_vgpr13
	s_and_saveexec_b64 s[24:25], vcc
	s_xor_b64 s[24:25], exec, s[24:25]
; %bb.1319:                             ;   in Loop: Header=BB11_1258 Depth=2
	v_and_b32_e32 v12, 7, v44
	v_mov_b32_e32 v13, v3
                                        ; implicit-def: $vgpr44_vgpr45
; %bb.1320:                             ;   in Loop: Header=BB11_1258 Depth=2
	s_andn2_saveexec_b64 s[24:25], s[24:25]
	s_cbranch_execz .LBB11_1322
; %bb.1321:                             ;   in Loop: Header=BB11_1258 Depth=2
	v_and_b32_e32 v12, 7, v44
	v_ashrrev_i32_e32 v9, 31, v8
	v_mov_b32_e32 v13, v3
	v_mad_u64_u32 v[14:15], s[40:41], v12, 24, v[6:7]
	v_lshlrev_b64 v[16:17], 1, v[8:9]
	flat_store_dwordx2 v[14:15], v[16:17] offset:8
.LBB11_1322:                            ;   in Loop: Header=BB11_1258 Depth=2
	s_or_b64 exec, exec, s[24:25]
	v_and_b32_e32 v9, 0x100, v90
	v_cmp_ne_u32_e32 vcc, 0, v9
	s_mov_b64 s[24:25], -1
                                        ; implicit-def: $vgpr14_vgpr15
	s_and_saveexec_b64 s[40:41], vcc
	s_cbranch_execz .LBB11_1326
; %bb.1323:                             ;   in Loop: Header=BB11_1258 Depth=2
	v_mad_u64_u32 v[16:17], s[24:25], v12, 24, v[6:7]
	v_mov_b32_e32 v14, v17
	v_mad_u64_u32 v[14:15], s[24:25], v13, 24, v[14:15]
	v_mov_b32_e32 v17, v14
	flat_load_dword v9, v[16:17]
                                        ; implicit-def: $vgpr14_vgpr15
	s_waitcnt vmcnt(0) lgkmcnt(0)
	v_cmp_ne_u32_e32 vcc, 1, v9
	v_cmp_eq_u32_e64 s[24:25], 1, v9
	s_and_saveexec_b64 s[42:43], s[24:25]
	s_cbranch_execz .LBB11_1325
; %bb.1324:                             ;   in Loop: Header=BB11_1258 Depth=2
	flat_load_dword v14, v[16:17] offset:4 sc0 sc1
	s_waitcnt vmcnt(0) lgkmcnt(0)
	v_ashrrev_i32_e32 v15, 31, v14
	v_lshrrev_b64 v[14:15], 1, v[14:15]
.LBB11_1325:                            ;   in Loop: Header=BB11_1258 Depth=2
	s_or_b64 exec, exec, s[42:43]
	s_orn2_b64 s[24:25], vcc, exec
.LBB11_1326:                            ;   in Loop: Header=BB11_1258 Depth=2
	s_or_b64 exec, exec, s[40:41]
	s_and_saveexec_b64 s[40:41], s[24:25]
; %bb.1327:                             ;   in Loop: Header=BB11_1258 Depth=2
	v_mul_lo_u32 v9, v13, v30
	v_mul_lo_u32 v13, v12, v51
	v_mad_u64_u32 v[14:15], s[24:25], v12, v30, 0
	v_add3_u32 v15, v15, v13, v9
; %bb.1328:                             ;   in Loop: Header=BB11_1258 Depth=2
	s_or_b64 exec, exec, s[40:41]
	v_cmp_eq_u32_e32 vcc, 0, v2
	v_lshl_add_u64 v[12:13], v[14:15], 1, v[34:35]
	s_nop 0
	v_cndmask_b32_e32 v2, v105, v106, vcc
	v_add_u32_e32 v2, v0, v2
	ds_write_b64 v2, v[12:13] offset:584
	v_and_b32_e32 v2, 0x2000, v90
	v_cmp_ne_u32_e32 vcc, 0, v2
	s_and_saveexec_b64 s[24:25], vcc
	s_cbranch_execz .LBB11_1330
; %bb.1329:                             ;   in Loop: Header=BB11_1258 Depth=2
	ds_read_b64 v[12:13], v0 offset:872
	s_waitcnt lgkmcnt(0)
	v_lshl_add_u64 v[12:13], v[12:13], 0, 1
	ds_write_b64 v0, v[12:13] offset:872
.LBB11_1330:                            ;   in Loop: Header=BB11_1258 Depth=2
	s_or_b64 exec, exec, s[24:25]
	v_mov_b64_e32 v[44:45], v[10:11]
	s_or_b64 exec, exec, s[28:29]
	s_and_saveexec_b64 s[24:25], s[6:7]
	s_cbranch_execz .LBB11_1283
.LBB11_1331:                            ;   in Loop: Header=BB11_1258 Depth=2
	s_and_saveexec_b64 s[28:29], s[78:79]
	s_xor_b64 s[28:29], exec, s[28:29]
	s_cbranch_execz .LBB11_1365
; %bb.1332:                             ;   in Loop: Header=BB11_1258 Depth=2
	s_and_saveexec_b64 s[40:41], s[14:15]
	s_cbranch_execz .LBB11_1364
; %bb.1333:                             ;   in Loop: Header=BB11_1258 Depth=2
	s_mov_b64 s[44:45], exec
	v_mbcnt_lo_u32_b32 v2, s44, 0
	v_mbcnt_hi_u32_b32 v2, s45, v2
	v_cmp_eq_u32_e32 vcc, 0, v2
	s_waitcnt lgkmcnt(0)
	s_and_saveexec_b64 s[42:43], vcc
	s_cbranch_execz .LBB11_1335
; %bb.1334:                             ;   in Loop: Header=BB11_1258 Depth=2
	s_bcnt1_i32_b64 s44, s[44:45]
	v_mov_b32_e32 v2, s44
	ds_add_u64 v0, v[2:3]
	s_trap 2
.LBB11_1335:                            ;   in Loop: Header=BB11_1258 Depth=2
	s_or_b64 exec, exec, s[42:43]
	s_trap 2
	ds_read_b64 v[10:11], v0
	s_waitcnt lgkmcnt(0)
	v_lshl_add_u64 v[48:49], v[48:49], 0, v[52:53]
	v_cmp_lt_u64_e32 vcc, v[10:11], v[48:49]
	s_and_saveexec_b64 s[42:43], vcc
	s_cbranch_execz .LBB11_1363
; %bb.1336:                             ;   in Loop: Header=BB11_1258 Depth=2
	s_mov_b32 s76, 0
	s_mov_b64 s[44:45], 0
                                        ; implicit-def: $sgpr46_sgpr47
                                        ; implicit-def: $sgpr56_sgpr57
	s_branch .LBB11_1338
.LBB11_1337:                            ;   in Loop: Header=BB11_1338 Depth=3
	s_or_b64 exec, exec, s[60:61]
	s_and_b64 s[58:59], exec, s[62:63]
	s_or_b64 s[44:45], s[58:59], s[44:45]
	s_andn2_b64 s[46:47], s[46:47], exec
	s_and_b64 s[58:59], s[56:57], exec
	s_or_b64 s[46:47], s[46:47], s[58:59]
	s_andn2_b64 exec, exec, s[44:45]
	s_cbranch_execz .LBB11_1361
.LBB11_1338:                            ;   Parent Loop BB11_47 Depth=1
                                        ;     Parent Loop BB11_1258 Depth=2
                                        ; =>    This Inner Loop Header: Depth=3
	s_add_i32 s76, s76, 1
	s_cmpk_lg_i32 s76, 0x2710
	s_cselect_b64 s[58:59], -1, 0
	s_and_b64 vcc, exec, s[58:59]
	s_cbranch_vccz .LBB11_1340
; %bb.1339:                             ;   in Loop: Header=BB11_1338 Depth=3
	s_mov_b64 s[62:63], -1
	s_or_b64 s[56:57], s[56:57], exec
	s_and_saveexec_b64 s[60:61], s[58:59]
	s_cbranch_execz .LBB11_1337
	s_branch .LBB11_1341
.LBB11_1340:                            ;   in Loop: Header=BB11_1338 Depth=3
	s_trap 2
	ds_read_b64 v[10:11], v0
	s_andn2_b64 s[58:59], s[58:59], exec
	s_mov_b32 s76, 0
	s_waitcnt vmcnt(0) lgkmcnt(0)
	flat_load_dword v2, v[10:11] sc0 sc1
	s_waitcnt vmcnt(0) lgkmcnt(0)
	buffer_inv sc0 sc1
	v_cmp_eq_u32_e32 vcc, 0, v2
	s_and_b64 s[60:61], vcc, exec
	s_or_b64 s[58:59], s[58:59], s[60:61]
	s_mov_b64 s[62:63], -1
	s_or_b64 s[56:57], s[56:57], exec
	s_and_saveexec_b64 s[60:61], s[58:59]
	s_cbranch_execz .LBB11_1337
.LBB11_1341:                            ;   in Loop: Header=BB11_1338 Depth=3
	s_sleep 1
	s_trap 2
	ds_read_b64 v[10:11], v0
	s_waitcnt lgkmcnt(0)
	s_andn2_b64 s[56:57], s[56:57], exec
	v_cmp_ge_u64_e32 vcc, v[10:11], v[48:49]
	s_orn2_b64 s[62:63], vcc, exec
	s_branch .LBB11_1337
.LBB11_1342:                            ;   in Loop: Header=BB11_1258 Depth=2
	s_or_b64 exec, exec, s[42:43]
	s_and_saveexec_b64 s[42:43], s[44:45]
	s_xor_b64 s[42:43], exec, s[42:43]
	s_cbranch_execz .LBB11_1344
; %bb.1343:                             ;   in Loop: Header=BB11_1258 Depth=2
	ds_write_b32 v0, v94
	s_trap 2
.LBB11_1344:                            ;   in Loop: Header=BB11_1258 Depth=2
	s_or_b64 exec, exec, s[40:41]
	;;#ASMSTART
	s_wakeup
	;;#ASMEND
.LBB11_1345:                            ;   in Loop: Header=BB11_1258 Depth=2
	s_or_b64 exec, exec, s[28:29]
.LBB11_1346:                            ;   in Loop: Header=BB11_1258 Depth=2
	s_andn2_saveexec_b64 s[26:27], s[26:27]
	s_cbranch_execz .LBB11_1348
; %bb.1347:                             ;   in Loop: Header=BB11_1258 Depth=2
	s_waitcnt lgkmcnt(0)
	s_barrier
.LBB11_1348:                            ;   in Loop: Header=BB11_1258 Depth=2
	s_or_b64 exec, exec, s[26:27]
.LBB11_1349:                            ;   in Loop: Header=BB11_1258 Depth=2
	s_or_b64 exec, exec, s[24:25]
	s_trap 2
	ds_read_b32 v8, v0
	v_and_b32_e32 v2, 0x4000, v90
	v_cmp_ne_u32_e32 vcc, 0, v2
	s_xor_b64 s[24:25], s[4:5], -1
	s_and_b64 s[26:27], s[24:25], vcc
	s_and_saveexec_b64 s[24:25], s[26:27]
	s_cbranch_execz .LBB11_1387
; %bb.1350:                             ;   in Loop: Header=BB11_1258 Depth=2
	s_and_saveexec_b64 s[26:27], s[78:79]
	s_xor_b64 s[26:27], exec, s[26:27]
	s_cbranch_execz .LBB11_1384
; %bb.1351:                             ;   in Loop: Header=BB11_1258 Depth=2
	s_and_saveexec_b64 s[28:29], s[14:15]
	s_cbranch_execz .LBB11_1383
; %bb.1352:                             ;   in Loop: Header=BB11_1258 Depth=2
	s_mov_b64 s[42:43], exec
	v_mbcnt_lo_u32_b32 v2, s42, 0
	v_mbcnt_hi_u32_b32 v2, s43, v2
	v_cmp_eq_u32_e32 vcc, 0, v2
	s_waitcnt lgkmcnt(0)
	s_and_saveexec_b64 s[40:41], vcc
	s_cbranch_execz .LBB11_1354
; %bb.1353:                             ;   in Loop: Header=BB11_1258 Depth=2
	s_bcnt1_i32_b64 s42, s[42:43]
	v_mov_b32_e32 v2, s42
	ds_add_u64 v0, v[2:3]
	s_trap 2
.LBB11_1354:                            ;   in Loop: Header=BB11_1258 Depth=2
	s_or_b64 exec, exec, s[40:41]
	s_trap 2
	ds_read_b64 v[10:11], v0
	s_waitcnt lgkmcnt(0)
	v_lshl_add_u64 v[48:49], v[48:49], 0, v[52:53]
	v_cmp_lt_u64_e32 vcc, v[10:11], v[48:49]
	s_and_saveexec_b64 s[40:41], vcc
	s_cbranch_execz .LBB11_1382
; %bb.1355:                             ;   in Loop: Header=BB11_1258 Depth=2
	s_mov_b32 s76, 0
	s_mov_b64 s[42:43], 0
                                        ; implicit-def: $sgpr44_sgpr45
                                        ; implicit-def: $sgpr46_sgpr47
	s_branch .LBB11_1357
.LBB11_1356:                            ;   in Loop: Header=BB11_1357 Depth=3
	s_or_b64 exec, exec, s[58:59]
	s_and_b64 s[56:57], exec, s[60:61]
	s_or_b64 s[42:43], s[56:57], s[42:43]
	s_andn2_b64 s[44:45], s[44:45], exec
	s_and_b64 s[56:57], s[46:47], exec
	s_or_b64 s[44:45], s[44:45], s[56:57]
	s_andn2_b64 exec, exec, s[42:43]
	s_cbranch_execz .LBB11_1380
.LBB11_1357:                            ;   Parent Loop BB11_47 Depth=1
                                        ;     Parent Loop BB11_1258 Depth=2
                                        ; =>    This Inner Loop Header: Depth=3
	s_add_i32 s76, s76, 1
	s_cmpk_lg_i32 s76, 0x2710
	s_cselect_b64 s[56:57], -1, 0
	s_and_b64 vcc, exec, s[56:57]
	s_cbranch_vccz .LBB11_1359
; %bb.1358:                             ;   in Loop: Header=BB11_1357 Depth=3
	s_mov_b64 s[60:61], -1
	s_or_b64 s[46:47], s[46:47], exec
	s_and_saveexec_b64 s[58:59], s[56:57]
	s_cbranch_execz .LBB11_1356
	s_branch .LBB11_1360
.LBB11_1359:                            ;   in Loop: Header=BB11_1357 Depth=3
	s_trap 2
	ds_read_b64 v[10:11], v0
	s_andn2_b64 s[56:57], s[56:57], exec
	s_mov_b32 s76, 0
	s_waitcnt vmcnt(0) lgkmcnt(0)
	flat_load_dword v2, v[10:11] sc0 sc1
	s_waitcnt vmcnt(0) lgkmcnt(0)
	buffer_inv sc0 sc1
	v_cmp_eq_u32_e32 vcc, 0, v2
	s_and_b64 s[58:59], vcc, exec
	s_or_b64 s[56:57], s[56:57], s[58:59]
	s_mov_b64 s[60:61], -1
	s_or_b64 s[46:47], s[46:47], exec
	s_and_saveexec_b64 s[58:59], s[56:57]
	s_cbranch_execz .LBB11_1356
.LBB11_1360:                            ;   in Loop: Header=BB11_1357 Depth=3
	s_sleep 1
	s_trap 2
	ds_read_b64 v[10:11], v0
	s_waitcnt lgkmcnt(0)
	s_andn2_b64 s[46:47], s[46:47], exec
	v_cmp_ge_u64_e32 vcc, v[10:11], v[48:49]
	s_orn2_b64 s[60:61], vcc, exec
	s_branch .LBB11_1356
.LBB11_1361:                            ;   in Loop: Header=BB11_1258 Depth=2
	s_or_b64 exec, exec, s[44:45]
	s_and_saveexec_b64 s[44:45], s[46:47]
	s_xor_b64 s[44:45], exec, s[44:45]
	s_cbranch_execz .LBB11_1363
; %bb.1362:                             ;   in Loop: Header=BB11_1258 Depth=2
	ds_write_b32 v0, v94
	s_trap 2
.LBB11_1363:                            ;   in Loop: Header=BB11_1258 Depth=2
	s_or_b64 exec, exec, s[42:43]
	;;#ASMSTART
	s_wakeup
	;;#ASMEND
.LBB11_1364:                            ;   in Loop: Header=BB11_1258 Depth=2
	s_or_b64 exec, exec, s[40:41]
.LBB11_1365:                            ;   in Loop: Header=BB11_1258 Depth=2
	s_andn2_saveexec_b64 s[28:29], s[28:29]
	s_cbranch_execz .LBB11_1367
; %bb.1366:                             ;   in Loop: Header=BB11_1258 Depth=2
	s_waitcnt lgkmcnt(0)
	s_barrier
.LBB11_1367:                            ;   in Loop: Header=BB11_1258 Depth=2
	s_or_b64 exec, exec, s[28:29]
	s_or_b64 exec, exec, s[24:25]
                                        ; implicit-def: $vgpr2
	s_and_saveexec_b64 s[24:25], s[22:23]
	s_xor_b64 s[24:25], exec, s[24:25]
	s_cbranch_execnz .LBB11_1284
.LBB11_1368:                            ;   in Loop: Header=BB11_1258 Depth=2
	s_andn2_saveexec_b64 s[24:25], s[24:25]
	s_cbranch_execz .LBB11_1444
.LBB11_1369:                            ;   in Loop: Header=BB11_1258 Depth=2
	s_and_saveexec_b64 s[28:29], s[78:79]
	s_xor_b64 s[28:29], exec, s[28:29]
	s_cbranch_execz .LBB11_1441
; %bb.1370:                             ;   in Loop: Header=BB11_1258 Depth=2
	s_and_saveexec_b64 s[40:41], s[14:15]
	s_cbranch_execz .LBB11_1440
; %bb.1371:                             ;   in Loop: Header=BB11_1258 Depth=2
	s_mov_b64 s[44:45], exec
	v_mbcnt_lo_u32_b32 v2, s44, 0
	v_mbcnt_hi_u32_b32 v2, s45, v2
	v_cmp_eq_u32_e32 vcc, 0, v2
	;;#ASMSTART
	s_waitcnt lgkmcnt(0) vmcnt(0)
	;;#ASMEND
	s_and_saveexec_b64 s[42:43], vcc
	s_cbranch_execz .LBB11_1373
; %bb.1372:                             ;   in Loop: Header=BB11_1258 Depth=2
	s_bcnt1_i32_b64 s44, s[44:45]
	v_mov_b32_e32 v2, s44
	s_waitcnt lgkmcnt(0)
	ds_add_u64 v0, v[2:3]
	s_trap 2
.LBB11_1373:                            ;   in Loop: Header=BB11_1258 Depth=2
	s_or_b64 exec, exec, s[42:43]
	s_trap 2
	ds_read_b64 v[8:9], v0
	s_waitcnt lgkmcnt(0)
	v_lshl_add_u64 v[48:49], v[48:49], 0, v[52:53]
	v_cmp_lt_u64_e32 vcc, v[8:9], v[48:49]
	s_and_saveexec_b64 s[42:43], vcc
	s_cbranch_execz .LBB11_1439
; %bb.1374:                             ;   in Loop: Header=BB11_1258 Depth=2
	s_mov_b32 s76, 0
	s_mov_b64 s[44:45], 0
                                        ; implicit-def: $sgpr46_sgpr47
                                        ; implicit-def: $sgpr56_sgpr57
	s_branch .LBB11_1376
.LBB11_1375:                            ;   in Loop: Header=BB11_1376 Depth=3
	s_or_b64 exec, exec, s[60:61]
	s_and_b64 s[58:59], exec, s[62:63]
	s_or_b64 s[44:45], s[58:59], s[44:45]
	s_andn2_b64 s[46:47], s[46:47], exec
	s_and_b64 s[58:59], s[56:57], exec
	s_or_b64 s[46:47], s[46:47], s[58:59]
	s_andn2_b64 exec, exec, s[44:45]
	s_cbranch_execz .LBB11_1437
.LBB11_1376:                            ;   Parent Loop BB11_47 Depth=1
                                        ;     Parent Loop BB11_1258 Depth=2
                                        ; =>    This Inner Loop Header: Depth=3
	s_add_i32 s76, s76, 1
	s_cmpk_lg_i32 s76, 0x2710
	s_cselect_b64 s[58:59], -1, 0
	s_and_b64 vcc, exec, s[58:59]
	s_cbranch_vccz .LBB11_1378
; %bb.1377:                             ;   in Loop: Header=BB11_1376 Depth=3
	s_mov_b64 s[62:63], -1
	s_or_b64 s[56:57], s[56:57], exec
	s_and_saveexec_b64 s[60:61], s[58:59]
	s_cbranch_execz .LBB11_1375
	s_branch .LBB11_1379
.LBB11_1378:                            ;   in Loop: Header=BB11_1376 Depth=3
	s_trap 2
	ds_read_b64 v[8:9], v0
	s_andn2_b64 s[58:59], s[58:59], exec
	s_mov_b32 s76, 0
	s_waitcnt vmcnt(0) lgkmcnt(0)
	flat_load_dword v2, v[8:9] sc0 sc1
	s_waitcnt vmcnt(0) lgkmcnt(0)
	buffer_inv sc0 sc1
	v_cmp_eq_u32_e32 vcc, 0, v2
	s_and_b64 s[60:61], vcc, exec
	s_or_b64 s[58:59], s[58:59], s[60:61]
	s_mov_b64 s[62:63], -1
	s_or_b64 s[56:57], s[56:57], exec
	s_and_saveexec_b64 s[60:61], s[58:59]
	s_cbranch_execz .LBB11_1375
.LBB11_1379:                            ;   in Loop: Header=BB11_1376 Depth=3
	s_sleep 1
	s_trap 2
	ds_read_b64 v[8:9], v0
	s_waitcnt lgkmcnt(0)
	s_andn2_b64 s[56:57], s[56:57], exec
	v_cmp_ge_u64_e32 vcc, v[8:9], v[48:49]
	s_orn2_b64 s[62:63], vcc, exec
	s_branch .LBB11_1375
.LBB11_1380:                            ;   in Loop: Header=BB11_1258 Depth=2
	s_or_b64 exec, exec, s[42:43]
	s_and_saveexec_b64 s[42:43], s[44:45]
	s_xor_b64 s[42:43], exec, s[42:43]
	s_cbranch_execz .LBB11_1382
; %bb.1381:                             ;   in Loop: Header=BB11_1258 Depth=2
	ds_write_b32 v0, v94
	s_trap 2
.LBB11_1382:                            ;   in Loop: Header=BB11_1258 Depth=2
	s_or_b64 exec, exec, s[40:41]
	;;#ASMSTART
	s_wakeup
	;;#ASMEND
.LBB11_1383:                            ;   in Loop: Header=BB11_1258 Depth=2
	s_or_b64 exec, exec, s[28:29]
.LBB11_1384:                            ;   in Loop: Header=BB11_1258 Depth=2
	s_andn2_saveexec_b64 s[26:27], s[26:27]
	s_cbranch_execz .LBB11_1386
; %bb.1385:                             ;   in Loop: Header=BB11_1258 Depth=2
	s_waitcnt lgkmcnt(0)
	s_barrier
.LBB11_1386:                            ;   in Loop: Header=BB11_1258 Depth=2
	s_or_b64 exec, exec, s[26:27]
.LBB11_1387:                            ;   in Loop: Header=BB11_1258 Depth=2
	s_or_b64 exec, exec, s[24:25]
	s_trap 2
	ds_read_b64 v[60:61], v0
	s_waitcnt lgkmcnt(0)
	v_cmp_eq_u64_e32 vcc, 0, v[60:61]
	s_cbranch_vccnz .LBB11_1396
; %bb.1388:                             ;   in Loop: Header=BB11_1258 Depth=2
	s_trap 2
	ds_read_b64 v[62:63], v0
	s_waitcnt lgkmcnt(0)
	v_cmp_eq_u64_e32 vcc, 0, v[62:63]
	s_cbranch_vccnz .LBB11_1396
; %bb.1389:                             ;   in Loop: Header=BB11_1258 Depth=2
	s_trap 2
	ds_read_b64 v[16:17], v0
	v_cmp_eq_u32_e32 vcc, 0, v8
	s_waitcnt lgkmcnt(0)
	v_readfirstlane_b32 s67, v16
	v_cndmask_b32_e32 v59, 0, v58, vcc
	v_cmp_ne_u64_e32 vcc, 0, v[16:17]
	s_cbranch_vccz .LBB11_1401
; %bb.1390:                             ;   in Loop: Header=BB11_1258 Depth=2
	s_trap 2
	ds_read_b64 v[18:19], v0
	s_mov_b64 s[24:25], -1
	s_and_saveexec_b64 s[26:27], s[18:19]
	s_cbranch_execz .LBB11_1392
; %bb.1391:                             ;   in Loop: Header=BB11_1258 Depth=2
	ds_read_b32 v2, v0 offset:720
	s_waitcnt lgkmcnt(0)
	v_and_b32_e32 v2, 15, v2
	v_cmp_eq_u32_e32 vcc, 0, v2
	s_orn2_b64 s[24:25], vcc, exec
.LBB11_1392:                            ;   in Loop: Header=BB11_1258 Depth=2
	s_or_b64 exec, exec, s[26:27]
	s_and_saveexec_b64 s[26:27], s[20:21]
	s_cbranch_execz .LBB11_1394
; %bb.1393:                             ;   in Loop: Header=BB11_1258 Depth=2
	ds_read_b32 v2, v0 offset:784
	s_waitcnt lgkmcnt(0)
	v_and_b32_e32 v2, 15, v2
	v_cmp_eq_u32_e32 vcc, 0, v2
	s_and_b64 s[28:29], s[24:25], vcc
	s_andn2_b64 s[24:25], s[24:25], exec
	s_and_b64 s[28:29], s[28:29], exec
	s_or_b64 s[24:25], s[24:25], s[28:29]
.LBB11_1394:                            ;   in Loop: Header=BB11_1258 Depth=2
	s_or_b64 exec, exec, s[26:27]
	s_xor_b64 s[24:25], s[24:25], -1
	v_cndmask_b32_e64 v8, 0, 1, s[24:25]
	v_lshlrev_b32_e32 v77, 1, v59
	s_mov_b64 s[26:27], -1
	v_mov_b32_e32 v2, 0
	v_cmp_ne_u32_e32 vcc, 0, v8
	s_cbranch_vccz .LBB11_1403
; %bb.1395:                             ;   in Loop: Header=BB11_1258 Depth=2
	v_mov_b32_e32 v22, v0
	s_and_saveexec_b64 s[42:43], s[26:27]
	s_cbranch_execnz .LBB11_1418
	s_branch .LBB11_1456
.LBB11_1396:                            ;   in Loop: Header=BB11_1258 Depth=2
	s_mov_b64 s[24:25], 0
	s_and_saveexec_b64 s[26:27], s[6:7]
	s_cbranch_execnz .LBB11_1563
.LBB11_1397:                            ;   in Loop: Header=BB11_1258 Depth=2
	s_or_b64 exec, exec, s[26:27]
                                        ; implicit-def: $vgpr2
	s_and_saveexec_b64 s[26:27], s[22:23]
	s_xor_b64 s[26:27], exec, s[26:27]
	s_cbranch_execz .LBB11_1581
.LBB11_1398:                            ;   in Loop: Header=BB11_1258 Depth=2
	v_and_b32_e32 v8, 16, v90
	v_cmp_ne_u32_e32 vcc, 0, v8
	v_and_b32_e32 v2, 16, v90
	s_and_b64 s[28:29], vcc, s[24:25]
	s_and_saveexec_b64 s[24:25], s[28:29]
	s_cbranch_execz .LBB11_1400
; %bb.1399:                             ;   in Loop: Header=BB11_1258 Depth=2
	v_mov_b32_e32 v2, 1
	buffer_wbl2 sc1
	s_waitcnt vmcnt(0) lgkmcnt(0)
	buffer_inv sc1
.LBB11_1400:                            ;   in Loop: Header=BB11_1258 Depth=2
	s_or_b64 exec, exec, s[24:25]
	s_andn2_saveexec_b64 s[24:25], s[26:27]
	s_cbranch_execz .LBB11_1600
	s_branch .LBB11_1582
.LBB11_1401:                            ;   in Loop: Header=BB11_1258 Depth=2
	s_cbranch_execnz .LBB11_1457
.LBB11_1402:                            ;   in Loop: Header=BB11_1258 Depth=2
	v_cmp_lt_i32_e64 s[24:25], 0, v59
	s_and_saveexec_b64 s[26:27], s[6:7]
	s_cbranch_execnz .LBB11_1563
	s_branch .LBB11_1397
.LBB11_1403:                            ;   in Loop: Header=BB11_1258 Depth=2
	v_ashrrev_i32_e32 v2, 31, v77
	v_lshrrev_b32_e32 v2, 22, v2
	v_add_u32_e32 v2, v77, v2
	v_and_b32_e32 v79, 0xfffffc00, v2
	v_ashrrev_i32_e32 v8, 10, v2
	v_sub_u32_e32 v89, v77, v79
	v_sub_u32_e32 v2, v8, v92
	v_cmp_lt_i32_e64 s[24:25], 15, v89
	v_sub_u32_e32 v78, v77, v54
	s_nop 0
	v_addc_co_u32_e64 v88, vcc, 0, v2, s[24:25]
	v_cmp_lt_i32_e32 vcc, 15, v78
	s_and_saveexec_b64 s[52:53], vcc
	s_cbranch_execz .LBB11_1409
; %bb.1404:                             ;   in Loop: Header=BB11_1258 Depth=2
	s_and_b32 s76, s67, 1
	s_cmp_eq_u64 s[76:77], 0
	v_lshl_add_u64 v[20:21], v[60:61], 0, v[54:55]
	s_waitcnt lgkmcnt(0)
	v_lshl_add_u64 v[22:23], v[18:19], 0, v[54:55]
	v_lshl_add_u64 v[72:73], v[62:63], 0, v[54:55]
	;; [unrolled: 1-line block ×3, first 2 shown]
	s_mov_b64 s[54:55], 0
	s_cselect_b64 s[26:27], -1, 0
.LBB11_1405:                            ;   Parent Loop BB11_47 Depth=1
                                        ;     Parent Loop BB11_1258 Depth=2
                                        ; =>    This Loop Header: Depth=3
                                        ;         Child Loop BB11_1406 Depth 4
	global_load_dwordx4 v[8:11], v[20:21], off nt
	global_load_dwordx4 v[12:15], v[22:23], off nt
	s_waitcnt vmcnt(0)
	v_lshlrev_b32_e32 v2, 16, v8
	v_and_b32_e32 v29, 0xffff0000, v12
	v_lshlrev_b32_e32 v12, 16, v12
	v_max_f32_e32 v12, v12, v12
	v_max_f32_e32 v2, v2, v2
	v_min_f32_e32 v50, v2, v12
	v_max_f32_e32 v2, v2, v12
	v_cndmask_b32_e64 v12, v2, v50, s[26:27]
	v_and_b32_e32 v28, 0xffff0000, v8
	v_and_b32_e32 v2, 0x7f800000, v12
	v_cmp_eq_u32_e32 vcc, s99, v2
	v_bfe_u32 v2, v12, 16, 1
	v_cmp_eq_u32_sdwa s[28:29], v12, v3 src0_sel:WORD_0 src1_sel:DWORD
	v_or_b32_e32 v50, 0x10000, v12
	v_max_f32_e32 v29, v29, v29
	v_max_f32_e32 v28, v28, v28
	v_add3_u32 v2, v12, v2, s74
	v_cndmask_b32_e64 v12, v50, v12, s[28:29]
	v_min_f32_e32 v50, v28, v29
	v_max_f32_e32 v28, v28, v29
	v_cndmask_b32_e64 v28, v28, v50, s[26:27]
	v_and_b32_e32 v29, 0x7f800000, v28
	v_cmp_eq_u32_e64 s[28:29], s99, v29
	v_bfe_u32 v29, v28, 16, 1
	v_add3_u32 v107, v28, v29, s74
	v_cmp_eq_u32_sdwa s[40:41], v28, v3 src0_sel:WORD_0 src1_sel:DWORD
	v_or_b32_e32 v29, 0x10000, v28
	v_lshlrev_b32_e32 v50, 16, v9
	v_cndmask_b32_e64 v108, v29, v28, s[40:41]
	v_and_b32_e32 v29, 0xffff0000, v13
	v_lshlrev_b32_e32 v13, 16, v13
	v_max_f32_e32 v13, v13, v13
	v_max_f32_e32 v50, v50, v50
	v_min_f32_e32 v66, v50, v13
	v_max_f32_e32 v13, v50, v13
	v_cndmask_b32_e64 v50, v13, v66, s[26:27]
	v_and_b32_e32 v28, 0xffff0000, v9
	v_and_b32_e32 v13, 0x7f800000, v50
	v_cmp_eq_u32_e64 s[40:41], s99, v13
	v_bfe_u32 v13, v50, 16, 1
	v_cmp_eq_u32_sdwa s[42:43], v50, v3 src0_sel:WORD_0 src1_sel:DWORD
	v_or_b32_e32 v66, 0x10000, v50
	v_max_f32_e32 v29, v29, v29
	v_max_f32_e32 v28, v28, v28
	v_add3_u32 v13, v50, v13, s74
	v_cndmask_b32_e64 v109, v66, v50, s[42:43]
	v_min_f32_e32 v50, v28, v29
	v_max_f32_e32 v28, v28, v29
	v_cndmask_b32_e64 v28, v28, v50, s[26:27]
	v_and_b32_e32 v29, 0x7f800000, v28
	v_cmp_eq_u32_e64 s[42:43], s99, v29
	v_bfe_u32 v29, v28, 16, 1
	v_add3_u32 v110, v28, v29, s74
	v_cmp_eq_u32_sdwa s[44:45], v28, v3 src0_sel:WORD_0 src1_sel:DWORD
	v_or_b32_e32 v29, 0x10000, v28
	v_lshlrev_b32_e32 v50, 16, v10
	v_cndmask_b32_e64 v111, v29, v28, s[44:45]
	v_and_b32_e32 v29, 0xffff0000, v14
	v_lshlrev_b32_e32 v14, 16, v14
	v_max_f32_e32 v14, v14, v14
	v_max_f32_e32 v50, v50, v50
	v_min_f32_e32 v66, v50, v14
	v_max_f32_e32 v14, v50, v14
	v_cndmask_b32_e64 v50, v14, v66, s[26:27]
	v_and_b32_e32 v28, 0xffff0000, v10
	v_and_b32_e32 v14, 0x7f800000, v50
	v_cmp_eq_u32_e64 s[44:45], s99, v14
	;; [unrolled: 28-line block ×3, first 2 shown]
	v_bfe_u32 v50, v15, 16, 1
	v_cmp_eq_u32_sdwa s[58:59], v15, v3 src0_sel:WORD_0 src1_sel:DWORD
	v_or_b32_e32 v66, 0x10000, v15
	v_max_f32_e32 v29, v29, v29
	v_max_f32_e32 v28, v28, v28
	v_add3_u32 v50, v15, v50, s74
	v_cndmask_b32_e64 v15, v66, v15, s[58:59]
	v_min_f32_e32 v66, v28, v29
	v_max_f32_e32 v28, v28, v29
	v_cndmask_b32_e64 v28, v28, v66, s[26:27]
	v_and_b32_e32 v29, 0x7f800000, v28
	v_cmp_eq_u32_e64 s[58:59], s99, v29
	v_bfe_u32 v29, v28, 16, 1
	v_cmp_eq_u32_sdwa s[60:61], v28, v3 src0_sel:WORD_0 src1_sel:DWORD
	v_or_b32_e32 v66, 0x10000, v28
	v_cndmask_b32_e32 v2, v2, v12, vcc
	v_add3_u32 v29, v28, v29, s74
	v_cndmask_b32_e64 v28, v66, v28, s[60:61]
	v_cndmask_b32_e64 v12, v107, v108, s[28:29]
	;; [unrolled: 1-line block ×5, first 2 shown]
	v_lshrrev_b32_e32 v2, 16, v2
	v_cndmask_b32_e64 v66, v110, v111, s[42:43]
	v_cndmask_b32_e64 v67, v121, v122, s[46:47]
	;; [unrolled: 1-line block ×3, first 2 shown]
	v_lshrrev_b32_e32 v13, 16, v13
	v_and_or_b32 v2, v12, s75, v2
	v_lshrrev_b32_e32 v12, 16, v14
	v_lshrrev_b32_e32 v14, 16, v15
	v_and_or_b32 v13, v66, s75, v13
	v_and_or_b32 v12, v67, s75, v12
	;; [unrolled: 1-line block ×3, first 2 shown]
	s_mov_b64 s[42:43], -1
	s_mov_b64 s[44:45], 0
.LBB11_1406:                            ;   Parent Loop BB11_47 Depth=1
                                        ;     Parent Loop BB11_1258 Depth=2
                                        ;       Parent Loop BB11_1405 Depth=3
                                        ; =>      This Inner Loop Header: Depth=4
	v_cndmask_b32_e64 v14, 0, 1, s[42:43]
	s_cmp_eq_u32 s44, 1
	v_cmp_ne_u32_e32 vcc, 1, v14
	s_cselect_b64 s[28:29], -1, 0
	v_cndmask_b32_e64 v109, v9, v13, s[42:43]
	v_cndmask_b32_e64 v108, v8, v2, s[42:43]
	;; [unrolled: 1-line block ×4, first 2 shown]
	v_cndmask_b32_e32 v121, v73, v75, vcc
	v_cndmask_b32_e64 v123, v73, v75, s[28:29]
	s_cmp_eq_u32 s44, 0
	v_cndmask_b32_e32 v120, v72, v74, vcc
	v_cndmask_b32_e64 v122, v72, v74, s[28:29]
	global_store_dwordx4 v[120:121], v[108:111], off
	s_cselect_b64 vcc, -1, 0
	s_and_b64 s[40:41], exec, s[42:43]
	v_lshl_add_u64 v[108:109], v[122:123], 0, s[90:91]
	s_mov_b64 s[44:45], 1
	s_mov_b64 s[42:43], 0
	v_cndmask_b32_e64 v75, v75, v109, s[28:29]
	v_cndmask_b32_e64 v74, v74, v108, s[28:29]
	v_cndmask_b32_e32 v73, v73, v109, vcc
	v_cndmask_b32_e32 v72, v72, v108, vcc
	s_mov_b64 vcc, s[40:41]
	s_cbranch_vccnz .LBB11_1406
; %bb.1407:                             ;   in Loop: Header=BB11_1405 Depth=3
	v_sub_u32_e32 v78, v78, v70
	v_cmp_gt_i32_e32 vcc, 16, v78
	v_lshl_add_u64 v[72:73], v[72:73], 0, v[86:87]
	v_lshl_add_u64 v[74:75], v[74:75], 0, v[86:87]
	;; [unrolled: 1-line block ×4, first 2 shown]
	s_or_b64 s[54:55], vcc, s[54:55]
	v_sub_u32_e32 v88, v88, v52
	s_andn2_b64 exec, exec, s[54:55]
	s_cbranch_execnz .LBB11_1405
; %bb.1408:                             ;   in Loop: Header=BB11_1258 Depth=2
	s_or_b64 exec, exec, s[54:55]
.LBB11_1409:                            ;   in Loop: Header=BB11_1258 Depth=2
	s_or_b64 exec, exec, s[52:53]
	v_and_b32_e32 v8, 14, v77
	v_cndmask_b32_e64 v78, v89, v8, s[24:25]
	v_mov_b32_e32 v2, 0
	v_cmp_ne_u32_e32 vcc, 0, v78
	s_mov_b64 s[26:27], 0
                                        ; implicit-def: $vgpr77
                                        ; implicit-def: $vgpr22
	s_and_saveexec_b64 s[52:53], vcc
	s_cbranch_execz .LBB11_1417
; %bb.1410:                             ;   in Loop: Header=BB11_1258 Depth=2
	v_sub_u32_e32 v2, v89, v8
	v_cndmask_b32_e64 v2, 0, v2, s[24:25]
	v_cmp_lt_i32_e32 vcc, 0, v88
	v_add_u32_e32 v77, v2, v79
	s_nop 0
	v_cndmask_b32_e32 v2, 0, v52, vcc
	v_sub_u32_e32 v2, v2, v88
	v_lshl_or_b32 v2, v2, 6, v91
	v_ashrrev_i32_e32 v8, 31, v2
	v_lshrrev_b32_e32 v8, 26, v8
	v_add_u32_e32 v8, v2, v8
	v_ashrrev_i32_e32 v9, 6, v8
	v_and_b32_e32 v8, 0xffffffc0, v8
	v_sub_u32_e32 v79, v2, v8
	v_ashrrev_i32_e32 v8, 31, v78
	v_lshrrev_b32_e32 v8, 22, v8
	v_add_u32_e32 v8, v78, v8
	v_and_b32_e32 v88, 0xfffffc00, v8
	v_lshlrev_b32_e32 v2, 4, v79
	v_sub_u32_e32 v89, v78, v88
	v_lshl_add_u32 v2, v9, 10, v2
	v_ashrrev_i32_e32 v10, 10, v8
	v_cmp_lt_i32_e64 s[24:25], 15, v89
	v_sub_u32_e32 v108, v78, v2
	s_nop 0
	v_addc_co_u32_e64 v8, vcc, 0, v10, s[24:25]
	v_sub_u32_e32 v107, v8, v9
	v_cmp_lt_i32_e32 vcc, 15, v108
	s_and_saveexec_b64 s[54:55], vcc
	s_cbranch_execz .LBB11_1416
; %bb.1411:                             ;   in Loop: Header=BB11_1258 Depth=2
	v_add_u32_e32 v8, v2, v77
	s_and_b32 s76, s67, 1
	v_ashrrev_i32_e32 v9, 31, v8
	s_cmp_eq_u64 s[76:77], 0
	v_lshl_add_u64 v[20:21], v[8:9], 0, v[60:61]
	s_waitcnt lgkmcnt(0)
	v_lshl_add_u64 v[22:23], v[8:9], 0, v[18:19]
	v_lshl_add_u64 v[72:73], v[8:9], 0, v[62:63]
	v_lshl_add_u64 v[74:75], v[8:9], 0, v[16:17]
	s_mov_b64 s[64:65], 0
	s_cselect_b64 s[26:27], -1, 0
.LBB11_1412:                            ;   Parent Loop BB11_47 Depth=1
                                        ;     Parent Loop BB11_1258 Depth=2
                                        ; =>    This Loop Header: Depth=3
                                        ;         Child Loop BB11_1413 Depth 4
	global_load_dwordx4 v[8:11], v[20:21], off nt
	global_load_dwordx4 v[12:15], v[22:23], off nt
	s_waitcnt vmcnt(0)
	v_lshlrev_b32_e32 v2, 16, v8
	v_and_b32_e32 v29, 0xffff0000, v12
	v_lshlrev_b32_e32 v12, 16, v12
	v_max_f32_e32 v12, v12, v12
	v_max_f32_e32 v2, v2, v2
	v_min_f32_e32 v50, v2, v12
	v_max_f32_e32 v2, v2, v12
	v_cndmask_b32_e64 v12, v2, v50, s[26:27]
	v_and_b32_e32 v28, 0xffff0000, v8
	v_and_b32_e32 v2, 0x7f800000, v12
	v_cmp_eq_u32_e32 vcc, s99, v2
	v_bfe_u32 v2, v12, 16, 1
	v_cmp_eq_u32_sdwa s[28:29], v12, v3 src0_sel:WORD_0 src1_sel:DWORD
	v_or_b32_e32 v50, 0x10000, v12
	v_max_f32_e32 v29, v29, v29
	v_max_f32_e32 v28, v28, v28
	v_add3_u32 v2, v12, v2, s74
	v_cndmask_b32_e64 v12, v50, v12, s[28:29]
	v_min_f32_e32 v50, v28, v29
	v_max_f32_e32 v28, v28, v29
	v_cndmask_b32_e64 v28, v28, v50, s[26:27]
	v_and_b32_e32 v29, 0x7f800000, v28
	v_cmp_eq_u32_e64 s[28:29], s99, v29
	v_bfe_u32 v29, v28, 16, 1
	v_add3_u32 v109, v28, v29, s74
	v_cmp_eq_u32_sdwa s[40:41], v28, v3 src0_sel:WORD_0 src1_sel:DWORD
	v_or_b32_e32 v29, 0x10000, v28
	v_lshlrev_b32_e32 v50, 16, v9
	v_cndmask_b32_e64 v110, v29, v28, s[40:41]
	v_and_b32_e32 v29, 0xffff0000, v13
	v_lshlrev_b32_e32 v13, 16, v13
	v_max_f32_e32 v13, v13, v13
	v_max_f32_e32 v50, v50, v50
	v_min_f32_e32 v66, v50, v13
	v_max_f32_e32 v13, v50, v13
	v_cndmask_b32_e64 v50, v13, v66, s[26:27]
	v_and_b32_e32 v28, 0xffff0000, v9
	v_and_b32_e32 v13, 0x7f800000, v50
	v_cmp_eq_u32_e64 s[40:41], s99, v13
	v_bfe_u32 v13, v50, 16, 1
	v_cmp_eq_u32_sdwa s[42:43], v50, v3 src0_sel:WORD_0 src1_sel:DWORD
	v_or_b32_e32 v66, 0x10000, v50
	v_max_f32_e32 v29, v29, v29
	v_max_f32_e32 v28, v28, v28
	v_add3_u32 v13, v50, v13, s74
	v_cndmask_b32_e64 v111, v66, v50, s[42:43]
	v_min_f32_e32 v50, v28, v29
	v_max_f32_e32 v28, v28, v29
	v_cndmask_b32_e64 v28, v28, v50, s[26:27]
	v_and_b32_e32 v29, 0x7f800000, v28
	v_cmp_eq_u32_e64 s[42:43], s99, v29
	v_bfe_u32 v29, v28, 16, 1
	v_add3_u32 v120, v28, v29, s74
	v_cmp_eq_u32_sdwa s[44:45], v28, v3 src0_sel:WORD_0 src1_sel:DWORD
	v_or_b32_e32 v29, 0x10000, v28
	v_lshlrev_b32_e32 v50, 16, v10
	v_cndmask_b32_e64 v121, v29, v28, s[44:45]
	v_and_b32_e32 v29, 0xffff0000, v14
	v_lshlrev_b32_e32 v14, 16, v14
	v_max_f32_e32 v14, v14, v14
	v_max_f32_e32 v50, v50, v50
	v_min_f32_e32 v66, v50, v14
	v_max_f32_e32 v14, v50, v14
	v_cndmask_b32_e64 v50, v14, v66, s[26:27]
	v_and_b32_e32 v28, 0xffff0000, v10
	v_and_b32_e32 v14, 0x7f800000, v50
	v_cmp_eq_u32_e64 s[44:45], s99, v14
	;; [unrolled: 28-line block ×3, first 2 shown]
	v_bfe_u32 v50, v15, 16, 1
	v_cmp_eq_u32_sdwa s[58:59], v15, v3 src0_sel:WORD_0 src1_sel:DWORD
	v_or_b32_e32 v66, 0x10000, v15
	v_max_f32_e32 v29, v29, v29
	v_max_f32_e32 v28, v28, v28
	v_add3_u32 v50, v15, v50, s74
	v_cndmask_b32_e64 v15, v66, v15, s[58:59]
	v_min_f32_e32 v66, v28, v29
	v_max_f32_e32 v28, v28, v29
	v_cndmask_b32_e64 v28, v28, v66, s[26:27]
	v_and_b32_e32 v29, 0x7f800000, v28
	v_cmp_eq_u32_e64 s[58:59], s99, v29
	v_bfe_u32 v29, v28, 16, 1
	v_cmp_eq_u32_sdwa s[60:61], v28, v3 src0_sel:WORD_0 src1_sel:DWORD
	v_or_b32_e32 v66, 0x10000, v28
	v_cndmask_b32_e32 v2, v2, v12, vcc
	v_add3_u32 v29, v28, v29, s74
	v_cndmask_b32_e64 v28, v66, v28, s[60:61]
	v_cndmask_b32_e64 v12, v109, v110, s[28:29]
	;; [unrolled: 1-line block ×5, first 2 shown]
	v_lshrrev_b32_e32 v2, 16, v2
	v_cndmask_b32_e64 v66, v120, v121, s[42:43]
	v_cndmask_b32_e64 v67, v123, v124, s[46:47]
	;; [unrolled: 1-line block ×3, first 2 shown]
	v_lshrrev_b32_e32 v13, 16, v13
	v_and_or_b32 v2, v12, s75, v2
	v_lshrrev_b32_e32 v12, 16, v14
	v_lshrrev_b32_e32 v14, 16, v15
	v_and_or_b32 v13, v66, s75, v13
	v_and_or_b32 v12, v67, s75, v12
	;; [unrolled: 1-line block ×3, first 2 shown]
	s_mov_b64 s[42:43], -1
	s_mov_b64 s[44:45], 0
.LBB11_1413:                            ;   Parent Loop BB11_47 Depth=1
                                        ;     Parent Loop BB11_1258 Depth=2
                                        ;       Parent Loop BB11_1412 Depth=3
                                        ; =>      This Inner Loop Header: Depth=4
	v_cndmask_b32_e64 v14, 0, 1, s[42:43]
	s_cmp_eq_u32 s44, 1
	v_cmp_ne_u32_e32 vcc, 1, v14
	s_cselect_b64 s[28:29], -1, 0
	v_cndmask_b32_e64 v121, v9, v13, s[42:43]
	v_cndmask_b32_e64 v120, v8, v2, s[42:43]
	;; [unrolled: 1-line block ×4, first 2 shown]
	v_cndmask_b32_e32 v111, v73, v75, vcc
	v_cndmask_b32_e64 v125, v73, v75, s[28:29]
	s_cmp_eq_u32 s44, 0
	v_cndmask_b32_e32 v110, v72, v74, vcc
	v_cndmask_b32_e64 v124, v72, v74, s[28:29]
	global_store_dwordx4 v[110:111], v[120:123], off
	v_lshl_add_u64 v[110:111], v[124:125], 0, s[90:91]
	s_cselect_b64 vcc, -1, 0
	s_and_b64 s[40:41], exec, s[42:43]
	s_mov_b64 s[44:45], 1
	s_mov_b64 s[42:43], 0
	v_cndmask_b32_e64 v75, v75, v111, s[28:29]
	v_cndmask_b32_e64 v74, v74, v110, s[28:29]
	v_cndmask_b32_e32 v73, v73, v111, vcc
	v_cndmask_b32_e32 v72, v72, v110, vcc
	s_mov_b64 vcc, s[40:41]
	s_cbranch_vccnz .LBB11_1413
; %bb.1414:                             ;   in Loop: Header=BB11_1412 Depth=3
	v_sub_u32_e32 v108, v108, v70
	v_cmp_gt_i32_e32 vcc, 16, v108
	v_lshl_add_u64 v[72:73], v[72:73], 0, v[86:87]
	v_lshl_add_u64 v[74:75], v[74:75], 0, v[86:87]
	;; [unrolled: 1-line block ×4, first 2 shown]
	s_or_b64 s[64:65], vcc, s[64:65]
	v_sub_u32_e32 v107, v107, v52
	s_andn2_b64 exec, exec, s[64:65]
	s_cbranch_execnz .LBB11_1412
; %bb.1415:                             ;   in Loop: Header=BB11_1258 Depth=2
	s_or_b64 exec, exec, s[64:65]
.LBB11_1416:                            ;   in Loop: Header=BB11_1258 Depth=2
	s_or_b64 exec, exec, s[54:55]
	v_and_b32_e32 v8, 14, v78
	v_sub_u32_e32 v2, v89, v8
	v_cndmask_b32_e64 v2, 0, v2, s[24:25]
	v_cmp_lt_i32_e32 vcc, 0, v107
	v_add3_u32 v2, v88, v77, v2
	v_cndmask_b32_e64 v77, v89, v8, s[24:25]
	v_cndmask_b32_e32 v8, 0, v52, vcc
	v_sub_u32_e32 v8, v8, v107
	v_cmp_ne_u32_e32 vcc, 0, v77
	v_lshl_add_u32 v22, v8, 6, v79
	s_and_b64 s[26:27], vcc, exec
.LBB11_1417:                            ;   in Loop: Header=BB11_1258 Depth=2
	s_or_b64 exec, exec, s[52:53]
	s_and_saveexec_b64 s[42:43], s[26:27]
	s_cbranch_execz .LBB11_1456
.LBB11_1418:                            ;   in Loop: Header=BB11_1258 Depth=2
	v_ashrrev_i32_e32 v8, 31, v22
	v_ashrrev_i32_e32 v9, 31, v77
	v_lshrrev_b32_e32 v8, 26, v8
	v_lshrrev_b32_e32 v9, 23, v9
	v_add_u32_e32 v8, v22, v8
	v_add_u32_e32 v9, v77, v9
	v_ashrrev_i32_e32 v23, 6, v8
	v_ashrrev_i32_e32 v73, 9, v9
	v_sub_u32_e32 v72, v73, v23
	v_cmp_lt_i32_e32 vcc, 0, v72
	s_and_saveexec_b64 s[26:27], vcc
	s_cbranch_execz .LBB11_1450
; %bb.1419:                             ;   in Loop: Header=BB11_1258 Depth=2
	v_and_b32_e32 v8, 0x7fffffc0, v8
	v_sub_u32_e32 v8, v22, v8
	v_lshlrev_b32_e32 v8, 1, v8
	v_lshlrev_b32_e32 v9, 9, v23
	v_add3_u32 v8, v8, v2, v9
	s_and_b32 s76, s67, 1
	v_ashrrev_i32_e32 v9, 31, v8
	s_cmp_eq_u64 s[76:77], 0
	v_lshl_add_u64 v[10:11], v[8:9], 0, v[62:63]
	v_lshl_add_u64 v[12:13], v[8:9], 0, v[16:17]
	s_mov_b64 s[28:29], 0
	s_cselect_b64 vcc, -1, 0
	v_mov_b64_e32 v[14:15], v[60:61]
	s_waitcnt lgkmcnt(0)
	v_mov_b64_e32 v[20:21], v[18:19]
	s_branch .LBB11_1421
.LBB11_1420:                            ;   in Loop: Header=BB11_1421 Depth=3
	s_or_b64 exec, exec, s[40:41]
	v_sub_u32_e32 v72, v72, v52
	v_cmp_gt_i32_e64 s[24:25], 1, v72
	flat_store_short_d16_hi v[10:11], v89 offset:384 nt
	flat_store_short v[12:13], v74 nt
	flat_store_short v[12:13], v75 offset:128 nt
	flat_store_short v[12:13], v78 offset:256 nt
	;; [unrolled: 1-line block ×3, first 2 shown]
	v_lshl_add_u64 v[10:11], v[10:11], 0, v[80:81]
	v_lshl_add_u64 v[12:13], v[12:13], 0, v[80:81]
	;; [unrolled: 1-line block ×3, first 2 shown]
	s_or_b64 s[28:29], s[24:25], s[28:29]
	v_lshl_add_u64 v[14:15], v[14:15], 0, v[112:113]
	s_andn2_b64 exec, exec, s[28:29]
	s_cbranch_execz .LBB11_1449
.LBB11_1421:                            ;   Parent Loop BB11_47 Depth=1
                                        ;     Parent Loop BB11_1258 Depth=2
                                        ; =>    This Inner Loop Header: Depth=3
	v_lshl_add_u64 v[78:79], v[8:9], 0, v[20:21]
	v_lshl_add_u64 v[108:109], v[8:9], 0, v[14:15]
	flat_load_ushort v74, v[108:109] nt
	flat_load_ushort v28, v[78:79] nt
	flat_load_ushort v89, v[78:79] offset:256 nt
	flat_load_ushort v88, v[78:79] offset:384 nt
	;; [unrolled: 1-line block ×4, first 2 shown]
	s_nop 0
	flat_load_ushort v78, v[108:109] offset:256 nt
	flat_load_ushort v79, v[108:109] offset:384 nt
                                        ; implicit-def: $vgpr109
	s_waitcnt vmcnt(0) lgkmcnt(0)
	v_lshlrev_b32_e32 v29, 16, v74
	v_lshlrev_b32_e32 v28, 16, v28
	v_max_f32_e32 v28, v28, v28
	v_max_f32_e32 v29, v29, v29
	v_min_f32_e32 v50, v29, v28
	v_max_f32_e32 v28, v29, v28
	v_cndmask_b32_e32 v108, v28, v50, vcc
	v_and_b32_e32 v28, 0x7f800000, v108
	v_cmp_ne_u32_e64 s[24:25], s99, v28
	s_and_saveexec_b64 s[40:41], s[24:25]
	s_xor_b64 s[24:25], exec, s[40:41]
; %bb.1422:                             ;   in Loop: Header=BB11_1421 Depth=3
	v_bfe_u32 v28, v108, 16, 1
	v_add3_u32 v109, v108, v28, s74
                                        ; implicit-def: $vgpr108
; %bb.1423:                             ;   in Loop: Header=BB11_1421 Depth=3
	s_andn2_saveexec_b64 s[40:41], s[24:25]
; %bb.1424:                             ;   in Loop: Header=BB11_1421 Depth=3
	v_or_b32_e32 v28, 0x10000, v108
	v_cmp_eq_u32_sdwa s[24:25], v108, v3 src0_sel:WORD_0 src1_sel:DWORD
	s_nop 1
	v_cndmask_b32_e64 v109, v28, v108, s[24:25]
; %bb.1425:                             ;   in Loop: Header=BB11_1421 Depth=3
	s_or_b64 exec, exec, s[40:41]
	v_lshlrev_b32_e32 v28, 16, v75
	v_lshlrev_b32_e32 v29, 16, v107
	v_max_f32_e32 v29, v29, v29
	v_max_f32_e32 v28, v28, v28
	v_min_f32_e32 v50, v28, v29
	v_max_f32_e32 v28, v28, v29
	v_cndmask_b32_e32 v107, v28, v50, vcc
	v_and_b32_e32 v28, 0x7f800000, v107
	v_cmp_ne_u32_e64 s[24:25], s99, v28
	flat_store_short_d16_hi v[10:11], v109 nt
                                        ; implicit-def: $vgpr108
	s_and_saveexec_b64 s[40:41], s[24:25]
	s_xor_b64 s[24:25], exec, s[40:41]
; %bb.1426:                             ;   in Loop: Header=BB11_1421 Depth=3
	v_bfe_u32 v28, v107, 16, 1
	v_add3_u32 v108, v107, v28, s74
                                        ; implicit-def: $vgpr107
; %bb.1427:                             ;   in Loop: Header=BB11_1421 Depth=3
	s_andn2_saveexec_b64 s[40:41], s[24:25]
; %bb.1428:                             ;   in Loop: Header=BB11_1421 Depth=3
	v_or_b32_e32 v28, 0x10000, v107
	v_cmp_eq_u32_sdwa s[24:25], v107, v3 src0_sel:WORD_0 src1_sel:DWORD
	s_nop 1
	v_cndmask_b32_e64 v108, v28, v107, s[24:25]
; %bb.1429:                             ;   in Loop: Header=BB11_1421 Depth=3
	s_or_b64 exec, exec, s[40:41]
	v_lshlrev_b32_e32 v28, 16, v78
	v_lshlrev_b32_e32 v29, 16, v89
	v_max_f32_e32 v29, v29, v29
	v_max_f32_e32 v28, v28, v28
	v_min_f32_e32 v50, v28, v29
	v_max_f32_e32 v28, v28, v29
	v_cndmask_b32_e32 v89, v28, v50, vcc
	v_and_b32_e32 v28, 0x7f800000, v89
	v_cmp_ne_u32_e64 s[24:25], s99, v28
	flat_store_short_d16_hi v[10:11], v108 offset:128 nt
                                        ; implicit-def: $vgpr107
	s_and_saveexec_b64 s[40:41], s[24:25]
	s_xor_b64 s[24:25], exec, s[40:41]
; %bb.1430:                             ;   in Loop: Header=BB11_1421 Depth=3
	v_bfe_u32 v28, v89, 16, 1
	v_add3_u32 v107, v89, v28, s74
                                        ; implicit-def: $vgpr89
; %bb.1431:                             ;   in Loop: Header=BB11_1421 Depth=3
	s_andn2_saveexec_b64 s[40:41], s[24:25]
; %bb.1432:                             ;   in Loop: Header=BB11_1421 Depth=3
	v_or_b32_e32 v28, 0x10000, v89
	v_cmp_eq_u32_sdwa s[24:25], v89, v3 src0_sel:WORD_0 src1_sel:DWORD
	s_nop 1
	v_cndmask_b32_e64 v107, v28, v89, s[24:25]
; %bb.1433:                             ;   in Loop: Header=BB11_1421 Depth=3
	s_or_b64 exec, exec, s[40:41]
	v_lshlrev_b32_e32 v28, 16, v79
	v_lshlrev_b32_e32 v29, 16, v88
	v_max_f32_e32 v29, v29, v29
	v_max_f32_e32 v28, v28, v28
	v_min_f32_e32 v50, v28, v29
	v_max_f32_e32 v28, v28, v29
	v_cndmask_b32_e32 v88, v28, v50, vcc
	v_and_b32_e32 v28, 0x7f800000, v88
	v_cmp_ne_u32_e64 s[24:25], s99, v28
	flat_store_short_d16_hi v[10:11], v107 offset:256 nt
                                        ; implicit-def: $vgpr89
	s_and_saveexec_b64 s[40:41], s[24:25]
	s_xor_b64 s[24:25], exec, s[40:41]
; %bb.1434:                             ;   in Loop: Header=BB11_1421 Depth=3
	v_bfe_u32 v28, v88, 16, 1
	v_add3_u32 v89, v88, v28, s74
                                        ; implicit-def: $vgpr88
; %bb.1435:                             ;   in Loop: Header=BB11_1421 Depth=3
	s_andn2_saveexec_b64 s[40:41], s[24:25]
	s_cbranch_execz .LBB11_1420
; %bb.1436:                             ;   in Loop: Header=BB11_1421 Depth=3
	v_or_b32_e32 v28, 0x10000, v88
	v_cmp_eq_u32_sdwa s[24:25], v88, v3 src0_sel:WORD_0 src1_sel:DWORD
	s_nop 1
	v_cndmask_b32_e64 v89, v28, v88, s[24:25]
	s_branch .LBB11_1420
.LBB11_1437:                            ;   in Loop: Header=BB11_1258 Depth=2
	s_or_b64 exec, exec, s[44:45]
	s_and_saveexec_b64 s[44:45], s[46:47]
	s_xor_b64 s[44:45], exec, s[44:45]
	s_cbranch_execz .LBB11_1439
; %bb.1438:                             ;   in Loop: Header=BB11_1258 Depth=2
	ds_write_b32 v0, v94
	s_trap 2
.LBB11_1439:                            ;   in Loop: Header=BB11_1258 Depth=2
	s_or_b64 exec, exec, s[42:43]
	;;#ASMSTART
	s_wakeup
	;;#ASMEND
.LBB11_1440:                            ;   in Loop: Header=BB11_1258 Depth=2
	s_or_b64 exec, exec, s[40:41]
.LBB11_1441:                            ;   in Loop: Header=BB11_1258 Depth=2
	s_andn2_saveexec_b64 s[28:29], s[28:29]
	s_cbranch_execz .LBB11_1443
; %bb.1442:                             ;   in Loop: Header=BB11_1258 Depth=2
	;;#ASMSTART
	s_waitcnt lgkmcnt(0) vmcnt(0)
	;;#ASMEND
	s_barrier
.LBB11_1443:                            ;   in Loop: Header=BB11_1258 Depth=2
	s_or_b64 exec, exec, s[28:29]
	v_and_b32_e32 v2, 16, v90
.LBB11_1444:                            ;   in Loop: Header=BB11_1258 Depth=2
	s_or_b64 exec, exec, s[24:25]
	v_cmp_ne_u32_e32 vcc, 0, v2
	s_xor_b64 s[24:25], s[10:11], -1
	s_and_b64 s[28:29], vcc, s[24:25]
	s_and_saveexec_b64 s[24:25], s[28:29]
	s_cbranch_execz .LBB11_1446
; %bb.1445:                             ;   in Loop: Header=BB11_1258 Depth=2
	flat_store_dword v[36:37], v94 sc0 sc1
.LBB11_1446:                            ;   in Loop: Header=BB11_1258 Depth=2
	s_or_b64 exec, exec, s[24:25]
	v_and_b32_e32 v2, 48, v90
	v_cmp_ne_u32_e32 vcc, 0, v2
	s_and_saveexec_b64 s[24:25], vcc
	s_cbranch_execz .LBB11_1448
; %bb.1447:                             ;   in Loop: Header=BB11_1258 Depth=2
	v_lshl_add_u64 v[44:45], v[44:45], 0, 4
	flat_store_dwordx2 v[32:33], v[44:45] sc0 sc1
.LBB11_1448:                            ;   in Loop: Header=BB11_1258 Depth=2
	s_or_b64 exec, exec, s[24:25]
	s_or_b64 exec, exec, s[26:27]
	s_add_i32 s24, s66, 1
	s_cmp_eq_u32 s66, s97
	s_cbranch_scc0 .LBB11_1606
	s_branch .LBB11_1607
.LBB11_1449:                            ;   in Loop: Header=BB11_1258 Depth=2
	s_or_b64 exec, exec, s[28:29]
.LBB11_1450:                            ;   in Loop: Header=BB11_1258 Depth=2
	s_or_b64 exec, exec, s[26:27]
	v_lshlrev_b32_e32 v8, 9, v73
	v_cmp_ne_u32_e32 vcc, v77, v8
	s_and_b64 exec, exec, vcc
	s_cbranch_execz .LBB11_1456
; %bb.1451:                             ;   in Loop: Header=BB11_1258 Depth=2
	v_lshlrev_b32_e32 v9, 6, v23
	v_sub_u32_e32 v9, v22, v9
	v_lshlrev_b32_e32 v10, 6, v72
	v_sub_u32_e32 v9, v9, v10
	v_ashrrev_i32_e32 v10, 31, v9
	v_lshrrev_b32_e32 v10, 26, v10
	v_add_u32_e32 v10, v9, v10
	v_and_b32_e32 v11, 0x7fffffc0, v10
	v_sub_u32_e32 v9, v9, v11
	v_lshlrev_b32_e32 v10, 1, v10
	v_and_b32_e32 v10, 0xffffff80, v10
	v_lshlrev_b32_e32 v9, 1, v9
	v_add3_u32 v8, v10, v9, v8
	v_sub_u32_e32 v20, v77, v8
	v_cmp_lt_i32_e32 vcc, 1, v20
	s_and_b64 exec, exec, vcc
	s_cbranch_execz .LBB11_1456
; %bb.1452:                             ;   in Loop: Header=BB11_1258 Depth=2
	v_add_u32_e32 v14, v8, v2
	s_and_b32 s76, s67, 1
	v_ashrrev_i32_e32 v15, 31, v14
	s_cmp_eq_u64 s[76:77], 0
	v_lshl_add_u64 v[8:9], v[14:15], 0, v[60:61]
	s_waitcnt lgkmcnt(0)
	v_lshl_add_u64 v[10:11], v[14:15], 0, v[18:19]
	v_lshl_add_u64 v[12:13], v[14:15], 0, v[62:63]
	;; [unrolled: 1-line block ×3, first 2 shown]
	s_mov_b64 s[44:45], 0
	s_cselect_b64 s[24:25], -1, 0
.LBB11_1453:                            ;   Parent Loop BB11_47 Depth=1
                                        ;     Parent Loop BB11_1258 Depth=2
                                        ; =>    This Loop Header: Depth=3
                                        ;         Child Loop BB11_1454 Depth 4
	flat_load_ushort v2, v[8:9] nt
	flat_load_ushort v16, v[10:11] nt
	s_mov_b64 s[26:27], -1
	s_mov_b64 s[46:47], 0
	s_waitcnt vmcnt(0) lgkmcnt(0)
	v_lshlrev_b32_e32 v17, 16, v2
	v_lshlrev_b32_e32 v16, 16, v16
	v_max_f32_e32 v16, v16, v16
	v_max_f32_e32 v17, v17, v17
	v_min_f32_e32 v18, v17, v16
	v_max_f32_e32 v16, v17, v16
	v_cndmask_b32_e64 v16, v16, v18, s[24:25]
	v_and_b32_e32 v17, 0x7f800000, v16
	v_bfe_u32 v18, v16, 16, 1
	v_or_b32_e32 v19, 0x10000, v16
	v_cmp_eq_u32_sdwa vcc, v16, v3 src0_sel:WORD_0 src1_sel:DWORD
	v_add3_u32 v18, v16, v18, s74
	s_nop 0
	v_cndmask_b32_e32 v16, v19, v16, vcc
	v_cmp_eq_u32_e32 vcc, s99, v17
	s_nop 1
	v_cndmask_b32_e32 v16, v18, v16, vcc
.LBB11_1454:                            ;   Parent Loop BB11_47 Depth=1
                                        ;     Parent Loop BB11_1258 Depth=2
                                        ;       Parent Loop BB11_1453 Depth=3
                                        ; =>      This Inner Loop Header: Depth=4
	s_mov_b64 vcc, s[26:27]
	v_cndmask_b32_e64 v17, 0, 1, s[26:27]
	s_cmp_eq_u32 s46, 1
	v_cndmask_b32_sdwa v21, v2, v16, vcc dst_sel:DWORD dst_unused:UNUSED_PAD src0_sel:DWORD src1_sel:WORD_1
	v_cmp_ne_u32_e32 vcc, 1, v17
	s_cselect_b64 s[28:29], -1, 0
	v_cndmask_b32_e64 v23, v13, v15, s[28:29]
	v_cndmask_b32_e32 v19, v13, v15, vcc
	s_cmp_eq_u32 s46, 0
	v_cndmask_b32_e32 v18, v12, v14, vcc
	v_cndmask_b32_e64 v22, v12, v14, s[28:29]
	flat_store_short v[18:19], v21 nt
	v_lshl_add_u64 v[18:19], v[22:23], 0, s[94:95]
	s_cselect_b64 vcc, -1, 0
	s_and_b64 s[40:41], exec, s[26:27]
	s_mov_b64 s[46:47], 1
	s_mov_b64 s[26:27], 0
	v_cndmask_b32_e64 v15, v15, v19, s[28:29]
	v_cndmask_b32_e64 v14, v14, v18, s[28:29]
	v_cndmask_b32_e32 v13, v13, v19, vcc
	v_cndmask_b32_e32 v12, v12, v18, vcc
	s_mov_b64 vcc, s[40:41]
	s_cbranch_vccnz .LBB11_1454
; %bb.1455:                             ;   in Loop: Header=BB11_1453 Depth=3
	v_sub_u32_e32 v20, v20, v82
	v_cmp_gt_i32_e32 vcc, 2, v20
	v_lshl_add_u64 v[12:13], v[12:13], 0, v[116:117]
	v_lshl_add_u64 v[14:15], v[14:15], 0, v[116:117]
	;; [unrolled: 1-line block ×3, first 2 shown]
	s_or_b64 s[44:45], vcc, s[44:45]
	v_lshl_add_u64 v[10:11], v[10:11], 0, v[118:119]
	s_andn2_b64 exec, exec, s[44:45]
	s_cbranch_execnz .LBB11_1453
.LBB11_1456:                            ;   in Loop: Header=BB11_1258 Depth=2
	s_or_b64 exec, exec, s[42:43]
	s_branch .LBB11_1402
.LBB11_1457:                            ;   in Loop: Header=BB11_1258 Depth=2
	s_mov_b64 s[26:27], -1
	s_and_saveexec_b64 s[24:25], s[18:19]
	s_cbranch_execz .LBB11_1459
; %bb.1458:                             ;   in Loop: Header=BB11_1258 Depth=2
	ds_read_b32 v2, v0 offset:720
	s_waitcnt lgkmcnt(0)
	v_and_b32_e32 v2, 15, v2
	v_cmp_eq_u32_e32 vcc, 0, v2
	s_orn2_b64 s[26:27], vcc, exec
.LBB11_1459:                            ;   in Loop: Header=BB11_1258 Depth=2
	s_or_b64 exec, exec, s[24:25]
	s_and_saveexec_b64 s[24:25], s[16:17]
	s_cbranch_execz .LBB11_1461
; %bb.1460:                             ;   in Loop: Header=BB11_1258 Depth=2
	ds_read_b32 v2, v0 offset:784
	s_waitcnt lgkmcnt(0)
	v_and_b32_e32 v2, 15, v2
	v_cmp_eq_u32_e32 vcc, 0, v2
	s_and_b64 s[28:29], s[26:27], vcc
	s_andn2_b64 s[26:27], s[26:27], exec
	s_and_b64 s[28:29], s[28:29], exec
	s_or_b64 s[26:27], s[26:27], s[28:29]
.LBB11_1461:                            ;   in Loop: Header=BB11_1258 Depth=2
	s_or_b64 exec, exec, s[24:25]
	s_xor_b64 s[26:27], s[26:27], -1
	v_cndmask_b32_e64 v8, 0, 1, s[26:27]
	v_lshlrev_b32_e32 v2, 1, v59
	s_mov_b64 s[24:25], -1
	v_mov_b32_e32 v14, 0
	v_cmp_ne_u32_e32 vcc, 0, v8
	s_cbranch_vccz .LBB11_1463
; %bb.1462:                             ;   in Loop: Header=BB11_1258 Depth=2
	v_mov_b32_e32 v13, v0
	s_and_saveexec_b64 s[40:41], s[24:25]
	s_cbranch_execnz .LBB11_1538
	s_branch .LBB11_1562
.LBB11_1463:                            ;   in Loop: Header=BB11_1258 Depth=2
	v_ashrrev_i32_e32 v8, 31, v2
	v_lshrrev_b32_e32 v8, 21, v8
	v_add_u32_e32 v8, v2, v8
	v_ashrrev_i32_e32 v75, 11, v8
	v_sub_u32_e32 v74, v75, v92
	v_cmp_lt_i32_e32 vcc, 0, v74
	s_and_saveexec_b64 s[26:27], vcc
	s_cbranch_execz .LBB11_1531
; %bb.1464:                             ;   in Loop: Header=BB11_1258 Depth=2
	scratch_load_dwordx2 v[72:73], off, s33 offset:256 ; 8-byte Folded Reload
	s_and_b32 s76, s67, 1
	s_cmp_eq_u64 s[76:77], 0
	s_mov_b64 s[28:29], 0
	s_cselect_b64 vcc, -1, 0
	s_branch .LBB11_1466
.LBB11_1465:                            ;   in Loop: Header=BB11_1466 Depth=3
	s_or_b64 exec, exec, s[40:41]
	v_lshrrev_b32_e32 v12, 16, v12
	v_and_or_b32 v9, v9, s75, v12
	v_lshrrev_b32_e32 v12, 16, v18
	v_and_or_b32 v8, v8, s75, v12
	v_lshrrev_b32_e32 v12, 16, v13
	v_sub_u32_e32 v74, v74, v52
	v_and_or_b32 v10, v10, s75, v12
	v_lshrrev_b32_e32 v12, 16, v14
	v_cmp_gt_i32_e64 s[24:25], 1, v74
	v_and_or_b32 v11, v11, s75, v12
	s_or_b64 s[28:29], s[24:25], s[28:29]
	v_lshl_add_u64 v[72:73], v[72:73], 0, v[68:69]
	global_store_dwordx4 v[16:17], v[8:11], off offset:1024
	s_andn2_b64 exec, exec, s[28:29]
	s_cbranch_execz .LBB11_1530
.LBB11_1466:                            ;   Parent Loop BB11_47 Depth=1
                                        ;     Parent Loop BB11_1258 Depth=2
                                        ; =>    This Inner Loop Header: Depth=3
	s_waitcnt vmcnt(0)
	v_lshl_add_u64 v[12:13], v[60:61], 0, v[72:73]
	s_waitcnt lgkmcnt(0)
	global_load_dwordx4 v[16:19], v[72:73], off nt
	global_load_dwordx4 v[20:23], v[12:13], off nt
	global_load_dwordx4 v[8:11], v[72:73], off offset:1024 nt
	s_nop 0
	global_load_dwordx4 v[12:15], v[12:13], off offset:1024 nt
                                        ; implicit-def: $vgpr77
	s_waitcnt vmcnt(3)
	v_lshlrev_b32_e32 v28, 16, v16
	s_waitcnt vmcnt(2)
	v_lshlrev_b32_e32 v29, 16, v20
	v_max_f32_e32 v28, v28, v28
	v_max_f32_e32 v29, v29, v29
	v_min_f32_e32 v50, v29, v28
	v_max_f32_e32 v28, v29, v28
	v_cndmask_b32_e32 v78, v28, v50, vcc
	v_and_b32_e32 v28, 0x7f800000, v78
	v_cmp_ne_u32_e64 s[24:25], s99, v28
	s_and_saveexec_b64 s[40:41], s[24:25]
	s_xor_b64 s[24:25], exec, s[40:41]
; %bb.1467:                             ;   in Loop: Header=BB11_1466 Depth=3
	v_bfe_u32 v28, v78, 16, 1
	v_add3_u32 v77, v78, v28, s74
                                        ; implicit-def: $vgpr78
; %bb.1468:                             ;   in Loop: Header=BB11_1466 Depth=3
	s_andn2_saveexec_b64 s[40:41], s[24:25]
; %bb.1469:                             ;   in Loop: Header=BB11_1466 Depth=3
	v_or_b32_e32 v28, 0x10000, v78
	v_cmp_eq_u32_sdwa s[24:25], v78, v3 src0_sel:WORD_0 src1_sel:DWORD
	s_nop 1
	v_cndmask_b32_e64 v77, v28, v78, s[24:25]
; %bb.1470:                             ;   in Loop: Header=BB11_1466 Depth=3
	s_or_b64 exec, exec, s[40:41]
	v_and_b32_e32 v20, 0xffff0000, v20
	v_and_b32_e32 v16, 0xffff0000, v16
	v_max_f32_e32 v16, v16, v16
	v_max_f32_e32 v20, v20, v20
	v_min_f32_e32 v28, v20, v16
	v_max_f32_e32 v16, v20, v16
	v_cndmask_b32_e32 v16, v16, v28, vcc
	v_and_b32_e32 v20, 0x7f800000, v16
	v_cmp_ne_u32_e64 s[24:25], s99, v20
                                        ; implicit-def: $vgpr20
	s_and_saveexec_b64 s[40:41], s[24:25]
	s_xor_b64 s[24:25], exec, s[40:41]
; %bb.1471:                             ;   in Loop: Header=BB11_1466 Depth=3
	v_bfe_u32 v20, v16, 16, 1
	v_add3_u32 v20, v16, v20, s74
                                        ; implicit-def: $vgpr16
; %bb.1472:                             ;   in Loop: Header=BB11_1466 Depth=3
	s_andn2_saveexec_b64 s[40:41], s[24:25]
; %bb.1473:                             ;   in Loop: Header=BB11_1466 Depth=3
	v_or_b32_e32 v20, 0x10000, v16
	v_cmp_eq_u32_sdwa s[24:25], v16, v3 src0_sel:WORD_0 src1_sel:DWORD
	s_nop 1
	v_cndmask_b32_e64 v20, v20, v16, s[24:25]
; %bb.1474:                             ;   in Loop: Header=BB11_1466 Depth=3
	s_or_b64 exec, exec, s[40:41]
	v_lshlrev_b32_e32 v16, 16, v21
	v_lshlrev_b32_e32 v28, 16, v17
	v_max_f32_e32 v28, v28, v28
	v_max_f32_e32 v16, v16, v16
	v_min_f32_e32 v29, v16, v28
	v_max_f32_e32 v16, v16, v28
	v_cndmask_b32_e32 v16, v16, v29, vcc
	v_and_b32_e32 v28, 0x7f800000, v16
	v_cmp_ne_u32_e64 s[24:25], s99, v28
                                        ; implicit-def: $vgpr78
	s_and_saveexec_b64 s[40:41], s[24:25]
	s_xor_b64 s[24:25], exec, s[40:41]
; %bb.1475:                             ;   in Loop: Header=BB11_1466 Depth=3
	v_bfe_u32 v28, v16, 16, 1
	v_add3_u32 v78, v16, v28, s74
                                        ; implicit-def: $vgpr16
; %bb.1476:                             ;   in Loop: Header=BB11_1466 Depth=3
	s_andn2_saveexec_b64 s[40:41], s[24:25]
; %bb.1477:                             ;   in Loop: Header=BB11_1466 Depth=3
	v_or_b32_e32 v28, 0x10000, v16
	v_cmp_eq_u32_sdwa s[24:25], v16, v3 src0_sel:WORD_0 src1_sel:DWORD
	s_nop 1
	v_cndmask_b32_e64 v78, v28, v16, s[24:25]
; %bb.1478:                             ;   in Loop: Header=BB11_1466 Depth=3
	s_or_b64 exec, exec, s[40:41]
	v_and_b32_e32 v16, 0xffff0000, v21
	v_and_b32_e32 v17, 0xffff0000, v17
	v_max_f32_e32 v17, v17, v17
	v_max_f32_e32 v16, v16, v16
	v_min_f32_e32 v21, v16, v17
	v_max_f32_e32 v16, v16, v17
	v_cndmask_b32_e32 v16, v16, v21, vcc
	v_and_b32_e32 v17, 0x7f800000, v16
	v_cmp_ne_u32_e64 s[24:25], s99, v17
                                        ; implicit-def: $vgpr21
	s_and_saveexec_b64 s[40:41], s[24:25]
	s_xor_b64 s[24:25], exec, s[40:41]
; %bb.1479:                             ;   in Loop: Header=BB11_1466 Depth=3
	v_bfe_u32 v17, v16, 16, 1
	v_add3_u32 v21, v16, v17, s74
                                        ; implicit-def: $vgpr16
; %bb.1480:                             ;   in Loop: Header=BB11_1466 Depth=3
	s_andn2_saveexec_b64 s[40:41], s[24:25]
; %bb.1481:                             ;   in Loop: Header=BB11_1466 Depth=3
	v_or_b32_e32 v17, 0x10000, v16
	v_cmp_eq_u32_sdwa s[24:25], v16, v3 src0_sel:WORD_0 src1_sel:DWORD
	s_nop 1
	v_cndmask_b32_e64 v21, v17, v16, s[24:25]
; %bb.1482:                             ;   in Loop: Header=BB11_1466 Depth=3
	s_or_b64 exec, exec, s[40:41]
	v_lshlrev_b32_e32 v16, 16, v22
	v_lshlrev_b32_e32 v17, 16, v18
	v_max_f32_e32 v17, v17, v17
	v_max_f32_e32 v16, v16, v16
	v_min_f32_e32 v28, v16, v17
	v_max_f32_e32 v16, v16, v17
	v_cndmask_b32_e32 v16, v16, v28, vcc
	v_and_b32_e32 v17, 0x7f800000, v16
	v_cmp_ne_u32_e64 s[24:25], s99, v17
                                        ; implicit-def: $vgpr79
	s_and_saveexec_b64 s[40:41], s[24:25]
	s_xor_b64 s[24:25], exec, s[40:41]
; %bb.1483:                             ;   in Loop: Header=BB11_1466 Depth=3
	v_bfe_u32 v17, v16, 16, 1
	v_add3_u32 v79, v16, v17, s74
                                        ; implicit-def: $vgpr16
; %bb.1484:                             ;   in Loop: Header=BB11_1466 Depth=3
	s_andn2_saveexec_b64 s[40:41], s[24:25]
; %bb.1485:                             ;   in Loop: Header=BB11_1466 Depth=3
	v_or_b32_e32 v17, 0x10000, v16
	v_cmp_eq_u32_sdwa s[24:25], v16, v3 src0_sel:WORD_0 src1_sel:DWORD
	s_nop 1
	v_cndmask_b32_e64 v79, v17, v16, s[24:25]
; %bb.1486:                             ;   in Loop: Header=BB11_1466 Depth=3
	s_or_b64 exec, exec, s[40:41]
	v_and_b32_e32 v16, 0xffff0000, v22
	v_and_b32_e32 v17, 0xffff0000, v18
	v_max_f32_e32 v17, v17, v17
	v_max_f32_e32 v16, v16, v16
	v_min_f32_e32 v18, v16, v17
	v_max_f32_e32 v16, v16, v17
	v_cndmask_b32_e32 v16, v16, v18, vcc
	v_and_b32_e32 v17, 0x7f800000, v16
	v_cmp_ne_u32_e64 s[24:25], s99, v17
                                        ; implicit-def: $vgpr18
	s_and_saveexec_b64 s[40:41], s[24:25]
	s_xor_b64 s[24:25], exec, s[40:41]
; %bb.1487:                             ;   in Loop: Header=BB11_1466 Depth=3
	v_bfe_u32 v17, v16, 16, 1
	v_add3_u32 v18, v16, v17, s74
                                        ; implicit-def: $vgpr16
; %bb.1488:                             ;   in Loop: Header=BB11_1466 Depth=3
	s_andn2_saveexec_b64 s[40:41], s[24:25]
; %bb.1489:                             ;   in Loop: Header=BB11_1466 Depth=3
	v_or_b32_e32 v17, 0x10000, v16
	v_cmp_eq_u32_sdwa s[24:25], v16, v3 src0_sel:WORD_0 src1_sel:DWORD
	s_nop 1
	v_cndmask_b32_e64 v18, v17, v16, s[24:25]
; %bb.1490:                             ;   in Loop: Header=BB11_1466 Depth=3
	s_or_b64 exec, exec, s[40:41]
	v_lshlrev_b32_e32 v16, 16, v23
	v_lshlrev_b32_e32 v17, 16, v19
	v_max_f32_e32 v17, v17, v17
	v_max_f32_e32 v16, v16, v16
	v_min_f32_e32 v22, v16, v17
	v_max_f32_e32 v16, v16, v17
	v_cndmask_b32_e32 v16, v16, v22, vcc
	v_and_b32_e32 v17, 0x7f800000, v16
	v_cmp_ne_u32_e64 s[24:25], s99, v17
                                        ; implicit-def: $vgpr22
	s_and_saveexec_b64 s[40:41], s[24:25]
	s_xor_b64 s[24:25], exec, s[40:41]
; %bb.1491:                             ;   in Loop: Header=BB11_1466 Depth=3
	v_bfe_u32 v17, v16, 16, 1
	v_add3_u32 v22, v16, v17, s74
                                        ; implicit-def: $vgpr16
; %bb.1492:                             ;   in Loop: Header=BB11_1466 Depth=3
	s_andn2_saveexec_b64 s[40:41], s[24:25]
; %bb.1493:                             ;   in Loop: Header=BB11_1466 Depth=3
	v_or_b32_e32 v17, 0x10000, v16
	v_cmp_eq_u32_sdwa s[24:25], v16, v3 src0_sel:WORD_0 src1_sel:DWORD
	s_nop 1
	v_cndmask_b32_e64 v22, v17, v16, s[24:25]
; %bb.1494:                             ;   in Loop: Header=BB11_1466 Depth=3
	s_or_b64 exec, exec, s[40:41]
	v_and_b32_e32 v16, 0xffff0000, v23
	v_and_b32_e32 v17, 0xffff0000, v19
	v_max_f32_e32 v17, v17, v17
	v_max_f32_e32 v16, v16, v16
	v_min_f32_e32 v19, v16, v17
	v_max_f32_e32 v16, v16, v17
	v_cndmask_b32_e32 v16, v16, v19, vcc
	v_and_b32_e32 v17, 0x7f800000, v16
	v_cmp_ne_u32_e64 s[24:25], s99, v17
                                        ; implicit-def: $vgpr19
	s_and_saveexec_b64 s[40:41], s[24:25]
	s_xor_b64 s[24:25], exec, s[40:41]
; %bb.1495:                             ;   in Loop: Header=BB11_1466 Depth=3
	v_bfe_u32 v17, v16, 16, 1
	v_add3_u32 v19, v16, v17, s74
                                        ; implicit-def: $vgpr16
; %bb.1496:                             ;   in Loop: Header=BB11_1466 Depth=3
	s_andn2_saveexec_b64 s[40:41], s[24:25]
; %bb.1497:                             ;   in Loop: Header=BB11_1466 Depth=3
	v_or_b32_e32 v17, 0x10000, v16
	v_cmp_eq_u32_sdwa s[24:25], v16, v3 src0_sel:WORD_0 src1_sel:DWORD
	s_nop 1
	v_cndmask_b32_e64 v19, v17, v16, s[24:25]
; %bb.1498:                             ;   in Loop: Header=BB11_1466 Depth=3
	s_or_b64 exec, exec, s[40:41]
	v_lshrrev_b32_e32 v23, 16, v78
	v_and_or_b32 v109, v21, s75, v23
	v_lshrrev_b32_e32 v21, 16, v77
	v_and_or_b32 v108, v20, s75, v21
	;; [unrolled: 2-line block ×4, first 2 shown]
	s_waitcnt vmcnt(0)
	v_lshlrev_b32_e32 v18, 16, v12
	v_lshlrev_b32_e32 v19, 16, v8
	v_max_f32_e32 v19, v19, v19
	v_max_f32_e32 v18, v18, v18
	v_min_f32_e32 v20, v18, v19
	v_max_f32_e32 v18, v18, v19
	v_cndmask_b32_e32 v19, v18, v20, vcc
	v_and_b32_e32 v18, 0x7f800000, v19
	v_lshl_add_u64 v[16:17], v[62:63], 0, v[72:73]
	v_cmp_ne_u32_e64 s[24:25], s99, v18
	global_store_dwordx4 v[16:17], v[108:111], off
                                        ; implicit-def: $vgpr18
	s_and_saveexec_b64 s[40:41], s[24:25]
	s_xor_b64 s[24:25], exec, s[40:41]
; %bb.1499:                             ;   in Loop: Header=BB11_1466 Depth=3
	v_bfe_u32 v18, v19, 16, 1
	v_add3_u32 v18, v19, v18, s74
                                        ; implicit-def: $vgpr19
; %bb.1500:                             ;   in Loop: Header=BB11_1466 Depth=3
	s_andn2_saveexec_b64 s[40:41], s[24:25]
; %bb.1501:                             ;   in Loop: Header=BB11_1466 Depth=3
	v_or_b32_e32 v18, 0x10000, v19
	v_cmp_eq_u32_sdwa s[24:25], v19, v3 src0_sel:WORD_0 src1_sel:DWORD
	s_nop 1
	v_cndmask_b32_e64 v18, v18, v19, s[24:25]
; %bb.1502:                             ;   in Loop: Header=BB11_1466 Depth=3
	s_or_b64 exec, exec, s[40:41]
	v_and_b32_e32 v12, 0xffff0000, v12
	v_and_b32_e32 v8, 0xffff0000, v8
	v_max_f32_e32 v8, v8, v8
	v_max_f32_e32 v12, v12, v12
	v_min_f32_e32 v19, v12, v8
	v_max_f32_e32 v8, v12, v8
	v_cndmask_b32_e32 v12, v8, v19, vcc
	v_and_b32_e32 v8, 0x7f800000, v12
	v_cmp_ne_u32_e64 s[24:25], s99, v8
                                        ; implicit-def: $vgpr8
	s_and_saveexec_b64 s[40:41], s[24:25]
	s_xor_b64 s[24:25], exec, s[40:41]
; %bb.1503:                             ;   in Loop: Header=BB11_1466 Depth=3
	v_bfe_u32 v8, v12, 16, 1
	v_add3_u32 v8, v12, v8, s74
                                        ; implicit-def: $vgpr12
; %bb.1504:                             ;   in Loop: Header=BB11_1466 Depth=3
	s_andn2_saveexec_b64 s[40:41], s[24:25]
; %bb.1505:                             ;   in Loop: Header=BB11_1466 Depth=3
	v_or_b32_e32 v8, 0x10000, v12
	v_cmp_eq_u32_sdwa s[24:25], v12, v3 src0_sel:WORD_0 src1_sel:DWORD
	s_nop 1
	v_cndmask_b32_e64 v8, v8, v12, s[24:25]
; %bb.1506:                             ;   in Loop: Header=BB11_1466 Depth=3
	s_or_b64 exec, exec, s[40:41]
	v_lshlrev_b32_e32 v12, 16, v13
	v_lshlrev_b32_e32 v19, 16, v9
	v_max_f32_e32 v19, v19, v19
	v_max_f32_e32 v12, v12, v12
	v_min_f32_e32 v20, v12, v19
	v_max_f32_e32 v12, v12, v19
	v_cndmask_b32_e32 v19, v12, v20, vcc
	v_and_b32_e32 v12, 0x7f800000, v19
	v_cmp_ne_u32_e64 s[24:25], s99, v12
                                        ; implicit-def: $vgpr12
	s_and_saveexec_b64 s[40:41], s[24:25]
	s_xor_b64 s[24:25], exec, s[40:41]
; %bb.1507:                             ;   in Loop: Header=BB11_1466 Depth=3
	v_bfe_u32 v12, v19, 16, 1
	v_add3_u32 v12, v19, v12, s74
                                        ; implicit-def: $vgpr19
; %bb.1508:                             ;   in Loop: Header=BB11_1466 Depth=3
	s_andn2_saveexec_b64 s[40:41], s[24:25]
; %bb.1509:                             ;   in Loop: Header=BB11_1466 Depth=3
	v_or_b32_e32 v12, 0x10000, v19
	v_cmp_eq_u32_sdwa s[24:25], v19, v3 src0_sel:WORD_0 src1_sel:DWORD
	s_nop 1
	v_cndmask_b32_e64 v12, v12, v19, s[24:25]
; %bb.1510:                             ;   in Loop: Header=BB11_1466 Depth=3
	s_or_b64 exec, exec, s[40:41]
	v_and_b32_e32 v13, 0xffff0000, v13
	v_and_b32_e32 v9, 0xffff0000, v9
	v_max_f32_e32 v9, v9, v9
	v_max_f32_e32 v13, v13, v13
	v_min_f32_e32 v19, v13, v9
	v_max_f32_e32 v9, v13, v9
	v_cndmask_b32_e32 v13, v9, v19, vcc
	v_and_b32_e32 v9, 0x7f800000, v13
	v_cmp_ne_u32_e64 s[24:25], s99, v9
                                        ; implicit-def: $vgpr9
	s_and_saveexec_b64 s[40:41], s[24:25]
	s_xor_b64 s[24:25], exec, s[40:41]
; %bb.1511:                             ;   in Loop: Header=BB11_1466 Depth=3
	v_bfe_u32 v9, v13, 16, 1
	v_add3_u32 v9, v13, v9, s74
                                        ; implicit-def: $vgpr13
; %bb.1512:                             ;   in Loop: Header=BB11_1466 Depth=3
	s_andn2_saveexec_b64 s[40:41], s[24:25]
; %bb.1513:                             ;   in Loop: Header=BB11_1466 Depth=3
	v_or_b32_e32 v9, 0x10000, v13
	v_cmp_eq_u32_sdwa s[24:25], v13, v3 src0_sel:WORD_0 src1_sel:DWORD
	s_nop 1
	v_cndmask_b32_e64 v9, v9, v13, s[24:25]
; %bb.1514:                             ;   in Loop: Header=BB11_1466 Depth=3
	s_or_b64 exec, exec, s[40:41]
	v_lshlrev_b32_e32 v13, 16, v14
	v_lshlrev_b32_e32 v19, 16, v10
	v_max_f32_e32 v19, v19, v19
	v_max_f32_e32 v13, v13, v13
	v_min_f32_e32 v20, v13, v19
	v_max_f32_e32 v13, v13, v19
	v_cndmask_b32_e32 v19, v13, v20, vcc
	v_and_b32_e32 v13, 0x7f800000, v19
	v_cmp_ne_u32_e64 s[24:25], s99, v13
                                        ; implicit-def: $vgpr13
	s_and_saveexec_b64 s[40:41], s[24:25]
	s_xor_b64 s[24:25], exec, s[40:41]
; %bb.1515:                             ;   in Loop: Header=BB11_1466 Depth=3
	v_bfe_u32 v13, v19, 16, 1
	v_add3_u32 v13, v19, v13, s74
                                        ; implicit-def: $vgpr19
; %bb.1516:                             ;   in Loop: Header=BB11_1466 Depth=3
	s_andn2_saveexec_b64 s[40:41], s[24:25]
; %bb.1517:                             ;   in Loop: Header=BB11_1466 Depth=3
	v_or_b32_e32 v13, 0x10000, v19
	v_cmp_eq_u32_sdwa s[24:25], v19, v3 src0_sel:WORD_0 src1_sel:DWORD
	s_nop 1
	v_cndmask_b32_e64 v13, v13, v19, s[24:25]
; %bb.1518:                             ;   in Loop: Header=BB11_1466 Depth=3
	s_or_b64 exec, exec, s[40:41]
	v_and_b32_e32 v14, 0xffff0000, v14
	v_and_b32_e32 v10, 0xffff0000, v10
	v_max_f32_e32 v10, v10, v10
	v_max_f32_e32 v14, v14, v14
	v_min_f32_e32 v19, v14, v10
	v_max_f32_e32 v10, v14, v10
	v_cndmask_b32_e32 v14, v10, v19, vcc
	v_and_b32_e32 v10, 0x7f800000, v14
	v_cmp_ne_u32_e64 s[24:25], s99, v10
                                        ; implicit-def: $vgpr10
	s_and_saveexec_b64 s[40:41], s[24:25]
	s_xor_b64 s[24:25], exec, s[40:41]
; %bb.1519:                             ;   in Loop: Header=BB11_1466 Depth=3
	v_bfe_u32 v10, v14, 16, 1
	v_add3_u32 v10, v14, v10, s74
                                        ; implicit-def: $vgpr14
; %bb.1520:                             ;   in Loop: Header=BB11_1466 Depth=3
	s_andn2_saveexec_b64 s[40:41], s[24:25]
; %bb.1521:                             ;   in Loop: Header=BB11_1466 Depth=3
	v_or_b32_e32 v10, 0x10000, v14
	v_cmp_eq_u32_sdwa s[24:25], v14, v3 src0_sel:WORD_0 src1_sel:DWORD
	s_nop 1
	v_cndmask_b32_e64 v10, v10, v14, s[24:25]
; %bb.1522:                             ;   in Loop: Header=BB11_1466 Depth=3
	s_or_b64 exec, exec, s[40:41]
	v_lshlrev_b32_e32 v14, 16, v15
	v_lshlrev_b32_e32 v19, 16, v11
	v_max_f32_e32 v19, v19, v19
	v_max_f32_e32 v14, v14, v14
	v_min_f32_e32 v20, v14, v19
	v_max_f32_e32 v14, v14, v19
	v_cndmask_b32_e32 v19, v14, v20, vcc
	v_and_b32_e32 v14, 0x7f800000, v19
	v_cmp_ne_u32_e64 s[24:25], s99, v14
                                        ; implicit-def: $vgpr14
	s_and_saveexec_b64 s[40:41], s[24:25]
	s_xor_b64 s[24:25], exec, s[40:41]
; %bb.1523:                             ;   in Loop: Header=BB11_1466 Depth=3
	v_bfe_u32 v14, v19, 16, 1
	v_add3_u32 v14, v19, v14, s74
                                        ; implicit-def: $vgpr19
; %bb.1524:                             ;   in Loop: Header=BB11_1466 Depth=3
	s_andn2_saveexec_b64 s[40:41], s[24:25]
; %bb.1525:                             ;   in Loop: Header=BB11_1466 Depth=3
	v_or_b32_e32 v14, 0x10000, v19
	v_cmp_eq_u32_sdwa s[24:25], v19, v3 src0_sel:WORD_0 src1_sel:DWORD
	s_nop 1
	v_cndmask_b32_e64 v14, v14, v19, s[24:25]
; %bb.1526:                             ;   in Loop: Header=BB11_1466 Depth=3
	s_or_b64 exec, exec, s[40:41]
	v_and_b32_e32 v15, 0xffff0000, v15
	v_and_b32_e32 v11, 0xffff0000, v11
	v_max_f32_e32 v11, v11, v11
	v_max_f32_e32 v15, v15, v15
	v_min_f32_e32 v19, v15, v11
	v_max_f32_e32 v11, v15, v11
	v_cndmask_b32_e32 v15, v11, v19, vcc
	v_and_b32_e32 v11, 0x7f800000, v15
	v_cmp_ne_u32_e64 s[24:25], s99, v11
                                        ; implicit-def: $vgpr11
	s_and_saveexec_b64 s[40:41], s[24:25]
	s_xor_b64 s[24:25], exec, s[40:41]
; %bb.1527:                             ;   in Loop: Header=BB11_1466 Depth=3
	v_bfe_u32 v11, v15, 16, 1
	v_add3_u32 v11, v15, v11, s74
                                        ; implicit-def: $vgpr15
; %bb.1528:                             ;   in Loop: Header=BB11_1466 Depth=3
	s_andn2_saveexec_b64 s[40:41], s[24:25]
	s_cbranch_execz .LBB11_1465
; %bb.1529:                             ;   in Loop: Header=BB11_1466 Depth=3
	v_or_b32_e32 v11, 0x10000, v15
	v_cmp_eq_u32_sdwa s[24:25], v15, v3 src0_sel:WORD_0 src1_sel:DWORD
	s_nop 1
	v_cndmask_b32_e64 v11, v11, v15, s[24:25]
	s_branch .LBB11_1465
.LBB11_1530:                            ;   in Loop: Header=BB11_1258 Depth=2
	s_or_b64 exec, exec, s[28:29]
.LBB11_1531:                            ;   in Loop: Header=BB11_1258 Depth=2
	s_or_b64 exec, exec, s[26:27]
	v_lshlrev_b32_e32 v12, 11, v75
	v_cmp_ne_u32_e32 vcc, v2, v12
	s_mov_b64 s[24:25], 0
	v_mov_b32_e32 v14, 0
                                        ; implicit-def: $vgpr13
	s_and_saveexec_b64 s[52:53], vcc
	s_cbranch_execz .LBB11_1537
; %bb.1532:                             ;   in Loop: Header=BB11_1258 Depth=2
	v_lshlrev_b32_e32 v8, 6, v74
	v_sub_u32_e32 v8, v91, v8
	v_ashrrev_i32_e32 v10, 31, v8
	v_lshrrev_b32_e32 v10, 26, v10
	v_add_u32_e32 v10, v8, v10
	v_sub_u32_e32 v9, v2, v12
	v_ashrrev_i32_e32 v11, 6, v10
	v_and_b32_e32 v10, 0xffffffc0, v10
	v_sub_u32_e32 v13, v8, v10
	v_ashrrev_i32_e32 v10, 31, v9
	v_lshrrev_b32_e32 v10, 22, v10
	v_add_u32_e32 v10, v9, v10
	v_and_b32_e32 v14, 0xfffffc00, v10
	v_lshlrev_b32_e32 v8, 4, v13
	v_sub_u32_e32 v15, v9, v14
	v_lshl_add_u32 v8, v11, 10, v8
	v_ashrrev_i32_e32 v16, 10, v10
	v_cmp_lt_i32_e32 vcc, 15, v15
	v_sub_u32_e32 v17, v9, v8
	s_nop 0
	v_addc_co_u32_e64 v9, s[24:25], 0, v16, vcc
	v_sub_u32_e32 v16, v9, v11
	v_cmp_lt_i32_e64 s[24:25], 15, v17
	s_and_saveexec_b64 s[54:55], s[24:25]
	s_cbranch_execz .LBB11_1536
; %bb.1533:                             ;   in Loop: Header=BB11_1258 Depth=2
	s_and_b32 s76, s67, 1
	v_add_u32_e32 v8, v8, v12
	s_cmp_eq_u64 s[76:77], 0
	v_ashrrev_i32_e32 v9, 31, v8
	s_mov_b64 s[64:65], 0
	s_cselect_b64 s[24:25], -1, 0
.LBB11_1534:                            ;   Parent Loop BB11_47 Depth=1
                                        ;     Parent Loop BB11_1258 Depth=2
                                        ; =>    This Inner Loop Header: Depth=3
	s_waitcnt lgkmcnt(0)
	v_lshl_add_u64 v[18:19], v[60:61], 0, v[8:9]
	global_load_dwordx4 v[18:21], v[18:19], off nt
	s_nop 0
	global_load_dwordx4 v[72:75], v[8:9], off nt
	v_sub_u32_e32 v17, v17, v70
	v_lshl_add_u64 v[10:11], v[62:63], 0, v[8:9]
	v_lshl_add_u64 v[8:9], v[8:9], 0, v[70:71]
	v_sub_u32_e32 v16, v16, v52
	s_waitcnt vmcnt(0)
	v_and_b32_e32 v22, 0xffff0000, v18
	v_lshlrev_b32_e32 v18, 16, v18
	v_lshlrev_b32_e32 v28, 16, v72
	v_max_f32_e32 v28, v28, v28
	v_max_f32_e32 v18, v18, v18
	v_min_f32_e32 v29, v18, v28
	v_max_f32_e32 v18, v18, v28
	v_cndmask_b32_e64 v18, v18, v29, s[24:25]
	v_and_b32_e32 v23, 0xffff0000, v72
	v_and_b32_e32 v28, 0x7f800000, v18
	v_cmp_eq_u32_e64 s[26:27], s99, v28
	v_bfe_u32 v28, v18, 16, 1
	v_cmp_eq_u32_sdwa s[28:29], v18, v3 src0_sel:WORD_0 src1_sel:DWORD
	v_or_b32_e32 v29, 0x10000, v18
	v_max_f32_e32 v23, v23, v23
	v_max_f32_e32 v22, v22, v22
	v_add3_u32 v28, v18, v28, s74
	v_cndmask_b32_e64 v18, v29, v18, s[28:29]
	v_min_f32_e32 v29, v22, v23
	v_max_f32_e32 v22, v22, v23
	v_cndmask_b32_e64 v22, v22, v29, s[24:25]
	v_and_b32_e32 v23, 0x7f800000, v22
	v_cmp_eq_u32_e64 s[28:29], s99, v23
	v_bfe_u32 v23, v22, 16, 1
	v_cmp_eq_u32_sdwa s[40:41], v22, v3 src0_sel:WORD_0 src1_sel:DWORD
	v_or_b32_e32 v29, 0x10000, v22
	v_add3_u32 v23, v22, v23, s74
	v_cndmask_b32_e64 v22, v29, v22, s[40:41]
	v_and_b32_e32 v29, 0xffff0000, v19
	v_lshlrev_b32_e32 v19, 16, v19
	v_lshlrev_b32_e32 v66, 16, v73
	v_max_f32_e32 v66, v66, v66
	v_max_f32_e32 v19, v19, v19
	v_min_f32_e32 v67, v19, v66
	v_max_f32_e32 v19, v19, v66
	v_cndmask_b32_e64 v19, v19, v67, s[24:25]
	v_and_b32_e32 v50, 0xffff0000, v73
	v_and_b32_e32 v66, 0x7f800000, v19
	v_cmp_eq_u32_e64 s[40:41], s99, v66
	v_bfe_u32 v66, v19, 16, 1
	v_cmp_eq_u32_sdwa s[42:43], v19, v3 src0_sel:WORD_0 src1_sel:DWORD
	v_or_b32_e32 v67, 0x10000, v19
	v_max_f32_e32 v50, v50, v50
	v_max_f32_e32 v29, v29, v29
	v_add3_u32 v66, v19, v66, s74
	v_cndmask_b32_e64 v19, v67, v19, s[42:43]
	v_min_f32_e32 v67, v29, v50
	v_max_f32_e32 v29, v29, v50
	v_cndmask_b32_e64 v29, v29, v67, s[24:25]
	v_and_b32_e32 v50, 0x7f800000, v29
	v_cmp_eq_u32_e64 s[42:43], s99, v50
	v_bfe_u32 v50, v29, 16, 1
	v_cmp_eq_u32_sdwa s[44:45], v29, v3 src0_sel:WORD_0 src1_sel:DWORD
	v_or_b32_e32 v67, 0x10000, v29
	v_add3_u32 v50, v29, v50, s74
	v_cndmask_b32_e64 v29, v67, v29, s[44:45]
	v_and_b32_e32 v67, 0xffff0000, v20
	v_lshlrev_b32_e32 v20, 16, v20
	v_lshlrev_b32_e32 v73, 16, v74
	v_max_f32_e32 v73, v73, v73
	v_max_f32_e32 v20, v20, v20
	v_and_b32_e32 v72, 0xffff0000, v74
	v_min_f32_e32 v74, v20, v73
	v_max_f32_e32 v20, v20, v73
	v_cndmask_b32_e64 v20, v20, v74, s[24:25]
	v_and_b32_e32 v73, 0x7f800000, v20
	v_cmp_eq_u32_e64 s[44:45], s99, v73
	v_bfe_u32 v73, v20, 16, 1
	v_cmp_eq_u32_sdwa s[46:47], v20, v3 src0_sel:WORD_0 src1_sel:DWORD
	v_or_b32_e32 v74, 0x10000, v20
	v_max_f32_e32 v72, v72, v72
	v_max_f32_e32 v67, v67, v67
	v_add3_u32 v73, v20, v73, s74
	v_cndmask_b32_e64 v20, v74, v20, s[46:47]
	v_min_f32_e32 v74, v67, v72
	v_max_f32_e32 v67, v67, v72
	v_cndmask_b32_e64 v67, v67, v74, s[24:25]
	v_and_b32_e32 v72, 0x7f800000, v67
	v_cmp_eq_u32_e64 s[46:47], s99, v72
	v_bfe_u32 v72, v67, 16, 1
	v_cmp_eq_u32_sdwa s[56:57], v67, v3 src0_sel:WORD_0 src1_sel:DWORD
	v_or_b32_e32 v74, 0x10000, v67
	v_add3_u32 v72, v67, v72, s74
	v_cndmask_b32_e64 v67, v74, v67, s[56:57]
	v_and_b32_e32 v74, 0xffff0000, v21
	v_and_b32_e32 v77, 0xffff0000, v75
	v_lshlrev_b32_e32 v21, 16, v21
	v_lshlrev_b32_e32 v75, 16, v75
	v_max_f32_e32 v75, v75, v75
	v_max_f32_e32 v21, v21, v21
	v_min_f32_e32 v78, v21, v75
	v_max_f32_e32 v21, v21, v75
	v_cndmask_b32_e64 v21, v21, v78, s[24:25]
	v_and_b32_e32 v75, 0x7f800000, v21
	v_cmp_eq_u32_e64 s[56:57], s99, v75
	v_bfe_u32 v75, v21, 16, 1
	v_cmp_eq_u32_sdwa s[58:59], v21, v3 src0_sel:WORD_0 src1_sel:DWORD
	v_or_b32_e32 v78, 0x10000, v21
	v_max_f32_e32 v77, v77, v77
	v_max_f32_e32 v74, v74, v74
	v_add3_u32 v75, v21, v75, s74
	v_cndmask_b32_e64 v21, v78, v21, s[58:59]
	v_min_f32_e32 v78, v74, v77
	v_max_f32_e32 v74, v74, v77
	v_cndmask_b32_e64 v74, v74, v78, s[24:25]
	v_and_b32_e32 v77, 0x7f800000, v74
	v_cmp_eq_u32_e64 s[58:59], s99, v77
	v_bfe_u32 v77, v74, 16, 1
	v_cmp_eq_u32_sdwa s[60:61], v74, v3 src0_sel:WORD_0 src1_sel:DWORD
	v_or_b32_e32 v78, 0x10000, v74
	v_add3_u32 v77, v74, v77, s74
	v_cndmask_b32_e64 v74, v78, v74, s[60:61]
	v_cndmask_b32_e64 v18, v28, v18, s[26:27]
	v_cndmask_b32_e64 v19, v66, v19, s[40:41]
	v_cndmask_b32_e64 v20, v73, v20, s[44:45]
	v_cndmask_b32_e64 v21, v75, v21, s[56:57]
	v_cndmask_b32_e64 v22, v23, v22, s[28:29]
	v_cndmask_b32_e64 v23, v50, v29, s[42:43]
	v_cndmask_b32_e64 v28, v72, v67, s[46:47]
	v_cndmask_b32_e64 v29, v77, v74, s[58:59]
	v_lshrrev_b32_e32 v19, 16, v19
	v_lshrrev_b32_e32 v18, 16, v18
	;; [unrolled: 1-line block ×4, first 2 shown]
	v_cmp_gt_i32_e64 s[26:27], 16, v17
	v_and_or_b32 v19, v23, s75, v19
	v_and_or_b32 v18, v22, s75, v18
	;; [unrolled: 1-line block ×4, first 2 shown]
	s_or_b64 s[64:65], s[26:27], s[64:65]
	global_store_dwordx4 v[10:11], v[18:21], off
	s_andn2_b64 exec, exec, s[64:65]
	s_cbranch_execnz .LBB11_1534
; %bb.1535:                             ;   in Loop: Header=BB11_1258 Depth=2
	s_or_b64 exec, exec, s[64:65]
.LBB11_1536:                            ;   in Loop: Header=BB11_1258 Depth=2
	s_or_b64 exec, exec, s[54:55]
	v_and_b32_e32 v2, 14, v2
	v_sub_u32_e32 v8, v15, v2
	v_cndmask_b32_e32 v8, 0, v8, vcc
	v_cndmask_b32_e32 v2, v15, v2, vcc
	v_cmp_lt_i32_e32 vcc, 0, v16
	v_add3_u32 v14, v14, v12, v8
	s_nop 0
	v_cndmask_b32_e32 v8, 0, v52, vcc
	v_sub_u32_e32 v8, v8, v16
	v_cmp_ne_u32_e32 vcc, 0, v2
	v_lshl_add_u32 v13, v8, 6, v13
	s_and_b64 s[24:25], vcc, exec
.LBB11_1537:                            ;   in Loop: Header=BB11_1258 Depth=2
	s_or_b64 exec, exec, s[52:53]
	s_and_saveexec_b64 s[40:41], s[24:25]
	s_cbranch_execz .LBB11_1562
.LBB11_1538:                            ;   in Loop: Header=BB11_1258 Depth=2
	v_ashrrev_i32_e32 v8, 31, v13
	v_ashrrev_i32_e32 v9, 31, v2
	v_lshrrev_b32_e32 v8, 26, v8
	v_lshrrev_b32_e32 v9, 23, v9
	v_add_u32_e32 v8, v13, v8
	v_add_u32_e32 v9, v2, v9
	v_ashrrev_i32_e32 v12, 6, v8
	v_ashrrev_i32_e32 v16, 9, v9
	v_sub_u32_e32 v15, v16, v12
	v_cmp_lt_i32_e32 vcc, 0, v15
	s_and_saveexec_b64 s[42:43], vcc
	s_cbranch_execz .LBB11_1558
; %bb.1539:                             ;   in Loop: Header=BB11_1258 Depth=2
	v_and_b32_e32 v8, 0x7fffffc0, v8
	v_sub_u32_e32 v8, v13, v8
	v_lshlrev_b32_e32 v8, 1, v8
	v_lshlrev_b32_e32 v9, 9, v12
	v_add3_u32 v8, v8, v14, v9
	s_and_b32 s76, s67, 1
	v_ashrrev_i32_e32 v9, 31, v8
	s_cmp_eq_u64 s[76:77], 0
	s_mov_b64 s[26:27], 0x180
	s_mov_b64 s[44:45], 0
	s_cselect_b64 s[24:25], -1, 0
	v_lshl_add_u64 v[8:9], v[8:9], 0, s[26:27]
	s_branch .LBB11_1541
.LBB11_1540:                            ;   in Loop: Header=BB11_1541 Depth=3
	s_or_b64 exec, exec, s[26:27]
	v_sub_u32_e32 v15, v15, v52
	v_cmp_gt_i32_e32 vcc, 1, v15
	s_or_b64 s[44:45], vcc, s[44:45]
	v_lshl_add_u64 v[8:9], v[8:9], 0, v[112:113]
	flat_store_short_d16_hi v[10:11], v18 nt
	s_andn2_b64 exec, exec, s[44:45]
	s_cbranch_execz .LBB11_1557
.LBB11_1541:                            ;   Parent Loop BB11_47 Depth=1
                                        ;     Parent Loop BB11_1258 Depth=2
                                        ; =>    This Inner Loop Header: Depth=3
	v_lshl_add_u64 v[10:11], v[60:61], 0, v[8:9]
	s_waitcnt lgkmcnt(0)
	v_add_co_u32_e32 v18, vcc, 0xffffff00, v10
	s_movk_i32 s28, 0xfe80
	s_nop 0
	v_addc_co_u32_e32 v19, vcc, -1, v11, vcc
	v_add_co_u32_e32 v22, vcc, 0xffffff00, v8
	s_mov_b64 s[26:27], vcc
	v_add_co_u32_e32 v72, vcc, s28, v10
	flat_load_ushort v21, v[18:19] nt
	s_nop 0
	v_addc_co_u32_e32 v73, vcc, -1, v11, vcc
	v_add_co_u32_e32 v74, vcc, s70, v8
	s_mov_b64 s[28:29], vcc
	flat_load_ushort v19, v[72:73] offset:256 nt
	flat_load_ushort v28, v[72:73] nt
	v_add_co_u32_e32 v72, vcc, 0xfffffe80, v8
	s_nop 1
	v_addc_co_u32_e32 v73, vcc, -1, v9, vcc
	flat_load_ushort v29, v[72:73] nt
	v_addc_co_u32_e64 v23, vcc, -1, v9, s[26:27]
	flat_load_ushort v22, v[22:23] nt
	v_addc_co_u32_e64 v75, vcc, -1, v9, s[28:29]
	flat_load_ushort v17, v[10:11] nt
	flat_load_ushort v18, v[8:9] nt
	;; [unrolled: 1-line block ×3, first 2 shown]
	s_waitcnt vmcnt(0) lgkmcnt(0)
	v_lshlrev_b32_e32 v10, 16, v28
	v_max_f32_e32 v10, v10, v10
	v_lshlrev_b32_e32 v11, 16, v29
	v_max_f32_e32 v11, v11, v11
	v_min_f32_e32 v23, v10, v11
	v_max_f32_e32 v10, v10, v11
	v_cndmask_b32_e64 v10, v10, v23, s[24:25]
	v_and_b32_e32 v11, 0x7f800000, v10
	v_cmp_ne_u32_e32 vcc, s99, v11
                                        ; implicit-def: $vgpr23
	s_and_saveexec_b64 s[26:27], vcc
	s_xor_b64 s[26:27], exec, s[26:27]
; %bb.1542:                             ;   in Loop: Header=BB11_1541 Depth=3
	v_bfe_u32 v11, v10, 16, 1
	v_add3_u32 v23, v10, v11, s74
                                        ; implicit-def: $vgpr10
; %bb.1543:                             ;   in Loop: Header=BB11_1541 Depth=3
	s_andn2_saveexec_b64 s[26:27], s[26:27]
; %bb.1544:                             ;   in Loop: Header=BB11_1541 Depth=3
	v_or_b32_e32 v11, 0x10000, v10
	v_cmp_eq_u32_sdwa vcc, v10, v3 src0_sel:WORD_0 src1_sel:DWORD
	s_nop 1
	v_cndmask_b32_e32 v23, v11, v10, vcc
; %bb.1545:                             ;   in Loop: Header=BB11_1541 Depth=3
	s_or_b64 exec, exec, s[26:27]
	v_lshl_add_u64 v[10:11], v[62:63], 0, v[8:9]
	v_add_co_u32_e32 v72, vcc, 0xfffffe80, v10
	v_lshlrev_b32_e32 v21, 16, v21
	v_lshlrev_b32_e32 v22, 16, v22
	v_addc_co_u32_e32 v73, vcc, -1, v11, vcc
	v_max_f32_e32 v22, v22, v22
	v_max_f32_e32 v21, v21, v21
	flat_store_short_d16_hi v[72:73], v23 nt
	v_min_f32_e32 v23, v21, v22
	v_max_f32_e32 v21, v21, v22
	v_cndmask_b32_e64 v22, v21, v23, s[24:25]
	v_and_b32_e32 v21, 0x7f800000, v22
	v_cmp_ne_u32_e32 vcc, s99, v21
                                        ; implicit-def: $vgpr21
	s_and_saveexec_b64 s[26:27], vcc
	s_xor_b64 s[26:27], exec, s[26:27]
; %bb.1546:                             ;   in Loop: Header=BB11_1541 Depth=3
	v_bfe_u32 v21, v22, 16, 1
	v_add3_u32 v21, v22, v21, s74
                                        ; implicit-def: $vgpr22
; %bb.1547:                             ;   in Loop: Header=BB11_1541 Depth=3
	s_andn2_saveexec_b64 s[26:27], s[26:27]
; %bb.1548:                             ;   in Loop: Header=BB11_1541 Depth=3
	v_or_b32_e32 v21, 0x10000, v22
	v_cmp_eq_u32_sdwa vcc, v22, v3 src0_sel:WORD_0 src1_sel:DWORD
	s_nop 1
	v_cndmask_b32_e32 v21, v21, v22, vcc
; %bb.1549:                             ;   in Loop: Header=BB11_1541 Depth=3
	s_or_b64 exec, exec, s[26:27]
	v_add_co_u32_e32 v22, vcc, 0xffffff00, v10
	v_lshlrev_b32_e32 v19, 16, v19
	v_lshlrev_b32_e32 v20, 16, v20
	v_addc_co_u32_e32 v23, vcc, -1, v11, vcc
	v_max_f32_e32 v20, v20, v20
	v_max_f32_e32 v19, v19, v19
	flat_store_short_d16_hi v[22:23], v21 nt
	v_min_f32_e32 v21, v19, v20
	v_max_f32_e32 v19, v19, v20
	v_cndmask_b32_e64 v20, v19, v21, s[24:25]
	v_and_b32_e32 v19, 0x7f800000, v20
	v_cmp_ne_u32_e32 vcc, s99, v19
                                        ; implicit-def: $vgpr19
	s_and_saveexec_b64 s[26:27], vcc
	s_xor_b64 s[26:27], exec, s[26:27]
; %bb.1550:                             ;   in Loop: Header=BB11_1541 Depth=3
	v_bfe_u32 v19, v20, 16, 1
	v_add3_u32 v19, v20, v19, s74
                                        ; implicit-def: $vgpr20
; %bb.1551:                             ;   in Loop: Header=BB11_1541 Depth=3
	s_andn2_saveexec_b64 s[26:27], s[26:27]
; %bb.1552:                             ;   in Loop: Header=BB11_1541 Depth=3
	v_or_b32_e32 v19, 0x10000, v20
	v_cmp_eq_u32_sdwa vcc, v20, v3 src0_sel:WORD_0 src1_sel:DWORD
	s_nop 1
	v_cndmask_b32_e32 v19, v19, v20, vcc
; %bb.1553:                             ;   in Loop: Header=BB11_1541 Depth=3
	s_or_b64 exec, exec, s[26:27]
	v_add_co_u32_e32 v20, vcc, 0xffffff80, v10
	v_lshlrev_b32_e32 v17, 16, v17
	v_lshlrev_b32_e32 v18, 16, v18
	v_addc_co_u32_e32 v21, vcc, -1, v11, vcc
	v_max_f32_e32 v18, v18, v18
	v_max_f32_e32 v17, v17, v17
	flat_store_short_d16_hi v[20:21], v19 nt
	v_min_f32_e32 v19, v17, v18
	v_max_f32_e32 v17, v17, v18
	v_cndmask_b32_e64 v17, v17, v19, s[24:25]
	v_and_b32_e32 v18, 0x7f800000, v17
	v_cmp_ne_u32_e32 vcc, s99, v18
                                        ; implicit-def: $vgpr18
	s_and_saveexec_b64 s[26:27], vcc
	s_xor_b64 s[26:27], exec, s[26:27]
; %bb.1554:                             ;   in Loop: Header=BB11_1541 Depth=3
	v_bfe_u32 v18, v17, 16, 1
	v_add3_u32 v18, v17, v18, s74
                                        ; implicit-def: $vgpr17
; %bb.1555:                             ;   in Loop: Header=BB11_1541 Depth=3
	s_andn2_saveexec_b64 s[26:27], s[26:27]
	s_cbranch_execz .LBB11_1540
; %bb.1556:                             ;   in Loop: Header=BB11_1541 Depth=3
	v_or_b32_e32 v18, 0x10000, v17
	v_cmp_eq_u32_sdwa vcc, v17, v3 src0_sel:WORD_0 src1_sel:DWORD
	s_nop 1
	v_cndmask_b32_e32 v18, v18, v17, vcc
	s_branch .LBB11_1540
.LBB11_1557:                            ;   in Loop: Header=BB11_1258 Depth=2
	s_or_b64 exec, exec, s[44:45]
.LBB11_1558:                            ;   in Loop: Header=BB11_1258 Depth=2
	s_or_b64 exec, exec, s[42:43]
	v_lshlrev_b32_e32 v8, 9, v16
	v_cmp_ne_u32_e32 vcc, v2, v8
	s_and_b64 exec, exec, vcc
	s_cbranch_execz .LBB11_1562
; %bb.1559:                             ;   in Loop: Header=BB11_1258 Depth=2
	v_lshlrev_b32_e32 v9, 6, v12
	v_sub_u32_e32 v9, v13, v9
	v_lshlrev_b32_e32 v10, 6, v15
	v_sub_u32_e32 v9, v9, v10
	v_ashrrev_i32_e32 v10, 31, v9
	v_lshrrev_b32_e32 v10, 26, v10
	v_add_u32_e32 v10, v9, v10
	v_and_b32_e32 v11, 0x7fffffc0, v10
	v_sub_u32_e32 v9, v9, v11
	v_lshlrev_b32_e32 v10, 1, v10
	v_and_b32_e32 v10, 0xffffff80, v10
	v_lshlrev_b32_e32 v9, 1, v9
	v_add3_u32 v8, v10, v9, v8
	v_sub_u32_e32 v2, v2, v8
	v_cmp_lt_i32_e32 vcc, 1, v2
	s_and_b64 exec, exec, vcc
	s_cbranch_execz .LBB11_1562
; %bb.1560:                             ;   in Loop: Header=BB11_1258 Depth=2
	s_and_b32 s76, s67, 1
	v_add_u32_e32 v8, v8, v14
	s_cmp_eq_u64 s[76:77], 0
	v_ashrrev_i32_e32 v9, 31, v8
	s_mov_b64 s[26:27], 0
	s_cselect_b64 vcc, -1, 0
.LBB11_1561:                            ;   Parent Loop BB11_47 Depth=1
                                        ;     Parent Loop BB11_1258 Depth=2
                                        ; =>    This Inner Loop Header: Depth=3
	v_lshl_add_u64 v[10:11], v[60:61], 0, v[8:9]
	flat_load_ushort v12, v[8:9] nt
	flat_load_ushort v13, v[10:11] nt
	v_sub_u32_e32 v2, v2, v82
	v_cmp_gt_i32_e64 s[24:25], 2, v2
	s_or_b64 s[26:27], s[24:25], s[26:27]
	v_lshl_add_u64 v[10:11], v[62:63], 0, v[8:9]
	v_lshl_add_u64 v[8:9], v[8:9], 0, v[82:83]
	s_waitcnt vmcnt(0) lgkmcnt(0)
	v_lshlrev_b32_e32 v12, 16, v12
	v_lshlrev_b32_e32 v13, 16, v13
	v_max_f32_e32 v12, v12, v12
	v_max_f32_e32 v13, v13, v13
	v_min_f32_e32 v14, v13, v12
	v_max_f32_e32 v12, v13, v12
	v_cndmask_b32_e32 v12, v12, v14, vcc
	v_and_b32_e32 v13, 0x7f800000, v12
	v_bfe_u32 v14, v12, 16, 1
	v_or_b32_e32 v15, 0x10000, v12
	v_cmp_eq_u32_sdwa s[24:25], v12, v3 src0_sel:WORD_0 src1_sel:DWORD
	v_add3_u32 v14, v12, v14, s74
	s_nop 0
	v_cndmask_b32_e64 v12, v15, v12, s[24:25]
	v_cmp_eq_u32_e64 s[24:25], s99, v13
	s_nop 1
	v_cndmask_b32_e64 v12, v14, v12, s[24:25]
	flat_store_short_d16_hi v[10:11], v12 nt
	s_andn2_b64 exec, exec, s[26:27]
	s_cbranch_execnz .LBB11_1561
.LBB11_1562:                            ;   in Loop: Header=BB11_1258 Depth=2
	s_or_b64 exec, exec, s[40:41]
	v_cmp_lt_i32_e64 s[24:25], 0, v59
	s_and_saveexec_b64 s[26:27], s[6:7]
	s_cbranch_execz .LBB11_1397
.LBB11_1563:                            ;   in Loop: Header=BB11_1258 Depth=2
	s_and_saveexec_b64 s[28:29], s[78:79]
	s_xor_b64 s[28:29], exec, s[28:29]
	s_cbranch_execz .LBB11_1578
; %bb.1564:                             ;   in Loop: Header=BB11_1258 Depth=2
	s_and_saveexec_b64 s[40:41], s[14:15]
	s_cbranch_execz .LBB11_1577
; %bb.1565:                             ;   in Loop: Header=BB11_1258 Depth=2
	s_mov_b64 s[44:45], exec
	v_mbcnt_lo_u32_b32 v2, s44, 0
	v_mbcnt_hi_u32_b32 v2, s45, v2
	v_cmp_eq_u32_e32 vcc, 0, v2
	s_waitcnt lgkmcnt(0)
	s_and_saveexec_b64 s[42:43], vcc
	s_cbranch_execz .LBB11_1567
; %bb.1566:                             ;   in Loop: Header=BB11_1258 Depth=2
	s_bcnt1_i32_b64 s44, s[44:45]
	v_mov_b32_e32 v2, s44
	ds_add_u64 v0, v[2:3]
	s_trap 2
.LBB11_1567:                            ;   in Loop: Header=BB11_1258 Depth=2
	s_or_b64 exec, exec, s[42:43]
	s_trap 2
	ds_read_b64 v[8:9], v0
	s_waitcnt lgkmcnt(0)
	v_lshl_add_u64 v[48:49], v[48:49], 0, v[52:53]
	v_cmp_lt_u64_e32 vcc, v[8:9], v[48:49]
	s_and_saveexec_b64 s[42:43], vcc
	s_cbranch_execz .LBB11_1576
; %bb.1568:                             ;   in Loop: Header=BB11_1258 Depth=2
	s_mov_b32 s76, 0
	s_mov_b64 s[44:45], 0
                                        ; implicit-def: $sgpr46_sgpr47
                                        ; implicit-def: $sgpr56_sgpr57
	s_branch .LBB11_1570
.LBB11_1569:                            ;   in Loop: Header=BB11_1570 Depth=3
	s_or_b64 exec, exec, s[60:61]
	s_and_b64 s[58:59], exec, vcc
	s_or_b64 s[44:45], s[58:59], s[44:45]
	s_andn2_b64 s[46:47], s[46:47], exec
	s_and_b64 s[58:59], s[56:57], exec
	s_or_b64 s[46:47], s[46:47], s[58:59]
	s_andn2_b64 exec, exec, s[44:45]
	s_cbranch_execz .LBB11_1574
.LBB11_1570:                            ;   Parent Loop BB11_47 Depth=1
                                        ;     Parent Loop BB11_1258 Depth=2
                                        ; =>    This Inner Loop Header: Depth=3
	s_add_i32 s76, s76, 1
	s_cmpk_lg_i32 s76, 0x2710
	s_cselect_b64 s[58:59], -1, 0
	s_and_b64 vcc, exec, s[58:59]
	s_cbranch_vccz .LBB11_1572
; %bb.1571:                             ;   in Loop: Header=BB11_1570 Depth=3
	s_mov_b64 vcc, -1
	s_or_b64 s[56:57], s[56:57], exec
	s_and_saveexec_b64 s[60:61], s[58:59]
	s_cbranch_execz .LBB11_1569
	s_branch .LBB11_1573
.LBB11_1572:                            ;   in Loop: Header=BB11_1570 Depth=3
	s_trap 2
	ds_read_b64 v[8:9], v0
	s_andn2_b64 s[58:59], s[58:59], exec
	s_mov_b32 s76, 0
	s_waitcnt vmcnt(0) lgkmcnt(0)
	flat_load_dword v2, v[8:9] sc0 sc1
	s_waitcnt vmcnt(0) lgkmcnt(0)
	buffer_inv sc0 sc1
	v_cmp_eq_u32_e32 vcc, 0, v2
	s_and_b64 s[60:61], vcc, exec
	s_or_b64 s[58:59], s[58:59], s[60:61]
	s_mov_b64 vcc, -1
	s_or_b64 s[56:57], s[56:57], exec
	s_and_saveexec_b64 s[60:61], s[58:59]
	s_cbranch_execz .LBB11_1569
.LBB11_1573:                            ;   in Loop: Header=BB11_1570 Depth=3
	s_sleep 1
	s_trap 2
	ds_read_b64 v[8:9], v0
	s_waitcnt lgkmcnt(0)
	s_andn2_b64 s[56:57], s[56:57], exec
	v_cmp_ge_u64_e32 vcc, v[8:9], v[48:49]
	s_orn2_b64 vcc, vcc, exec
	s_branch .LBB11_1569
.LBB11_1574:                            ;   in Loop: Header=BB11_1258 Depth=2
	s_or_b64 exec, exec, s[44:45]
	s_and_saveexec_b64 s[44:45], s[46:47]
	s_xor_b64 s[44:45], exec, s[44:45]
	s_cbranch_execz .LBB11_1576
; %bb.1575:                             ;   in Loop: Header=BB11_1258 Depth=2
	ds_write_b32 v0, v94
	s_trap 2
.LBB11_1576:                            ;   in Loop: Header=BB11_1258 Depth=2
	s_or_b64 exec, exec, s[42:43]
	;;#ASMSTART
	s_wakeup
	;;#ASMEND
.LBB11_1577:                            ;   in Loop: Header=BB11_1258 Depth=2
	s_or_b64 exec, exec, s[40:41]
.LBB11_1578:                            ;   in Loop: Header=BB11_1258 Depth=2
	s_andn2_saveexec_b64 s[28:29], s[28:29]
	s_cbranch_execz .LBB11_1580
; %bb.1579:                             ;   in Loop: Header=BB11_1258 Depth=2
	s_waitcnt lgkmcnt(0)
	s_barrier
.LBB11_1580:                            ;   in Loop: Header=BB11_1258 Depth=2
	s_or_b64 exec, exec, s[28:29]
	s_or_b64 exec, exec, s[26:27]
                                        ; implicit-def: $vgpr2
	s_and_saveexec_b64 s[26:27], s[22:23]
	s_xor_b64 s[26:27], exec, s[26:27]
	s_cbranch_execnz .LBB11_1398
.LBB11_1581:                            ;   in Loop: Header=BB11_1258 Depth=2
	s_andn2_saveexec_b64 s[24:25], s[26:27]
	s_cbranch_execz .LBB11_1600
.LBB11_1582:                            ;   in Loop: Header=BB11_1258 Depth=2
	s_and_saveexec_b64 s[26:27], s[78:79]
	s_xor_b64 s[26:27], exec, s[26:27]
	s_cbranch_execz .LBB11_1597
; %bb.1583:                             ;   in Loop: Header=BB11_1258 Depth=2
	s_and_saveexec_b64 s[28:29], s[14:15]
	s_cbranch_execz .LBB11_1596
; %bb.1584:                             ;   in Loop: Header=BB11_1258 Depth=2
	s_mov_b64 s[42:43], exec
	v_mbcnt_lo_u32_b32 v2, s42, 0
	v_mbcnt_hi_u32_b32 v2, s43, v2
	v_cmp_eq_u32_e32 vcc, 0, v2
	;;#ASMSTART
	s_waitcnt lgkmcnt(0) vmcnt(0)
	;;#ASMEND
	s_and_saveexec_b64 s[40:41], vcc
	s_cbranch_execz .LBB11_1586
; %bb.1585:                             ;   in Loop: Header=BB11_1258 Depth=2
	s_bcnt1_i32_b64 s42, s[42:43]
	v_mov_b32_e32 v2, s42
	s_waitcnt lgkmcnt(0)
	ds_add_u64 v0, v[2:3]
	s_trap 2
.LBB11_1586:                            ;   in Loop: Header=BB11_1258 Depth=2
	s_or_b64 exec, exec, s[40:41]
	s_trap 2
	ds_read_b64 v[8:9], v0
	s_waitcnt lgkmcnt(0)
	v_lshl_add_u64 v[48:49], v[48:49], 0, v[52:53]
	v_cmp_lt_u64_e32 vcc, v[8:9], v[48:49]
	s_and_saveexec_b64 s[40:41], vcc
	s_cbranch_execz .LBB11_1595
; %bb.1587:                             ;   in Loop: Header=BB11_1258 Depth=2
	s_mov_b32 s76, 0
	s_mov_b64 s[42:43], 0
                                        ; implicit-def: $sgpr44_sgpr45
                                        ; implicit-def: $sgpr46_sgpr47
	s_branch .LBB11_1589
.LBB11_1588:                            ;   in Loop: Header=BB11_1589 Depth=3
	s_or_b64 exec, exec, s[58:59]
	s_and_b64 s[56:57], exec, s[60:61]
	s_or_b64 s[42:43], s[56:57], s[42:43]
	s_andn2_b64 s[44:45], s[44:45], exec
	s_and_b64 s[56:57], s[46:47], exec
	s_or_b64 s[44:45], s[44:45], s[56:57]
	s_andn2_b64 exec, exec, s[42:43]
	s_cbranch_execz .LBB11_1593
.LBB11_1589:                            ;   Parent Loop BB11_47 Depth=1
                                        ;     Parent Loop BB11_1258 Depth=2
                                        ; =>    This Inner Loop Header: Depth=3
	s_add_i32 s76, s76, 1
	s_cmpk_lg_i32 s76, 0x2710
	s_cselect_b64 s[56:57], -1, 0
	s_and_b64 vcc, exec, s[56:57]
	s_cbranch_vccz .LBB11_1591
; %bb.1590:                             ;   in Loop: Header=BB11_1589 Depth=3
	s_mov_b64 s[60:61], -1
	s_or_b64 s[46:47], s[46:47], exec
	s_and_saveexec_b64 s[58:59], s[56:57]
	s_cbranch_execz .LBB11_1588
	s_branch .LBB11_1592
.LBB11_1591:                            ;   in Loop: Header=BB11_1589 Depth=3
	s_trap 2
	ds_read_b64 v[8:9], v0
	s_andn2_b64 s[56:57], s[56:57], exec
	s_mov_b32 s76, 0
	s_waitcnt vmcnt(0) lgkmcnt(0)
	flat_load_dword v2, v[8:9] sc0 sc1
	s_waitcnt vmcnt(0) lgkmcnt(0)
	buffer_inv sc0 sc1
	v_cmp_eq_u32_e32 vcc, 0, v2
	s_and_b64 s[58:59], vcc, exec
	s_or_b64 s[56:57], s[56:57], s[58:59]
	s_mov_b64 s[60:61], -1
	s_or_b64 s[46:47], s[46:47], exec
	s_and_saveexec_b64 s[58:59], s[56:57]
	s_cbranch_execz .LBB11_1588
.LBB11_1592:                            ;   in Loop: Header=BB11_1589 Depth=3
	s_sleep 1
	s_trap 2
	ds_read_b64 v[8:9], v0
	s_waitcnt lgkmcnt(0)
	s_andn2_b64 s[46:47], s[46:47], exec
	v_cmp_ge_u64_e32 vcc, v[8:9], v[48:49]
	s_orn2_b64 s[60:61], vcc, exec
	s_branch .LBB11_1588
.LBB11_1593:                            ;   in Loop: Header=BB11_1258 Depth=2
	s_or_b64 exec, exec, s[42:43]
	s_and_saveexec_b64 s[42:43], s[44:45]
	s_xor_b64 s[42:43], exec, s[42:43]
	s_cbranch_execz .LBB11_1595
; %bb.1594:                             ;   in Loop: Header=BB11_1258 Depth=2
	ds_write_b32 v0, v94
	s_trap 2
.LBB11_1595:                            ;   in Loop: Header=BB11_1258 Depth=2
	s_or_b64 exec, exec, s[40:41]
	;;#ASMSTART
	s_wakeup
	;;#ASMEND
.LBB11_1596:                            ;   in Loop: Header=BB11_1258 Depth=2
	s_or_b64 exec, exec, s[28:29]
.LBB11_1597:                            ;   in Loop: Header=BB11_1258 Depth=2
	s_andn2_saveexec_b64 s[26:27], s[26:27]
	s_cbranch_execz .LBB11_1599
; %bb.1598:                             ;   in Loop: Header=BB11_1258 Depth=2
	;;#ASMSTART
	s_waitcnt lgkmcnt(0) vmcnt(0)
	;;#ASMEND
	s_barrier
.LBB11_1599:                            ;   in Loop: Header=BB11_1258 Depth=2
	s_or_b64 exec, exec, s[26:27]
	v_and_b32_e32 v2, 16, v90
.LBB11_1600:                            ;   in Loop: Header=BB11_1258 Depth=2
	s_or_b64 exec, exec, s[24:25]
	v_cmp_ne_u32_e32 vcc, 0, v2
	s_xor_b64 s[24:25], s[10:11], -1
	s_and_b64 s[26:27], vcc, s[24:25]
	s_and_saveexec_b64 s[24:25], s[26:27]
	s_cbranch_execz .LBB11_1602
; %bb.1601:                             ;   in Loop: Header=BB11_1258 Depth=2
	flat_store_dword v[36:37], v94 sc0 sc1
.LBB11_1602:                            ;   in Loop: Header=BB11_1258 Depth=2
	s_or_b64 exec, exec, s[24:25]
	v_and_b32_e32 v2, 48, v90
	v_cmp_ne_u32_e32 vcc, 0, v2
	s_and_saveexec_b64 s[24:25], vcc
	s_cbranch_execz .LBB11_1604
; %bb.1603:                             ;   in Loop: Header=BB11_1258 Depth=2
	v_lshl_add_u64 v[44:45], v[44:45], 0, 4
	flat_store_dwordx2 v[32:33], v[44:45] sc0 sc1
.LBB11_1604:                            ;   in Loop: Header=BB11_1258 Depth=2
	s_or_b64 exec, exec, s[24:25]
	v_mov_b32_e32 v2, v58
	s_or_b64 exec, exec, s[50:51]
	s_and_saveexec_b64 s[26:27], s[62:63]
	s_cbranch_execnz .LBB11_1265
.LBB11_1605:                            ;   in Loop: Header=BB11_1258 Depth=2
	s_or_b64 exec, exec, s[26:27]
	s_add_i32 s24, s66, 1
	s_cmp_eq_u32 s66, s97
	s_cbranch_scc1 .LBB11_1607
.LBB11_1606:                            ;   in Loop: Header=BB11_1258 Depth=2
	s_mov_b32 s66, s24
	s_branch .LBB11_1258
.LBB11_1607:                            ;   in Loop: Header=BB11_47 Depth=1
	v_mul_lo_u32 v2, v43, s87
	v_mul_lo_u32 v10, v42, s96
	v_mad_u64_u32 v[8:9], s[24:25], v42, s87, 0
	v_add3_u32 v9, v9, v10, v2
	v_sub_co_u32_e32 v10, vcc, v46, v8
	v_mov_b32_e32 v14, 0
	s_nop 0
	v_subb_co_u32_e32 v11, vcc, v47, v9, vcc
	v_cmp_lt_i64_e32 vcc, v[42:43], v[10:11]
	s_nop 1
	v_cndmask_b32_e32 v2, v10, v42, vcc
	s_waitcnt lgkmcnt(0)
	v_max_i32_e32 v62, 0, v2
	v_add_u32_e32 v10, 15, v62
	v_ashrrev_i32_e32 v11, 31, v10
	v_lshrrev_b32_e32 v11, 28, v11
	v_add_u32_e32 v10, v10, v11
	v_cmp_gt_i32_e32 vcc, 1, v2
	v_and_b32_e32 v10, -16, v10
	s_or_b64 s[62:63], s[2:3], vcc
	v_max_i32_e32 v63, s82, v10
	s_xor_b64 s[24:25], s[62:63], -1
	s_and_saveexec_b64 s[50:51], s[24:25]
	s_cbranch_execz .LBB11_1823
; %bb.1608:                             ;   in Loop: Header=BB11_47 Depth=1
	s_and_saveexec_b64 s[24:25], s[0:1]
	s_cbranch_execz .LBB11_1610
; %bb.1609:                             ;   in Loop: Header=BB11_47 Depth=1
	s_trap 2
	ds_read_b128 v[10:13], v0
	v_lshl_add_u64 v[8:9], v[8:9], 0, v[56:57]
	v_lshlrev_b64 v[8:9], 1, v[8:9]
	s_waitcnt lgkmcnt(0)
	v_lshl_add_u64 v[10:11], v[10:11], 0, v[8:9]
	v_lshl_add_u64 v[8:9], v[12:13], 0, v[8:9]
	v_cmp_ne_u64_e32 vcc, 0, v[12:13]
	ds_write_b64 v0, v[10:11]
	s_nop 0
	v_cndmask_b32_e32 v9, 0, v9, vcc
	v_cndmask_b32_e32 v8, 0, v8, vcc
	ds_write_b64 v0, v[8:9]
.LBB11_1610:                            ;   in Loop: Header=BB11_47 Depth=1
	s_or_b64 exec, exec, s[24:25]
	v_and_b32_e32 v2, 4, v90
	v_cmp_ne_u32_e32 vcc, 0, v2
	s_and_saveexec_b64 s[26:27], vcc
	s_cbranch_execz .LBB11_1632
; %bb.1611:                             ;   in Loop: Header=BB11_47 Depth=1
	v_lshl_add_u64 v[8:9], v[44:45], 0, 4
	s_waitcnt vmcnt(0)
	v_cmp_lt_u64_e32 vcc, v[38:39], v[8:9]
	s_and_saveexec_b64 s[28:29], vcc
	s_cbranch_execz .LBB11_1623
; %bb.1612:                             ;   in Loop: Header=BB11_47 Depth=1
	v_and_b32_e32 v2, 64, v90
	s_mov_b32 s76, 0
	v_cmp_eq_u32_e32 vcc, 0, v2
	s_mov_b64 s[40:41], 0
                                        ; implicit-def: $sgpr42_sgpr43
                                        ; implicit-def: $sgpr44_sgpr45
                                        ; implicit-def: $sgpr46_sgpr47
	s_branch .LBB11_1616
.LBB11_1613:                            ;   in Loop: Header=BB11_1616 Depth=2
	s_waitcnt vmcnt(0) lgkmcnt(0)
	v_cmp_ge_u64_e64 s[24:25], v[38:39], v[8:9]
	s_or_b64 s[60:61], s[60:61], exec
	s_orn2_b64 s[58:59], s[24:25], exec
.LBB11_1614:                            ;   in Loop: Header=BB11_1616 Depth=2
	s_or_b64 exec, exec, s[54:55]
	s_andn2_b64 s[24:25], s[46:47], exec
	s_and_b64 s[46:47], s[60:61], exec
	s_or_b64 s[46:47], s[24:25], s[46:47]
	s_andn2_b64 s[24:25], s[44:45], exec
	s_and_b64 s[44:45], s[58:59], exec
	s_or_b64 s[44:45], s[24:25], s[44:45]
.LBB11_1615:                            ;   in Loop: Header=BB11_1616 Depth=2
	s_or_b64 exec, exec, s[56:57]
	s_and_b64 s[24:25], exec, s[44:45]
	s_or_b64 s[40:41], s[24:25], s[40:41]
	s_andn2_b64 s[24:25], s[42:43], exec
	s_and_b64 s[42:43], s[46:47], exec
	s_or_b64 s[42:43], s[24:25], s[42:43]
	s_andn2_b64 exec, exec, s[40:41]
	s_cbranch_execz .LBB11_1620
.LBB11_1616:                            ;   Parent Loop BB11_47 Depth=1
                                        ; =>  This Inner Loop Header: Depth=2
	s_sleep 1
	s_waitcnt vmcnt(0) lgkmcnt(0)
	flat_load_dwordx2 v[38:39], v[32:33] sc0 sc1
	s_or_b64 s[46:47], s[46:47], exec
	s_or_b64 s[44:45], s[44:45], exec
                                        ; implicit-def: $vgpr2
	s_and_saveexec_b64 s[56:57], vcc
	s_cbranch_execz .LBB11_1615
; %bb.1617:                             ;   in Loop: Header=BB11_1616 Depth=2
	s_cmpk_lt_i32 s76, 0x270f
	s_cselect_b64 s[52:53], -1, 0
	s_cmpk_gt_i32 s76, 0x270e
	s_mov_b64 s[58:59], -1
	s_cbranch_scc0 .LBB11_1619
; %bb.1618:                             ;   in Loop: Header=BB11_1616 Depth=2
	s_trap 2
	ds_read_b64 v[10:11], v0
	s_andn2_b64 s[48:49], s[52:53], exec
	s_mov_b32 s76, 0
	s_mov_b64 s[60:61], 0
	s_waitcnt vmcnt(0) lgkmcnt(0)
	flat_load_dword v2, v[10:11] sc0 sc1
	s_waitcnt vmcnt(0) lgkmcnt(0)
	buffer_inv sc0 sc1
	v_cmp_eq_u32_e64 s[24:25], 0, v2
	s_and_b64 s[24:25], s[24:25], exec
	s_or_b64 s[52:53], s[48:49], s[24:25]
	s_and_saveexec_b64 s[54:55], s[52:53]
	s_cbranch_execz .LBB11_1614
	s_branch .LBB11_1613
.LBB11_1619:                            ;   in Loop: Header=BB11_1616 Depth=2
	s_add_i32 s76, s76, 1
	s_mov_b64 s[60:61], -1
                                        ; implicit-def: $vgpr2
	s_and_saveexec_b64 s[54:55], s[52:53]
	s_cbranch_execz .LBB11_1614
	s_branch .LBB11_1613
.LBB11_1620:                            ;   in Loop: Header=BB11_47 Depth=1
	s_or_b64 exec, exec, s[40:41]
	s_xor_b64 s[24:25], s[42:43], -1
	s_and_saveexec_b64 s[40:41], s[24:25]
	s_xor_b64 s[24:25], exec, s[40:41]
	s_cbranch_execz .LBB11_1622
; %bb.1621:                             ;   in Loop: Header=BB11_47 Depth=1
	v_or_b32_e32 v90, 64, v90
	s_waitcnt lgkmcnt(0)
	ds_write_b32 v0, v2
	s_trap 2
.LBB11_1622:                            ;   in Loop: Header=BB11_47 Depth=1
	s_or_b64 exec, exec, s[24:25]
.LBB11_1623:                            ;   in Loop: Header=BB11_47 Depth=1
	s_or_b64 exec, exec, s[28:29]
	v_and_b32_e32 v2, 0x100, v90
	v_cmp_ne_u32_e32 vcc, 0, v2
	v_and_b32_e32 v2, 7, v44
	s_mov_b64 s[24:25], -1
	;;#ASMSTART
	s_wakeup
	;;#ASMEND
                                        ; implicit-def: $vgpr10_vgpr11
	s_and_saveexec_b64 s[28:29], vcc
	s_cbranch_execz .LBB11_1627
; %bb.1624:                             ;   in Loop: Header=BB11_47 Depth=1
	v_mad_u64_u32 v[12:13], s[24:25], v2, 24, v[6:7]
	flat_load_dword v10, v[12:13]
	s_waitcnt vmcnt(0) lgkmcnt(0)
	v_cmp_ne_u32_e32 vcc, 1, v10
	v_cmp_eq_u32_e64 s[24:25], 1, v10
                                        ; implicit-def: $vgpr10_vgpr11
	s_and_saveexec_b64 s[40:41], s[24:25]
	s_cbranch_execz .LBB11_1626
; %bb.1625:                             ;   in Loop: Header=BB11_47 Depth=1
	flat_load_dword v10, v[12:13] offset:4 sc0 sc1
	s_waitcnt vmcnt(0) lgkmcnt(0)
	v_ashrrev_i32_e32 v11, 31, v10
	v_lshrrev_b64 v[10:11], 1, v[10:11]
.LBB11_1626:                            ;   in Loop: Header=BB11_47 Depth=1
	s_or_b64 exec, exec, s[40:41]
	s_orn2_b64 s[24:25], vcc, exec
.LBB11_1627:                            ;   in Loop: Header=BB11_47 Depth=1
	s_or_b64 exec, exec, s[28:29]
	s_and_saveexec_b64 s[28:29], s[24:25]
; %bb.1628:                             ;   in Loop: Header=BB11_47 Depth=1
	v_mad_i64_i32 v[10:11], s[24:25], v2, v30, 0
; %bb.1629:                             ;   in Loop: Header=BB11_47 Depth=1
	s_or_b64 exec, exec, s[28:29]
	v_and_b32_e32 v2, 0x2000, v90
	v_lshl_add_u64 v[10:11], v[10:11], 1, v[34:35]
	v_cmp_ne_u32_e32 vcc, 0, v2
	ds_write_b64 v0, v[10:11] offset:720
	s_and_saveexec_b64 s[24:25], vcc
	s_cbranch_execz .LBB11_1631
; %bb.1630:                             ;   in Loop: Header=BB11_47 Depth=1
	ds_read_b64 v[10:11], v0 offset:872
	s_waitcnt lgkmcnt(0)
	v_lshl_add_u64 v[10:11], v[10:11], 0, 1
	ds_write_b64 v0, v[10:11] offset:872
.LBB11_1631:                            ;   in Loop: Header=BB11_47 Depth=1
	s_or_b64 exec, exec, s[24:25]
	v_mov_b64_e32 v[44:45], v[8:9]
.LBB11_1632:                            ;   in Loop: Header=BB11_47 Depth=1
	s_or_b64 exec, exec, s[26:27]
	s_and_saveexec_b64 s[24:25], s[6:7]
	s_cbranch_execz .LBB11_1651
; %bb.1633:                             ;   in Loop: Header=BB11_47 Depth=1
	s_and_saveexec_b64 s[26:27], s[78:79]
	s_xor_b64 s[26:27], exec, s[26:27]
	s_cbranch_execz .LBB11_1648
; %bb.1634:                             ;   in Loop: Header=BB11_47 Depth=1
	s_and_saveexec_b64 s[28:29], s[14:15]
	s_cbranch_execz .LBB11_1647
; %bb.1635:                             ;   in Loop: Header=BB11_47 Depth=1
	s_mov_b64 s[42:43], exec
	v_mbcnt_lo_u32_b32 v2, s42, 0
	v_mbcnt_hi_u32_b32 v2, s43, v2
	v_cmp_eq_u32_e32 vcc, 0, v2
	s_waitcnt lgkmcnt(0)
	s_and_saveexec_b64 s[40:41], vcc
	s_cbranch_execz .LBB11_1637
; %bb.1636:                             ;   in Loop: Header=BB11_47 Depth=1
	s_bcnt1_i32_b64 s42, s[42:43]
	v_mov_b32_e32 v2, s42
	ds_add_u64 v0, v[2:3]
	s_trap 2
.LBB11_1637:                            ;   in Loop: Header=BB11_47 Depth=1
	s_or_b64 exec, exec, s[40:41]
	s_trap 2
	ds_read_b64 v[8:9], v0
	s_waitcnt lgkmcnt(0)
	v_lshl_add_u64 v[48:49], v[48:49], 0, v[52:53]
	v_cmp_lt_u64_e32 vcc, v[8:9], v[48:49]
	s_and_saveexec_b64 s[40:41], vcc
	s_cbranch_execz .LBB11_1646
; %bb.1638:                             ;   in Loop: Header=BB11_47 Depth=1
	s_mov_b32 s76, 0
	s_mov_b64 s[42:43], 0
                                        ; implicit-def: $sgpr44_sgpr45
                                        ; implicit-def: $sgpr46_sgpr47
	s_branch .LBB11_1640
.LBB11_1639:                            ;   in Loop: Header=BB11_1640 Depth=2
	s_or_b64 exec, exec, s[58:59]
	s_and_b64 s[56:57], exec, s[60:61]
	s_or_b64 s[42:43], s[56:57], s[42:43]
	s_andn2_b64 s[44:45], s[44:45], exec
	s_and_b64 s[56:57], s[46:47], exec
	s_or_b64 s[44:45], s[44:45], s[56:57]
	s_andn2_b64 exec, exec, s[42:43]
	s_cbranch_execz .LBB11_1644
.LBB11_1640:                            ;   Parent Loop BB11_47 Depth=1
                                        ; =>  This Inner Loop Header: Depth=2
	s_add_i32 s76, s76, 1
	s_cmpk_lg_i32 s76, 0x2710
	s_cselect_b64 s[56:57], -1, 0
	s_and_b64 vcc, exec, s[56:57]
	s_cbranch_vccz .LBB11_1642
; %bb.1641:                             ;   in Loop: Header=BB11_1640 Depth=2
	s_mov_b64 s[60:61], -1
	s_or_b64 s[46:47], s[46:47], exec
	s_and_saveexec_b64 s[58:59], s[56:57]
	s_cbranch_execz .LBB11_1639
	s_branch .LBB11_1643
.LBB11_1642:                            ;   in Loop: Header=BB11_1640 Depth=2
	s_trap 2
	ds_read_b64 v[8:9], v0
	s_andn2_b64 s[56:57], s[56:57], exec
	s_mov_b32 s76, 0
	s_waitcnt vmcnt(0) lgkmcnt(0)
	flat_load_dword v2, v[8:9] sc0 sc1
	s_waitcnt vmcnt(0) lgkmcnt(0)
	buffer_inv sc0 sc1
	v_cmp_eq_u32_e32 vcc, 0, v2
	s_and_b64 s[58:59], vcc, exec
	s_or_b64 s[56:57], s[56:57], s[58:59]
	s_mov_b64 s[60:61], -1
	s_or_b64 s[46:47], s[46:47], exec
	s_and_saveexec_b64 s[58:59], s[56:57]
	s_cbranch_execz .LBB11_1639
.LBB11_1643:                            ;   in Loop: Header=BB11_1640 Depth=2
	s_sleep 1
	s_trap 2
	ds_read_b64 v[8:9], v0
	s_waitcnt lgkmcnt(0)
	s_andn2_b64 s[46:47], s[46:47], exec
	v_cmp_ge_u64_e32 vcc, v[8:9], v[48:49]
	s_orn2_b64 s[60:61], vcc, exec
	s_branch .LBB11_1639
.LBB11_1644:                            ;   in Loop: Header=BB11_47 Depth=1
	s_or_b64 exec, exec, s[42:43]
	s_and_saveexec_b64 s[42:43], s[44:45]
	s_xor_b64 s[42:43], exec, s[42:43]
	s_cbranch_execz .LBB11_1646
; %bb.1645:                             ;   in Loop: Header=BB11_47 Depth=1
	ds_write_b32 v0, v94
	s_trap 2
.LBB11_1646:                            ;   in Loop: Header=BB11_47 Depth=1
	s_or_b64 exec, exec, s[40:41]
	;;#ASMSTART
	s_wakeup
	;;#ASMEND
.LBB11_1647:                            ;   in Loop: Header=BB11_47 Depth=1
	s_or_b64 exec, exec, s[28:29]
.LBB11_1648:                            ;   in Loop: Header=BB11_47 Depth=1
	s_andn2_saveexec_b64 s[26:27], s[26:27]
	s_cbranch_execz .LBB11_1650
; %bb.1649:                             ;   in Loop: Header=BB11_47 Depth=1
	s_waitcnt lgkmcnt(0)
	s_barrier
.LBB11_1650:                            ;   in Loop: Header=BB11_47 Depth=1
	s_or_b64 exec, exec, s[26:27]
.LBB11_1651:                            ;   in Loop: Header=BB11_47 Depth=1
	s_or_b64 exec, exec, s[24:25]
	s_trap 2
	ds_read_b32 v8, v0
	v_and_b32_e32 v2, 0x4000, v90
	v_cmp_ne_u32_e32 vcc, 0, v2
	s_xor_b64 s[24:25], s[4:5], -1
	s_and_b64 s[26:27], s[24:25], vcc
	s_and_saveexec_b64 s[24:25], s[26:27]
	s_cbranch_execz .LBB11_1670
; %bb.1652:                             ;   in Loop: Header=BB11_47 Depth=1
	s_and_saveexec_b64 s[26:27], s[78:79]
	s_xor_b64 s[26:27], exec, s[26:27]
	s_cbranch_execz .LBB11_1667
; %bb.1653:                             ;   in Loop: Header=BB11_47 Depth=1
	s_and_saveexec_b64 s[28:29], s[14:15]
	s_cbranch_execz .LBB11_1666
; %bb.1654:                             ;   in Loop: Header=BB11_47 Depth=1
	s_mov_b64 s[42:43], exec
	v_mbcnt_lo_u32_b32 v2, s42, 0
	v_mbcnt_hi_u32_b32 v2, s43, v2
	v_cmp_eq_u32_e32 vcc, 0, v2
	s_waitcnt lgkmcnt(0)
	s_and_saveexec_b64 s[40:41], vcc
	s_cbranch_execz .LBB11_1656
; %bb.1655:                             ;   in Loop: Header=BB11_47 Depth=1
	s_bcnt1_i32_b64 s42, s[42:43]
	v_mov_b32_e32 v2, s42
	ds_add_u64 v0, v[2:3]
	s_trap 2
.LBB11_1656:                            ;   in Loop: Header=BB11_47 Depth=1
	s_or_b64 exec, exec, s[40:41]
	s_trap 2
	ds_read_b64 v[10:11], v0
	s_waitcnt lgkmcnt(0)
	v_lshl_add_u64 v[48:49], v[48:49], 0, v[52:53]
	v_cmp_lt_u64_e32 vcc, v[10:11], v[48:49]
	s_and_saveexec_b64 s[40:41], vcc
	s_cbranch_execz .LBB11_1665
; %bb.1657:                             ;   in Loop: Header=BB11_47 Depth=1
	s_mov_b32 s76, 0
	s_mov_b64 s[42:43], 0
                                        ; implicit-def: $sgpr44_sgpr45
                                        ; implicit-def: $sgpr46_sgpr47
	s_branch .LBB11_1659
.LBB11_1658:                            ;   in Loop: Header=BB11_1659 Depth=2
	s_or_b64 exec, exec, s[58:59]
	s_and_b64 s[56:57], exec, s[60:61]
	s_or_b64 s[42:43], s[56:57], s[42:43]
	s_andn2_b64 s[44:45], s[44:45], exec
	s_and_b64 s[56:57], s[46:47], exec
	s_or_b64 s[44:45], s[44:45], s[56:57]
	s_andn2_b64 exec, exec, s[42:43]
	s_cbranch_execz .LBB11_1663
.LBB11_1659:                            ;   Parent Loop BB11_47 Depth=1
                                        ; =>  This Inner Loop Header: Depth=2
	s_add_i32 s76, s76, 1
	s_cmpk_lg_i32 s76, 0x2710
	s_cselect_b64 s[56:57], -1, 0
	s_and_b64 vcc, exec, s[56:57]
	s_cbranch_vccz .LBB11_1661
; %bb.1660:                             ;   in Loop: Header=BB11_1659 Depth=2
	s_mov_b64 s[60:61], -1
	s_or_b64 s[46:47], s[46:47], exec
	s_and_saveexec_b64 s[58:59], s[56:57]
	s_cbranch_execz .LBB11_1658
	s_branch .LBB11_1662
.LBB11_1661:                            ;   in Loop: Header=BB11_1659 Depth=2
	s_trap 2
	ds_read_b64 v[10:11], v0
	s_andn2_b64 s[56:57], s[56:57], exec
	s_mov_b32 s76, 0
	s_waitcnt vmcnt(0) lgkmcnt(0)
	flat_load_dword v2, v[10:11] sc0 sc1
	s_waitcnt vmcnt(0) lgkmcnt(0)
	buffer_inv sc0 sc1
	v_cmp_eq_u32_e32 vcc, 0, v2
	s_and_b64 s[58:59], vcc, exec
	s_or_b64 s[56:57], s[56:57], s[58:59]
	s_mov_b64 s[60:61], -1
	s_or_b64 s[46:47], s[46:47], exec
	s_and_saveexec_b64 s[58:59], s[56:57]
	s_cbranch_execz .LBB11_1658
.LBB11_1662:                            ;   in Loop: Header=BB11_1659 Depth=2
	s_sleep 1
	s_trap 2
	ds_read_b64 v[10:11], v0
	s_waitcnt lgkmcnt(0)
	s_andn2_b64 s[46:47], s[46:47], exec
	v_cmp_ge_u64_e32 vcc, v[10:11], v[48:49]
	s_orn2_b64 s[60:61], vcc, exec
	s_branch .LBB11_1658
.LBB11_1663:                            ;   in Loop: Header=BB11_47 Depth=1
	s_or_b64 exec, exec, s[42:43]
	s_and_saveexec_b64 s[42:43], s[44:45]
	s_xor_b64 s[42:43], exec, s[42:43]
	s_cbranch_execz .LBB11_1665
; %bb.1664:                             ;   in Loop: Header=BB11_47 Depth=1
	ds_write_b32 v0, v94
	s_trap 2
.LBB11_1665:                            ;   in Loop: Header=BB11_47 Depth=1
	s_or_b64 exec, exec, s[40:41]
	;;#ASMSTART
	s_wakeup
	;;#ASMEND
.LBB11_1666:                            ;   in Loop: Header=BB11_47 Depth=1
	s_or_b64 exec, exec, s[28:29]
.LBB11_1667:                            ;   in Loop: Header=BB11_47 Depth=1
	s_andn2_saveexec_b64 s[26:27], s[26:27]
	s_cbranch_execz .LBB11_1669
; %bb.1668:                             ;   in Loop: Header=BB11_47 Depth=1
	s_waitcnt lgkmcnt(0)
	s_barrier
.LBB11_1669:                            ;   in Loop: Header=BB11_47 Depth=1
	s_or_b64 exec, exec, s[26:27]
.LBB11_1670:                            ;   in Loop: Header=BB11_47 Depth=1
	s_or_b64 exec, exec, s[24:25]
	s_trap 2
	ds_read_b64 v[46:47], v0
	v_min_i32_e32 v63, v63, v62
	s_waitcnt lgkmcnt(0)
	v_cmp_eq_u64_e32 vcc, 0, v[46:47]
	s_cbranch_vccnz .LBB11_1678
; %bb.1671:                             ;   in Loop: Header=BB11_47 Depth=1
	s_trap 2
	ds_read_b64 v[56:57], v0
	s_waitcnt lgkmcnt(0)
	v_cmp_eq_u64_e32 vcc, 0, v[56:57]
	s_cbranch_vccnz .LBB11_1678
; %bb.1672:                             ;   in Loop: Header=BB11_47 Depth=1
	s_trap 2
	ds_read_b64 v[58:59], v0
	s_mov_b64 s[26:27], -1
	s_waitcnt lgkmcnt(0)
	v_readfirstlane_b32 s48, v58
	s_and_saveexec_b64 s[24:25], s[18:19]
	s_cbranch_execz .LBB11_1674
; %bb.1673:                             ;   in Loop: Header=BB11_47 Depth=1
	ds_read_b32 v2, v0 offset:720
	s_waitcnt lgkmcnt(0)
	v_and_b32_e32 v2, 15, v2
	v_cmp_eq_u32_e32 vcc, 0, v2
	s_orn2_b64 s[26:27], vcc, exec
.LBB11_1674:                            ;   in Loop: Header=BB11_47 Depth=1
	s_or_b64 exec, exec, s[24:25]
	s_and_saveexec_b64 s[24:25], s[16:17]
	s_cbranch_execz .LBB11_1676
; %bb.1675:                             ;   in Loop: Header=BB11_47 Depth=1
	ds_read_b32 v2, v0 offset:784
	s_waitcnt lgkmcnt(0)
	v_and_b32_e32 v2, 15, v2
	v_cmp_eq_u32_e32 vcc, 0, v2
	s_and_b64 s[28:29], s[26:27], vcc
	s_andn2_b64 s[26:27], s[26:27], exec
	s_and_b64 s[28:29], s[28:29], exec
	s_or_b64 s[26:27], s[26:27], s[28:29]
.LBB11_1676:                            ;   in Loop: Header=BB11_47 Depth=1
	s_or_b64 exec, exec, s[24:25]
	v_cmp_eq_u32_e32 vcc, 0, v8
	s_xor_b64 s[26:27], s[26:27], -1
	v_cndmask_b32_e64 v8, 0, 1, s[26:27]
	v_cndmask_b32_e32 v2, 0, v63, vcc
	v_lshlrev_b32_e32 v72, 1, v2
	s_mov_b64 s[24:25], -1
	v_cmp_ne_u32_e32 vcc, 0, v8
	v_mov_b32_e32 v18, 0
	s_cbranch_vccz .LBB11_1683
; %bb.1677:                             ;   in Loop: Header=BB11_47 Depth=1
	v_mov_b32_e32 v19, v0
	s_and_saveexec_b64 s[26:27], s[24:25]
	s_cbranch_execnz .LBB11_1758
	s_branch .LBB11_1782
.LBB11_1678:                            ;   in Loop: Header=BB11_47 Depth=1
	s_mov_b64 s[24:25], 0
	s_and_saveexec_b64 s[26:27], s[6:7]
	s_cbranch_execnz .LBB11_1783
.LBB11_1679:                            ;   in Loop: Header=BB11_47 Depth=1
	s_or_b64 exec, exec, s[26:27]
	s_and_saveexec_b64 s[26:27], s[22:23]
	s_xor_b64 s[26:27], exec, s[26:27]
	s_cbranch_execz .LBB11_1801
.LBB11_1680:                            ;   in Loop: Header=BB11_47 Depth=1
	v_and_b32_e32 v2, 16, v90
	v_cmp_ne_u32_e32 vcc, 0, v2
	s_and_b64 s[28:29], vcc, s[24:25]
	s_and_saveexec_b64 s[24:25], s[28:29]
	s_cbranch_execz .LBB11_1682
; %bb.1681:                             ;   in Loop: Header=BB11_47 Depth=1
	buffer_wbl2 sc1
	s_waitcnt vmcnt(0) lgkmcnt(0)
	buffer_inv sc1
.LBB11_1682:                            ;   in Loop: Header=BB11_47 Depth=1
	s_or_b64 exec, exec, s[24:25]
	s_andn2_saveexec_b64 s[24:25], s[26:27]
	s_cbranch_execz .LBB11_1820
	s_branch .LBB11_1802
.LBB11_1683:                            ;   in Loop: Header=BB11_47 Depth=1
	v_ashrrev_i32_e32 v8, 31, v72
	v_lshrrev_b32_e32 v8, 21, v8
	v_add_u32_e32 v8, v72, v8
	v_ashrrev_i32_e32 v74, 11, v8
	v_sub_u32_e32 v73, v74, v92
	v_cmp_lt_i32_e32 vcc, 0, v73
	s_and_saveexec_b64 s[26:27], vcc
	s_cbranch_execz .LBB11_1751
; %bb.1684:                             ;   in Loop: Header=BB11_47 Depth=1
	scratch_load_dwordx2 v[60:61], off, s33 offset:256 ; 8-byte Folded Reload
	s_and_b32 s76, s48, 1
	s_cmp_eq_u64 s[76:77], 0
	s_mov_b64 s[28:29], 0
	s_cselect_b64 vcc, -1, 0
	s_branch .LBB11_1686
.LBB11_1685:                            ;   in Loop: Header=BB11_1686 Depth=2
	s_or_b64 exec, exec, s[40:41]
	v_lshrrev_b32_e32 v12, 16, v12
	v_and_or_b32 v9, v9, s75, v12
	v_lshrrev_b32_e32 v12, 16, v18
	v_and_or_b32 v8, v8, s75, v12
	v_lshrrev_b32_e32 v12, 16, v13
	v_sub_u32_e32 v73, v73, v52
	v_and_or_b32 v10, v10, s75, v12
	v_lshrrev_b32_e32 v12, 16, v14
	v_cmp_gt_i32_e64 s[24:25], 1, v73
	v_and_or_b32 v11, v11, s75, v12
	s_or_b64 s[28:29], s[24:25], s[28:29]
	v_lshl_add_u64 v[60:61], v[60:61], 0, v[100:101]
	global_store_dwordx4 v[16:17], v[8:11], off offset:1024
	s_andn2_b64 exec, exec, s[28:29]
	s_cbranch_execz .LBB11_1750
.LBB11_1686:                            ;   Parent Loop BB11_47 Depth=1
                                        ; =>  This Inner Loop Header: Depth=2
	s_waitcnt vmcnt(0)
	v_lshl_add_u64 v[12:13], v[58:59], 0, v[60:61]
	v_lshl_add_u64 v[8:9], v[46:47], 0, v[60:61]
	global_load_dwordx4 v[16:19], v[8:9], off nt
	global_load_dwordx4 v[20:23], v[12:13], off nt
	s_nop 0
	global_load_dwordx4 v[8:11], v[8:9], off offset:1024 nt
	s_nop 0
	global_load_dwordx4 v[12:15], v[12:13], off offset:1024 nt
                                        ; implicit-def: $vgpr75
	s_waitcnt vmcnt(3)
	v_lshlrev_b32_e32 v28, 16, v16
	s_waitcnt vmcnt(2)
	v_lshlrev_b32_e32 v29, 16, v20
	v_max_f32_e32 v29, v29, v29
	v_max_f32_e32 v28, v28, v28
	v_min_f32_e32 v50, v28, v29
	v_max_f32_e32 v28, v28, v29
	v_cndmask_b32_e32 v76, v28, v50, vcc
	v_and_b32_e32 v28, 0x7f800000, v76
	v_cmp_ne_u32_e64 s[24:25], s99, v28
	s_and_saveexec_b64 s[40:41], s[24:25]
	s_xor_b64 s[24:25], exec, s[40:41]
; %bb.1687:                             ;   in Loop: Header=BB11_1686 Depth=2
	v_bfe_u32 v28, v76, 16, 1
	v_add3_u32 v75, v76, v28, s74
                                        ; implicit-def: $vgpr76
; %bb.1688:                             ;   in Loop: Header=BB11_1686 Depth=2
	s_andn2_saveexec_b64 s[40:41], s[24:25]
; %bb.1689:                             ;   in Loop: Header=BB11_1686 Depth=2
	v_or_b32_e32 v28, 0x10000, v76
	v_cmp_eq_u32_sdwa s[24:25], v76, v3 src0_sel:WORD_0 src1_sel:DWORD
	s_nop 1
	v_cndmask_b32_e64 v75, v28, v76, s[24:25]
; %bb.1690:                             ;   in Loop: Header=BB11_1686 Depth=2
	s_or_b64 exec, exec, s[40:41]
	v_and_b32_e32 v16, 0xffff0000, v16
	v_and_b32_e32 v20, 0xffff0000, v20
	v_max_f32_e32 v20, v20, v20
	v_max_f32_e32 v16, v16, v16
	v_min_f32_e32 v28, v16, v20
	v_max_f32_e32 v16, v16, v20
	v_cndmask_b32_e32 v16, v16, v28, vcc
	v_and_b32_e32 v20, 0x7f800000, v16
	v_cmp_ne_u32_e64 s[24:25], s99, v20
                                        ; implicit-def: $vgpr20
	s_and_saveexec_b64 s[40:41], s[24:25]
	s_xor_b64 s[24:25], exec, s[40:41]
; %bb.1691:                             ;   in Loop: Header=BB11_1686 Depth=2
	v_bfe_u32 v20, v16, 16, 1
	v_add3_u32 v20, v16, v20, s74
                                        ; implicit-def: $vgpr16
; %bb.1692:                             ;   in Loop: Header=BB11_1686 Depth=2
	s_andn2_saveexec_b64 s[40:41], s[24:25]
; %bb.1693:                             ;   in Loop: Header=BB11_1686 Depth=2
	v_or_b32_e32 v20, 0x10000, v16
	v_cmp_eq_u32_sdwa s[24:25], v16, v3 src0_sel:WORD_0 src1_sel:DWORD
	s_nop 1
	v_cndmask_b32_e64 v20, v20, v16, s[24:25]
; %bb.1694:                             ;   in Loop: Header=BB11_1686 Depth=2
	s_or_b64 exec, exec, s[40:41]
	v_lshlrev_b32_e32 v16, 16, v17
	v_lshlrev_b32_e32 v28, 16, v21
	v_max_f32_e32 v28, v28, v28
	v_max_f32_e32 v16, v16, v16
	v_min_f32_e32 v29, v16, v28
	v_max_f32_e32 v16, v16, v28
	v_cndmask_b32_e32 v16, v16, v29, vcc
	v_and_b32_e32 v28, 0x7f800000, v16
	v_cmp_ne_u32_e64 s[24:25], s99, v28
                                        ; implicit-def: $vgpr76
	s_and_saveexec_b64 s[40:41], s[24:25]
	s_xor_b64 s[24:25], exec, s[40:41]
; %bb.1695:                             ;   in Loop: Header=BB11_1686 Depth=2
	v_bfe_u32 v28, v16, 16, 1
	v_add3_u32 v76, v16, v28, s74
                                        ; implicit-def: $vgpr16
; %bb.1696:                             ;   in Loop: Header=BB11_1686 Depth=2
	s_andn2_saveexec_b64 s[40:41], s[24:25]
; %bb.1697:                             ;   in Loop: Header=BB11_1686 Depth=2
	v_or_b32_e32 v28, 0x10000, v16
	v_cmp_eq_u32_sdwa s[24:25], v16, v3 src0_sel:WORD_0 src1_sel:DWORD
	s_nop 1
	v_cndmask_b32_e64 v76, v28, v16, s[24:25]
; %bb.1698:                             ;   in Loop: Header=BB11_1686 Depth=2
	s_or_b64 exec, exec, s[40:41]
	v_and_b32_e32 v16, 0xffff0000, v17
	v_and_b32_e32 v17, 0xffff0000, v21
	v_max_f32_e32 v17, v17, v17
	v_max_f32_e32 v16, v16, v16
	v_min_f32_e32 v21, v16, v17
	v_max_f32_e32 v16, v16, v17
	v_cndmask_b32_e32 v16, v16, v21, vcc
	v_and_b32_e32 v17, 0x7f800000, v16
	v_cmp_ne_u32_e64 s[24:25], s99, v17
                                        ; implicit-def: $vgpr21
	s_and_saveexec_b64 s[40:41], s[24:25]
	s_xor_b64 s[24:25], exec, s[40:41]
; %bb.1699:                             ;   in Loop: Header=BB11_1686 Depth=2
	v_bfe_u32 v17, v16, 16, 1
	v_add3_u32 v21, v16, v17, s74
                                        ; implicit-def: $vgpr16
; %bb.1700:                             ;   in Loop: Header=BB11_1686 Depth=2
	s_andn2_saveexec_b64 s[40:41], s[24:25]
; %bb.1701:                             ;   in Loop: Header=BB11_1686 Depth=2
	v_or_b32_e32 v17, 0x10000, v16
	v_cmp_eq_u32_sdwa s[24:25], v16, v3 src0_sel:WORD_0 src1_sel:DWORD
	s_nop 1
	v_cndmask_b32_e64 v21, v17, v16, s[24:25]
; %bb.1702:                             ;   in Loop: Header=BB11_1686 Depth=2
	s_or_b64 exec, exec, s[40:41]
	v_lshlrev_b32_e32 v16, 16, v18
	v_lshlrev_b32_e32 v17, 16, v22
	v_max_f32_e32 v17, v17, v17
	v_max_f32_e32 v16, v16, v16
	v_min_f32_e32 v28, v16, v17
	v_max_f32_e32 v16, v16, v17
	v_cndmask_b32_e32 v16, v16, v28, vcc
	v_and_b32_e32 v17, 0x7f800000, v16
	v_cmp_ne_u32_e64 s[24:25], s99, v17
                                        ; implicit-def: $vgpr77
	s_and_saveexec_b64 s[40:41], s[24:25]
	s_xor_b64 s[24:25], exec, s[40:41]
; %bb.1703:                             ;   in Loop: Header=BB11_1686 Depth=2
	v_bfe_u32 v17, v16, 16, 1
	v_add3_u32 v77, v16, v17, s74
                                        ; implicit-def: $vgpr16
; %bb.1704:                             ;   in Loop: Header=BB11_1686 Depth=2
	s_andn2_saveexec_b64 s[40:41], s[24:25]
; %bb.1705:                             ;   in Loop: Header=BB11_1686 Depth=2
	v_or_b32_e32 v17, 0x10000, v16
	v_cmp_eq_u32_sdwa s[24:25], v16, v3 src0_sel:WORD_0 src1_sel:DWORD
	s_nop 1
	v_cndmask_b32_e64 v77, v17, v16, s[24:25]
; %bb.1706:                             ;   in Loop: Header=BB11_1686 Depth=2
	s_or_b64 exec, exec, s[40:41]
	v_and_b32_e32 v16, 0xffff0000, v18
	v_and_b32_e32 v17, 0xffff0000, v22
	v_max_f32_e32 v17, v17, v17
	v_max_f32_e32 v16, v16, v16
	v_min_f32_e32 v18, v16, v17
	v_max_f32_e32 v16, v16, v17
	v_cndmask_b32_e32 v16, v16, v18, vcc
	v_and_b32_e32 v17, 0x7f800000, v16
	v_cmp_ne_u32_e64 s[24:25], s99, v17
                                        ; implicit-def: $vgpr18
	s_and_saveexec_b64 s[40:41], s[24:25]
	s_xor_b64 s[24:25], exec, s[40:41]
; %bb.1707:                             ;   in Loop: Header=BB11_1686 Depth=2
	v_bfe_u32 v17, v16, 16, 1
	v_add3_u32 v18, v16, v17, s74
                                        ; implicit-def: $vgpr16
; %bb.1708:                             ;   in Loop: Header=BB11_1686 Depth=2
	s_andn2_saveexec_b64 s[40:41], s[24:25]
; %bb.1709:                             ;   in Loop: Header=BB11_1686 Depth=2
	v_or_b32_e32 v17, 0x10000, v16
	v_cmp_eq_u32_sdwa s[24:25], v16, v3 src0_sel:WORD_0 src1_sel:DWORD
	s_nop 1
	v_cndmask_b32_e64 v18, v17, v16, s[24:25]
; %bb.1710:                             ;   in Loop: Header=BB11_1686 Depth=2
	s_or_b64 exec, exec, s[40:41]
	v_lshlrev_b32_e32 v16, 16, v19
	v_lshlrev_b32_e32 v17, 16, v23
	v_max_f32_e32 v17, v17, v17
	v_max_f32_e32 v16, v16, v16
	v_min_f32_e32 v22, v16, v17
	v_max_f32_e32 v16, v16, v17
	v_cndmask_b32_e32 v16, v16, v22, vcc
	v_and_b32_e32 v17, 0x7f800000, v16
	v_cmp_ne_u32_e64 s[24:25], s99, v17
                                        ; implicit-def: $vgpr22
	s_and_saveexec_b64 s[40:41], s[24:25]
	s_xor_b64 s[24:25], exec, s[40:41]
; %bb.1711:                             ;   in Loop: Header=BB11_1686 Depth=2
	v_bfe_u32 v17, v16, 16, 1
	v_add3_u32 v22, v16, v17, s74
                                        ; implicit-def: $vgpr16
; %bb.1712:                             ;   in Loop: Header=BB11_1686 Depth=2
	s_andn2_saveexec_b64 s[40:41], s[24:25]
; %bb.1713:                             ;   in Loop: Header=BB11_1686 Depth=2
	v_or_b32_e32 v17, 0x10000, v16
	v_cmp_eq_u32_sdwa s[24:25], v16, v3 src0_sel:WORD_0 src1_sel:DWORD
	s_nop 1
	v_cndmask_b32_e64 v22, v17, v16, s[24:25]
; %bb.1714:                             ;   in Loop: Header=BB11_1686 Depth=2
	s_or_b64 exec, exec, s[40:41]
	v_and_b32_e32 v16, 0xffff0000, v19
	v_and_b32_e32 v17, 0xffff0000, v23
	v_max_f32_e32 v17, v17, v17
	v_max_f32_e32 v16, v16, v16
	v_min_f32_e32 v19, v16, v17
	v_max_f32_e32 v16, v16, v17
	v_cndmask_b32_e32 v16, v16, v19, vcc
	v_and_b32_e32 v17, 0x7f800000, v16
	v_cmp_ne_u32_e64 s[24:25], s99, v17
                                        ; implicit-def: $vgpr19
	s_and_saveexec_b64 s[40:41], s[24:25]
	s_xor_b64 s[24:25], exec, s[40:41]
; %bb.1715:                             ;   in Loop: Header=BB11_1686 Depth=2
	v_bfe_u32 v17, v16, 16, 1
	v_add3_u32 v19, v16, v17, s74
                                        ; implicit-def: $vgpr16
; %bb.1716:                             ;   in Loop: Header=BB11_1686 Depth=2
	s_andn2_saveexec_b64 s[40:41], s[24:25]
; %bb.1717:                             ;   in Loop: Header=BB11_1686 Depth=2
	v_or_b32_e32 v17, 0x10000, v16
	v_cmp_eq_u32_sdwa s[24:25], v16, v3 src0_sel:WORD_0 src1_sel:DWORD
	s_nop 1
	v_cndmask_b32_e64 v19, v17, v16, s[24:25]
; %bb.1718:                             ;   in Loop: Header=BB11_1686 Depth=2
	s_or_b64 exec, exec, s[40:41]
	v_lshrrev_b32_e32 v23, 16, v76
	v_and_or_b32 v109, v21, s75, v23
	v_lshrrev_b32_e32 v21, 16, v75
	v_and_or_b32 v108, v20, s75, v21
	;; [unrolled: 2-line block ×4, first 2 shown]
	s_waitcnt vmcnt(1)
	v_lshlrev_b32_e32 v18, 16, v8
	s_waitcnt vmcnt(0)
	v_lshlrev_b32_e32 v19, 16, v12
	v_max_f32_e32 v19, v19, v19
	v_max_f32_e32 v18, v18, v18
	v_min_f32_e32 v20, v18, v19
	v_max_f32_e32 v18, v18, v19
	v_cndmask_b32_e32 v19, v18, v20, vcc
	v_and_b32_e32 v18, 0x7f800000, v19
	v_lshl_add_u64 v[16:17], v[56:57], 0, v[60:61]
	v_cmp_ne_u32_e64 s[24:25], s99, v18
	global_store_dwordx4 v[16:17], v[108:111], off
                                        ; implicit-def: $vgpr18
	s_and_saveexec_b64 s[40:41], s[24:25]
	s_xor_b64 s[24:25], exec, s[40:41]
; %bb.1719:                             ;   in Loop: Header=BB11_1686 Depth=2
	v_bfe_u32 v18, v19, 16, 1
	v_add3_u32 v18, v19, v18, s74
                                        ; implicit-def: $vgpr19
; %bb.1720:                             ;   in Loop: Header=BB11_1686 Depth=2
	s_andn2_saveexec_b64 s[40:41], s[24:25]
; %bb.1721:                             ;   in Loop: Header=BB11_1686 Depth=2
	v_or_b32_e32 v18, 0x10000, v19
	v_cmp_eq_u32_sdwa s[24:25], v19, v3 src0_sel:WORD_0 src1_sel:DWORD
	s_nop 1
	v_cndmask_b32_e64 v18, v18, v19, s[24:25]
; %bb.1722:                             ;   in Loop: Header=BB11_1686 Depth=2
	s_or_b64 exec, exec, s[40:41]
	v_and_b32_e32 v8, 0xffff0000, v8
	v_and_b32_e32 v12, 0xffff0000, v12
	v_max_f32_e32 v12, v12, v12
	v_max_f32_e32 v8, v8, v8
	v_min_f32_e32 v19, v8, v12
	v_max_f32_e32 v8, v8, v12
	v_cndmask_b32_e32 v12, v8, v19, vcc
	v_and_b32_e32 v8, 0x7f800000, v12
	v_cmp_ne_u32_e64 s[24:25], s99, v8
                                        ; implicit-def: $vgpr8
	s_and_saveexec_b64 s[40:41], s[24:25]
	s_xor_b64 s[24:25], exec, s[40:41]
; %bb.1723:                             ;   in Loop: Header=BB11_1686 Depth=2
	v_bfe_u32 v8, v12, 16, 1
	v_add3_u32 v8, v12, v8, s74
                                        ; implicit-def: $vgpr12
; %bb.1724:                             ;   in Loop: Header=BB11_1686 Depth=2
	s_andn2_saveexec_b64 s[40:41], s[24:25]
; %bb.1725:                             ;   in Loop: Header=BB11_1686 Depth=2
	v_or_b32_e32 v8, 0x10000, v12
	v_cmp_eq_u32_sdwa s[24:25], v12, v3 src0_sel:WORD_0 src1_sel:DWORD
	s_nop 1
	v_cndmask_b32_e64 v8, v8, v12, s[24:25]
; %bb.1726:                             ;   in Loop: Header=BB11_1686 Depth=2
	s_or_b64 exec, exec, s[40:41]
	v_lshlrev_b32_e32 v12, 16, v9
	v_lshlrev_b32_e32 v19, 16, v13
	v_max_f32_e32 v19, v19, v19
	v_max_f32_e32 v12, v12, v12
	v_min_f32_e32 v20, v12, v19
	v_max_f32_e32 v12, v12, v19
	v_cndmask_b32_e32 v19, v12, v20, vcc
	v_and_b32_e32 v12, 0x7f800000, v19
	v_cmp_ne_u32_e64 s[24:25], s99, v12
                                        ; implicit-def: $vgpr12
	s_and_saveexec_b64 s[40:41], s[24:25]
	s_xor_b64 s[24:25], exec, s[40:41]
; %bb.1727:                             ;   in Loop: Header=BB11_1686 Depth=2
	v_bfe_u32 v12, v19, 16, 1
	v_add3_u32 v12, v19, v12, s74
                                        ; implicit-def: $vgpr19
; %bb.1728:                             ;   in Loop: Header=BB11_1686 Depth=2
	s_andn2_saveexec_b64 s[40:41], s[24:25]
; %bb.1729:                             ;   in Loop: Header=BB11_1686 Depth=2
	v_or_b32_e32 v12, 0x10000, v19
	v_cmp_eq_u32_sdwa s[24:25], v19, v3 src0_sel:WORD_0 src1_sel:DWORD
	s_nop 1
	v_cndmask_b32_e64 v12, v12, v19, s[24:25]
; %bb.1730:                             ;   in Loop: Header=BB11_1686 Depth=2
	s_or_b64 exec, exec, s[40:41]
	v_and_b32_e32 v9, 0xffff0000, v9
	v_and_b32_e32 v13, 0xffff0000, v13
	v_max_f32_e32 v13, v13, v13
	v_max_f32_e32 v9, v9, v9
	v_min_f32_e32 v19, v9, v13
	v_max_f32_e32 v9, v9, v13
	v_cndmask_b32_e32 v13, v9, v19, vcc
	v_and_b32_e32 v9, 0x7f800000, v13
	v_cmp_ne_u32_e64 s[24:25], s99, v9
                                        ; implicit-def: $vgpr9
	s_and_saveexec_b64 s[40:41], s[24:25]
	s_xor_b64 s[24:25], exec, s[40:41]
; %bb.1731:                             ;   in Loop: Header=BB11_1686 Depth=2
	v_bfe_u32 v9, v13, 16, 1
	v_add3_u32 v9, v13, v9, s74
                                        ; implicit-def: $vgpr13
; %bb.1732:                             ;   in Loop: Header=BB11_1686 Depth=2
	s_andn2_saveexec_b64 s[40:41], s[24:25]
; %bb.1733:                             ;   in Loop: Header=BB11_1686 Depth=2
	v_or_b32_e32 v9, 0x10000, v13
	v_cmp_eq_u32_sdwa s[24:25], v13, v3 src0_sel:WORD_0 src1_sel:DWORD
	s_nop 1
	v_cndmask_b32_e64 v9, v9, v13, s[24:25]
; %bb.1734:                             ;   in Loop: Header=BB11_1686 Depth=2
	s_or_b64 exec, exec, s[40:41]
	v_lshlrev_b32_e32 v13, 16, v10
	v_lshlrev_b32_e32 v19, 16, v14
	v_max_f32_e32 v19, v19, v19
	v_max_f32_e32 v13, v13, v13
	v_min_f32_e32 v20, v13, v19
	v_max_f32_e32 v13, v13, v19
	v_cndmask_b32_e32 v19, v13, v20, vcc
	v_and_b32_e32 v13, 0x7f800000, v19
	v_cmp_ne_u32_e64 s[24:25], s99, v13
                                        ; implicit-def: $vgpr13
	s_and_saveexec_b64 s[40:41], s[24:25]
	s_xor_b64 s[24:25], exec, s[40:41]
; %bb.1735:                             ;   in Loop: Header=BB11_1686 Depth=2
	v_bfe_u32 v13, v19, 16, 1
	v_add3_u32 v13, v19, v13, s74
                                        ; implicit-def: $vgpr19
; %bb.1736:                             ;   in Loop: Header=BB11_1686 Depth=2
	s_andn2_saveexec_b64 s[40:41], s[24:25]
; %bb.1737:                             ;   in Loop: Header=BB11_1686 Depth=2
	v_or_b32_e32 v13, 0x10000, v19
	v_cmp_eq_u32_sdwa s[24:25], v19, v3 src0_sel:WORD_0 src1_sel:DWORD
	s_nop 1
	v_cndmask_b32_e64 v13, v13, v19, s[24:25]
; %bb.1738:                             ;   in Loop: Header=BB11_1686 Depth=2
	s_or_b64 exec, exec, s[40:41]
	v_and_b32_e32 v10, 0xffff0000, v10
	v_and_b32_e32 v14, 0xffff0000, v14
	v_max_f32_e32 v14, v14, v14
	v_max_f32_e32 v10, v10, v10
	v_min_f32_e32 v19, v10, v14
	v_max_f32_e32 v10, v10, v14
	v_cndmask_b32_e32 v14, v10, v19, vcc
	v_and_b32_e32 v10, 0x7f800000, v14
	v_cmp_ne_u32_e64 s[24:25], s99, v10
                                        ; implicit-def: $vgpr10
	s_and_saveexec_b64 s[40:41], s[24:25]
	s_xor_b64 s[24:25], exec, s[40:41]
; %bb.1739:                             ;   in Loop: Header=BB11_1686 Depth=2
	v_bfe_u32 v10, v14, 16, 1
	v_add3_u32 v10, v14, v10, s74
                                        ; implicit-def: $vgpr14
; %bb.1740:                             ;   in Loop: Header=BB11_1686 Depth=2
	s_andn2_saveexec_b64 s[40:41], s[24:25]
; %bb.1741:                             ;   in Loop: Header=BB11_1686 Depth=2
	v_or_b32_e32 v10, 0x10000, v14
	v_cmp_eq_u32_sdwa s[24:25], v14, v3 src0_sel:WORD_0 src1_sel:DWORD
	s_nop 1
	v_cndmask_b32_e64 v10, v10, v14, s[24:25]
; %bb.1742:                             ;   in Loop: Header=BB11_1686 Depth=2
	s_or_b64 exec, exec, s[40:41]
	v_lshlrev_b32_e32 v14, 16, v11
	v_lshlrev_b32_e32 v19, 16, v15
	v_max_f32_e32 v19, v19, v19
	v_max_f32_e32 v14, v14, v14
	v_min_f32_e32 v20, v14, v19
	v_max_f32_e32 v14, v14, v19
	v_cndmask_b32_e32 v19, v14, v20, vcc
	v_and_b32_e32 v14, 0x7f800000, v19
	v_cmp_ne_u32_e64 s[24:25], s99, v14
                                        ; implicit-def: $vgpr14
	s_and_saveexec_b64 s[40:41], s[24:25]
	s_xor_b64 s[24:25], exec, s[40:41]
; %bb.1743:                             ;   in Loop: Header=BB11_1686 Depth=2
	v_bfe_u32 v14, v19, 16, 1
	v_add3_u32 v14, v19, v14, s74
                                        ; implicit-def: $vgpr19
; %bb.1744:                             ;   in Loop: Header=BB11_1686 Depth=2
	s_andn2_saveexec_b64 s[40:41], s[24:25]
; %bb.1745:                             ;   in Loop: Header=BB11_1686 Depth=2
	v_or_b32_e32 v14, 0x10000, v19
	v_cmp_eq_u32_sdwa s[24:25], v19, v3 src0_sel:WORD_0 src1_sel:DWORD
	s_nop 1
	v_cndmask_b32_e64 v14, v14, v19, s[24:25]
; %bb.1746:                             ;   in Loop: Header=BB11_1686 Depth=2
	s_or_b64 exec, exec, s[40:41]
	v_and_b32_e32 v11, 0xffff0000, v11
	v_and_b32_e32 v15, 0xffff0000, v15
	v_max_f32_e32 v15, v15, v15
	v_max_f32_e32 v11, v11, v11
	v_min_f32_e32 v19, v11, v15
	v_max_f32_e32 v11, v11, v15
	v_cndmask_b32_e32 v15, v11, v19, vcc
	v_and_b32_e32 v11, 0x7f800000, v15
	v_cmp_ne_u32_e64 s[24:25], s99, v11
                                        ; implicit-def: $vgpr11
	s_and_saveexec_b64 s[40:41], s[24:25]
	s_xor_b64 s[24:25], exec, s[40:41]
; %bb.1747:                             ;   in Loop: Header=BB11_1686 Depth=2
	v_bfe_u32 v11, v15, 16, 1
	v_add3_u32 v11, v15, v11, s74
                                        ; implicit-def: $vgpr15
; %bb.1748:                             ;   in Loop: Header=BB11_1686 Depth=2
	s_andn2_saveexec_b64 s[40:41], s[24:25]
	s_cbranch_execz .LBB11_1685
; %bb.1749:                             ;   in Loop: Header=BB11_1686 Depth=2
	v_or_b32_e32 v11, 0x10000, v15
	v_cmp_eq_u32_sdwa s[24:25], v15, v3 src0_sel:WORD_0 src1_sel:DWORD
	s_nop 1
	v_cndmask_b32_e64 v11, v11, v15, s[24:25]
	s_branch .LBB11_1685
.LBB11_1750:                            ;   in Loop: Header=BB11_47 Depth=1
	s_or_b64 exec, exec, s[28:29]
.LBB11_1751:                            ;   in Loop: Header=BB11_47 Depth=1
	s_or_b64 exec, exec, s[26:27]
	v_lshlrev_b32_e32 v12, 11, v74
	v_cmp_ne_u32_e32 vcc, v72, v12
	s_mov_b64 s[24:25], 0
	v_mov_b32_e32 v18, 0
                                        ; implicit-def: $vgpr19
	s_and_saveexec_b64 s[52:53], vcc
	s_cbranch_execz .LBB11_1757
; %bb.1752:                             ;   in Loop: Header=BB11_47 Depth=1
	v_lshlrev_b32_e32 v8, 6, v73
	v_sub_u32_e32 v8, v91, v8
	v_ashrrev_i32_e32 v10, 31, v8
	v_lshrrev_b32_e32 v10, 26, v10
	v_add_u32_e32 v10, v8, v10
	v_sub_u32_e32 v9, v72, v12
	v_ashrrev_i32_e32 v11, 6, v10
	v_and_b32_e32 v10, 0xffffffc0, v10
	v_sub_u32_e32 v13, v8, v10
	v_ashrrev_i32_e32 v10, 31, v9
	v_lshrrev_b32_e32 v10, 22, v10
	v_add_u32_e32 v10, v9, v10
	v_and_b32_e32 v14, 0xfffffc00, v10
	v_lshlrev_b32_e32 v8, 4, v13
	v_sub_u32_e32 v15, v9, v14
	v_lshl_add_u32 v8, v11, 10, v8
	v_ashrrev_i32_e32 v16, 10, v10
	v_cmp_lt_i32_e32 vcc, 15, v15
	v_sub_u32_e32 v17, v9, v8
	s_nop 0
	v_addc_co_u32_e64 v9, s[24:25], 0, v16, vcc
	v_sub_u32_e32 v16, v9, v11
	v_cmp_lt_i32_e64 s[24:25], 15, v17
	s_and_saveexec_b64 s[54:55], s[24:25]
	s_cbranch_execz .LBB11_1756
; %bb.1753:                             ;   in Loop: Header=BB11_47 Depth=1
	s_and_b32 s76, s48, 1
	v_add_u32_e32 v8, v8, v12
	s_cmp_eq_u64 s[76:77], 0
	v_ashrrev_i32_e32 v9, 31, v8
	s_mov_b64 s[64:65], 0
	s_cselect_b64 s[24:25], -1, 0
.LBB11_1754:                            ;   Parent Loop BB11_47 Depth=1
                                        ; =>  This Inner Loop Header: Depth=2
	v_lshl_add_u64 v[18:19], v[46:47], 0, v[8:9]
	v_lshl_add_u64 v[22:23], v[58:59], 0, v[8:9]
	global_load_dwordx4 v[18:21], v[18:19], off nt
	s_nop 0
	global_load_dwordx4 v[74:77], v[22:23], off nt
	v_sub_u32_e32 v17, v17, v70
	v_lshl_add_u64 v[10:11], v[56:57], 0, v[8:9]
	v_sub_u32_e32 v16, v16, v52
	v_lshl_add_u64 v[8:9], v[8:9], 0, v[102:103]
	s_waitcnt vmcnt(0)
	v_and_b32_e32 v22, 0xffff0000, v18
	v_lshlrev_b32_e32 v18, 16, v18
	v_lshlrev_b32_e32 v28, 16, v74
	v_max_f32_e32 v28, v28, v28
	v_max_f32_e32 v18, v18, v18
	v_min_f32_e32 v29, v18, v28
	v_max_f32_e32 v18, v18, v28
	v_cndmask_b32_e64 v18, v18, v29, s[24:25]
	v_and_b32_e32 v23, 0xffff0000, v74
	v_and_b32_e32 v28, 0x7f800000, v18
	v_cmp_eq_u32_e64 s[26:27], s99, v28
	v_bfe_u32 v28, v18, 16, 1
	v_cmp_eq_u32_sdwa s[28:29], v18, v3 src0_sel:WORD_0 src1_sel:DWORD
	v_or_b32_e32 v29, 0x10000, v18
	v_max_f32_e32 v23, v23, v23
	v_max_f32_e32 v22, v22, v22
	v_add3_u32 v28, v18, v28, s74
	v_cndmask_b32_e64 v18, v29, v18, s[28:29]
	v_min_f32_e32 v29, v22, v23
	v_max_f32_e32 v22, v22, v23
	v_cndmask_b32_e64 v22, v22, v29, s[24:25]
	v_and_b32_e32 v23, 0x7f800000, v22
	v_cmp_eq_u32_e64 s[28:29], s99, v23
	v_bfe_u32 v23, v22, 16, 1
	v_cmp_eq_u32_sdwa s[40:41], v22, v3 src0_sel:WORD_0 src1_sel:DWORD
	v_or_b32_e32 v29, 0x10000, v22
	v_add3_u32 v23, v22, v23, s74
	v_cndmask_b32_e64 v22, v29, v22, s[40:41]
	v_and_b32_e32 v29, 0xffff0000, v19
	v_lshlrev_b32_e32 v19, 16, v19
	v_lshlrev_b32_e32 v66, 16, v75
	v_max_f32_e32 v66, v66, v66
	v_max_f32_e32 v19, v19, v19
	v_min_f32_e32 v67, v19, v66
	v_max_f32_e32 v19, v19, v66
	v_cndmask_b32_e64 v19, v19, v67, s[24:25]
	v_and_b32_e32 v50, 0xffff0000, v75
	v_and_b32_e32 v66, 0x7f800000, v19
	v_cmp_eq_u32_e64 s[40:41], s99, v66
	v_bfe_u32 v66, v19, 16, 1
	v_cmp_eq_u32_sdwa s[42:43], v19, v3 src0_sel:WORD_0 src1_sel:DWORD
	v_or_b32_e32 v67, 0x10000, v19
	v_max_f32_e32 v50, v50, v50
	v_max_f32_e32 v29, v29, v29
	v_add3_u32 v66, v19, v66, s74
	v_cndmask_b32_e64 v19, v67, v19, s[42:43]
	v_min_f32_e32 v67, v29, v50
	v_max_f32_e32 v29, v29, v50
	v_cndmask_b32_e64 v29, v29, v67, s[24:25]
	v_and_b32_e32 v50, 0x7f800000, v29
	v_cmp_eq_u32_e64 s[42:43], s99, v50
	v_bfe_u32 v50, v29, 16, 1
	v_cmp_eq_u32_sdwa s[44:45], v29, v3 src0_sel:WORD_0 src1_sel:DWORD
	v_or_b32_e32 v67, 0x10000, v29
	v_add3_u32 v50, v29, v50, s74
	v_cndmask_b32_e64 v29, v67, v29, s[44:45]
	;; [unrolled: 28-line block ×4, first 2 shown]
	v_cndmask_b32_e64 v18, v28, v18, s[26:27]
	v_cndmask_b32_e64 v19, v66, v19, s[40:41]
	;; [unrolled: 1-line block ×8, first 2 shown]
	v_lshrrev_b32_e32 v19, 16, v19
	v_lshrrev_b32_e32 v18, 16, v18
	;; [unrolled: 1-line block ×4, first 2 shown]
	v_cmp_gt_i32_e64 s[26:27], 16, v17
	v_and_or_b32 v19, v23, s75, v19
	v_and_or_b32 v18, v22, s75, v18
	;; [unrolled: 1-line block ×4, first 2 shown]
	s_or_b64 s[64:65], s[26:27], s[64:65]
	global_store_dwordx4 v[10:11], v[18:21], off
	s_andn2_b64 exec, exec, s[64:65]
	s_cbranch_execnz .LBB11_1754
; %bb.1755:                             ;   in Loop: Header=BB11_47 Depth=1
	s_or_b64 exec, exec, s[64:65]
.LBB11_1756:                            ;   in Loop: Header=BB11_47 Depth=1
	s_or_b64 exec, exec, s[54:55]
	v_and_b32_e32 v8, 14, v72
	v_sub_u32_e32 v9, v15, v8
	v_cndmask_b32_e32 v9, 0, v9, vcc
	v_cndmask_b32_e32 v72, v15, v8, vcc
	v_cmp_lt_i32_e32 vcc, 0, v16
	v_add3_u32 v18, v14, v12, v9
	s_nop 0
	v_cndmask_b32_e32 v8, 0, v52, vcc
	v_sub_u32_e32 v8, v8, v16
	v_cmp_ne_u32_e32 vcc, 0, v72
	v_lshl_add_u32 v19, v8, 6, v13
	s_and_b64 s[24:25], vcc, exec
.LBB11_1757:                            ;   in Loop: Header=BB11_47 Depth=1
	s_or_b64 exec, exec, s[52:53]
	s_and_saveexec_b64 s[26:27], s[24:25]
	s_cbranch_execz .LBB11_1782
.LBB11_1758:                            ;   in Loop: Header=BB11_47 Depth=1
	v_ashrrev_i32_e32 v8, 31, v19
	v_ashrrev_i32_e32 v9, 31, v72
	v_lshrrev_b32_e32 v8, 26, v8
	v_lshrrev_b32_e32 v9, 23, v9
	v_add_u32_e32 v8, v19, v8
	v_add_u32_e32 v9, v72, v9
	v_ashrrev_i32_e32 v20, 6, v8
	v_ashrrev_i32_e32 v22, 9, v9
	v_sub_u32_e32 v21, v22, v20
	v_cmp_lt_i32_e32 vcc, 0, v21
	s_and_saveexec_b64 s[28:29], vcc
	s_cbranch_execz .LBB11_1778
; %bb.1759:                             ;   in Loop: Header=BB11_47 Depth=1
	v_and_b32_e32 v8, 0x7fffffc0, v8
	v_sub_u32_e32 v8, v19, v8
	v_lshlrev_b32_e32 v8, 1, v8
	v_lshlrev_b32_e32 v9, 9, v20
	s_and_b32 s76, s48, 1
	v_add3_u32 v8, v8, v18, v9
	s_cmp_eq_u64 s[76:77], 0
	v_ashrrev_i32_e32 v9, 31, v8
	s_mov_b64 s[40:41], 0
	s_cselect_b64 vcc, -1, 0
	v_mov_b64_e32 v[10:11], v[56:57]
	v_mov_b64_e32 v[12:13], v[46:47]
	;; [unrolled: 1-line block ×3, first 2 shown]
	s_branch .LBB11_1761
.LBB11_1760:                            ;   in Loop: Header=BB11_1761 Depth=2
	s_or_b64 exec, exec, s[42:43]
	v_sub_u32_e32 v21, v21, v52
	v_cmp_gt_i32_e64 s[24:25], 1, v21
	v_lshl_add_u64 v[14:15], v[14:15], 0, v[112:113]
	v_lshl_add_u64 v[12:13], v[12:13], 0, v[112:113]
	s_or_b64 s[40:41], s[24:25], s[40:41]
	v_lshl_add_u64 v[10:11], v[10:11], 0, v[112:113]
	flat_store_short_d16_hi v[16:17], v60 offset:384 nt
	s_andn2_b64 exec, exec, s[40:41]
	s_cbranch_execz .LBB11_1777
.LBB11_1761:                            ;   Parent Loop BB11_47 Depth=1
                                        ; =>  This Inner Loop Header: Depth=2
	v_lshl_add_u64 v[74:75], v[8:9], 0, v[12:13]
	v_lshl_add_u64 v[16:17], v[8:9], 0, v[14:15]
	flat_load_ushort v28, v[74:75] nt
	flat_load_ushort v29, v[16:17] nt
	flat_load_ushort v61, v[74:75] offset:256 nt
	flat_load_ushort v23, v[74:75] offset:384 nt
	s_nop 0
	flat_load_ushort v74, v[74:75] offset:128 nt
	s_nop 0
	flat_load_ushort v73, v[16:17] offset:256 nt
	flat_load_ushort v60, v[16:17] offset:384 nt
	;; [unrolled: 1-line block ×3, first 2 shown]
                                        ; implicit-def: $vgpr76
	s_waitcnt vmcnt(0) lgkmcnt(0)
	v_lshlrev_b32_e32 v16, 16, v28
	v_lshlrev_b32_e32 v17, 16, v29
	v_max_f32_e32 v17, v17, v17
	v_max_f32_e32 v16, v16, v16
	v_min_f32_e32 v28, v16, v17
	v_max_f32_e32 v16, v16, v17
	v_cndmask_b32_e32 v16, v16, v28, vcc
	v_and_b32_e32 v17, 0x7f800000, v16
	v_cmp_ne_u32_e64 s[24:25], s99, v17
	s_and_saveexec_b64 s[42:43], s[24:25]
	s_xor_b64 s[24:25], exec, s[42:43]
; %bb.1762:                             ;   in Loop: Header=BB11_1761 Depth=2
	v_bfe_u32 v17, v16, 16, 1
	v_add3_u32 v76, v16, v17, s74
                                        ; implicit-def: $vgpr16
; %bb.1763:                             ;   in Loop: Header=BB11_1761 Depth=2
	s_andn2_saveexec_b64 s[42:43], s[24:25]
; %bb.1764:                             ;   in Loop: Header=BB11_1761 Depth=2
	v_or_b32_e32 v17, 0x10000, v16
	v_cmp_eq_u32_sdwa s[24:25], v16, v3 src0_sel:WORD_0 src1_sel:DWORD
	s_nop 1
	v_cndmask_b32_e64 v76, v17, v16, s[24:25]
; %bb.1765:                             ;   in Loop: Header=BB11_1761 Depth=2
	s_or_b64 exec, exec, s[42:43]
	v_lshlrev_b32_e32 v28, 16, v74
	v_lshlrev_b32_e32 v29, 16, v75
	v_max_f32_e32 v29, v29, v29
	v_max_f32_e32 v28, v28, v28
	v_min_f32_e32 v50, v28, v29
	v_max_f32_e32 v28, v28, v29
	v_cndmask_b32_e32 v74, v28, v50, vcc
	v_and_b32_e32 v28, 0x7f800000, v74
	v_lshl_add_u64 v[16:17], v[8:9], 0, v[10:11]
	v_cmp_ne_u32_e64 s[24:25], s99, v28
	flat_store_short_d16_hi v[16:17], v76 nt
                                        ; implicit-def: $vgpr75
	s_and_saveexec_b64 s[42:43], s[24:25]
	s_xor_b64 s[24:25], exec, s[42:43]
; %bb.1766:                             ;   in Loop: Header=BB11_1761 Depth=2
	v_bfe_u32 v28, v74, 16, 1
	v_add3_u32 v75, v74, v28, s74
                                        ; implicit-def: $vgpr74
; %bb.1767:                             ;   in Loop: Header=BB11_1761 Depth=2
	s_andn2_saveexec_b64 s[42:43], s[24:25]
; %bb.1768:                             ;   in Loop: Header=BB11_1761 Depth=2
	v_or_b32_e32 v28, 0x10000, v74
	v_cmp_eq_u32_sdwa s[24:25], v74, v3 src0_sel:WORD_0 src1_sel:DWORD
	s_nop 1
	v_cndmask_b32_e64 v75, v28, v74, s[24:25]
; %bb.1769:                             ;   in Loop: Header=BB11_1761 Depth=2
	s_or_b64 exec, exec, s[42:43]
	v_lshlrev_b32_e32 v28, 16, v61
	v_lshlrev_b32_e32 v29, 16, v73
	v_max_f32_e32 v29, v29, v29
	v_max_f32_e32 v28, v28, v28
	v_min_f32_e32 v50, v28, v29
	v_max_f32_e32 v28, v28, v29
	v_cndmask_b32_e32 v61, v28, v50, vcc
	v_and_b32_e32 v28, 0x7f800000, v61
	v_cmp_ne_u32_e64 s[24:25], s99, v28
	flat_store_short_d16_hi v[16:17], v75 offset:128 nt
                                        ; implicit-def: $vgpr73
	s_and_saveexec_b64 s[42:43], s[24:25]
	s_xor_b64 s[24:25], exec, s[42:43]
; %bb.1770:                             ;   in Loop: Header=BB11_1761 Depth=2
	v_bfe_u32 v28, v61, 16, 1
	v_add3_u32 v73, v61, v28, s74
                                        ; implicit-def: $vgpr61
; %bb.1771:                             ;   in Loop: Header=BB11_1761 Depth=2
	s_andn2_saveexec_b64 s[42:43], s[24:25]
; %bb.1772:                             ;   in Loop: Header=BB11_1761 Depth=2
	v_or_b32_e32 v28, 0x10000, v61
	v_cmp_eq_u32_sdwa s[24:25], v61, v3 src0_sel:WORD_0 src1_sel:DWORD
	s_nop 1
	v_cndmask_b32_e64 v73, v28, v61, s[24:25]
; %bb.1773:                             ;   in Loop: Header=BB11_1761 Depth=2
	s_or_b64 exec, exec, s[42:43]
	v_lshlrev_b32_e32 v23, 16, v23
	v_lshlrev_b32_e32 v28, 16, v60
	v_max_f32_e32 v28, v28, v28
	v_max_f32_e32 v23, v23, v23
	v_min_f32_e32 v29, v23, v28
	v_max_f32_e32 v23, v23, v28
	v_cndmask_b32_e32 v23, v23, v29, vcc
	v_and_b32_e32 v28, 0x7f800000, v23
	v_cmp_ne_u32_e64 s[24:25], s99, v28
	flat_store_short_d16_hi v[16:17], v73 offset:256 nt
                                        ; implicit-def: $vgpr60
	s_and_saveexec_b64 s[42:43], s[24:25]
	s_xor_b64 s[24:25], exec, s[42:43]
; %bb.1774:                             ;   in Loop: Header=BB11_1761 Depth=2
	v_bfe_u32 v28, v23, 16, 1
	v_add3_u32 v60, v23, v28, s74
                                        ; implicit-def: $vgpr23
; %bb.1775:                             ;   in Loop: Header=BB11_1761 Depth=2
	s_andn2_saveexec_b64 s[42:43], s[24:25]
	s_cbranch_execz .LBB11_1760
; %bb.1776:                             ;   in Loop: Header=BB11_1761 Depth=2
	v_or_b32_e32 v28, 0x10000, v23
	v_cmp_eq_u32_sdwa s[24:25], v23, v3 src0_sel:WORD_0 src1_sel:DWORD
	s_nop 1
	v_cndmask_b32_e64 v60, v28, v23, s[24:25]
	s_branch .LBB11_1760
.LBB11_1777:                            ;   in Loop: Header=BB11_47 Depth=1
	s_or_b64 exec, exec, s[40:41]
.LBB11_1778:                            ;   in Loop: Header=BB11_47 Depth=1
	s_or_b64 exec, exec, s[28:29]
	v_lshlrev_b32_e32 v8, 9, v22
	v_cmp_ne_u32_e32 vcc, v72, v8
	s_and_b64 exec, exec, vcc
	s_cbranch_execz .LBB11_1782
; %bb.1779:                             ;   in Loop: Header=BB11_47 Depth=1
	v_lshlrev_b32_e32 v9, 6, v20
	v_sub_u32_e32 v9, v19, v9
	v_lshlrev_b32_e32 v10, 6, v21
	v_sub_u32_e32 v9, v9, v10
	v_ashrrev_i32_e32 v10, 31, v9
	v_lshrrev_b32_e32 v10, 26, v10
	v_add_u32_e32 v10, v9, v10
	v_and_b32_e32 v11, 0x7fffffc0, v10
	v_sub_u32_e32 v9, v9, v11
	v_lshlrev_b32_e32 v10, 1, v10
	v_and_b32_e32 v10, 0xffffff80, v10
	v_lshlrev_b32_e32 v9, 1, v9
	v_add3_u32 v8, v10, v9, v8
	v_sub_u32_e32 v10, v72, v8
	v_cmp_lt_i32_e32 vcc, 1, v10
	s_and_b64 exec, exec, vcc
	s_cbranch_execz .LBB11_1782
; %bb.1780:                             ;   in Loop: Header=BB11_47 Depth=1
	s_and_b32 s76, s48, 1
	v_add_u32_e32 v8, v8, v18
	s_cmp_eq_u64 s[76:77], 0
	v_ashrrev_i32_e32 v9, 31, v8
	s_mov_b64 s[28:29], 0
	s_cselect_b64 vcc, -1, 0
.LBB11_1781:                            ;   Parent Loop BB11_47 Depth=1
                                        ; =>  This Inner Loop Header: Depth=2
	v_lshl_add_u64 v[14:15], v[46:47], 0, v[8:9]
	v_lshl_add_u64 v[12:13], v[58:59], 0, v[8:9]
	flat_load_ushort v11, v[14:15] nt
	s_nop 0
	flat_load_ushort v14, v[12:13] nt
	v_sub_u32_e32 v10, v10, v82
	v_cmp_gt_i32_e64 s[24:25], 2, v10
	s_or_b64 s[28:29], s[24:25], s[28:29]
	v_lshl_add_u64 v[12:13], v[56:57], 0, v[8:9]
	v_lshl_add_u64 v[8:9], v[8:9], 0, v[114:115]
	s_waitcnt vmcnt(0) lgkmcnt(0)
	v_lshlrev_b32_e32 v11, 16, v11
	v_lshlrev_b32_e32 v14, 16, v14
	v_max_f32_e32 v14, v14, v14
	v_max_f32_e32 v11, v11, v11
	v_min_f32_e32 v15, v11, v14
	v_max_f32_e32 v11, v11, v14
	v_cndmask_b32_e32 v11, v11, v15, vcc
	v_and_b32_e32 v14, 0x7f800000, v11
	v_bfe_u32 v15, v11, 16, 1
	v_or_b32_e32 v16, 0x10000, v11
	v_cmp_eq_u32_sdwa s[24:25], v11, v3 src0_sel:WORD_0 src1_sel:DWORD
	v_add3_u32 v15, v11, v15, s74
	s_nop 0
	v_cndmask_b32_e64 v11, v16, v11, s[24:25]
	v_cmp_eq_u32_e64 s[24:25], s99, v14
	s_nop 1
	v_cndmask_b32_e64 v11, v15, v11, s[24:25]
	flat_store_short_d16_hi v[12:13], v11 nt
	s_andn2_b64 exec, exec, s[28:29]
	s_cbranch_execnz .LBB11_1781
.LBB11_1782:                            ;   in Loop: Header=BB11_47 Depth=1
	s_or_b64 exec, exec, s[26:27]
	v_cmp_lt_i32_e64 s[24:25], 0, v2
	s_and_saveexec_b64 s[26:27], s[6:7]
	s_cbranch_execz .LBB11_1679
.LBB11_1783:                            ;   in Loop: Header=BB11_47 Depth=1
	s_and_saveexec_b64 s[28:29], s[78:79]
	s_xor_b64 s[28:29], exec, s[28:29]
	s_cbranch_execz .LBB11_1798
; %bb.1784:                             ;   in Loop: Header=BB11_47 Depth=1
	s_and_saveexec_b64 s[40:41], s[14:15]
	s_cbranch_execz .LBB11_1797
; %bb.1785:                             ;   in Loop: Header=BB11_47 Depth=1
	s_mov_b64 s[44:45], exec
	v_mbcnt_lo_u32_b32 v2, s44, 0
	v_mbcnt_hi_u32_b32 v2, s45, v2
	v_cmp_eq_u32_e32 vcc, 0, v2
	s_waitcnt lgkmcnt(0)
	s_and_saveexec_b64 s[42:43], vcc
	s_cbranch_execz .LBB11_1787
; %bb.1786:                             ;   in Loop: Header=BB11_47 Depth=1
	s_bcnt1_i32_b64 s44, s[44:45]
	v_mov_b32_e32 v2, s44
	ds_add_u64 v0, v[2:3]
	s_trap 2
.LBB11_1787:                            ;   in Loop: Header=BB11_47 Depth=1
	s_or_b64 exec, exec, s[42:43]
	s_trap 2
	ds_read_b64 v[8:9], v0
	s_waitcnt lgkmcnt(0)
	v_lshl_add_u64 v[48:49], v[48:49], 0, v[52:53]
	v_cmp_lt_u64_e32 vcc, v[8:9], v[48:49]
	s_and_saveexec_b64 s[42:43], vcc
	s_cbranch_execz .LBB11_1796
; %bb.1788:                             ;   in Loop: Header=BB11_47 Depth=1
	s_mov_b32 s76, 0
	s_mov_b64 s[44:45], 0
                                        ; implicit-def: $sgpr46_sgpr47
                                        ; implicit-def: $sgpr56_sgpr57
	s_branch .LBB11_1790
.LBB11_1789:                            ;   in Loop: Header=BB11_1790 Depth=2
	s_or_b64 exec, exec, s[60:61]
	s_and_b64 s[58:59], exec, vcc
	s_or_b64 s[44:45], s[58:59], s[44:45]
	s_andn2_b64 s[46:47], s[46:47], exec
	s_and_b64 s[58:59], s[56:57], exec
	s_or_b64 s[46:47], s[46:47], s[58:59]
	s_andn2_b64 exec, exec, s[44:45]
	s_cbranch_execz .LBB11_1794
.LBB11_1790:                            ;   Parent Loop BB11_47 Depth=1
                                        ; =>  This Inner Loop Header: Depth=2
	s_add_i32 s76, s76, 1
	s_cmpk_lg_i32 s76, 0x2710
	s_cselect_b64 s[58:59], -1, 0
	s_and_b64 vcc, exec, s[58:59]
	s_cbranch_vccz .LBB11_1792
; %bb.1791:                             ;   in Loop: Header=BB11_1790 Depth=2
	s_mov_b64 vcc, -1
	s_or_b64 s[56:57], s[56:57], exec
	s_and_saveexec_b64 s[60:61], s[58:59]
	s_cbranch_execz .LBB11_1789
	s_branch .LBB11_1793
.LBB11_1792:                            ;   in Loop: Header=BB11_1790 Depth=2
	s_trap 2
	ds_read_b64 v[8:9], v0
	s_andn2_b64 s[58:59], s[58:59], exec
	s_mov_b32 s76, 0
	s_waitcnt vmcnt(0) lgkmcnt(0)
	flat_load_dword v2, v[8:9] sc0 sc1
	s_waitcnt vmcnt(0) lgkmcnt(0)
	buffer_inv sc0 sc1
	v_cmp_eq_u32_e32 vcc, 0, v2
	s_and_b64 s[60:61], vcc, exec
	s_or_b64 s[58:59], s[58:59], s[60:61]
	s_mov_b64 vcc, -1
	s_or_b64 s[56:57], s[56:57], exec
	s_and_saveexec_b64 s[60:61], s[58:59]
	s_cbranch_execz .LBB11_1789
.LBB11_1793:                            ;   in Loop: Header=BB11_1790 Depth=2
	s_sleep 1
	s_trap 2
	ds_read_b64 v[8:9], v0
	s_waitcnt lgkmcnt(0)
	s_andn2_b64 s[56:57], s[56:57], exec
	v_cmp_ge_u64_e32 vcc, v[8:9], v[48:49]
	s_orn2_b64 vcc, vcc, exec
	s_branch .LBB11_1789
.LBB11_1794:                            ;   in Loop: Header=BB11_47 Depth=1
	s_or_b64 exec, exec, s[44:45]
	s_and_saveexec_b64 s[44:45], s[46:47]
	s_xor_b64 s[44:45], exec, s[44:45]
	s_cbranch_execz .LBB11_1796
; %bb.1795:                             ;   in Loop: Header=BB11_47 Depth=1
	ds_write_b32 v0, v94
	s_trap 2
.LBB11_1796:                            ;   in Loop: Header=BB11_47 Depth=1
	s_or_b64 exec, exec, s[42:43]
	;;#ASMSTART
	s_wakeup
	;;#ASMEND
.LBB11_1797:                            ;   in Loop: Header=BB11_47 Depth=1
	s_or_b64 exec, exec, s[40:41]
.LBB11_1798:                            ;   in Loop: Header=BB11_47 Depth=1
	s_andn2_saveexec_b64 s[28:29], s[28:29]
	s_cbranch_execz .LBB11_1800
; %bb.1799:                             ;   in Loop: Header=BB11_47 Depth=1
	s_waitcnt lgkmcnt(0)
	s_barrier
.LBB11_1800:                            ;   in Loop: Header=BB11_47 Depth=1
	s_or_b64 exec, exec, s[28:29]
	s_or_b64 exec, exec, s[26:27]
	s_and_saveexec_b64 s[26:27], s[22:23]
	s_xor_b64 s[26:27], exec, s[26:27]
	s_cbranch_execnz .LBB11_1680
.LBB11_1801:                            ;   in Loop: Header=BB11_47 Depth=1
	s_andn2_saveexec_b64 s[24:25], s[26:27]
	s_cbranch_execz .LBB11_1820
.LBB11_1802:                            ;   in Loop: Header=BB11_47 Depth=1
	s_and_saveexec_b64 s[26:27], s[78:79]
	s_xor_b64 s[26:27], exec, s[26:27]
	s_cbranch_execz .LBB11_1817
; %bb.1803:                             ;   in Loop: Header=BB11_47 Depth=1
	s_and_saveexec_b64 s[28:29], s[14:15]
	s_cbranch_execz .LBB11_1816
; %bb.1804:                             ;   in Loop: Header=BB11_47 Depth=1
	s_mov_b64 s[42:43], exec
	v_mbcnt_lo_u32_b32 v2, s42, 0
	v_mbcnt_hi_u32_b32 v2, s43, v2
	v_cmp_eq_u32_e32 vcc, 0, v2
	;;#ASMSTART
	s_waitcnt lgkmcnt(0) vmcnt(0)
	;;#ASMEND
	s_and_saveexec_b64 s[40:41], vcc
	s_cbranch_execz .LBB11_1806
; %bb.1805:                             ;   in Loop: Header=BB11_47 Depth=1
	s_bcnt1_i32_b64 s42, s[42:43]
	v_mov_b32_e32 v2, s42
	s_waitcnt lgkmcnt(0)
	ds_add_u64 v0, v[2:3]
	s_trap 2
.LBB11_1806:                            ;   in Loop: Header=BB11_47 Depth=1
	s_or_b64 exec, exec, s[40:41]
	s_trap 2
	ds_read_b64 v[8:9], v0
	s_waitcnt lgkmcnt(0)
	v_lshl_add_u64 v[48:49], v[48:49], 0, v[52:53]
	v_cmp_lt_u64_e32 vcc, v[8:9], v[48:49]
	s_and_saveexec_b64 s[40:41], vcc
	s_cbranch_execz .LBB11_1815
; %bb.1807:                             ;   in Loop: Header=BB11_47 Depth=1
	s_mov_b32 s76, 0
	s_mov_b64 s[42:43], 0
                                        ; implicit-def: $sgpr44_sgpr45
                                        ; implicit-def: $sgpr46_sgpr47
	s_branch .LBB11_1809
.LBB11_1808:                            ;   in Loop: Header=BB11_1809 Depth=2
	s_or_b64 exec, exec, s[58:59]
	s_and_b64 s[56:57], exec, s[60:61]
	s_or_b64 s[42:43], s[56:57], s[42:43]
	s_andn2_b64 s[44:45], s[44:45], exec
	s_and_b64 s[56:57], s[46:47], exec
	s_or_b64 s[44:45], s[44:45], s[56:57]
	s_andn2_b64 exec, exec, s[42:43]
	s_cbranch_execz .LBB11_1813
.LBB11_1809:                            ;   Parent Loop BB11_47 Depth=1
                                        ; =>  This Inner Loop Header: Depth=2
	s_add_i32 s76, s76, 1
	s_cmpk_lg_i32 s76, 0x2710
	s_cselect_b64 s[56:57], -1, 0
	s_and_b64 vcc, exec, s[56:57]
	s_cbranch_vccz .LBB11_1811
; %bb.1810:                             ;   in Loop: Header=BB11_1809 Depth=2
	s_mov_b64 s[60:61], -1
	s_or_b64 s[46:47], s[46:47], exec
	s_and_saveexec_b64 s[58:59], s[56:57]
	s_cbranch_execz .LBB11_1808
	s_branch .LBB11_1812
.LBB11_1811:                            ;   in Loop: Header=BB11_1809 Depth=2
	s_trap 2
	ds_read_b64 v[8:9], v0
	s_andn2_b64 s[56:57], s[56:57], exec
	s_mov_b32 s76, 0
	s_waitcnt vmcnt(0) lgkmcnt(0)
	flat_load_dword v2, v[8:9] sc0 sc1
	s_waitcnt vmcnt(0) lgkmcnt(0)
	buffer_inv sc0 sc1
	v_cmp_eq_u32_e32 vcc, 0, v2
	s_and_b64 s[58:59], vcc, exec
	s_or_b64 s[56:57], s[56:57], s[58:59]
	s_mov_b64 s[60:61], -1
	s_or_b64 s[46:47], s[46:47], exec
	s_and_saveexec_b64 s[58:59], s[56:57]
	s_cbranch_execz .LBB11_1808
.LBB11_1812:                            ;   in Loop: Header=BB11_1809 Depth=2
	s_sleep 1
	s_trap 2
	ds_read_b64 v[8:9], v0
	s_waitcnt lgkmcnt(0)
	s_andn2_b64 s[46:47], s[46:47], exec
	v_cmp_ge_u64_e32 vcc, v[8:9], v[48:49]
	s_orn2_b64 s[60:61], vcc, exec
	s_branch .LBB11_1808
.LBB11_1813:                            ;   in Loop: Header=BB11_47 Depth=1
	s_or_b64 exec, exec, s[42:43]
	s_and_saveexec_b64 s[42:43], s[44:45]
	s_xor_b64 s[42:43], exec, s[42:43]
	s_cbranch_execz .LBB11_1815
; %bb.1814:                             ;   in Loop: Header=BB11_47 Depth=1
	ds_write_b32 v0, v94
	s_trap 2
.LBB11_1815:                            ;   in Loop: Header=BB11_47 Depth=1
	s_or_b64 exec, exec, s[40:41]
	;;#ASMSTART
	s_wakeup
	;;#ASMEND
.LBB11_1816:                            ;   in Loop: Header=BB11_47 Depth=1
	s_or_b64 exec, exec, s[28:29]
.LBB11_1817:                            ;   in Loop: Header=BB11_47 Depth=1
	s_andn2_saveexec_b64 s[26:27], s[26:27]
	s_cbranch_execz .LBB11_1819
; %bb.1818:                             ;   in Loop: Header=BB11_47 Depth=1
	;;#ASMSTART
	s_waitcnt lgkmcnt(0) vmcnt(0)
	;;#ASMEND
	s_barrier
.LBB11_1819:                            ;   in Loop: Header=BB11_47 Depth=1
	s_or_b64 exec, exec, s[26:27]
.LBB11_1820:                            ;   in Loop: Header=BB11_47 Depth=1
	s_or_b64 exec, exec, s[24:25]
	v_and_b32_e32 v2, 32, v90
	v_cmp_ne_u32_e32 vcc, 0, v2
	s_and_saveexec_b64 s[24:25], vcc
	s_cbranch_execz .LBB11_1822
; %bb.1821:                             ;   in Loop: Header=BB11_47 Depth=1
	v_lshl_add_u64 v[44:45], v[44:45], 0, 4
	flat_store_dwordx2 v[32:33], v[44:45] sc0 sc1
.LBB11_1822:                            ;   in Loop: Header=BB11_47 Depth=1
	s_or_b64 exec, exec, s[24:25]
	v_mov_b32_e32 v14, v63
.LBB11_1823:                            ;   in Loop: Header=BB11_47 Depth=1
	s_or_b64 exec, exec, s[50:51]
	s_and_saveexec_b64 s[26:27], s[62:63]
	s_cbranch_execz .LBB11_46
; %bb.1824:                             ;   in Loop: Header=BB11_47 Depth=1
	v_and_b32_e32 v2, 4, v90
	v_cmp_ne_u32_e32 vcc, 0, v2
	s_and_saveexec_b64 s[28:29], vcc
	s_cbranch_execz .LBB11_1834
; %bb.1825:                             ;   in Loop: Header=BB11_47 Depth=1
	v_lshl_add_u64 v[8:9], v[44:45], 0, 4
	s_waitcnt vmcnt(0)
	v_cmp_lt_u64_e32 vcc, v[38:39], v[8:9]
	s_and_saveexec_b64 s[40:41], vcc
	s_cbranch_execz .LBB11_1849
; %bb.1826:                             ;   in Loop: Header=BB11_47 Depth=1
	v_and_b32_e32 v2, 64, v90
	s_mov_b32 s76, 0
	v_cmp_eq_u32_e32 vcc, 0, v2
	s_mov_b64 s[42:43], 0
                                        ; implicit-def: $sgpr44_sgpr45
                                        ; implicit-def: $sgpr46_sgpr47
                                        ; implicit-def: $sgpr56_sgpr57
	s_branch .LBB11_1830
.LBB11_1827:                            ;   in Loop: Header=BB11_1830 Depth=2
	s_waitcnt vmcnt(0) lgkmcnt(0)
	v_cmp_ge_u64_e64 s[24:25], v[38:39], v[8:9]
	s_or_b64 s[62:63], s[62:63], exec
	s_orn2_b64 s[60:61], s[24:25], exec
.LBB11_1828:                            ;   in Loop: Header=BB11_1830 Depth=2
	s_or_b64 exec, exec, s[52:53]
	s_andn2_b64 s[24:25], s[56:57], exec
	s_and_b64 s[56:57], s[62:63], exec
	s_or_b64 s[56:57], s[24:25], s[56:57]
	s_andn2_b64 s[24:25], s[46:47], exec
	s_and_b64 s[46:47], s[60:61], exec
	s_or_b64 s[46:47], s[24:25], s[46:47]
.LBB11_1829:                            ;   in Loop: Header=BB11_1830 Depth=2
	s_or_b64 exec, exec, s[58:59]
	s_and_b64 s[24:25], exec, s[46:47]
	s_or_b64 s[42:43], s[24:25], s[42:43]
	s_andn2_b64 s[24:25], s[44:45], exec
	s_and_b64 s[44:45], s[56:57], exec
	s_or_b64 s[44:45], s[24:25], s[44:45]
	s_andn2_b64 exec, exec, s[42:43]
	s_cbranch_execz .LBB11_1846
.LBB11_1830:                            ;   Parent Loop BB11_47 Depth=1
                                        ; =>  This Inner Loop Header: Depth=2
	s_sleep 1
	s_waitcnt vmcnt(0) lgkmcnt(0)
	flat_load_dwordx2 v[38:39], v[32:33] sc0 sc1
	s_or_b64 s[56:57], s[56:57], exec
	s_or_b64 s[46:47], s[46:47], exec
                                        ; implicit-def: $vgpr2
	s_and_saveexec_b64 s[58:59], vcc
	s_cbranch_execz .LBB11_1829
; %bb.1831:                             ;   in Loop: Header=BB11_1830 Depth=2
	s_cmpk_lt_i32 s76, 0x270f
	s_cselect_b64 s[50:51], -1, 0
	s_cmpk_gt_i32 s76, 0x270e
	s_mov_b64 s[60:61], -1
	s_cbranch_scc0 .LBB11_1833
; %bb.1832:                             ;   in Loop: Header=BB11_1830 Depth=2
	s_trap 2
	ds_read_b64 v[10:11], v0
	s_andn2_b64 s[48:49], s[50:51], exec
	s_mov_b32 s76, 0
	s_mov_b64 s[62:63], 0
	s_waitcnt vmcnt(0) lgkmcnt(0)
	flat_load_dword v2, v[10:11] sc0 sc1
	s_waitcnt vmcnt(0) lgkmcnt(0)
	buffer_inv sc0 sc1
	v_cmp_eq_u32_e64 s[24:25], 0, v2
	s_and_b64 s[24:25], s[24:25], exec
	s_or_b64 s[50:51], s[48:49], s[24:25]
	s_and_saveexec_b64 s[52:53], s[50:51]
	s_cbranch_execz .LBB11_1828
	s_branch .LBB11_1827
.LBB11_1833:                            ;   in Loop: Header=BB11_1830 Depth=2
	s_add_i32 s76, s76, 1
	s_mov_b64 s[62:63], -1
                                        ; implicit-def: $vgpr2
	s_and_saveexec_b64 s[52:53], s[50:51]
	s_cbranch_execz .LBB11_1828
	s_branch .LBB11_1827
.LBB11_1834:                            ;   in Loop: Header=BB11_47 Depth=1
	s_or_b64 exec, exec, s[28:29]
	s_and_saveexec_b64 s[24:25], s[6:7]
	s_cbranch_execz .LBB11_1858
.LBB11_1835:                            ;   in Loop: Header=BB11_47 Depth=1
	s_and_saveexec_b64 s[28:29], s[78:79]
	s_xor_b64 s[28:29], exec, s[28:29]
	s_cbranch_execz .LBB11_1866
; %bb.1836:                             ;   in Loop: Header=BB11_47 Depth=1
	s_and_saveexec_b64 s[40:41], s[14:15]
	s_cbranch_execz .LBB11_1865
; %bb.1837:                             ;   in Loop: Header=BB11_47 Depth=1
	s_mov_b64 s[44:45], exec
	v_mbcnt_lo_u32_b32 v2, s44, 0
	v_mbcnt_hi_u32_b32 v2, s45, v2
	v_cmp_eq_u32_e32 vcc, 0, v2
	s_waitcnt lgkmcnt(0)
	s_and_saveexec_b64 s[42:43], vcc
	s_cbranch_execz .LBB11_1839
; %bb.1838:                             ;   in Loop: Header=BB11_47 Depth=1
	s_bcnt1_i32_b64 s44, s[44:45]
	v_mov_b32_e32 v2, s44
	ds_add_u64 v0, v[2:3]
	s_trap 2
.LBB11_1839:                            ;   in Loop: Header=BB11_47 Depth=1
	s_or_b64 exec, exec, s[42:43]
	s_trap 2
	ds_read_b64 v[8:9], v0
	s_waitcnt lgkmcnt(0)
	v_lshl_add_u64 v[48:49], v[48:49], 0, v[52:53]
	v_cmp_lt_u64_e32 vcc, v[8:9], v[48:49]
	s_and_saveexec_b64 s[42:43], vcc
	s_cbranch_execz .LBB11_1864
; %bb.1840:                             ;   in Loop: Header=BB11_47 Depth=1
	s_mov_b32 s76, 0
	s_mov_b64 s[44:45], 0
                                        ; implicit-def: $sgpr46_sgpr47
                                        ; implicit-def: $sgpr56_sgpr57
	s_branch .LBB11_1842
.LBB11_1841:                            ;   in Loop: Header=BB11_1842 Depth=2
	s_or_b64 exec, exec, s[60:61]
	s_and_b64 s[58:59], exec, s[62:63]
	s_or_b64 s[44:45], s[58:59], s[44:45]
	s_andn2_b64 s[46:47], s[46:47], exec
	s_and_b64 s[58:59], s[56:57], exec
	s_or_b64 s[46:47], s[46:47], s[58:59]
	s_andn2_b64 exec, exec, s[44:45]
	s_cbranch_execz .LBB11_1862
.LBB11_1842:                            ;   Parent Loop BB11_47 Depth=1
                                        ; =>  This Inner Loop Header: Depth=2
	s_add_i32 s76, s76, 1
	s_cmpk_lg_i32 s76, 0x2710
	s_cselect_b64 s[58:59], -1, 0
	s_and_b64 vcc, exec, s[58:59]
	s_cbranch_vccz .LBB11_1844
; %bb.1843:                             ;   in Loop: Header=BB11_1842 Depth=2
	s_mov_b64 s[62:63], -1
	s_or_b64 s[56:57], s[56:57], exec
	s_and_saveexec_b64 s[60:61], s[58:59]
	s_cbranch_execz .LBB11_1841
	s_branch .LBB11_1845
.LBB11_1844:                            ;   in Loop: Header=BB11_1842 Depth=2
	s_trap 2
	ds_read_b64 v[8:9], v0
	s_andn2_b64 s[58:59], s[58:59], exec
	s_mov_b32 s76, 0
	s_waitcnt vmcnt(0) lgkmcnt(0)
	flat_load_dword v2, v[8:9] sc0 sc1
	s_waitcnt vmcnt(0) lgkmcnt(0)
	buffer_inv sc0 sc1
	v_cmp_eq_u32_e32 vcc, 0, v2
	s_and_b64 s[60:61], vcc, exec
	s_or_b64 s[58:59], s[58:59], s[60:61]
	s_mov_b64 s[62:63], -1
	s_or_b64 s[56:57], s[56:57], exec
	s_and_saveexec_b64 s[60:61], s[58:59]
	s_cbranch_execz .LBB11_1841
.LBB11_1845:                            ;   in Loop: Header=BB11_1842 Depth=2
	s_sleep 1
	s_trap 2
	ds_read_b64 v[8:9], v0
	s_waitcnt lgkmcnt(0)
	s_andn2_b64 s[56:57], s[56:57], exec
	v_cmp_ge_u64_e32 vcc, v[8:9], v[48:49]
	s_orn2_b64 s[62:63], vcc, exec
	s_branch .LBB11_1841
.LBB11_1846:                            ;   in Loop: Header=BB11_47 Depth=1
	s_or_b64 exec, exec, s[42:43]
	s_xor_b64 s[24:25], s[44:45], -1
	s_and_saveexec_b64 s[42:43], s[24:25]
	s_xor_b64 s[24:25], exec, s[42:43]
	s_cbranch_execz .LBB11_1848
; %bb.1847:                             ;   in Loop: Header=BB11_47 Depth=1
	v_or_b32_e32 v90, 64, v90
	s_waitcnt lgkmcnt(0)
	ds_write_b32 v0, v2
	s_trap 2
.LBB11_1848:                            ;   in Loop: Header=BB11_47 Depth=1
	s_or_b64 exec, exec, s[24:25]
.LBB11_1849:                            ;   in Loop: Header=BB11_47 Depth=1
	s_or_b64 exec, exec, s[40:41]
	v_and_b32_e32 v2, 0x100, v90
	v_cmp_ne_u32_e32 vcc, 0, v2
	v_and_b32_e32 v2, 7, v44
	s_mov_b64 s[24:25], -1
	;;#ASMSTART
	s_wakeup
	;;#ASMEND
                                        ; implicit-def: $vgpr10_vgpr11
	s_and_saveexec_b64 s[40:41], vcc
	s_cbranch_execz .LBB11_1853
; %bb.1850:                             ;   in Loop: Header=BB11_47 Depth=1
	v_mad_u64_u32 v[12:13], s[24:25], v2, 24, v[6:7]
	flat_load_dword v10, v[12:13]
	s_waitcnt vmcnt(0) lgkmcnt(0)
	v_cmp_ne_u32_e32 vcc, 1, v10
	v_cmp_eq_u32_e64 s[24:25], 1, v10
                                        ; implicit-def: $vgpr10_vgpr11
	s_and_saveexec_b64 s[42:43], s[24:25]
	s_cbranch_execz .LBB11_1852
; %bb.1851:                             ;   in Loop: Header=BB11_47 Depth=1
	flat_load_dword v10, v[12:13] offset:4 sc0 sc1
	s_waitcnt vmcnt(0) lgkmcnt(0)
	v_ashrrev_i32_e32 v11, 31, v10
	v_lshrrev_b64 v[10:11], 1, v[10:11]
.LBB11_1852:                            ;   in Loop: Header=BB11_47 Depth=1
	s_or_b64 exec, exec, s[42:43]
	s_orn2_b64 s[24:25], vcc, exec
.LBB11_1853:                            ;   in Loop: Header=BB11_47 Depth=1
	s_or_b64 exec, exec, s[40:41]
	s_and_saveexec_b64 s[40:41], s[24:25]
; %bb.1854:                             ;   in Loop: Header=BB11_47 Depth=1
	v_mad_i64_i32 v[10:11], s[24:25], v2, v30, 0
; %bb.1855:                             ;   in Loop: Header=BB11_47 Depth=1
	s_or_b64 exec, exec, s[40:41]
	v_and_b32_e32 v2, 0x2000, v90
	v_lshl_add_u64 v[10:11], v[10:11], 1, v[34:35]
	v_cmp_ne_u32_e32 vcc, 0, v2
	ds_write_b64 v0, v[10:11] offset:720
	s_and_saveexec_b64 s[24:25], vcc
	s_cbranch_execz .LBB11_1857
; %bb.1856:                             ;   in Loop: Header=BB11_47 Depth=1
	ds_read_b64 v[10:11], v0 offset:872
	s_waitcnt lgkmcnt(0)
	v_lshl_add_u64 v[10:11], v[10:11], 0, 1
	ds_write_b64 v0, v[10:11] offset:872
.LBB11_1857:                            ;   in Loop: Header=BB11_47 Depth=1
	s_or_b64 exec, exec, s[24:25]
	v_mov_b64_e32 v[44:45], v[8:9]
	s_or_b64 exec, exec, s[28:29]
	s_and_saveexec_b64 s[24:25], s[6:7]
	s_cbranch_execnz .LBB11_1835
.LBB11_1858:                            ;   in Loop: Header=BB11_47 Depth=1
	s_or_b64 exec, exec, s[24:25]
	s_and_saveexec_b64 s[24:25], s[22:23]
	s_xor_b64 s[24:25], exec, s[24:25]
	s_cbranch_execz .LBB11_1869
.LBB11_1859:                            ;   in Loop: Header=BB11_47 Depth=1
	s_trap 2
	ds_read_b32 v2, v0
	v_sub_u32_e32 v8, v62, v14
	v_min_i32_e32 v8, v63, v8
	v_cmp_lt_i32_e32 vcc, 0, v8
	s_waitcnt lgkmcnt(0)
	v_readfirstlane_b32 s28, v2
	s_cmp_eq_u32 s28, 0
	s_cselect_b64 s[28:29], -1, 0
	v_and_b32_e32 v2, 16, v90
	s_and_b64 s[28:29], vcc, s[28:29]
	v_cmp_ne_u32_e32 vcc, 0, v2
	s_and_b64 s[40:41], vcc, s[28:29]
	s_and_saveexec_b64 s[28:29], s[40:41]
	s_cbranch_execz .LBB11_1861
; %bb.1860:                             ;   in Loop: Header=BB11_47 Depth=1
	buffer_wbl2 sc1
	s_waitcnt vmcnt(0)
	buffer_inv sc1
.LBB11_1861:                            ;   in Loop: Header=BB11_47 Depth=1
	s_or_b64 exec, exec, s[28:29]
	s_andn2_saveexec_b64 s[24:25], s[24:25]
	s_cbranch_execz .LBB11_1888
	s_branch .LBB11_1870
.LBB11_1862:                            ;   in Loop: Header=BB11_47 Depth=1
	s_or_b64 exec, exec, s[44:45]
	s_and_saveexec_b64 s[44:45], s[46:47]
	s_xor_b64 s[44:45], exec, s[44:45]
	s_cbranch_execz .LBB11_1864
; %bb.1863:                             ;   in Loop: Header=BB11_47 Depth=1
	ds_write_b32 v0, v94
	s_trap 2
.LBB11_1864:                            ;   in Loop: Header=BB11_47 Depth=1
	s_or_b64 exec, exec, s[42:43]
	;;#ASMSTART
	s_wakeup
	;;#ASMEND
.LBB11_1865:                            ;   in Loop: Header=BB11_47 Depth=1
	s_or_b64 exec, exec, s[40:41]
.LBB11_1866:                            ;   in Loop: Header=BB11_47 Depth=1
	s_andn2_saveexec_b64 s[28:29], s[28:29]
	s_cbranch_execz .LBB11_1868
; %bb.1867:                             ;   in Loop: Header=BB11_47 Depth=1
	s_waitcnt lgkmcnt(0)
	s_barrier
.LBB11_1868:                            ;   in Loop: Header=BB11_47 Depth=1
	s_or_b64 exec, exec, s[28:29]
	s_or_b64 exec, exec, s[24:25]
	s_and_saveexec_b64 s[24:25], s[22:23]
	s_xor_b64 s[24:25], exec, s[24:25]
	s_cbranch_execnz .LBB11_1859
.LBB11_1869:                            ;   in Loop: Header=BB11_47 Depth=1
	s_andn2_saveexec_b64 s[24:25], s[24:25]
	s_cbranch_execz .LBB11_1888
.LBB11_1870:                            ;   in Loop: Header=BB11_47 Depth=1
	s_and_saveexec_b64 s[28:29], s[78:79]
	s_xor_b64 s[28:29], exec, s[28:29]
	s_cbranch_execz .LBB11_1885
; %bb.1871:                             ;   in Loop: Header=BB11_47 Depth=1
	s_and_saveexec_b64 s[40:41], s[14:15]
	s_cbranch_execz .LBB11_1884
; %bb.1872:                             ;   in Loop: Header=BB11_47 Depth=1
	s_mov_b64 s[44:45], exec
	v_mbcnt_lo_u32_b32 v2, s44, 0
	v_mbcnt_hi_u32_b32 v2, s45, v2
	v_cmp_eq_u32_e32 vcc, 0, v2
	;;#ASMSTART
	s_waitcnt lgkmcnt(0) vmcnt(0)
	;;#ASMEND
	s_and_saveexec_b64 s[42:43], vcc
	s_cbranch_execz .LBB11_1874
; %bb.1873:                             ;   in Loop: Header=BB11_47 Depth=1
	s_bcnt1_i32_b64 s44, s[44:45]
	v_mov_b32_e32 v2, s44
	s_waitcnt lgkmcnt(0)
	ds_add_u64 v0, v[2:3]
	s_trap 2
.LBB11_1874:                            ;   in Loop: Header=BB11_47 Depth=1
	s_or_b64 exec, exec, s[42:43]
	s_trap 2
	ds_read_b64 v[8:9], v0
	s_waitcnt lgkmcnt(0)
	v_lshl_add_u64 v[48:49], v[48:49], 0, v[52:53]
	v_cmp_lt_u64_e32 vcc, v[8:9], v[48:49]
	s_and_saveexec_b64 s[42:43], vcc
	s_cbranch_execz .LBB11_1883
; %bb.1875:                             ;   in Loop: Header=BB11_47 Depth=1
	s_mov_b32 s76, 0
	s_mov_b64 s[44:45], 0
                                        ; implicit-def: $sgpr46_sgpr47
                                        ; implicit-def: $sgpr56_sgpr57
	s_branch .LBB11_1877
.LBB11_1876:                            ;   in Loop: Header=BB11_1877 Depth=2
	s_or_b64 exec, exec, s[60:61]
	s_and_b64 s[58:59], exec, s[62:63]
	s_or_b64 s[44:45], s[58:59], s[44:45]
	s_andn2_b64 s[46:47], s[46:47], exec
	s_and_b64 s[58:59], s[56:57], exec
	s_or_b64 s[46:47], s[46:47], s[58:59]
	s_andn2_b64 exec, exec, s[44:45]
	s_cbranch_execz .LBB11_1881
.LBB11_1877:                            ;   Parent Loop BB11_47 Depth=1
                                        ; =>  This Inner Loop Header: Depth=2
	s_add_i32 s76, s76, 1
	s_cmpk_lg_i32 s76, 0x2710
	s_cselect_b64 s[58:59], -1, 0
	s_and_b64 vcc, exec, s[58:59]
	s_cbranch_vccz .LBB11_1879
; %bb.1878:                             ;   in Loop: Header=BB11_1877 Depth=2
	s_mov_b64 s[62:63], -1
	s_or_b64 s[56:57], s[56:57], exec
	s_and_saveexec_b64 s[60:61], s[58:59]
	s_cbranch_execz .LBB11_1876
	s_branch .LBB11_1880
.LBB11_1879:                            ;   in Loop: Header=BB11_1877 Depth=2
	s_trap 2
	ds_read_b64 v[8:9], v0
	s_andn2_b64 s[58:59], s[58:59], exec
	s_mov_b32 s76, 0
	s_waitcnt vmcnt(0) lgkmcnt(0)
	flat_load_dword v2, v[8:9] sc0 sc1
	s_waitcnt vmcnt(0) lgkmcnt(0)
	buffer_inv sc0 sc1
	v_cmp_eq_u32_e32 vcc, 0, v2
	s_and_b64 s[60:61], vcc, exec
	s_or_b64 s[58:59], s[58:59], s[60:61]
	s_mov_b64 s[62:63], -1
	s_or_b64 s[56:57], s[56:57], exec
	s_and_saveexec_b64 s[60:61], s[58:59]
	s_cbranch_execz .LBB11_1876
.LBB11_1880:                            ;   in Loop: Header=BB11_1877 Depth=2
	s_sleep 1
	s_trap 2
	ds_read_b64 v[8:9], v0
	s_waitcnt lgkmcnt(0)
	s_andn2_b64 s[56:57], s[56:57], exec
	v_cmp_ge_u64_e32 vcc, v[8:9], v[48:49]
	s_orn2_b64 s[62:63], vcc, exec
	s_branch .LBB11_1876
.LBB11_1881:                            ;   in Loop: Header=BB11_47 Depth=1
	s_or_b64 exec, exec, s[44:45]
	s_and_saveexec_b64 s[44:45], s[46:47]
	s_xor_b64 s[44:45], exec, s[44:45]
	s_cbranch_execz .LBB11_1883
; %bb.1882:                             ;   in Loop: Header=BB11_47 Depth=1
	ds_write_b32 v0, v94
	s_trap 2
.LBB11_1883:                            ;   in Loop: Header=BB11_47 Depth=1
	s_or_b64 exec, exec, s[42:43]
	;;#ASMSTART
	s_wakeup
	;;#ASMEND
.LBB11_1884:                            ;   in Loop: Header=BB11_47 Depth=1
	s_or_b64 exec, exec, s[40:41]
.LBB11_1885:                            ;   in Loop: Header=BB11_47 Depth=1
	s_andn2_saveexec_b64 s[28:29], s[28:29]
	s_cbranch_execz .LBB11_1887
; %bb.1886:                             ;   in Loop: Header=BB11_47 Depth=1
	;;#ASMSTART
	s_waitcnt lgkmcnt(0) vmcnt(0)
	;;#ASMEND
	s_barrier
.LBB11_1887:                            ;   in Loop: Header=BB11_47 Depth=1
	s_or_b64 exec, exec, s[28:29]
.LBB11_1888:                            ;   in Loop: Header=BB11_47 Depth=1
	s_or_b64 exec, exec, s[24:25]
	v_and_b32_e32 v2, 32, v90
	v_cmp_ne_u32_e32 vcc, 0, v2
	s_and_saveexec_b64 s[24:25], vcc
	s_cbranch_execz .LBB11_45
; %bb.1889:                             ;   in Loop: Header=BB11_47 Depth=1
	v_lshl_add_u64 v[44:45], v[44:45], 0, 4
	flat_store_dwordx2 v[32:33], v[44:45] sc0 sc1
	s_branch .LBB11_45
.LBB11_1890:
	s_or_b64 exec, exec, s[30:31]
	scratch_load_dword v21, off, s33 offset:272 ; 4-byte Folded Reload
	v_readlane_b32 s4, v126, 0
	v_readlane_b32 s5, v126, 1
.LBB11_1891:
	s_or_b64 exec, exec, s[4:5]
	v_and_b32_e32 v0, 0x800, v90
	v_cmp_eq_u32_e32 vcc, 0, v0
	s_and_saveexec_b64 s[2:3], vcc
	s_cbranch_execz .LBB11_1924
; %bb.1892:
	v_and_b32_e32 v0, 48, v90
	v_cmp_ne_u32_e32 vcc, 0, v0
	s_and_saveexec_b64 s[0:1], vcc
	s_cbranch_execz .LBB11_1894
; %bb.1893:
	scratch_load_dwordx2 v[2:3], off, s33 offset:264 ; 8-byte Folded Reload
	s_waitcnt vmcnt(0)
	flat_store_dwordx2 v[2:3], v[44:45] offset:104
.LBB11_1894:
	s_or_b64 exec, exec, s[0:1]
	s_movk_i32 s0, 0x88
	v_and_b32_e32 v0, 0x88, v90
	v_cmp_eq_u32_e32 vcc, s0, v0
	s_and_saveexec_b64 s[4:5], vcc
	s_cbranch_execz .LBB11_1904
; %bb.1895:
	v_bitop3_b32 v0, v44, 4, 7 bitop3:0x6c
	v_mad_u64_u32 v[2:3], s[0:1], v0, 24, v[6:7]
	flat_load_dwordx2 v[4:5], v[2:3] offset:8 sc0 sc1
	s_waitcnt vmcnt(0)
	v_and_b32_e32 v0, 64, v90
	v_cmp_eq_u32_e64 s[0:1], 0, v0
	s_mov_b32 s18, 0
	s_waitcnt lgkmcnt(0)
	v_cmp_ne_u64_e32 vcc, -1, v[4:5]
	s_and_b64 s[0:1], vcc, s[0:1]
	s_and_b64 exec, exec, s[0:1]
	s_cbranch_execz .LBB11_1904
; %bb.1896:
	s_mov_b64 s[0:1], 0
                                        ; implicit-def: $sgpr6_sgpr7
                                        ; implicit-def: $sgpr10_sgpr11
	s_branch .LBB11_1899
.LBB11_1897:                            ;   in Loop: Header=BB11_1899 Depth=1
	flat_load_dwordx2 v[4:5], v[2:3] offset:8 sc0 sc1
	s_waitcnt vmcnt(0)
	s_andn2_b64 s[10:11], s[10:11], exec
	s_waitcnt lgkmcnt(0)
	v_cmp_eq_u64_e32 vcc, -1, v[4:5]
	s_orn2_b64 s[14:15], vcc, exec
.LBB11_1898:                            ;   in Loop: Header=BB11_1899 Depth=1
	s_or_b64 exec, exec, s[16:17]
	s_and_b64 s[12:13], exec, s[14:15]
	s_or_b64 s[0:1], s[12:13], s[0:1]
	s_andn2_b64 s[6:7], s[6:7], exec
	s_and_b64 s[12:13], s[10:11], exec
	s_or_b64 s[6:7], s[6:7], s[12:13]
	s_andn2_b64 exec, exec, s[0:1]
	s_cbranch_execz .LBB11_1902
.LBB11_1899:                            ; =>This Inner Loop Header: Depth=1
	s_cmpk_lt_i32 s18, 0x270f
	s_cselect_b64 s[12:13], -1, 0
	s_and_b64 vcc, exec, s[12:13]
	s_cbranch_vccnz .LBB11_1901
; %bb.1900:                             ;   in Loop: Header=BB11_1899 Depth=1
	s_trap 2
	ds_read_b64 v[4:5], v0
	s_andn2_b64 s[12:13], s[12:13], exec
	s_mov_b32 s18, 0
	s_waitcnt lgkmcnt(0)
	flat_load_dword v0, v[4:5] sc0 sc1
	s_waitcnt vmcnt(0) lgkmcnt(0)
	buffer_inv sc0 sc1
	v_cmp_eq_u32_e32 vcc, 0, v0
	s_and_b64 s[14:15], vcc, exec
	s_or_b64 s[12:13], s[12:13], s[14:15]
	s_mov_b64 s[14:15], -1
	s_or_b64 s[10:11], s[10:11], exec
	s_and_saveexec_b64 s[16:17], s[12:13]
	s_cbranch_execz .LBB11_1898
	s_branch .LBB11_1897
.LBB11_1901:                            ;   in Loop: Header=BB11_1899 Depth=1
	s_add_i32 s18, s18, 1
                                        ; implicit-def: $vgpr0
	s_mov_b64 s[14:15], -1
	s_or_b64 s[10:11], s[10:11], exec
	s_and_saveexec_b64 s[16:17], s[12:13]
	s_cbranch_execz .LBB11_1898
	s_branch .LBB11_1897
.LBB11_1902:
	s_or_b64 exec, exec, s[0:1]
	s_and_saveexec_b64 s[0:1], s[6:7]
	s_xor_b64 s[0:1], exec, s[0:1]
	s_cbranch_execz .LBB11_1904
; %bb.1903:
	ds_write_b32 v0, v0
	s_trap 2
.LBB11_1904:
	s_or_b64 exec, exec, s[4:5]
	v_and_b32_e32 v0, 0x2000, v90
	v_cmp_ne_u32_e32 vcc, 0, v0
	s_and_saveexec_b64 s[0:1], vcc
	s_cbranch_execz .LBB11_1906
; %bb.1905:
	scratch_load_dwordx2 v[4:5], off, s33 offset:276 ; 8-byte Folded Reload
	ds_read_b64 v[2:3], v0 offset:872
	s_waitcnt vmcnt(0) lgkmcnt(0)
	flat_store_dwordx2 v[4:5], v[2:3] offset:16
.LBB11_1906:
	s_or_b64 exec, exec, s[0:1]
	v_cmp_ne_u32_e32 vcc, 64, v1
	s_and_b64 exec, exec, vcc
	s_cbranch_execz .LBB11_1924
; %bb.1907:
	s_waitcnt vmcnt(0)
	v_cmp_ne_u32_sdwa s[0:1], v1, v21 src0_sel:DWORD src1_sel:WORD_0
	s_and_saveexec_b64 s[4:5], s[0:1]
	s_xor_b64 s[0:1], exec, s[4:5]
	s_cbranch_execz .LBB11_1922
; %bb.1908:
	v_and_b32_e32 v0, 63, v31
	v_cmp_eq_u32_e32 vcc, 0, v0
	s_and_saveexec_b64 s[4:5], vcc
	s_cbranch_execz .LBB11_1921
; %bb.1909:
	s_mov_b64 s[10:11], exec
	v_mbcnt_lo_u32_b32 v0, s10, 0
	v_mbcnt_hi_u32_b32 v0, s11, v0
	v_cmp_eq_u32_e32 vcc, 0, v0
	s_waitcnt lgkmcnt(0)
	s_and_saveexec_b64 s[6:7], vcc
	s_cbranch_execz .LBB11_1911
; %bb.1910:
	s_bcnt1_i32_b64 s10, s[10:11]
	v_mov_b32_e32 v2, s10
	v_mov_b32_e32 v3, 0
	ds_add_u64 v0, v[2:3]
	s_trap 2
.LBB11_1911:
	s_or_b64 exec, exec, s[6:7]
	s_trap 2
	ds_read_b64 v[2:3], v0
	s_waitcnt lgkmcnt(0)
	v_lshrrev_b32_e32 v0, 6, v1
	v_mov_b32_e32 v1, 0
	v_lshl_add_u64 v[0:1], v[48:49], 0, v[0:1]
	v_cmp_lt_u64_e32 vcc, v[2:3], v[0:1]
	s_and_saveexec_b64 s[6:7], vcc
	s_cbranch_execz .LBB11_1920
; %bb.1912:
	s_mov_b32 s22, 0
	s_mov_b64 s[10:11], 0
                                        ; implicit-def: $sgpr12_sgpr13
                                        ; implicit-def: $sgpr14_sgpr15
	s_branch .LBB11_1914
.LBB11_1913:                            ;   in Loop: Header=BB11_1914 Depth=1
	s_or_b64 exec, exec, s[18:19]
	s_and_b64 s[16:17], exec, s[20:21]
	s_or_b64 s[10:11], s[16:17], s[10:11]
	s_andn2_b64 s[12:13], s[12:13], exec
	s_and_b64 s[16:17], s[14:15], exec
	s_or_b64 s[12:13], s[12:13], s[16:17]
	s_andn2_b64 exec, exec, s[10:11]
	s_cbranch_execz .LBB11_1918
.LBB11_1914:                            ; =>This Inner Loop Header: Depth=1
	s_add_i32 s22, s22, 1
	s_cmpk_lg_i32 s22, 0x2710
	s_cselect_b64 s[16:17], -1, 0
	s_and_b64 vcc, exec, s[16:17]
	s_cbranch_vccz .LBB11_1916
; %bb.1915:                             ;   in Loop: Header=BB11_1914 Depth=1
	s_mov_b64 s[20:21], -1
	s_or_b64 s[14:15], s[14:15], exec
	s_and_saveexec_b64 s[18:19], s[16:17]
	s_cbranch_execz .LBB11_1913
	s_branch .LBB11_1917
.LBB11_1916:                            ;   in Loop: Header=BB11_1914 Depth=1
	s_trap 2
	ds_read_b64 v[2:3], v0
	s_andn2_b64 s[16:17], s[16:17], exec
	s_mov_b32 s22, 0
	s_waitcnt lgkmcnt(0)
	flat_load_dword v2, v[2:3] sc0 sc1
	s_waitcnt vmcnt(0) lgkmcnt(0)
	buffer_inv sc0 sc1
	v_cmp_eq_u32_e32 vcc, 0, v2
	s_and_b64 s[18:19], vcc, exec
	s_or_b64 s[16:17], s[16:17], s[18:19]
	s_mov_b64 s[20:21], -1
	s_or_b64 s[14:15], s[14:15], exec
	s_and_saveexec_b64 s[18:19], s[16:17]
	s_cbranch_execz .LBB11_1913
.LBB11_1917:                            ;   in Loop: Header=BB11_1914 Depth=1
	s_sleep 1
	s_trap 2
	ds_read_b64 v[2:3], v0
	s_waitcnt lgkmcnt(0)
	s_andn2_b64 s[14:15], s[14:15], exec
	v_cmp_ge_u64_e32 vcc, v[2:3], v[0:1]
	s_orn2_b64 s[20:21], vcc, exec
	s_branch .LBB11_1913
.LBB11_1918:
	s_or_b64 exec, exec, s[10:11]
	s_and_saveexec_b64 s[10:11], s[12:13]
	s_xor_b64 s[10:11], exec, s[10:11]
	s_cbranch_execz .LBB11_1920
; %bb.1919:
	v_mov_b32_e32 v0, 1
	ds_write_b32 v0, v0
	s_trap 2
.LBB11_1920:
	s_or_b64 exec, exec, s[6:7]
	;;#ASMSTART
	s_wakeup
	;;#ASMEND
.LBB11_1921:
	s_or_b64 exec, exec, s[4:5]
.LBB11_1922:
	s_andn2_saveexec_b64 s[0:1], s[0:1]
	s_cbranch_execz .LBB11_1924
; %bb.1923:
	s_waitcnt lgkmcnt(0)
	s_barrier
.LBB11_1924:
	s_or_b64 exec, exec, s[2:3]
.LBB11_1925:
	s_andn2_saveexec_b64 s[22:23], s[72:73]
	s_cbranch_execz .LBB11_1927
; %bb.1926:
	s_getpc_b64 s[0:1]
	s_add_u32 s0, s0, __PRETTY_FUNCTION__._ZN10PrimitivesI12hip_bfloat1610FuncMinMaxIS0_E12FanSymmetricILi1EELi0E11ProtoSimpleILi1ELi4ELi1ELi1ELi0ELi0EELi0ELb0ELi0ELi1ELi1EEC2EiiPKiS9_PKvPvmhhhP15ncclDevWorkCollP14ncclDevWorkP2pii@rel32@lo+4
	s_addc_u32 s1, s1, __PRETTY_FUNCTION__._ZN10PrimitivesI12hip_bfloat1610FuncMinMaxIS0_E12FanSymmetricILi1EELi0E11ProtoSimpleILi1ELi4ELi1ELi1ELi0ELi0EELi0ELb0ELi0ELi1ELi1EEC2EiiPKiS9_PKvPvmhhhP15ncclDevWorkCollP14ncclDevWorkP2pii@rel32@hi+12
	s_getpc_b64 s[2:3]
	s_add_u32 s2, s2, __assert_fail@rel32@lo+4
	s_addc_u32 s3, s3, __assert_fail@rel32@hi+12
	v_mov_b32_e32 v0, s0
	v_mov_b32_e32 v1, s1
	s_swappc_b64 s[30:31], s[2:3]
	; divergent unreachable
.LBB11_1927:
	s_or_b64 exec, exec, s[22:23]
	scratch_load_dword v125, off, s33       ; 4-byte Folded Reload
	scratch_load_dword v124, off, s33 offset:4 ; 4-byte Folded Reload
	scratch_load_dword v123, off, s33 offset:8 ; 4-byte Folded Reload
	;; [unrolled: 1-line block ×45, first 2 shown]
	v_readlane_b32 s30, v127, 34
	v_readlane_b32 s31, v127, 35
	;; [unrolled: 1-line block ×36, first 2 shown]
	s_mov_b32 s32, s33
	v_readlane_b32 s0, v127, 36
	s_or_saveexec_b64 s[2:3], -1
	scratch_load_dword v127, off, s33 offset:284 ; 4-byte Folded Reload
	scratch_load_dword v126, off, s33 offset:288 ; 4-byte Folded Reload
	s_mov_b64 exec, s[2:3]
	s_mov_b32 s33, s0
	s_waitcnt vmcnt(0) lgkmcnt(0)
	s_setpc_b64 s[30:31]
.Lfunc_end11:
	.size	_ZN12_GLOBAL__N_17runRingI12hip_bfloat1610FuncMinMaxIS1_E11ProtoSimpleILi1ELi4ELi1ELi1ELi0ELi0EELi0ELi1ELi1ELi1EEEviiP15ncclDevWorkColl, .Lfunc_end11-_ZN12_GLOBAL__N_17runRingI12hip_bfloat1610FuncMinMaxIS1_E11ProtoSimpleILi1ELi4ELi1ELi1ELi0ELi0EELi0ELi1ELi1ELi1EEEviiP15ncclDevWorkColl
                                        ; -- End function
	.set .L_ZN12_GLOBAL__N_17runRingI12hip_bfloat1610FuncMinMaxIS1_E11ProtoSimpleILi1ELi4ELi1ELi1ELi0ELi0EELi0ELi1ELi1ELi1EEEviiP15ncclDevWorkColl.num_vgpr, max(128, .L__assert_fail.num_vgpr)
	.set .L_ZN12_GLOBAL__N_17runRingI12hip_bfloat1610FuncMinMaxIS1_E11ProtoSimpleILi1ELi4ELi1ELi1ELi0ELi0EELi0ELi1ELi1ELi1EEEviiP15ncclDevWorkColl.num_agpr, max(0, .L__assert_fail.num_agpr)
	.set .L_ZN12_GLOBAL__N_17runRingI12hip_bfloat1610FuncMinMaxIS1_E11ProtoSimpleILi1ELi4ELi1ELi1ELi0ELi0EELi0ELi1ELi1ELi1EEEviiP15ncclDevWorkColl.numbered_sgpr, max(100, .L__assert_fail.numbered_sgpr)
	.set .L_ZN12_GLOBAL__N_17runRingI12hip_bfloat1610FuncMinMaxIS1_E11ProtoSimpleILi1ELi4ELi1ELi1ELi0ELi0EELi0ELi1ELi1ELi1EEEviiP15ncclDevWorkColl.num_named_barrier, max(0, .L__assert_fail.num_named_barrier)
	.set .L_ZN12_GLOBAL__N_17runRingI12hip_bfloat1610FuncMinMaxIS1_E11ProtoSimpleILi1ELi4ELi1ELi1ELi0ELi0EELi0ELi1ELi1ELi1EEEviiP15ncclDevWorkColl.private_seg_size, 304+max(.L__assert_fail.private_seg_size)
	.set .L_ZN12_GLOBAL__N_17runRingI12hip_bfloat1610FuncMinMaxIS1_E11ProtoSimpleILi1ELi4ELi1ELi1ELi0ELi0EELi0ELi1ELi1ELi1EEEviiP15ncclDevWorkColl.uses_vcc, or(1, .L__assert_fail.uses_vcc)
	.set .L_ZN12_GLOBAL__N_17runRingI12hip_bfloat1610FuncMinMaxIS1_E11ProtoSimpleILi1ELi4ELi1ELi1ELi0ELi0EELi0ELi1ELi1ELi1EEEviiP15ncclDevWorkColl.uses_flat_scratch, or(0, .L__assert_fail.uses_flat_scratch)
	.set .L_ZN12_GLOBAL__N_17runRingI12hip_bfloat1610FuncMinMaxIS1_E11ProtoSimpleILi1ELi4ELi1ELi1ELi0ELi0EELi0ELi1ELi1ELi1EEEviiP15ncclDevWorkColl.has_dyn_sized_stack, or(0, .L__assert_fail.has_dyn_sized_stack)
	.set .L_ZN12_GLOBAL__N_17runRingI12hip_bfloat1610FuncMinMaxIS1_E11ProtoSimpleILi1ELi4ELi1ELi1ELi0ELi0EELi0ELi1ELi1ELi1EEEviiP15ncclDevWorkColl.has_recursion, or(1, .L__assert_fail.has_recursion)
	.set .L_ZN12_GLOBAL__N_17runRingI12hip_bfloat1610FuncMinMaxIS1_E11ProtoSimpleILi1ELi4ELi1ELi1ELi0ELi0EELi0ELi1ELi1ELi1EEEviiP15ncclDevWorkColl.has_indirect_call, or(0, .L__assert_fail.has_indirect_call)
	.section	.AMDGPU.csdata,"",@progbits
; Function info:
; codeLenInByte = 64476
; TotalNumSgprs: 106
; NumVgprs: 128
; NumAgprs: 0
; TotalNumVgprs: 128
; ScratchSize: 368
; MemoryBound: 1
	.text
	.p2align	2                               ; -- Begin function _ZN12_GLOBAL__N_17runRingI12hip_bfloat1610FuncMinMaxIS1_E11ProtoSimpleILi2ELi2ELi1ELi1ELi0ELi0EELi0ELi1ELi1ELi1EEEviiP15ncclDevWorkColl
	.type	_ZN12_GLOBAL__N_17runRingI12hip_bfloat1610FuncMinMaxIS1_E11ProtoSimpleILi2ELi2ELi1ELi1ELi0ELi0EELi0ELi1ELi1ELi1EEEviiP15ncclDevWorkColl,@function
_ZN12_GLOBAL__N_17runRingI12hip_bfloat1610FuncMinMaxIS1_E11ProtoSimpleILi2ELi2ELi1ELi1ELi0ELi0EELi0ELi1ELi1ELi1EEEviiP15ncclDevWorkColl: ; @_ZN12_GLOBAL__N_17runRingI12hip_bfloat1610FuncMinMaxIS1_E11ProtoSimpleILi2ELi2ELi1ELi1ELi0ELi0EELi0ELi1ELi1ELi1EEEviiP15ncclDevWorkColl
; %bb.0:
	s_waitcnt vmcnt(0) expcnt(0) lgkmcnt(0)
	s_mov_b32 s0, s33
	s_mov_b32 s33, s32
	s_or_saveexec_b64 s[2:3], -1
	scratch_store_dword off, v127, s33 offset:308 ; 4-byte Folded Spill
	scratch_store_dword off, v126, s33 offset:312 ; 4-byte Folded Spill
	s_mov_b64 exec, s[2:3]
	v_writelane_b32 v127, s0, 36
	s_addk_i32 s32, 0x140
	scratch_store_dword off, v40, s33 offset:180 ; 4-byte Folded Spill
	scratch_store_dword off, v41, s33 offset:176 ; 4-byte Folded Spill
	;; [unrolled: 1-line block ×45, first 2 shown]
	scratch_store_dword off, v125, s33      ; 4-byte Folded Spill
	v_writelane_b32 v127, s34, 0
	v_writelane_b32 v127, s35, 1
	;; [unrolled: 1-line block ×35, first 2 shown]
	s_nop 1
	v_writelane_b32 v127, s31, 35
	s_trap 2
	flat_load_dword v9, v[2:3]
	ds_read_b32 v6, v0
                                        ; implicit-def: $vgpr14_vgpr15
                                        ; implicit-def: $vgpr4_vgpr5
                                        ; kill: killed $vgpr4_vgpr5
                                        ; implicit-def: $vgpr22_vgpr23
	s_waitcnt lgkmcnt(0)
	v_readfirstlane_b32 s70, v6
	s_waitcnt vmcnt(0)
	v_cmp_ne_u32_sdwa s[0:1], v6, v9 src0_sel:DWORD src1_sel:BYTE_0
	s_and_saveexec_b64 s[2:3], s[0:1]
	s_xor_b64 s[0:1], exec, s[2:3]
	s_cbranch_execz .LBB12_6
; %bb.1:
	v_not_b32_sdwa v8, v9 dst_sel:DWORD dst_unused:UNUSED_PAD src0_sel:BYTE_0
	v_cmp_ne_u32_sdwa s[2:3], v6, v9 src0_sel:DWORD src1_sel:BYTE_1
                                        ; implicit-def: $vgpr14_vgpr15
                                        ; implicit-def: $vgpr4_vgpr5
                                        ; kill: killed $vgpr4_vgpr5
                                        ; implicit-def: $vgpr22_vgpr23
	s_and_saveexec_b64 s[4:5], s[2:3]
	s_xor_b64 s[2:3], exec, s[4:5]
	s_cbranch_execz .LBB12_3
; %bb.2:
	flat_load_dwordx4 v[10:13], v[2:3] offset:72
	flat_load_dwordx2 v[4:5], v[2:3] offset:96
	v_add_u32_e32 v6, v6, v8
	v_ashrrev_i32_e32 v7, 31, v6
	s_waitcnt vmcnt(0) lgkmcnt(0)
	v_mul_lo_u32 v7, v12, v7
	v_mad_u64_u32 v[8:9], s[4:5], v12, v6, v[10:11]
	v_mul_lo_u32 v6, v13, v6
	v_add3_u32 v9, v6, v9, v7
	v_lshrrev_b64 v[14:15], 13, v[4:5]
	scratch_store_dwordx2 off, v[8:9], s33 offset:256 ; 8-byte Folded Spill
	v_mov_b64_e32 v[22:23], v[12:13]
                                        ; implicit-def: $vgpr9
                                        ; implicit-def: $vgpr8
.LBB12_3:
	s_andn2_saveexec_b64 s[2:3], s[2:3]
	s_cbranch_execz .LBB12_5
; %bb.4:
	flat_load_dwordx4 v[10:13], v[2:3] offset:72
	flat_load_dwordx4 v[22:25], v[2:3] offset:88
	v_add_u32_sdwa v6, v9, v8 dst_sel:DWORD dst_unused:UNUSED_PAD src0_sel:BYTE_1 src1_sel:DWORD
	v_ashrrev_i32_e32 v8, 31, v6
	s_waitcnt vmcnt(0) lgkmcnt(0)
	v_mul_lo_u32 v8, v12, v8
	v_mad_u64_u32 v[4:5], s[4:5], v12, v6, v[10:11]
	v_mul_lo_u32 v6, v13, v6
	v_add3_u32 v5, v6, v5, v8
	v_lshrrev_b32_e32 v14, 2, v25
	scratch_store_dwordx2 off, v[4:5], s33 offset:256 ; 8-byte Folded Spill
.LBB12_5:
	s_or_b64 exec, exec, s[2:3]
.LBB12_6:
	s_andn2_saveexec_b64 s[0:1], s[0:1]
	s_cbranch_execz .LBB12_8
; %bb.7:
	flat_load_dwordx2 v[6:7], v[2:3] offset:96
	flat_load_dwordx2 v[22:23], v[2:3] offset:72
	v_mov_b64_e32 v[4:5], 0
	scratch_store_dwordx2 off, v[4:5], s33 offset:256 ; 8-byte Folded Spill
	s_waitcnt vmcnt(0) lgkmcnt(0)
	v_lshlrev_b64 v[14:15], 8, v[6:7]
.LBB12_8:
	s_or_b64 exec, exec, s[0:1]
	s_trap 2
	ds_read_b64 v[6:7], v0
	s_waitcnt lgkmcnt(0)
	v_cmp_ne_u32_e32 vcc, -1, v6
	s_nop 1
	v_cndmask_b32_e64 v15, 0, 1, vcc
	v_cmp_ne_u32_e32 vcc, -1, v7
	s_nop 1
	v_addc_co_u32_e64 v8, s[0:1], 0, v15, vcc
	v_lshlrev_b32_e32 v6, 1, v8
	v_cmp_le_u32_e64 s[0:1], v6, v1
	s_and_saveexec_b64 s[2:3], s[0:1]
	s_xor_b64 s[2:3], exec, s[2:3]
                                        ; implicit-def: $vgpr126 : SGPR spill to VGPR lane
	v_writelane_b32 v126, s2, 0
	s_nop 1
	v_writelane_b32 v126, s3, 1
	s_cbranch_execz .LBB12_1945
; %bb.9:
	flat_load_dwordx4 v[10:13], v[2:3] offset:16
	flat_load_dwordx2 v[16:17], v[2:3] offset:104
	flat_load_ushort v7, v[2:3] offset:8
	flat_load_dword v6, v[2:3] offset:4
	s_trap 2
	s_load_dword s0, s[8:9], 0x0
	v_mov_b32_e32 v9, 0
	v_mov_b32_e32 v94, 4
	s_waitcnt lgkmcnt(0)
	s_cmp_lt_u32 s12, s0
	s_cselect_b32 s0, 12, 18
	s_add_u32 s0, s8, s0
	s_addc_u32 s1, s9, 0
	global_load_ushort v21, v9, s[0:1]
	ds_read_b32 v9, v0
	v_cmp_ge_u32_e64 s[0:1], v0, v15
	s_waitcnt lgkmcnt(0)
	v_readfirstlane_b32 s20, v9
	s_and_saveexec_b64 s[2:3], s[0:1]
	s_cbranch_execz .LBB12_19
; %bb.10:
	v_cmp_ge_u32_e64 s[0:1], v0, v8
                                        ; implicit-def: $vgpr94
	s_and_saveexec_b64 s[4:5], s[0:1]
	s_xor_b64 s[0:1], exec, s[4:5]
	s_cbranch_execz .LBB12_16
; %bb.11:
	v_cndmask_b32_e64 v9, 0, 1, vcc
	v_sub_u32_e32 v9, v1, v9
	v_cmp_ge_u32_e32 vcc, v0, v9
	s_and_saveexec_b64 s[4:5], vcc
	s_xor_b64 s[4:5], exec, s[4:5]
; %bb.12:
                                        ; implicit-def: $vgpr8
; %bb.13:
	s_or_saveexec_b64 s[4:5], s[4:5]
	v_mov_b32_e32 v94, 16
	s_xor_b64 exec, exec, s[4:5]
; %bb.14:
	v_sub_u32_e32 v8, v1, v8
	v_cmp_lt_i32_e32 vcc, v0, v8
	s_nop 1
	v_cndmask_b32_e64 v94, 32, 0, vcc
; %bb.15:
	s_or_b64 exec, exec, s[4:5]
.LBB12_16:
	s_andn2_saveexec_b64 s[0:1], s[0:1]
; %bb.17:
	v_mov_b32_e32 v94, 8
; %bb.18:
	s_or_b64 exec, exec, s[0:1]
.LBB12_19:
	s_or_b64 exec, exec, s[2:3]
	v_and_b32_e32 v8, 36, v94
	v_cmp_ne_u32_e32 vcc, 0, v8
	v_mov_b32_e32 v8, -1
	s_and_saveexec_b64 s[0:1], vcc
	s_cbranch_execz .LBB12_21
; %bb.20:
	s_trap 2
	ds_read_b32 v8, v0
.LBB12_21:
	s_or_b64 exec, exec, s[0:1]
	v_and_b32_e32 v9, 24, v94
	v_cmp_ne_u32_e64 s[0:1], 0, v9
	s_and_saveexec_b64 s[2:3], s[0:1]
	s_cbranch_execz .LBB12_23
; %bb.22:
	s_trap 2
	s_waitcnt lgkmcnt(0)
	ds_read_b32 v8, v0
.LBB12_23:
	s_or_b64 exec, exec, s[2:3]
	s_waitcnt vmcnt(0)
	v_lshrrev_b64 v[6:7], 31, v[6:7]
	v_and_b32_e32 v20, 3, v6
	v_mov_b64_e32 v[24:25], 0
	v_mov_b64_e32 v[6:7], 0
                                        ; implicit-def: $vgpr4_vgpr5
                                        ; kill: killed $vgpr4_vgpr5
                                        ; implicit-def: $vgpr30
                                        ; implicit-def: $vgpr44_vgpr45
                                        ; implicit-def: $vgpr34_vgpr35
                                        ; implicit-def: $vgpr38_vgpr39
                                        ; implicit-def: $vgpr32_vgpr33
	s_and_saveexec_b64 s[0:1], vcc
	s_cbranch_execz .LBB12_33
; %bb.24:
	s_trap 2
	ds_read_b64 v[6:7], v0
	s_waitcnt lgkmcnt(1)
	v_ashrrev_i32_e32 v9, 31, v8
	s_movk_i32 s2, 0xa8
                                        ; implicit-def: $vgpr4_vgpr5
                                        ; kill: killed $vgpr4_vgpr5
	s_waitcnt lgkmcnt(0)
	v_lshl_add_u64 v[6:7], v[8:9], 3, v[6:7]
	flat_load_dwordx2 v[6:7], v[6:7]
	v_and_b32_e32 v9, 0xffff, v20
	s_waitcnt vmcnt(0) lgkmcnt(0)
	v_mad_u64_u32 v[18:19], s[2:3], v9, s2, v[6:7]
	flat_load_dword v6, v[18:19] offset:640
	s_waitcnt vmcnt(0) lgkmcnt(0)
	v_cmp_eq_u32_e32 vcc, 1, v6
	s_and_saveexec_b64 s[2:3], vcc
	s_cbranch_execz .LBB12_26
; %bb.25:
	flat_load_dwordx2 v[4:5], v[18:19] offset:648
	v_or_b32_e32 v94, 0x2000, v94
	s_waitcnt vmcnt(0) lgkmcnt(0)
	flat_load_dwordx2 v[6:7], v[4:5]
	s_trap 2
	scratch_store_dwordx2 off, v[4:5], s33 offset:300 ; 8-byte Folded Spill
	s_waitcnt vmcnt(0) lgkmcnt(0)
	ds_write_b64 v0, v[6:7]
	flat_load_dwordx2 v[6:7], v[4:5] offset:8
	s_waitcnt vmcnt(0) lgkmcnt(0)
	ds_write_b64 v0, v[6:7]
	flat_load_dwordx2 v[6:7], v[4:5] offset:16
	s_waitcnt vmcnt(0) lgkmcnt(0)
	ds_write_b64 v0, v[6:7]
.LBB12_26:
	s_or_b64 exec, exec, s[2:3]
	flat_load_dwordx2 v[6:7], v[18:19] offset:608
	v_and_b32_e32 v9, 32, v94
	v_cmp_ne_u32_e32 vcc, 0, v9
                                        ; implicit-def: $vgpr32_vgpr33
	s_waitcnt vmcnt(0) lgkmcnt(0)
	v_lshl_add_u64 v[44:45], v[6:7], 0, 3
	v_and_b32_e32 v44, -4, v44
	s_and_saveexec_b64 s[2:3], vcc
	s_cbranch_execz .LBB12_28
; %bb.27:
	flat_load_dwordx2 v[32:33], v[18:19] offset:560
	s_waitcnt vmcnt(0) lgkmcnt(0)
	flat_store_dwordx2 v[32:33], v[44:45] sc0 sc1
.LBB12_28:
	s_or_b64 exec, exec, s[2:3]
	s_mov_b64 s[2:3], 0x1f8
	v_and_b32_e32 v6, 4, v94
	v_lshl_add_u64 v[24:25], v[18:19], 0, s[2:3]
	v_cmp_ne_u32_e32 vcc, 0, v6
	v_mov_b64_e32 v[6:7], 0
                                        ; implicit-def: $vgpr30
                                        ; implicit-def: $vgpr34_vgpr35
                                        ; implicit-def: $vgpr38_vgpr39
	s_and_saveexec_b64 s[2:3], vcc
	s_cbranch_execz .LBB12_32
; %bb.29:
	v_and_b32_e32 v6, 0x800, v94
	v_cmp_eq_u32_e32 vcc, 0, v6
	s_and_saveexec_b64 s[4:5], vcc
	s_cbranch_execz .LBB12_31
; %bb.30:
	s_trap 2
	ds_write_b64 v0, v[24:25]
.LBB12_31:
	s_or_b64 exec, exec, s[4:5]
	flat_load_dwordx2 v[32:33], v[18:19] offset:552
	s_waitcnt vmcnt(0) lgkmcnt(0)
	flat_load_dwordx2 v[38:39], v[32:33] sc0 sc1
	flat_load_dword v9, v[18:19] offset:576
	flat_load_dwordx2 v[6:7], v[18:19] offset:600
	flat_load_dwordx2 v[34:35], v[18:19] offset:520
	v_or_b32_e32 v18, 0x100, v94
	s_waitcnt vmcnt(0) lgkmcnt(0)
	v_ashrrev_i32_e32 v30, 1, v9
	v_cmp_eq_u64_e32 vcc, 0, v[6:7]
	s_nop 1
	v_cndmask_b32_e32 v94, v18, v94, vcc
.LBB12_32:
	s_or_b64 exec, exec, s[2:3]
.LBB12_33:
	s_or_b64 exec, exec, s[0:1]
	v_and_b32_e32 v9, 24, v94
	v_cmp_ne_u32_e32 vcc, 0, v9
                                        ; implicit-def: $vgpr36_vgpr37
	s_and_saveexec_b64 s[0:1], vcc
	s_cbranch_execz .LBB12_41
; %bb.34:
	s_trap 2
	ds_read_b64 v[6:7], v0
	s_waitcnt lgkmcnt(0)
	v_ashrrev_i32_e32 v9, 31, v8
	s_movk_i32 s2, 0xa8
	v_or_b32_e32 v18, 0x100, v94
                                        ; implicit-def: $vgpr36_vgpr37
	v_lshl_add_u64 v[6:7], v[8:9], 3, v[6:7]
	flat_load_dwordx2 v[6:7], v[6:7]
	v_and_b32_e32 v8, 0xffff, v20
	s_waitcnt vmcnt(0) lgkmcnt(0)
	v_mad_u64_u32 v[24:25], s[2:3], v8, s2, v[6:7]
	flat_load_dwordx4 v[6:9], v[24:25] offset:96
	s_waitcnt vmcnt(0) lgkmcnt(0)
	v_cmp_eq_u64_e32 vcc, 0, v[6:7]
	s_nop 1
	v_cndmask_b32_e32 v94, v18, v94, vcc
	v_and_b32_e32 v18, 16, v94
	v_cmp_ne_u32_e32 vcc, 0, v18
	s_and_saveexec_b64 s[2:3], vcc
	s_cbranch_execz .LBB12_36
; %bb.35:
	flat_load_dwordx2 v[32:33], v[24:25] offset:48
	flat_load_dwordx2 v[36:37], v[24:25] offset:120
	flat_load_dwordx2 v[34:35], v[24:25] offset:16
.LBB12_36:
	s_or_b64 exec, exec, s[2:3]
	v_lshl_add_u64 v[44:45], v[8:9], 0, 3
	v_and_b32_e32 v8, 8, v94
	v_and_b32_e32 v44, -4, v44
	v_cmp_ne_u32_e32 vcc, 0, v8
	s_and_saveexec_b64 s[2:3], vcc
	s_cbranch_execz .LBB12_40
; %bb.37:
	v_and_b32_e32 v8, 0x800, v94
	v_cmp_eq_u32_e32 vcc, 0, v8
	s_and_saveexec_b64 s[4:5], vcc
	s_cbranch_execz .LBB12_39
; %bb.38:
	s_trap 2
	ds_write_b64 v0, v[24:25]
.LBB12_39:
	s_or_b64 exec, exec, s[4:5]
	s_waitcnt vmcnt(0) lgkmcnt(0)
	flat_load_dwordx2 v[32:33], v[24:25] offset:56
	s_waitcnt vmcnt(0) lgkmcnt(0)
	flat_load_dwordx2 v[38:39], v[32:33] sc0 sc1
	flat_load_dword v8, v[24:25] offset:72
	flat_load_dwordx2 v[34:35], v[24:25] offset:16
	s_waitcnt vmcnt(0) lgkmcnt(0)
	v_ashrrev_i32_e32 v30, 1, v8
.LBB12_40:
	s_or_b64 exec, exec, s[2:3]
.LBB12_41:
	s_or_b64 exec, exec, s[0:1]
	v_cmp_eq_u32_e64 s[0:1], 0, v0
	s_and_saveexec_b64 s[2:3], s[0:1]
	s_cbranch_execz .LBB12_43
; %bb.42:
	s_waitcnt lgkmcnt(0)
	flat_load_dwordx2 v[8:9], v[2:3] offset:32
	ds_write2_b64 v0, v[12:13], v[10:11] offset1:1
	s_trap 2
	s_waitcnt vmcnt(0) lgkmcnt(0)
	ds_write_b64 v0, v[8:9]
	ds_write_b64 v0, v[16:17]
.LBB12_43:
	s_or_b64 exec, exec, s[2:3]
	v_mov_b64_e32 v[48:49], 0
	v_cmp_lt_i64_e32 vcc, 0, v[22:23]
	s_mov_b64 s[2:3], exec
	v_writelane_b32 v126, s2, 2
	s_nop 1
	v_writelane_b32 v126, s3, 3
	s_and_b64 s[2:3], s[2:3], vcc
	s_mov_b64 exec, s[2:3]
	s_cbranch_execz .LBB12_1911
; %bb.44:
	s_waitcnt lgkmcnt(0)
	flat_load_dword v8, v[2:3] offset:4
	v_writelane_b32 v126, s8, 4
	s_ashr_i32 s71, s70, 31
	v_lshrrev_b32_e32 v52, 6, v1
	v_writelane_b32 v126, s9, 5
	s_ashr_i32 s9, s20, 31
	s_lshr_b32 s9, s9, 29
	s_add_i32 s20, s20, s9
	s_ashr_i32 s21, s20, 4
	s_add_u32 s8, s70, -1
	s_addc_u32 s9, s71, -1
	s_add_i32 s81, s70, s70
	s_not_b32 s22, s70
	s_cmp_gt_i32 s70, 0
	s_cselect_b32 s22, s22, -1
	s_ashr_i32 s20, s20, 31
	s_lshr_b32 s20, s20, 28
	s_add_i32 s82, s22, s81
	s_add_i32 s21, s21, s20
	s_ashr_i32 s83, s82, 31
	s_ashr_i32 s84, s21, 4
	s_cmp_gt_i32 s70, 2
	v_lshlrev_b32_e32 v10, 1, v1
	s_cselect_b64 s[34:35], -1, 0
	s_add_i32 s85, s33, 0xf0
	s_add_i32 s86, s33, 0xd0
	;; [unrolled: 1-line block ×5, first 2 shown]
	v_and_b32_e32 v2, 0x1fffff00, v14
	v_lshlrev_b32_e32 v68, 11, v52
	v_lshlrev_b32_e32 v70, 10, v52
	;; [unrolled: 1-line block ×4, first 2 shown]
	v_and_b32_e32 v82, 0x7f80, v10
	v_and_b32_e32 v9, 63, v31
	;; [unrolled: 1-line block ×3, first 2 shown]
	v_mad_i64_i32 v[18:19], s[12:13], v2, s70, 0
	v_add_u32_e32 v84, 0xfffff800, v68
	v_add_u32_e32 v86, 0xfffffc00, v70
	;; [unrolled: 1-line block ×5, first 2 shown]
	v_mov_b32_e32 v3, 0
	v_cmp_ge_u32_e32 vcc, v0, v1
	v_lshrrev_b32_e32 v104, 6, v0
	s_mov_b64 s[78:79], 0x800
	s_mov_b64 s[88:89], 0x400
	;; [unrolled: 1-line block ×4, first 2 shown]
	v_cmp_eq_u32_e64 s[12:13], 0, v9
	v_lshlrev_b32_e32 v9, 4, v95
	v_ashrrev_i32_e32 v85, 31, v84
	v_ashrrev_i32_e32 v87, 31, v86
	;; [unrolled: 1-line block ×5, first 2 shown]
	s_mov_b32 s75, 0
	v_ashrrev_i32_e32 v51, 31, v30
	v_cmp_eq_u32_e64 s[2:3], 64, v1
	v_cmp_ne_u32_e64 s[4:5], 64, v1
	v_cmp_ne_u32_sdwa s[76:77], v1, v21 src0_sel:DWORD src1_sel:WORD_0
	s_movk_i32 s80, 0xff80
	s_mov_b64 s[94:95], 0
	s_waitcnt vmcnt(0)
	v_cmp_eq_u64_e64 s[6:7], 0, v[36:37]
	v_cmp_ne_u64_e64 s[10:11], 0, v[36:37]
	v_lshlrev_b32_e32 v54, 4, v0
	v_mov_b32_e32 v53, v3
	v_cmp_eq_u32_e64 s[14:15], 0, v95
	v_cmp_lt_u32_e64 s[16:17], v95, v15
	v_mov_b32_e32 v67, v3
	v_cmp_le_u32_e64 s[18:19], v95, v15
	v_mov_b32_e32 v55, v3
	v_mov_b32_e32 v81, v3
	v_lshl_or_b32 v66, v104, 11, v9
	v_lshl_add_u64 v[100:101], v[84:85], 0, s[78:79]
	v_lshl_add_u64 v[102:103], v[86:87], 0, s[88:89]
	;; [unrolled: 1-line block ×4, first 2 shown]
	s_waitcnt lgkmcnt(0)
	v_and_b32_e32 v8, 1, v8
	v_cmp_eq_u32_e64 s[20:21], 1, v8
	s_xor_b64 s[36:37], s[20:21], -1
	s_cmp_ge_i32 s22, s70
	s_cselect_b32 s23, s70, 0
	s_sub_i32 s97, s22, s23
	v_lshl_add_u64 v[118:119], v[116:117], 0, s[92:93]
	v_mov_b32_e32 v71, v3
	v_mov_b32_e32 v83, v3
	v_mov_b32_e32 v69, v3
	s_ashr_i32 s98, s97, 31
	s_add_i32 s99, s70, -2
	v_mov_b64_e32 v[40:41], 0
	s_xor_b64 s[38:39], vcc, -1
	v_mov_b32_e32 v106, 1
	s_movk_i32 s72, 0x108
	s_mov_b32 s73, 0x7f800000
	s_movk_i32 s62, 0x7fff
	s_mov_b32 s63, 0xffff0000
	s_mov_b64 s[48:49], 0x180
	v_mov_b32_e32 v28, v3
	v_mov_b32_e32 v29, v3
	;; [unrolled: 1-line block ×6, first 2 shown]
	v_mov_b64_e32 v[48:49], 0
	v_mov_b64_e32 v[42:43], v[2:3]
	scratch_store_dwordx2 off, v[24:25], s33 offset:292 ; 8-byte Folded Spill
	s_trap 2
	scratch_store_dword off, v21, s33 offset:288 ; 4-byte Folded Spill
	scratch_store_dwordx4 off, v[22:25], s33 offset:264 ; 16-byte Folded Spill
	scratch_store_dwordx2 off, v[18:19], s33 offset:280 ; 8-byte Folded Spill
	s_branch .LBB12_47
.LBB12_45:                              ;   in Loop: Header=BB12_47 Depth=1
	s_or_b64 exec, exec, s[26:27]
.LBB12_46:                              ;   in Loop: Header=BB12_47 Depth=1
	s_or_b64 exec, exec, s[24:25]
	s_waitcnt vmcnt(0)
	v_lshl_add_u64 v[40:41], v[40:41], 0, v[18:19]
	v_cmp_ge_i64_e32 vcc, v[40:41], v[22:23]
	s_or_b64 s[94:95], vcc, s[94:95]
	s_andn2_b64 exec, exec, s[94:95]
	s_cbranch_execz .LBB12_1910
.LBB12_47:                              ; =>This Loop Header: Depth=1
                                        ;     Child Loop BB12_57 Depth 2
                                        ;       Child Loop BB12_65 Depth 3
                                        ;       Child Loop BB12_89 Depth 3
	;; [unrolled: 1-line block ×9, first 2 shown]
                                        ;     Child Loop BB12_228 Depth 2
                                        ;       Child Loop BB12_234 Depth 3
                                        ;       Child Loop BB12_258 Depth 3
                                        ;       Child Loop BB12_282 Depth 3
                                        ;     Child Loop BB12_300 Depth 2
                                        ;       Child Loop BB12_303 Depth 3
                                        ;         Child Loop BB12_311 Depth 4
                                        ;         Child Loop BB12_339 Depth 4
	;; [unrolled: 1-line block ×4, first 2 shown]
                                        ;           Child Loop BB12_388 Depth 5
                                        ;           Child Loop BB12_425 Depth 5
                                        ;         Child Loop BB12_500 Depth 4
                                        ;           Child Loop BB12_501 Depth 5
                                        ;           Child Loop BB12_538 Depth 5
                                        ;         Child Loop BB12_615 Depth 4
                                        ;         Child Loop BB12_674 Depth 4
                                        ;           Child Loop BB12_675 Depth 5
                                        ;           Child Loop BB12_684 Depth 5
                                        ;         Child Loop BB12_703 Depth 4
                                        ;         Child Loop BB12_722 Depth 4
                                        ;       Child Loop BB12_741 Depth 3
                                        ;         Child Loop BB12_747 Depth 4
                                        ;         Child Loop BB12_775 Depth 4
	;; [unrolled: 1-line block ×3, first 2 shown]
                                        ;     Child Loop BB12_816 Depth 2
                                        ;       Child Loop BB12_824 Depth 3
                                        ;       Child Loop BB12_852 Depth 3
	;; [unrolled: 1-line block ×8, first 2 shown]
                                        ;         Child Loop BB12_929 Depth 4
                                        ;       Child Loop BB12_935 Depth 3
                                        ;         Child Loop BB12_968 Depth 4
                                        ;       Child Loop BB12_976 Depth 3
                                        ;       Child Loop BB12_1012 Depth 3
                                        ;         Child Loop BB12_1017 Depth 4
                                        ;       Child Loop BB12_1153 Depth 3
                                        ;       Child Loop BB12_1176 Depth 3
                                        ;     Child Loop BB12_1194 Depth 2
                                        ;       Child Loop BB12_1200 Depth 3
                                        ;       Child Loop BB12_1228 Depth 3
	;; [unrolled: 1-line block ×3, first 2 shown]
                                        ;     Child Loop BB12_1270 Depth 2
                                        ;       Child Loop BB12_1273 Depth 3
                                        ;         Child Loop BB12_1281 Depth 4
                                        ;         Child Loop BB12_1309 Depth 4
	;; [unrolled: 1-line block ×8, first 2 shown]
                                        ;           Child Loop BB12_1358 Depth 5
                                        ;         Child Loop BB12_1364 Depth 4
                                        ;           Child Loop BB12_1365 Depth 5
                                        ;         Child Loop BB12_1373 Depth 4
                                        ;         Child Loop BB12_1393 Depth 4
                                        ;           Child Loop BB12_1394 Depth 5
                                        ;         Child Loop BB12_1510 Depth 4
                                        ;         Child Loop BB12_1529 Depth 4
                                        ;       Child Loop BB12_1547 Depth 3
                                        ;         Child Loop BB12_1553 Depth 4
                                        ;         Child Loop BB12_1581 Depth 4
	;; [unrolled: 1-line block ×3, first 2 shown]
                                        ;     Child Loop BB12_1626 Depth 2
                                        ;       Child Loop BB12_1634 Depth 3
                                        ;       Child Loop BB12_1658 Depth 3
	;; [unrolled: 1-line block ×9, first 2 shown]
                                        ;     Child Loop BB12_1844 Depth 2
                                        ;       Child Loop BB12_1850 Depth 3
                                        ;       Child Loop BB12_1874 Depth 3
	;; [unrolled: 1-line block ×3, first 2 shown]
	v_sub_co_u32_e32 v46, vcc, v22, v40
	s_nop 1
	v_subb_co_u32_e32 v47, vcc, v23, v41, vcc
	v_cmp_lt_i64_e32 vcc, v[46:47], v[18:19]
	s_and_saveexec_b64 s[24:25], vcc
	s_cbranch_execz .LBB12_53
; %bb.48:                               ;   in Loop: Header=BB12_47 Depth=1
	v_lshl_add_u64 v[8:9], s[8:9], 0, v[46:47]
	v_or_b32_e32 v11, s71, v9
	v_mov_b32_e32 v10, v3
	v_cmp_ne_u64_e32 vcc, 0, v[10:11]
                                        ; implicit-def: $vgpr10_vgpr11
	s_and_saveexec_b64 s[22:23], vcc
	s_xor_b64 s[26:27], exec, s[22:23]
	s_cbranch_execz .LBB12_50
; %bb.49:                               ;   in Loop: Header=BB12_47 Depth=1
	s_ashr_i32 s28, s71, 31
	s_add_u32 s22, s70, s28
	s_mov_b32 s29, s28
	s_addc_u32 s23, s71, s28
	s_xor_b64 s[40:41], s[22:23], s[28:29]
	v_cvt_f32_u32_e32 v2, s40
	v_cvt_f32_u32_e32 v10, s41
	s_sub_u32 s29, 0, s40
	s_subb_u32 s42, 0, s41
	v_fmac_f32_e32 v2, 0x4f800000, v10
	v_rcp_f32_e32 v2, v2
	s_nop 0
	v_mul_f32_e32 v2, 0x5f7ffffc, v2
	v_mul_f32_e32 v10, 0x2f800000, v2
	v_trunc_f32_e32 v10, v10
	v_fmac_f32_e32 v2, 0xcf800000, v10
	v_cvt_u32_f32_e32 v10, v10
	v_cvt_u32_f32_e32 v2, v2
	v_readfirstlane_b32 s43, v10
	v_readfirstlane_b32 s22, v2
	s_mul_i32 s23, s29, s43
	s_mul_hi_u32 s45, s29, s22
	s_mul_i32 s44, s42, s22
	s_add_i32 s23, s45, s23
	s_add_i32 s23, s23, s44
	s_mul_i32 s46, s29, s22
	s_mul_i32 s45, s22, s23
	s_mul_hi_u32 s47, s22, s46
	s_mul_hi_u32 s44, s22, s23
	s_add_u32 s45, s47, s45
	s_addc_u32 s44, 0, s44
	s_mul_hi_u32 s56, s43, s46
	s_mul_i32 s46, s43, s46
	s_add_u32 s45, s45, s46
	s_mul_hi_u32 s47, s43, s23
	s_addc_u32 s44, s44, s56
	s_addc_u32 s45, s47, 0
	s_mul_i32 s23, s43, s23
	s_add_u32 s23, s44, s23
	s_addc_u32 s44, 0, s45
	s_add_u32 s45, s22, s23
	s_cselect_b64 s[22:23], -1, 0
	s_cmp_lg_u64 s[22:23], 0
	s_addc_u32 s43, s43, s44
	s_mul_i32 s22, s29, s43
	s_mul_hi_u32 s23, s29, s45
	s_add_i32 s22, s23, s22
	s_mul_i32 s42, s42, s45
	s_add_i32 s22, s22, s42
	s_mul_i32 s29, s29, s45
	s_mul_hi_u32 s42, s43, s29
	s_mul_i32 s44, s43, s29
	s_mul_i32 s47, s45, s22
	s_mul_hi_u32 s29, s45, s29
	s_mul_hi_u32 s46, s45, s22
	s_add_u32 s29, s29, s47
	s_addc_u32 s46, 0, s46
	s_add_u32 s29, s29, s44
	s_mul_hi_u32 s23, s43, s22
	s_addc_u32 s29, s46, s42
	s_addc_u32 s23, s23, 0
	s_mul_i32 s22, s43, s22
	s_add_u32 s22, s29, s22
	s_addc_u32 s29, 0, s23
	s_add_u32 s42, s45, s22
	v_ashrrev_i32_e32 v10, 31, v9
	s_cselect_b64 s[22:23], -1, 0
	v_mov_b32_e32 v11, v10
	s_cmp_lg_u64 s[22:23], 0
	v_lshl_add_u64 v[8:9], v[8:9], 0, v[10:11]
	s_addc_u32 s29, s43, s29
	v_xor_b32_e32 v16, v8, v10
	v_xor_b32_e32 v11, v9, v10
	v_mad_u64_u32 v[8:9], s[22:23], v16, s29, 0
	v_mul_hi_u32 v2, v16, s42
	v_lshl_add_u64 v[8:9], v[2:3], 0, v[8:9]
	v_mad_u64_u32 v[14:15], s[22:23], v11, s42, 0
	v_add_co_u32_e32 v2, vcc, v8, v14
	v_mad_u64_u32 v[12:13], s[22:23], v11, s29, 0
	s_nop 0
	v_addc_co_u32_e32 v2, vcc, v9, v15, vcc
	s_nop 1
	v_addc_co_u32_e32 v13, vcc, 0, v13, vcc
	v_lshl_add_u64 v[8:9], v[2:3], 0, v[12:13]
	v_mul_lo_u32 v2, s41, v8
	v_mul_lo_u32 v14, s40, v9
	v_mad_u64_u32 v[12:13], s[22:23], s40, v8, 0
	v_add3_u32 v2, v13, v14, v2
	v_sub_u32_e32 v13, v11, v2
	v_mov_b32_e32 v14, s41
	v_sub_co_u32_e32 v16, vcc, v16, v12
	s_nop 1
	v_subb_co_u32_e64 v12, s[22:23], v13, v14, vcc
	v_subrev_co_u32_e64 v13, s[22:23], s40, v16
	v_subb_co_u32_e32 v2, vcc, v11, v2, vcc
	s_nop 0
	v_subbrev_co_u32_e64 v12, s[22:23], 0, v12, s[22:23]
	v_cmp_le_u32_e64 s[22:23], s41, v12
	v_cmp_le_u32_e32 vcc, s41, v2
	s_nop 0
	v_cndmask_b32_e64 v14, 0, -1, s[22:23]
	v_cmp_le_u32_e64 s[22:23], s40, v13
	v_cndmask_b32_e64 v11, 0, -1, vcc
	v_cmp_le_u32_e32 vcc, s40, v16
	v_cndmask_b32_e64 v13, 0, -1, s[22:23]
	v_cmp_eq_u32_e64 s[22:23], s41, v12
	s_nop 1
	v_cndmask_b32_e64 v17, v14, v13, s[22:23]
	v_lshl_add_u64 v[12:13], v[8:9], 0, 2
	v_lshl_add_u64 v[14:15], v[8:9], 0, 1
	v_cmp_ne_u32_e64 s[22:23], 0, v17
	s_nop 1
	v_cndmask_b32_e64 v13, v15, v13, s[22:23]
	v_cndmask_b32_e64 v15, 0, -1, vcc
	v_cmp_eq_u32_e32 vcc, s41, v2
	s_nop 1
	v_cndmask_b32_e32 v2, v11, v15, vcc
	v_cmp_ne_u32_e32 vcc, 0, v2
	s_nop 1
	v_cndmask_b32_e32 v2, v9, v13, vcc
	v_cndmask_b32_e64 v9, v14, v12, s[22:23]
	v_cndmask_b32_e32 v8, v8, v9, vcc
	v_xor_b32_e32 v9, s28, v10
	v_xor_b32_e32 v8, v8, v9
	;; [unrolled: 1-line block ×3, first 2 shown]
	v_sub_co_u32_e32 v10, vcc, v8, v9
	s_nop 1
	v_subb_co_u32_e32 v11, vcc, v2, v9, vcc
                                        ; implicit-def: $vgpr8_vgpr9
.LBB12_50:                              ;   in Loop: Header=BB12_47 Depth=1
	s_andn2_saveexec_b64 s[22:23], s[26:27]
	s_cbranch_execz .LBB12_52
; %bb.51:                               ;   in Loop: Header=BB12_47 Depth=1
	v_cvt_f32_u32_e32 v2, s70
	s_sub_i32 s26, 0, s70
	v_rcp_iflag_f32_e32 v2, v2
	s_nop 0
	v_mul_f32_e32 v2, 0x4f7ffffe, v2
	v_cvt_u32_f32_e32 v2, v2
	v_mul_lo_u32 v9, s26, v2
	v_mul_hi_u32 v9, v2, v9
	v_add_u32_e32 v2, v2, v9
	v_mul_hi_u32 v2, v8, v2
	v_mul_lo_u32 v9, v2, s70
	v_sub_u32_e32 v8, v8, v9
	v_add_u32_e32 v10, 1, v2
	v_subrev_u32_e32 v9, s70, v8
	v_cmp_le_u32_e32 vcc, s70, v8
	s_nop 1
	v_cndmask_b32_e32 v8, v8, v9, vcc
	v_cndmask_b32_e32 v2, v2, v10, vcc
	v_add_u32_e32 v9, 1, v2
	v_cmp_le_u32_e32 vcc, s70, v8
	s_nop 1
	v_cndmask_b32_e32 v2, v2, v9, vcc
	v_mov_b64_e32 v[10:11], v[2:3]
.LBB12_52:                              ;   in Loop: Header=BB12_47 Depth=1
	s_or_b64 exec, exec, s[22:23]
	v_lshl_add_u64 v[42:43], v[10:11], 0, 7
	v_and_b32_e32 v42, -8, v42
.LBB12_53:                              ;   in Loop: Header=BB12_47 Depth=1
	s_or_b64 exec, exec, s[24:25]
	scratch_load_dwordx2 v[4:5], off, s33 offset:256 ; 8-byte Folded Reload
	v_mul_lo_u32 v2, v43, s82
	v_mul_lo_u32 v8, v42, s83
	v_mad_u64_u32 v[62:63], s[22:23], v42, s82, 0
	v_add3_u32 v63, v63, v8, v2
	v_sub_co_u32_e32 v8, vcc, v46, v62
	v_mov_b32_e32 v2, 0
	s_nop 0
	v_subb_co_u32_e32 v9, vcc, v47, v63, vcc
	v_cmp_lt_i64_e32 vcc, v[42:43], v[8:9]
	v_mov_b32_e32 v60, 0
	s_waitcnt vmcnt(0)
	v_lshl_add_u64 v[56:57], v[40:41], 0, v[4:5]
	v_cndmask_b32_e32 v8, v8, v42, vcc
	v_max_i32_e32 v90, 0, v8
	v_add_u32_e32 v9, 31, v90
	v_ashrrev_i32_e32 v10, 31, v9
	v_lshrrev_b32_e32 v10, 27, v10
	v_add_u32_e32 v9, v9, v10
	v_ashrrev_i32_e32 v9, 5, v9
	v_lshlrev_b32_e32 v9, 4, v9
	v_cmp_lt_i32_e32 vcc, 0, v8
	v_max_i32_e32 v58, s84, v9
	s_and_b64 s[22:23], s[38:39], vcc
	s_and_saveexec_b64 s[24:25], s[22:23]
	s_cbranch_execz .LBB12_224
; %bb.54:                               ;   in Loop: Header=BB12_47 Depth=1
	s_mov_b32 s74, 1
	s_mov_b64 s[28:29], -1
	v_mov_b32_e32 v60, 0
	s_mov_b64 s[26:27], 0
	s_branch .LBB12_57
.LBB12_55:                              ;   in Loop: Header=BB12_57 Depth=2
	s_or_b64 exec, exec, s[40:41]
	v_lshl_add_u64 v[44:45], v[44:45], 0, 2
	flat_store_dwordx2 v[32:33], v[44:45] sc0 sc1
.LBB12_56:                              ;   in Loop: Header=BB12_57 Depth=2
	s_or_b64 exec, exec, s[22:23]
	v_add_u32_e32 v60, v58, v60
	v_cmp_ge_i32_e32 vcc, v60, v90
	s_xor_b64 s[22:23], s[28:29], -1
	s_or_b64 s[22:23], s[22:23], vcc
	s_and_b64 s[22:23], exec, s[22:23]
	s_or_b64 s[26:27], s[22:23], s[26:27]
	s_mov_b64 s[28:29], 0
	v_mov_b32_e32 v2, s74
	s_mov_b32 s74, 2
	s_andn2_b64 exec, exec, s[26:27]
	s_cbranch_execz .LBB12_223
.LBB12_57:                              ;   Parent Loop BB12_47 Depth=1
                                        ; =>  This Loop Header: Depth=2
                                        ;       Child Loop BB12_65 Depth 3
                                        ;       Child Loop BB12_89 Depth 3
	;; [unrolled: 1-line block ×9, first 2 shown]
	s_and_saveexec_b64 s[22:23], s[0:1]
	s_cbranch_execz .LBB12_59
; %bb.58:                               ;   in Loop: Header=BB12_57 Depth=2
	s_trap 2
	ds_read_b64 v[8:9], v0
	v_ashrrev_i32_e32 v61, 31, v60
	s_waitcnt lgkmcnt(0)
	v_lshl_add_u64 v[8:9], v[56:57], 1, v[8:9]
	v_lshl_add_u64 v[8:9], v[62:63], 1, v[8:9]
	v_lshl_add_u64 v[8:9], v[60:61], 1, v[8:9]
	ds_write_b64 v0, v[8:9]
	ds_write_b64 v0, v[28:29]
.LBB12_59:                              ;   in Loop: Header=BB12_57 Depth=2
	s_or_b64 exec, exec, s[22:23]
	v_sub_u32_e32 v2, v90, v60
	v_min_i32_e32 v58, v58, v2
	v_and_b32_e32 v2, 8, v94
	v_cmp_ne_u32_e32 vcc, 0, v2
	s_and_saveexec_b64 s[40:41], vcc
	s_cbranch_execz .LBB12_81
; %bb.60:                               ;   in Loop: Header=BB12_57 Depth=2
	s_waitcnt vmcnt(0) lgkmcnt(0)
	v_lshl_add_u64 v[10:11], v[38:39], 0, 8
	v_lshl_add_u64 v[8:9], v[44:45], 0, 2
	v_cmp_lt_u64_e32 vcc, v[10:11], v[8:9]
	s_and_saveexec_b64 s[42:43], vcc
	s_cbranch_execz .LBB12_72
; %bb.61:                               ;   in Loop: Header=BB12_57 Depth=2
	v_and_b32_e32 v2, 64, v94
	s_mov_b32 s30, 0
	v_cmp_eq_u32_e32 vcc, 0, v2
	s_mov_b64 s[44:45], 0
                                        ; implicit-def: $sgpr46_sgpr47
                                        ; implicit-def: $sgpr56_sgpr57
                                        ; implicit-def: $sgpr58_sgpr59
	s_branch .LBB12_65
.LBB12_62:                              ;   in Loop: Header=BB12_65 Depth=3
	s_waitcnt vmcnt(0) lgkmcnt(0)
	v_lshl_add_u64 v[10:11], v[38:39], 0, 8
	v_cmp_ge_u64_e64 s[22:23], v[10:11], v[8:9]
	s_or_b64 s[52:53], s[52:53], exec
	s_orn2_b64 s[50:51], s[22:23], exec
.LBB12_63:                              ;   in Loop: Header=BB12_65 Depth=3
	s_or_b64 exec, exec, s[64:65]
	s_andn2_b64 s[22:23], s[58:59], exec
	s_and_b64 s[58:59], s[52:53], exec
	s_or_b64 s[58:59], s[22:23], s[58:59]
	s_andn2_b64 s[22:23], s[56:57], exec
	s_and_b64 s[56:57], s[50:51], exec
	s_or_b64 s[56:57], s[22:23], s[56:57]
.LBB12_64:                              ;   in Loop: Header=BB12_65 Depth=3
	s_or_b64 exec, exec, s[60:61]
	s_and_b64 s[22:23], exec, s[56:57]
	s_or_b64 s[44:45], s[22:23], s[44:45]
	s_andn2_b64 s[22:23], s[46:47], exec
	s_and_b64 s[46:47], s[58:59], exec
	s_or_b64 s[46:47], s[22:23], s[46:47]
	s_andn2_b64 exec, exec, s[44:45]
	s_cbranch_execz .LBB12_69
.LBB12_65:                              ;   Parent Loop BB12_47 Depth=1
                                        ;     Parent Loop BB12_57 Depth=2
                                        ; =>    This Inner Loop Header: Depth=3
	s_sleep 1
	s_waitcnt vmcnt(0) lgkmcnt(0)
	flat_load_dwordx2 v[38:39], v[32:33] sc0 sc1
	s_or_b64 s[58:59], s[58:59], exec
	s_or_b64 s[56:57], s[56:57], exec
                                        ; implicit-def: $vgpr2
	s_and_saveexec_b64 s[60:61], vcc
	s_cbranch_execz .LBB12_64
; %bb.66:                               ;   in Loop: Header=BB12_65 Depth=3
	s_cmpk_lt_i32 s30, 0x270f
	s_cselect_b64 s[54:55], -1, 0
	s_cmpk_gt_i32 s30, 0x270e
	s_mov_b64 s[50:51], -1
	s_cbranch_scc0 .LBB12_68
; %bb.67:                               ;   in Loop: Header=BB12_65 Depth=3
	s_trap 2
	ds_read_b64 v[10:11], v0
	s_andn2_b64 s[54:55], s[54:55], exec
	s_mov_b32 s30, 0
	s_mov_b64 s[52:53], 0
	s_waitcnt vmcnt(0) lgkmcnt(0)
	flat_load_dword v2, v[10:11] sc0 sc1
	s_waitcnt vmcnt(0) lgkmcnt(0)
	buffer_inv sc0 sc1
	v_cmp_eq_u32_e64 s[22:23], 0, v2
	s_and_b64 s[22:23], s[22:23], exec
	s_or_b64 s[54:55], s[54:55], s[22:23]
	s_and_saveexec_b64 s[64:65], s[54:55]
	s_cbranch_execz .LBB12_63
	s_branch .LBB12_62
.LBB12_68:                              ;   in Loop: Header=BB12_65 Depth=3
	s_add_i32 s30, s30, 1
	s_mov_b64 s[52:53], -1
                                        ; implicit-def: $vgpr2
	s_and_saveexec_b64 s[64:65], s[54:55]
	s_cbranch_execz .LBB12_63
	s_branch .LBB12_62
.LBB12_69:                              ;   in Loop: Header=BB12_57 Depth=2
	s_or_b64 exec, exec, s[44:45]
	s_xor_b64 s[22:23], s[46:47], -1
	s_and_saveexec_b64 s[44:45], s[22:23]
	s_xor_b64 s[22:23], exec, s[44:45]
	s_cbranch_execz .LBB12_71
; %bb.70:                               ;   in Loop: Header=BB12_57 Depth=2
	v_or_b32_e32 v94, 64, v94
	s_waitcnt lgkmcnt(0)
	ds_write_b32 v0, v2
	s_trap 2
.LBB12_71:                              ;   in Loop: Header=BB12_57 Depth=2
	s_or_b64 exec, exec, s[22:23]
.LBB12_72:                              ;   in Loop: Header=BB12_57 Depth=2
	s_or_b64 exec, exec, s[42:43]
	v_and_b32_e32 v2, 0x100, v94
	v_cmp_ne_u32_e32 vcc, 0, v2
	v_and_b32_e32 v2, 7, v44
	s_mov_b64 s[22:23], -1
	;;#ASMSTART
	s_wakeup
	;;#ASMEND
                                        ; implicit-def: $vgpr10_vgpr11
	s_and_saveexec_b64 s[42:43], vcc
	s_cbranch_execz .LBB12_76
; %bb.73:                               ;   in Loop: Header=BB12_57 Depth=2
	v_mad_u64_u32 v[12:13], s[22:23], v2, 24, v[6:7]
	flat_load_dword v14, v[12:13]
	v_ashrrev_i32_e32 v59, 31, v58
	v_lshlrev_b64 v[10:11], 1, v[58:59]
	flat_store_dwordx2 v[12:13], v[10:11] offset:8
                                        ; implicit-def: $vgpr10_vgpr11
	s_waitcnt vmcnt(0) lgkmcnt(0)
	v_cmp_ne_u32_e32 vcc, 1, v14
	v_cmp_eq_u32_e64 s[22:23], 1, v14
	s_and_saveexec_b64 s[44:45], s[22:23]
	s_cbranch_execz .LBB12_75
; %bb.74:                               ;   in Loop: Header=BB12_57 Depth=2
	flat_load_dword v10, v[12:13] offset:4 sc0 sc1
	s_waitcnt vmcnt(0) lgkmcnt(0)
	v_ashrrev_i32_e32 v11, 31, v10
	v_lshrrev_b64 v[10:11], 1, v[10:11]
.LBB12_75:                              ;   in Loop: Header=BB12_57 Depth=2
	s_or_b64 exec, exec, s[44:45]
	s_orn2_b64 s[22:23], vcc, exec
.LBB12_76:                              ;   in Loop: Header=BB12_57 Depth=2
	s_or_b64 exec, exec, s[42:43]
	s_and_saveexec_b64 s[42:43], s[22:23]
; %bb.77:                               ;   in Loop: Header=BB12_57 Depth=2
	v_mad_i64_i32 v[10:11], s[22:23], v2, v30, 0
; %bb.78:                               ;   in Loop: Header=BB12_57 Depth=2
	s_or_b64 exec, exec, s[42:43]
	v_and_b32_e32 v2, 0x2000, v94
	v_lshl_add_u64 v[10:11], v[10:11], 1, v[34:35]
	v_cmp_ne_u32_e32 vcc, 0, v2
	ds_write_b64 v0, v[10:11] offset:784
	s_and_saveexec_b64 s[22:23], vcc
	s_cbranch_execz .LBB12_80
; %bb.79:                               ;   in Loop: Header=BB12_57 Depth=2
	ds_read_b64 v[10:11], v0 offset:872
	s_waitcnt lgkmcnt(0)
	v_lshl_add_u64 v[10:11], v[10:11], 0, 1
	ds_write_b64 v0, v[10:11] offset:872
.LBB12_80:                              ;   in Loop: Header=BB12_57 Depth=2
	s_or_b64 exec, exec, s[22:23]
	v_mov_b64_e32 v[44:45], v[8:9]
.LBB12_81:                              ;   in Loop: Header=BB12_57 Depth=2
	s_or_b64 exec, exec, s[40:41]
	s_and_saveexec_b64 s[22:23], s[4:5]
	s_cbranch_execz .LBB12_100
; %bb.82:                               ;   in Loop: Header=BB12_57 Depth=2
	s_and_saveexec_b64 s[40:41], s[76:77]
	s_xor_b64 s[40:41], exec, s[40:41]
	s_cbranch_execz .LBB12_97
; %bb.83:                               ;   in Loop: Header=BB12_57 Depth=2
	s_and_saveexec_b64 s[42:43], s[12:13]
	s_cbranch_execz .LBB12_96
; %bb.84:                               ;   in Loop: Header=BB12_57 Depth=2
	s_mov_b64 s[46:47], exec
	v_mbcnt_lo_u32_b32 v2, s46, 0
	v_mbcnt_hi_u32_b32 v2, s47, v2
	v_cmp_eq_u32_e32 vcc, 0, v2
	s_waitcnt lgkmcnt(0)
	s_and_saveexec_b64 s[44:45], vcc
	s_cbranch_execz .LBB12_86
; %bb.85:                               ;   in Loop: Header=BB12_57 Depth=2
	s_bcnt1_i32_b64 s46, s[46:47]
	v_mov_b32_e32 v2, s46
	ds_add_u64 v0, v[2:3]
	s_trap 2
.LBB12_86:                              ;   in Loop: Header=BB12_57 Depth=2
	s_or_b64 exec, exec, s[44:45]
	s_trap 2
	ds_read_b64 v[8:9], v0
	s_waitcnt lgkmcnt(0)
	v_lshl_add_u64 v[48:49], v[48:49], 0, v[52:53]
	v_cmp_lt_u64_e32 vcc, v[8:9], v[48:49]
	s_and_saveexec_b64 s[44:45], vcc
	s_cbranch_execz .LBB12_95
; %bb.87:                               ;   in Loop: Header=BB12_57 Depth=2
	s_mov_b32 s30, 0
	s_mov_b64 s[46:47], 0
                                        ; implicit-def: $sgpr56_sgpr57
                                        ; implicit-def: $sgpr58_sgpr59
	s_branch .LBB12_89
.LBB12_88:                              ;   in Loop: Header=BB12_89 Depth=3
	s_or_b64 exec, exec, s[50:51]
	s_and_b64 s[60:61], exec, vcc
	s_or_b64 s[46:47], s[60:61], s[46:47]
	s_andn2_b64 s[56:57], s[56:57], exec
	s_and_b64 s[60:61], s[58:59], exec
	s_or_b64 s[56:57], s[56:57], s[60:61]
	s_andn2_b64 exec, exec, s[46:47]
	s_cbranch_execz .LBB12_93
.LBB12_89:                              ;   Parent Loop BB12_47 Depth=1
                                        ;     Parent Loop BB12_57 Depth=2
                                        ; =>    This Inner Loop Header: Depth=3
	s_add_i32 s30, s30, 1
	s_cmpk_lg_i32 s30, 0x2710
	s_cselect_b64 s[60:61], -1, 0
	s_and_b64 vcc, exec, s[60:61]
	s_cbranch_vccz .LBB12_91
; %bb.90:                               ;   in Loop: Header=BB12_89 Depth=3
	s_mov_b64 vcc, -1
	s_or_b64 s[58:59], s[58:59], exec
	s_and_saveexec_b64 s[50:51], s[60:61]
	s_cbranch_execz .LBB12_88
	s_branch .LBB12_92
.LBB12_91:                              ;   in Loop: Header=BB12_89 Depth=3
	s_trap 2
	ds_read_b64 v[8:9], v0
	s_andn2_b64 s[60:61], s[60:61], exec
	s_mov_b32 s30, 0
	s_waitcnt vmcnt(0) lgkmcnt(0)
	flat_load_dword v2, v[8:9] sc0 sc1
	s_waitcnt vmcnt(0) lgkmcnt(0)
	buffer_inv sc0 sc1
	v_cmp_eq_u32_e32 vcc, 0, v2
	s_and_b64 vcc, vcc, exec
	s_or_b64 s[60:61], s[60:61], vcc
	s_mov_b64 vcc, -1
	s_or_b64 s[58:59], s[58:59], exec
	s_and_saveexec_b64 s[50:51], s[60:61]
	s_cbranch_execz .LBB12_88
.LBB12_92:                              ;   in Loop: Header=BB12_89 Depth=3
	s_sleep 1
	s_trap 2
	ds_read_b64 v[8:9], v0
	s_waitcnt lgkmcnt(0)
	s_andn2_b64 s[58:59], s[58:59], exec
	v_cmp_ge_u64_e32 vcc, v[8:9], v[48:49]
	s_orn2_b64 vcc, vcc, exec
	s_branch .LBB12_88
.LBB12_93:                              ;   in Loop: Header=BB12_57 Depth=2
	s_or_b64 exec, exec, s[46:47]
	s_and_saveexec_b64 s[46:47], s[56:57]
	s_xor_b64 s[46:47], exec, s[46:47]
	s_cbranch_execz .LBB12_95
; %bb.94:                               ;   in Loop: Header=BB12_57 Depth=2
	ds_write_b32 v0, v106
	s_trap 2
.LBB12_95:                              ;   in Loop: Header=BB12_57 Depth=2
	s_or_b64 exec, exec, s[44:45]
	;;#ASMSTART
	s_wakeup
	;;#ASMEND
.LBB12_96:                              ;   in Loop: Header=BB12_57 Depth=2
	s_or_b64 exec, exec, s[42:43]
.LBB12_97:                              ;   in Loop: Header=BB12_57 Depth=2
	s_andn2_saveexec_b64 s[40:41], s[40:41]
	s_cbranch_execz .LBB12_99
; %bb.98:                               ;   in Loop: Header=BB12_57 Depth=2
	s_waitcnt lgkmcnt(0)
	s_barrier
.LBB12_99:                              ;   in Loop: Header=BB12_57 Depth=2
	s_or_b64 exec, exec, s[40:41]
.LBB12_100:                             ;   in Loop: Header=BB12_57 Depth=2
	s_or_b64 exec, exec, s[22:23]
	s_trap 2
	ds_read_b32 v8, v0
	v_and_b32_e32 v2, 0x4000, v94
	v_cmp_ne_u32_e32 vcc, 0, v2
	s_xor_b64 s[22:23], s[2:3], -1
	s_and_b64 s[40:41], s[22:23], vcc
	s_and_saveexec_b64 s[22:23], s[40:41]
	s_cbranch_execz .LBB12_119
; %bb.101:                              ;   in Loop: Header=BB12_57 Depth=2
	s_and_saveexec_b64 s[40:41], s[76:77]
	s_xor_b64 s[40:41], exec, s[40:41]
	s_cbranch_execz .LBB12_116
; %bb.102:                              ;   in Loop: Header=BB12_57 Depth=2
	s_and_saveexec_b64 s[42:43], s[12:13]
	s_cbranch_execz .LBB12_115
; %bb.103:                              ;   in Loop: Header=BB12_57 Depth=2
	s_mov_b64 s[46:47], exec
	v_mbcnt_lo_u32_b32 v2, s46, 0
	v_mbcnt_hi_u32_b32 v2, s47, v2
	v_cmp_eq_u32_e32 vcc, 0, v2
	s_waitcnt lgkmcnt(0)
	s_and_saveexec_b64 s[44:45], vcc
	s_cbranch_execz .LBB12_105
; %bb.104:                              ;   in Loop: Header=BB12_57 Depth=2
	s_bcnt1_i32_b64 s46, s[46:47]
	v_mov_b32_e32 v2, s46
	ds_add_u64 v0, v[2:3]
	s_trap 2
.LBB12_105:                             ;   in Loop: Header=BB12_57 Depth=2
	s_or_b64 exec, exec, s[44:45]
	s_trap 2
	ds_read_b64 v[10:11], v0
	s_waitcnt lgkmcnt(0)
	v_lshl_add_u64 v[48:49], v[48:49], 0, v[52:53]
	v_cmp_lt_u64_e32 vcc, v[10:11], v[48:49]
	s_and_saveexec_b64 s[44:45], vcc
	s_cbranch_execz .LBB12_114
; %bb.106:                              ;   in Loop: Header=BB12_57 Depth=2
	s_mov_b32 s30, 0
	s_mov_b64 s[46:47], 0
                                        ; implicit-def: $sgpr56_sgpr57
                                        ; implicit-def: $sgpr58_sgpr59
	s_branch .LBB12_108
.LBB12_107:                             ;   in Loop: Header=BB12_108 Depth=3
	s_or_b64 exec, exec, s[50:51]
	s_and_b64 s[60:61], exec, vcc
	s_or_b64 s[46:47], s[60:61], s[46:47]
	s_andn2_b64 s[56:57], s[56:57], exec
	s_and_b64 s[60:61], s[58:59], exec
	s_or_b64 s[56:57], s[56:57], s[60:61]
	s_andn2_b64 exec, exec, s[46:47]
	s_cbranch_execz .LBB12_112
.LBB12_108:                             ;   Parent Loop BB12_47 Depth=1
                                        ;     Parent Loop BB12_57 Depth=2
                                        ; =>    This Inner Loop Header: Depth=3
	s_add_i32 s30, s30, 1
	s_cmpk_lg_i32 s30, 0x2710
	s_cselect_b64 s[60:61], -1, 0
	s_and_b64 vcc, exec, s[60:61]
	s_cbranch_vccz .LBB12_110
; %bb.109:                              ;   in Loop: Header=BB12_108 Depth=3
	s_mov_b64 vcc, -1
	s_or_b64 s[58:59], s[58:59], exec
	s_and_saveexec_b64 s[50:51], s[60:61]
	s_cbranch_execz .LBB12_107
	s_branch .LBB12_111
.LBB12_110:                             ;   in Loop: Header=BB12_108 Depth=3
	s_trap 2
	ds_read_b64 v[10:11], v0
	s_andn2_b64 s[60:61], s[60:61], exec
	s_mov_b32 s30, 0
	s_waitcnt vmcnt(0) lgkmcnt(0)
	flat_load_dword v2, v[10:11] sc0 sc1
	s_waitcnt vmcnt(0) lgkmcnt(0)
	buffer_inv sc0 sc1
	v_cmp_eq_u32_e32 vcc, 0, v2
	s_and_b64 vcc, vcc, exec
	s_or_b64 s[60:61], s[60:61], vcc
	s_mov_b64 vcc, -1
	s_or_b64 s[58:59], s[58:59], exec
	s_and_saveexec_b64 s[50:51], s[60:61]
	s_cbranch_execz .LBB12_107
.LBB12_111:                             ;   in Loop: Header=BB12_108 Depth=3
	s_sleep 1
	s_trap 2
	ds_read_b64 v[10:11], v0
	s_waitcnt lgkmcnt(0)
	s_andn2_b64 s[58:59], s[58:59], exec
	v_cmp_ge_u64_e32 vcc, v[10:11], v[48:49]
	s_orn2_b64 vcc, vcc, exec
	s_branch .LBB12_107
.LBB12_112:                             ;   in Loop: Header=BB12_57 Depth=2
	s_or_b64 exec, exec, s[46:47]
	s_and_saveexec_b64 s[46:47], s[56:57]
	s_xor_b64 s[46:47], exec, s[46:47]
	s_cbranch_execz .LBB12_114
; %bb.113:                              ;   in Loop: Header=BB12_57 Depth=2
	ds_write_b32 v0, v106
	s_trap 2
.LBB12_114:                             ;   in Loop: Header=BB12_57 Depth=2
	s_or_b64 exec, exec, s[44:45]
	;;#ASMSTART
	s_wakeup
	;;#ASMEND
.LBB12_115:                             ;   in Loop: Header=BB12_57 Depth=2
	s_or_b64 exec, exec, s[42:43]
.LBB12_116:                             ;   in Loop: Header=BB12_57 Depth=2
	s_andn2_saveexec_b64 s[40:41], s[40:41]
	s_cbranch_execz .LBB12_118
; %bb.117:                              ;   in Loop: Header=BB12_57 Depth=2
	s_waitcnt lgkmcnt(0)
	s_barrier
.LBB12_118:                             ;   in Loop: Header=BB12_57 Depth=2
	s_or_b64 exec, exec, s[40:41]
.LBB12_119:                             ;   in Loop: Header=BB12_57 Depth=2
	s_or_b64 exec, exec, s[22:23]
	s_trap 2
	ds_read_b64 v[72:73], v0
	s_waitcnt lgkmcnt(0)
	v_cmp_eq_u64_e32 vcc, 0, v[72:73]
	s_cbranch_vccnz .LBB12_127
; %bb.120:                              ;   in Loop: Header=BB12_57 Depth=2
	s_trap 2
	ds_read_b64 v[74:75], v0
	s_waitcnt lgkmcnt(0)
	v_cmp_eq_u64_e32 vcc, 0, v[74:75]
	s_cbranch_vccnz .LBB12_127
; %bb.121:                              ;   in Loop: Header=BB12_57 Depth=2
	s_mov_b64 s[40:41], -1
	s_and_saveexec_b64 s[22:23], s[14:15]
	s_cbranch_execz .LBB12_123
; %bb.122:                              ;   in Loop: Header=BB12_57 Depth=2
	ds_read_b32 v2, v0 offset:720
	s_waitcnt lgkmcnt(0)
	v_and_b32_e32 v2, 15, v2
	v_cmp_eq_u32_e32 vcc, 0, v2
	s_orn2_b64 s[40:41], vcc, exec
.LBB12_123:                             ;   in Loop: Header=BB12_57 Depth=2
	s_or_b64 exec, exec, s[22:23]
	s_and_saveexec_b64 s[22:23], s[16:17]
	s_cbranch_execz .LBB12_125
; %bb.124:                              ;   in Loop: Header=BB12_57 Depth=2
	ds_read_b32 v2, v0 offset:784
	s_waitcnt lgkmcnt(0)
	v_and_b32_e32 v2, 15, v2
	v_cmp_eq_u32_e32 vcc, 0, v2
	s_and_b64 s[42:43], s[40:41], vcc
	s_andn2_b64 s[40:41], s[40:41], exec
	s_and_b64 s[42:43], s[42:43], exec
	s_or_b64 s[40:41], s[40:41], s[42:43]
.LBB12_125:                             ;   in Loop: Header=BB12_57 Depth=2
	s_or_b64 exec, exec, s[22:23]
	s_xor_b64 s[40:41], s[40:41], -1
	v_cndmask_b32_e64 v2, 0, 1, s[40:41]
	v_cmp_eq_u32_e64 s[22:23], 0, v8
	s_mov_b64 s[42:43], -1
	v_cmp_ne_u32_e32 vcc, 0, v2
	s_cbranch_vccz .LBB12_128
; %bb.126:                              ;   in Loop: Header=BB12_57 Depth=2
	s_mov_b64 s[42:43], 0
	s_mov_b64 s[40:41], -1
	s_branch .LBB12_129
.LBB12_127:                             ;   in Loop: Header=BB12_57 Depth=2
	s_mov_b64 s[22:23], 0
	s_and_saveexec_b64 s[40:41], s[4:5]
	s_cbranch_execnz .LBB12_179
	s_branch .LBB12_197
.LBB12_128:                             ;   in Loop: Header=BB12_57 Depth=2
	s_mov_b64 s[40:41], 0
.LBB12_129:                             ;   in Loop: Header=BB12_57 Depth=2
	v_cndmask_b32_e64 v2, 0, v58, s[22:23]
	v_lshlrev_b32_e32 v59, 1, v2
	s_andn2_b64 vcc, exec, s[42:43]
	v_mov_b32_e32 v14, 0
	s_cbranch_vccnz .LBB12_137
; %bb.130:                              ;   in Loop: Header=BB12_57 Depth=2
	v_ashrrev_i32_e32 v8, 31, v59
	v_lshrrev_b32_e32 v8, 21, v8
	v_add_u32_e32 v8, v59, v8
	v_ashrrev_i32_e32 v26, 11, v8
	v_sub_u32_e32 v27, v26, v104
	v_lshl_add_u64 v[76:77], v[74:75], 0, v[66:67]
	v_cmp_lt_i32_e32 vcc, 0, v27
	s_mov_b64 s[42:43], 0
                                        ; implicit-def: $vgpr8_vgpr9
                                        ; implicit-def: $vgpr12_vgpr13
	s_and_saveexec_b64 s[22:23], vcc
	s_cbranch_execz .LBB12_139
; %bb.131:                              ;   in Loop: Header=BB12_57 Depth=2
	v_lshl_add_u64 v[78:79], v[72:73], 0, v[66:67]
	s_mov_b64 s[46:47], 0
                                        ; implicit-def: $sgpr44_sgpr45
                                        ; implicit-def: $vgpr8_vgpr9
                                        ; implicit-def: $vgpr12_vgpr13
	s_branch .LBB12_133
.LBB12_132:                             ;   in Loop: Header=BB12_133 Depth=3
	s_or_b64 exec, exec, s[56:57]
	v_sub_u32_e32 v27, v27, v61
	v_cmp_gt_i32_e32 vcc, 1, v27
	s_or_b64 s[42:43], vcc, s[42:43]
	s_waitcnt vmcnt(0)
	global_store_dwordx4 v[76:77], v[16:19], off
	global_store_dwordx4 v[76:77], v[20:23], off offset:1024
	s_andn2_b64 s[44:45], s[44:45], exec
	v_lshl_add_u64 v[16:17], v[76:77], 0, v[88:89]
	s_and_b64 s[56:57], s[46:47], exec
	v_lshl_add_u64 v[76:77], v[16:17], 0, s[78:79]
	v_lshl_add_u64 v[78:79], v[78:79], 0, v[88:89]
	s_or_b64 s[44:45], s[44:45], s[56:57]
	s_andn2_b64 exec, exec, s[42:43]
	s_cbranch_execz .LBB12_138
.LBB12_133:                             ;   Parent Loop BB12_47 Depth=1
                                        ;     Parent Loop BB12_57 Depth=2
                                        ; =>    This Inner Loop Header: Depth=3
	global_load_dwordx4 v[16:19], v[78:79], off nt
	global_load_dwordx4 v[20:23], v[78:79], off offset:1024 nt
	s_and_saveexec_b64 s[56:57], s[46:47]
	s_cbranch_execz .LBB12_135
; %bb.134:                              ;   in Loop: Header=BB12_133 Depth=3
	v_lshl_add_u64 v[88:89], v[76:77], 0, v[100:101]
	global_store_dwordx4 v[76:77], v[8:11], off
	global_store_dwordx4 v[76:77], v[12:15], off offset:1024
	v_mov_b64_e32 v[76:77], v[88:89]
.LBB12_135:                             ;   in Loop: Header=BB12_133 Depth=3
	s_or_b64 exec, exec, s[56:57]
	v_sub_u32_e32 v27, v27, v52
	v_lshl_add_u64 v[78:79], v[78:79], 0, v[100:101]
	v_mov_b32_e32 v61, 0
	v_cmp_lt_i32_e64 s[46:47], 0, v27
	v_mov_b64_e32 v[88:89], 0
	s_and_saveexec_b64 s[56:57], s[46:47]
	s_cbranch_execz .LBB12_132
; %bb.136:                              ;   in Loop: Header=BB12_133 Depth=3
	global_load_dwordx4 v[8:11], v[78:79], off nt
	global_load_dwordx4 v[12:15], v[78:79], off offset:1024 nt
	v_lshl_add_u64 v[78:79], v[78:79], 0, s[78:79]
	v_mov_b32_e32 v61, v52
	v_mov_b64_e32 v[88:89], v[84:85]
	s_branch .LBB12_132
.LBB12_137:                             ;   in Loop: Header=BB12_57 Depth=2
	v_mov_b32_e32 v8, v0
	v_mov_b32_e32 v15, v95
	s_and_saveexec_b64 s[22:23], s[40:41]
	s_cbranch_execnz .LBB12_158
	s_branch .LBB12_178
.LBB12_138:                             ;   in Loop: Header=BB12_57 Depth=2
	s_or_b64 exec, exec, s[42:43]
	s_and_b64 s[42:43], s[44:45], exec
.LBB12_139:                             ;   in Loop: Header=BB12_57 Depth=2
	s_or_b64 exec, exec, s[22:23]
	s_and_saveexec_b64 s[22:23], s[42:43]
	s_cbranch_execz .LBB12_141
; %bb.140:                              ;   in Loop: Header=BB12_57 Depth=2
	global_store_dwordx4 v[76:77], v[8:11], off
	global_store_dwordx4 v[76:77], v[12:15], off offset:1024
.LBB12_141:                             ;   in Loop: Header=BB12_57 Depth=2
	s_or_b64 exec, exec, s[22:23]
	v_lshlrev_b32_e32 v20, 11, v26
	v_cmp_ne_u32_e32 vcc, v59, v20
                                        ; implicit-def: $vgpr14
                                        ; implicit-def: $vgpr8
                                        ; implicit-def: $vgpr15
	s_and_saveexec_b64 s[42:43], vcc
	s_cbranch_execz .LBB12_157
; %bb.142:                              ;   in Loop: Header=BB12_57 Depth=2
	v_lshlrev_b32_e32 v9, 6, v27
	v_sub_u32_e32 v9, v95, v9
	v_ashrrev_i32_e32 v10, 31, v9
	v_lshrrev_b32_e32 v10, 26, v10
	v_add_u32_e32 v10, v9, v10
	v_ashrrev_i32_e32 v11, 6, v10
	v_and_b32_e32 v10, 0xffffffc0, v10
	v_sub_u32_e32 v21, v9, v10
	v_lshlrev_b32_e32 v9, 4, v21
	v_sub_u32_e32 v8, v59, v20
	v_lshl_add_u32 v9, v11, 10, v9
	v_add_u32_e32 v10, v9, v20
	v_sub_u32_e32 v27, v8, v9
	v_ashrrev_i32_e32 v9, 31, v8
	v_lshrrev_b32_e32 v9, 22, v9
	v_add_u32_e32 v9, v8, v9
	v_and_b32_e32 v22, 0xfffffc00, v9
	v_sub_u32_e32 v26, v8, v22
	v_ashrrev_i32_e32 v12, 10, v9
	v_cmp_lt_i32_e32 vcc, 15, v26
	s_mov_b64 s[46:47], 0
	s_nop 0
	v_addc_co_u32_e64 v8, s[22:23], 0, v12, vcc
	v_sub_u32_e32 v23, v8, v11
	v_ashrrev_i32_e32 v11, 31, v10
	v_lshl_add_u64 v[16:17], v[10:11], 0, v[74:75]
	v_cmp_lt_i32_e64 s[22:23], 15, v27
                                        ; implicit-def: $vgpr8_vgpr9
	s_and_saveexec_b64 s[44:45], s[22:23]
	s_cbranch_execz .LBB12_152
; %bb.143:                              ;   in Loop: Header=BB12_57 Depth=2
	v_lshl_add_u64 v[18:19], v[10:11], 0, v[72:73]
	s_mov_b64 s[58:59], 0
                                        ; implicit-def: $sgpr56_sgpr57
                                        ; implicit-def: $vgpr8_vgpr9
	s_branch .LBB12_145
.LBB12_144:                             ;   in Loop: Header=BB12_145 Depth=3
	s_or_b64 exec, exec, s[22:23]
	v_cmp_gt_i32_e64 s[22:23], 16, v27
	s_or_b64 s[46:47], s[22:23], s[46:47]
	s_andn2_b64 s[22:23], s[56:57], exec
	s_and_b64 s[56:57], s[58:59], exec
	s_or_b64 s[56:57], s[22:23], s[56:57]
	s_andn2_b64 exec, exec, s[46:47]
	s_cbranch_execz .LBB12_151
.LBB12_145:                             ;   Parent Loop BB12_47 Depth=1
                                        ;     Parent Loop BB12_57 Depth=2
                                        ; =>    This Inner Loop Header: Depth=3
	global_load_dwordx4 v[12:15], v[18:19], off nt
	s_and_saveexec_b64 s[22:23], s[58:59]
	s_cbranch_execz .LBB12_147
; %bb.146:                              ;   in Loop: Header=BB12_145 Depth=3
	v_lshl_add_u64 v[76:77], v[16:17], 0, v[102:103]
	global_store_dwordx4 v[16:17], v[8:11], off
	v_mov_b64_e32 v[16:17], v[76:77]
.LBB12_147:                             ;   in Loop: Header=BB12_145 Depth=3
	s_or_b64 exec, exec, s[22:23]
	v_sub_u32_e32 v27, v27, v70
	v_lshl_add_u64 v[18:19], v[18:19], 0, v[102:103]
	v_cmp_lt_i32_e64 s[58:59], 15, v27
	s_and_saveexec_b64 s[22:23], s[58:59]
	s_cbranch_execz .LBB12_149
; %bb.148:                              ;   in Loop: Header=BB12_145 Depth=3
	global_load_dwordx4 v[8:11], v[18:19], off nt
	v_lshl_add_u64 v[18:19], v[18:19], 0, s[88:89]
.LBB12_149:                             ;   in Loop: Header=BB12_145 Depth=3
	s_or_b64 exec, exec, s[22:23]
	v_sub_u32_e32 v23, v23, v52
	s_waitcnt vmcnt(0)
	global_store_dwordx4 v[16:17], v[12:15], off
	v_lshl_add_u64 v[16:17], v[16:17], 0, s[88:89]
	s_and_saveexec_b64 s[22:23], s[58:59]
	s_cbranch_execz .LBB12_144
; %bb.150:                              ;   in Loop: Header=BB12_145 Depth=3
	v_sub_u32_e32 v23, v23, v52
	v_sub_u32_e32 v27, v27, v70
	v_lshl_add_u64 v[18:19], v[18:19], 0, v[86:87]
	v_lshl_add_u64 v[16:17], v[16:17], 0, v[86:87]
	s_branch .LBB12_144
.LBB12_151:                             ;   in Loop: Header=BB12_57 Depth=2
	s_or_b64 exec, exec, s[46:47]
	s_and_b64 s[46:47], s[56:57], exec
.LBB12_152:                             ;   in Loop: Header=BB12_57 Depth=2
	s_or_b64 exec, exec, s[44:45]
	s_and_saveexec_b64 s[22:23], s[46:47]
	s_cbranch_execz .LBB12_154
; %bb.153:                              ;   in Loop: Header=BB12_57 Depth=2
	global_store_dwordx4 v[16:17], v[8:11], off
.LBB12_154:                             ;   in Loop: Header=BB12_57 Depth=2
	s_or_b64 exec, exec, s[22:23]
	s_nop 0
	v_and_b32_e32 v9, 14, v59
	v_cndmask_b32_e32 v59, v26, v9, vcc
	v_cmp_ne_u32_e64 s[22:23], 0, v59
	s_mov_b64 s[46:47], s[40:41]
                                        ; implicit-def: $vgpr14
                                        ; implicit-def: $vgpr8
                                        ; implicit-def: $vgpr15
	s_and_saveexec_b64 s[44:45], s[22:23]
	s_cbranch_execz .LBB12_156
; %bb.155:                              ;   in Loop: Header=BB12_57 Depth=2
	v_sub_u32_e32 v8, v26, v9
	v_cndmask_b32_e32 v8, 0, v8, vcc
	v_cmp_lt_i32_e32 vcc, 0, v23
	v_add3_u32 v14, v22, v20, v8
	s_or_b64 s[46:47], s[40:41], exec
	v_cndmask_b32_e32 v8, 0, v52, vcc
	v_sub_u32_e32 v8, v8, v23
	v_lshl_add_u32 v8, v8, 6, v21
	v_ashrrev_i32_e32 v9, 31, v8
	v_lshrrev_b32_e32 v9, 26, v9
	v_add_u32_e32 v9, v8, v9
	v_and_b32_e32 v9, 0xffffffc0, v9
	v_sub_u32_e32 v15, v8, v9
.LBB12_156:                             ;   in Loop: Header=BB12_57 Depth=2
	s_or_b64 exec, exec, s[44:45]
	s_andn2_b64 s[22:23], s[40:41], exec
	s_and_b64 s[40:41], s[46:47], exec
	s_or_b64 s[40:41], s[22:23], s[40:41]
.LBB12_157:                             ;   in Loop: Header=BB12_57 Depth=2
	s_or_b64 exec, exec, s[42:43]
	s_and_saveexec_b64 s[22:23], s[40:41]
	s_cbranch_execz .LBB12_178
.LBB12_158:                             ;   in Loop: Header=BB12_57 Depth=2
	v_ashrrev_i32_e32 v9, 31, v8
	v_lshrrev_b32_e32 v9, 26, v9
	v_add_u32_e32 v8, v8, v9
	v_ashrrev_i32_e32 v8, 6, v8
	v_lshlrev_b32_e32 v9, 9, v8
	v_lshlrev_b32_e32 v10, 1, v15
	v_add3_u32 v10, v14, v10, v9
	v_ashrrev_i32_e32 v9, 31, v59
	v_lshrrev_b32_e32 v9, 23, v9
	v_add_u32_e32 v9, v59, v9
	v_ashrrev_i32_e32 v16, 9, v9
	v_sub_u32_e32 v12, v16, v8
	v_ashrrev_i32_e32 v11, 31, v10
	v_lshl_add_u64 v[8:9], v[74:75], 0, v[10:11]
	v_cmp_lt_i32_e32 vcc, 0, v12
	s_mov_b64 s[42:43], 0
                                        ; implicit-def: $vgpr17
                                        ; implicit-def: $vgpr18
                                        ; implicit-def: $vgpr19
                                        ; implicit-def: $vgpr20
	s_and_saveexec_b64 s[40:41], vcc
	s_cbranch_execz .LBB12_166
; %bb.159:                              ;   in Loop: Header=BB12_57 Depth=2
	v_lshl_add_u64 v[10:11], v[10:11], 0, v[72:73]
	s_mov_b64 s[46:47], 0
                                        ; implicit-def: $sgpr44_sgpr45
                                        ; implicit-def: $vgpr17
                                        ; implicit-def: $vgpr18
                                        ; implicit-def: $vgpr19
                                        ; implicit-def: $vgpr20
	s_branch .LBB12_161
.LBB12_160:                             ;   in Loop: Header=BB12_161 Depth=3
	s_or_b64 exec, exec, s[56:57]
	s_waitcnt vmcnt(0) lgkmcnt(0)
	flat_store_short v[8:9], v21 nt
	flat_store_short v[8:9], v22 offset:128 nt
	flat_store_short v[8:9], v23 offset:256 nt
	;; [unrolled: 1-line block ×3, first 2 shown]
	v_lshl_add_u64 v[8:9], v[8:9], 0, v[12:13]
	v_lshl_add_u64 v[10:11], v[10:11], 0, v[12:13]
	v_sub_u32_e32 v12, v27, v61
	v_cmp_gt_i32_e32 vcc, 1, v12
	s_or_b64 s[42:43], vcc, s[42:43]
	s_andn2_b64 s[44:45], s[44:45], exec
	s_and_b64 s[56:57], s[46:47], exec
	v_lshl_add_u64 v[8:9], v[8:9], 0, s[90:91]
	s_or_b64 s[44:45], s[44:45], s[56:57]
	s_andn2_b64 exec, exec, s[42:43]
	s_cbranch_execz .LBB12_165
.LBB12_161:                             ;   Parent Loop BB12_47 Depth=1
                                        ;     Parent Loop BB12_57 Depth=2
                                        ; =>    This Inner Loop Header: Depth=3
	flat_load_ushort v21, v[10:11] nt
	flat_load_ushort v22, v[10:11] offset:128 nt
	flat_load_ushort v23, v[10:11] offset:256 nt
	;; [unrolled: 1-line block ×3, first 2 shown]
	s_and_saveexec_b64 s[56:57], s[46:47]
	s_cbranch_execz .LBB12_163
; %bb.162:                              ;   in Loop: Header=BB12_161 Depth=3
	flat_store_short v[8:9], v17 nt
	flat_store_short v[8:9], v18 offset:128 nt
	flat_store_short v[8:9], v19 offset:256 nt
	;; [unrolled: 1-line block ×3, first 2 shown]
	v_lshl_add_u64 v[8:9], v[8:9], 0, v[112:113]
.LBB12_163:                             ;   in Loop: Header=BB12_161 Depth=3
	s_or_b64 exec, exec, s[56:57]
	v_sub_u32_e32 v27, v12, v52
	v_lshl_add_u64 v[10:11], v[10:11], 0, v[112:113]
	v_mov_b32_e32 v61, 0
	v_cmp_lt_i32_e64 s[46:47], 0, v27
	v_mov_b64_e32 v[12:13], 0
	s_and_saveexec_b64 s[56:57], s[46:47]
	s_cbranch_execz .LBB12_160
; %bb.164:                              ;   in Loop: Header=BB12_161 Depth=3
	flat_load_ushort v17, v[10:11] nt
	flat_load_ushort v18, v[10:11] offset:128 nt
	flat_load_ushort v19, v[10:11] offset:256 nt
	;; [unrolled: 1-line block ×3, first 2 shown]
	v_lshl_add_u64 v[10:11], v[10:11], 0, s[90:91]
	v_mov_b32_e32 v61, v52
	v_mov_b64_e32 v[12:13], v[96:97]
	s_branch .LBB12_160
.LBB12_165:                             ;   in Loop: Header=BB12_57 Depth=2
	s_or_b64 exec, exec, s[42:43]
	s_and_b64 s[42:43], s[44:45], exec
.LBB12_166:                             ;   in Loop: Header=BB12_57 Depth=2
	s_or_b64 exec, exec, s[40:41]
	s_and_saveexec_b64 s[40:41], s[42:43]
	s_cbranch_execz .LBB12_168
; %bb.167:                              ;   in Loop: Header=BB12_57 Depth=2
	flat_store_short v[8:9], v17 nt
	flat_store_short v[8:9], v18 offset:128 nt
	flat_store_short v[8:9], v19 offset:256 nt
	flat_store_short v[8:9], v20 offset:384 nt
.LBB12_168:                             ;   in Loop: Header=BB12_57 Depth=2
	s_or_b64 exec, exec, s[40:41]
	v_lshlrev_b32_e32 v8, 9, v16
	v_cmp_ne_u32_e32 vcc, v59, v8
	s_and_b64 exec, exec, vcc
	s_cbranch_execz .LBB12_178
; %bb.169:                              ;   in Loop: Header=BB12_57 Depth=2
	v_lshlrev_b32_e32 v9, 6, v12
	v_sub_u32_e32 v9, v15, v9
	v_ashrrev_i32_e32 v10, 31, v9
	v_lshrrev_b32_e32 v10, 26, v10
	v_add_u32_e32 v10, v9, v10
	v_and_b32_e32 v11, 0x7fffffc0, v10
	v_sub_u32_e32 v9, v9, v11
	v_lshlrev_b32_e32 v10, 1, v10
	v_and_b32_e32 v10, 0xffffff80, v10
	v_lshlrev_b32_e32 v9, 1, v9
	v_add3_u32 v8, v10, v9, v8
	v_sub_u32_e32 v12, v59, v8
	v_cmp_lt_i32_e32 vcc, 1, v12
	s_and_b64 exec, exec, vcc
	s_cbranch_execz .LBB12_178
; %bb.170:                              ;   in Loop: Header=BB12_57 Depth=2
	v_add_u32_e32 v10, v8, v14
	v_ashrrev_i32_e32 v11, 31, v10
	v_lshl_add_u64 v[8:9], v[74:75], 0, v[10:11]
	v_lshl_add_u64 v[10:11], v[10:11], 0, v[72:73]
	s_mov_b64 s[44:45], 0
	s_mov_b64 s[40:41], 0
                                        ; implicit-def: $sgpr42_sgpr43
                                        ; implicit-def: $vgpr14
	s_branch .LBB12_172
.LBB12_171:                             ;   in Loop: Header=BB12_172 Depth=3
	s_or_b64 exec, exec, s[46:47]
	s_waitcnt vmcnt(0) lgkmcnt(0)
	flat_store_short v[8:9], v15 nt
	v_lshl_add_u64 v[8:9], v[8:9], 0, v[12:13]
	v_lshl_add_u64 v[10:11], v[10:11], 0, v[12:13]
	v_sub_u32_e32 v12, v16, v17
	v_cmp_gt_i32_e32 vcc, 2, v12
	s_or_b64 s[40:41], vcc, s[40:41]
	s_andn2_b64 s[42:43], s[42:43], exec
	s_and_b64 s[46:47], s[44:45], exec
	v_lshl_add_u64 v[8:9], v[8:9], 0, s[92:93]
	s_or_b64 s[42:43], s[42:43], s[46:47]
	s_andn2_b64 exec, exec, s[40:41]
	s_cbranch_execz .LBB12_176
.LBB12_172:                             ;   Parent Loop BB12_47 Depth=1
                                        ;     Parent Loop BB12_57 Depth=2
                                        ; =>    This Inner Loop Header: Depth=3
	flat_load_ushort v15, v[10:11] nt
	s_and_saveexec_b64 s[46:47], s[44:45]
	s_cbranch_execz .LBB12_174
; %bb.173:                              ;   in Loop: Header=BB12_172 Depth=3
	v_lshl_add_u64 v[16:17], v[8:9], 0, v[114:115]
	flat_store_short v[8:9], v14 nt
	v_mov_b64_e32 v[8:9], v[16:17]
.LBB12_174:                             ;   in Loop: Header=BB12_172 Depth=3
	s_or_b64 exec, exec, s[46:47]
	v_sub_u32_e32 v16, v12, v105
	v_lshl_add_u64 v[10:11], v[10:11], 0, v[114:115]
	v_cmp_lt_i32_e64 s[44:45], 1, v16
	v_mov_b64_e32 v[12:13], 0
	v_mov_b32_e32 v17, 0
	s_and_saveexec_b64 s[46:47], s[44:45]
	s_cbranch_execz .LBB12_171
; %bb.175:                              ;   in Loop: Header=BB12_172 Depth=3
	flat_load_ushort v14, v[10:11] nt
	v_lshl_add_u64 v[10:11], v[10:11], 0, s[92:93]
	v_mov_b32_e32 v17, v105
	v_mov_b64_e32 v[12:13], v[98:99]
	s_branch .LBB12_171
.LBB12_176:                             ;   in Loop: Header=BB12_57 Depth=2
	s_or_b64 exec, exec, s[40:41]
	s_and_b64 exec, exec, s[42:43]
	s_cbranch_execz .LBB12_178
; %bb.177:                              ;   in Loop: Header=BB12_57 Depth=2
	flat_store_short v[8:9], v14 nt
.LBB12_178:                             ;   in Loop: Header=BB12_57 Depth=2
	s_or_b64 exec, exec, s[22:23]
	v_cmp_lt_i32_e64 s[22:23], 0, v2
	s_and_saveexec_b64 s[40:41], s[4:5]
	s_cbranch_execz .LBB12_197
.LBB12_179:                             ;   in Loop: Header=BB12_57 Depth=2
	s_and_saveexec_b64 s[42:43], s[76:77]
	s_xor_b64 s[42:43], exec, s[42:43]
	s_cbranch_execz .LBB12_194
; %bb.180:                              ;   in Loop: Header=BB12_57 Depth=2
	s_and_saveexec_b64 s[44:45], s[12:13]
	s_cbranch_execz .LBB12_193
; %bb.181:                              ;   in Loop: Header=BB12_57 Depth=2
	s_mov_b64 s[56:57], exec
	v_mbcnt_lo_u32_b32 v2, s56, 0
	v_mbcnt_hi_u32_b32 v2, s57, v2
	v_cmp_eq_u32_e32 vcc, 0, v2
	s_waitcnt lgkmcnt(0)
	s_and_saveexec_b64 s[46:47], vcc
	s_cbranch_execz .LBB12_183
; %bb.182:                              ;   in Loop: Header=BB12_57 Depth=2
	s_bcnt1_i32_b64 s56, s[56:57]
	v_mov_b32_e32 v2, s56
	ds_add_u64 v0, v[2:3]
	s_trap 2
.LBB12_183:                             ;   in Loop: Header=BB12_57 Depth=2
	s_or_b64 exec, exec, s[46:47]
	s_trap 2
	ds_read_b64 v[8:9], v0
	s_waitcnt lgkmcnt(0)
	v_lshl_add_u64 v[48:49], v[48:49], 0, v[52:53]
	v_cmp_lt_u64_e32 vcc, v[8:9], v[48:49]
	s_and_saveexec_b64 s[46:47], vcc
	s_cbranch_execz .LBB12_192
; %bb.184:                              ;   in Loop: Header=BB12_57 Depth=2
	s_mov_b32 s30, 0
	s_mov_b64 s[56:57], 0
                                        ; implicit-def: $sgpr58_sgpr59
                                        ; implicit-def: $sgpr60_sgpr61
	s_branch .LBB12_186
.LBB12_185:                             ;   in Loop: Header=BB12_186 Depth=3
	s_or_b64 exec, exec, s[52:53]
	s_and_b64 vcc, exec, vcc
	s_or_b64 s[56:57], vcc, s[56:57]
	s_andn2_b64 s[58:59], s[58:59], exec
	s_and_b64 vcc, s[60:61], exec
	s_or_b64 s[58:59], s[58:59], vcc
	s_andn2_b64 exec, exec, s[56:57]
	s_cbranch_execz .LBB12_190
.LBB12_186:                             ;   Parent Loop BB12_47 Depth=1
                                        ;     Parent Loop BB12_57 Depth=2
                                        ; =>    This Inner Loop Header: Depth=3
	s_add_i32 s30, s30, 1
	s_cmpk_lg_i32 s30, 0x2710
	s_cselect_b64 s[50:51], -1, 0
	s_and_b64 vcc, exec, s[50:51]
	s_cbranch_vccz .LBB12_188
; %bb.187:                              ;   in Loop: Header=BB12_186 Depth=3
	s_mov_b64 vcc, -1
	s_or_b64 s[60:61], s[60:61], exec
	s_and_saveexec_b64 s[52:53], s[50:51]
	s_cbranch_execz .LBB12_185
	s_branch .LBB12_189
.LBB12_188:                             ;   in Loop: Header=BB12_186 Depth=3
	s_trap 2
	ds_read_b64 v[8:9], v0
	s_andn2_b64 s[50:51], s[50:51], exec
	s_mov_b32 s30, 0
	s_waitcnt vmcnt(0) lgkmcnt(0)
	flat_load_dword v2, v[8:9] sc0 sc1
	s_waitcnt vmcnt(0) lgkmcnt(0)
	buffer_inv sc0 sc1
	v_cmp_eq_u32_e32 vcc, 0, v2
	s_and_b64 vcc, vcc, exec
	s_or_b64 s[50:51], s[50:51], vcc
	s_mov_b64 vcc, -1
	s_or_b64 s[60:61], s[60:61], exec
	s_and_saveexec_b64 s[52:53], s[50:51]
	s_cbranch_execz .LBB12_185
.LBB12_189:                             ;   in Loop: Header=BB12_186 Depth=3
	s_sleep 1
	s_trap 2
	ds_read_b64 v[8:9], v0
	s_waitcnt lgkmcnt(0)
	s_andn2_b64 s[60:61], s[60:61], exec
	v_cmp_ge_u64_e32 vcc, v[8:9], v[48:49]
	s_orn2_b64 vcc, vcc, exec
	s_branch .LBB12_185
.LBB12_190:                             ;   in Loop: Header=BB12_57 Depth=2
	s_or_b64 exec, exec, s[56:57]
	s_and_saveexec_b64 s[56:57], s[58:59]
	s_xor_b64 s[56:57], exec, s[56:57]
	s_cbranch_execz .LBB12_192
; %bb.191:                              ;   in Loop: Header=BB12_57 Depth=2
	ds_write_b32 v0, v106
	s_trap 2
.LBB12_192:                             ;   in Loop: Header=BB12_57 Depth=2
	s_or_b64 exec, exec, s[46:47]
	;;#ASMSTART
	s_wakeup
	;;#ASMEND
.LBB12_193:                             ;   in Loop: Header=BB12_57 Depth=2
	s_or_b64 exec, exec, s[44:45]
.LBB12_194:                             ;   in Loop: Header=BB12_57 Depth=2
	s_andn2_saveexec_b64 s[42:43], s[42:43]
	s_cbranch_execz .LBB12_196
; %bb.195:                              ;   in Loop: Header=BB12_57 Depth=2
	s_waitcnt lgkmcnt(0)
	s_barrier
.LBB12_196:                             ;   in Loop: Header=BB12_57 Depth=2
	s_or_b64 exec, exec, s[42:43]
.LBB12_197:                             ;   in Loop: Header=BB12_57 Depth=2
	s_or_b64 exec, exec, s[40:41]
	v_and_b32_e32 v8, 16, v94
	s_and_saveexec_b64 s[40:41], s[20:21]
	s_xor_b64 s[40:41], exec, s[40:41]
	s_cbranch_execz .LBB12_202
; %bb.198:                              ;   in Loop: Header=BB12_57 Depth=2
	v_and_b32_e32 v2, 16, v94
	v_cmp_ne_u32_e32 vcc, 0, v2
	v_and_b32_e32 v8, 16, v94
	s_and_b64 s[42:43], vcc, s[22:23]
	s_and_saveexec_b64 s[22:23], s[42:43]
	s_cbranch_execz .LBB12_200
; %bb.199:                              ;   in Loop: Header=BB12_57 Depth=2
	v_mov_b32_e32 v8, 1
	buffer_wbl2 sc1
	s_waitcnt vmcnt(0) lgkmcnt(0)
	buffer_inv sc1
.LBB12_200:                             ;   in Loop: Header=BB12_57 Depth=2
	s_or_b64 exec, exec, s[22:23]
	s_andn2_saveexec_b64 s[22:23], s[40:41]
	s_cbranch_execnz .LBB12_203
.LBB12_201:                             ;   in Loop: Header=BB12_57 Depth=2
	s_or_b64 exec, exec, s[22:23]
	v_cmp_ne_u32_e32 vcc, 0, v8
	s_and_saveexec_b64 s[22:23], vcc
	s_cbranch_execz .LBB12_56
	s_branch .LBB12_221
.LBB12_202:                             ;   in Loop: Header=BB12_57 Depth=2
	s_andn2_saveexec_b64 s[22:23], s[40:41]
	s_cbranch_execz .LBB12_201
.LBB12_203:                             ;   in Loop: Header=BB12_57 Depth=2
	s_and_saveexec_b64 s[40:41], s[76:77]
	s_xor_b64 s[40:41], exec, s[40:41]
	s_cbranch_execz .LBB12_218
; %bb.204:                              ;   in Loop: Header=BB12_57 Depth=2
	s_and_saveexec_b64 s[42:43], s[12:13]
	s_cbranch_execz .LBB12_217
; %bb.205:                              ;   in Loop: Header=BB12_57 Depth=2
	s_mov_b64 s[46:47], exec
	v_mbcnt_lo_u32_b32 v2, s46, 0
	v_mbcnt_hi_u32_b32 v2, s47, v2
	v_cmp_eq_u32_e32 vcc, 0, v2
	;;#ASMSTART
	s_waitcnt lgkmcnt(0) vmcnt(0)
	;;#ASMEND
	s_and_saveexec_b64 s[44:45], vcc
	s_cbranch_execz .LBB12_207
; %bb.206:                              ;   in Loop: Header=BB12_57 Depth=2
	s_bcnt1_i32_b64 s46, s[46:47]
	v_mov_b32_e32 v2, s46
	s_waitcnt lgkmcnt(0)
	ds_add_u64 v0, v[2:3]
	s_trap 2
.LBB12_207:                             ;   in Loop: Header=BB12_57 Depth=2
	s_or_b64 exec, exec, s[44:45]
	s_trap 2
	ds_read_b64 v[10:11], v0
	s_waitcnt lgkmcnt(0)
	v_lshl_add_u64 v[48:49], v[48:49], 0, v[52:53]
	v_cmp_lt_u64_e32 vcc, v[10:11], v[48:49]
	s_and_saveexec_b64 s[44:45], vcc
	s_cbranch_execz .LBB12_216
; %bb.208:                              ;   in Loop: Header=BB12_57 Depth=2
	s_mov_b32 s30, 0
	s_mov_b64 s[46:47], 0
                                        ; implicit-def: $sgpr56_sgpr57
                                        ; implicit-def: $sgpr58_sgpr59
	s_branch .LBB12_210
.LBB12_209:                             ;   in Loop: Header=BB12_210 Depth=3
	s_or_b64 exec, exec, s[50:51]
	s_and_b64 s[60:61], exec, vcc
	s_or_b64 s[46:47], s[60:61], s[46:47]
	s_andn2_b64 s[56:57], s[56:57], exec
	s_and_b64 s[60:61], s[58:59], exec
	s_or_b64 s[56:57], s[56:57], s[60:61]
	s_andn2_b64 exec, exec, s[46:47]
	s_cbranch_execz .LBB12_214
.LBB12_210:                             ;   Parent Loop BB12_47 Depth=1
                                        ;     Parent Loop BB12_57 Depth=2
                                        ; =>    This Inner Loop Header: Depth=3
	s_add_i32 s30, s30, 1
	s_cmpk_lg_i32 s30, 0x2710
	s_cselect_b64 s[60:61], -1, 0
	s_and_b64 vcc, exec, s[60:61]
	s_cbranch_vccz .LBB12_212
; %bb.211:                              ;   in Loop: Header=BB12_210 Depth=3
	s_mov_b64 vcc, -1
	s_or_b64 s[58:59], s[58:59], exec
	s_and_saveexec_b64 s[50:51], s[60:61]
	s_cbranch_execz .LBB12_209
	s_branch .LBB12_213
.LBB12_212:                             ;   in Loop: Header=BB12_210 Depth=3
	s_trap 2
	ds_read_b64 v[10:11], v0
	s_andn2_b64 s[60:61], s[60:61], exec
	s_mov_b32 s30, 0
	s_waitcnt vmcnt(0) lgkmcnt(0)
	flat_load_dword v2, v[10:11] sc0 sc1
	s_waitcnt vmcnt(0) lgkmcnt(0)
	buffer_inv sc0 sc1
	v_cmp_eq_u32_e32 vcc, 0, v2
	s_and_b64 vcc, vcc, exec
	s_or_b64 s[60:61], s[60:61], vcc
	s_mov_b64 vcc, -1
	s_or_b64 s[58:59], s[58:59], exec
	s_and_saveexec_b64 s[50:51], s[60:61]
	s_cbranch_execz .LBB12_209
.LBB12_213:                             ;   in Loop: Header=BB12_210 Depth=3
	s_sleep 1
	s_trap 2
	ds_read_b64 v[10:11], v0
	s_waitcnt lgkmcnt(0)
	s_andn2_b64 s[58:59], s[58:59], exec
	v_cmp_ge_u64_e32 vcc, v[10:11], v[48:49]
	s_orn2_b64 vcc, vcc, exec
	s_branch .LBB12_209
.LBB12_214:                             ;   in Loop: Header=BB12_57 Depth=2
	s_or_b64 exec, exec, s[46:47]
	s_and_saveexec_b64 s[46:47], s[56:57]
	s_xor_b64 s[46:47], exec, s[46:47]
	s_cbranch_execz .LBB12_216
; %bb.215:                              ;   in Loop: Header=BB12_57 Depth=2
	ds_write_b32 v0, v106
	s_trap 2
.LBB12_216:                             ;   in Loop: Header=BB12_57 Depth=2
	s_or_b64 exec, exec, s[44:45]
	;;#ASMSTART
	s_wakeup
	;;#ASMEND
.LBB12_217:                             ;   in Loop: Header=BB12_57 Depth=2
	s_or_b64 exec, exec, s[42:43]
.LBB12_218:                             ;   in Loop: Header=BB12_57 Depth=2
	s_andn2_saveexec_b64 s[40:41], s[40:41]
	s_cbranch_execz .LBB12_220
; %bb.219:                              ;   in Loop: Header=BB12_57 Depth=2
	;;#ASMSTART
	s_waitcnt lgkmcnt(0) vmcnt(0)
	;;#ASMEND
	s_barrier
.LBB12_220:                             ;   in Loop: Header=BB12_57 Depth=2
	s_or_b64 exec, exec, s[40:41]
	s_or_b64 exec, exec, s[22:23]
	v_cmp_ne_u32_e32 vcc, 0, v8
	s_and_saveexec_b64 s[22:23], vcc
	s_cbranch_execz .LBB12_56
.LBB12_221:                             ;   in Loop: Header=BB12_57 Depth=2
	s_and_saveexec_b64 s[40:41], s[10:11]
	s_cbranch_execz .LBB12_55
; %bb.222:                              ;   in Loop: Header=BB12_57 Depth=2
	flat_store_dword v[36:37], v106 sc0 sc1
	s_branch .LBB12_55
.LBB12_223:                             ;   in Loop: Header=BB12_47 Depth=1
	s_or_b64 exec, exec, s[26:27]
.LBB12_224:                             ;   in Loop: Header=BB12_47 Depth=1
	s_or_b64 exec, exec, s[24:25]
	v_cmp_gt_i32_e32 vcc, 2, v2
	s_and_saveexec_b64 s[24:25], vcc
	s_cbranch_execz .LBB12_296
; %bb.225:                              ;   in Loop: Header=BB12_47 Depth=1
	v_cmp_eq_u32_e64 s[28:29], 0, v2
	s_mov_b64 s[26:27], 0
	s_branch .LBB12_228
.LBB12_226:                             ;   in Loop: Header=BB12_228 Depth=2
	s_or_b64 exec, exec, s[28:29]
	v_lshl_add_u64 v[44:45], v[44:45], 0, 2
	flat_store_dwordx2 v[32:33], v[44:45] sc0 sc1
.LBB12_227:                             ;   in Loop: Header=BB12_228 Depth=2
	s_or_b64 exec, exec, s[22:23]
	v_add_u32_e32 v60, v58, v60
	s_mov_b64 s[28:29], 0
	s_andn2_b64 exec, exec, s[26:27]
	s_cbranch_execz .LBB12_295
.LBB12_228:                             ;   Parent Loop BB12_47 Depth=1
                                        ; =>  This Loop Header: Depth=2
                                        ;       Child Loop BB12_234 Depth 3
                                        ;       Child Loop BB12_258 Depth 3
                                        ;       Child Loop BB12_282 Depth 3
	v_sub_u32_e32 v2, v90, v60
	v_min_i32_e32 v58, v58, v2
	v_and_b32_e32 v2, 8, v94
	v_cmp_ne_u32_e32 vcc, 0, v2
	s_and_saveexec_b64 s[40:41], vcc
	s_cbranch_execz .LBB12_250
; %bb.229:                              ;   in Loop: Header=BB12_228 Depth=2
	s_waitcnt vmcnt(0) lgkmcnt(0)
	v_lshl_add_u64 v[10:11], v[38:39], 0, 8
	v_lshl_add_u64 v[8:9], v[44:45], 0, 2
	v_cmp_lt_u64_e32 vcc, v[10:11], v[8:9]
	s_and_saveexec_b64 s[42:43], vcc
	s_cbranch_execz .LBB12_241
; %bb.230:                              ;   in Loop: Header=BB12_228 Depth=2
	v_and_b32_e32 v2, 64, v94
	s_mov_b32 s74, 0
	v_cmp_eq_u32_e32 vcc, 0, v2
	s_mov_b64 s[44:45], 0
                                        ; implicit-def: $sgpr46_sgpr47
                                        ; implicit-def: $sgpr56_sgpr57
                                        ; implicit-def: $sgpr58_sgpr59
	s_branch .LBB12_234
.LBB12_231:                             ;   in Loop: Header=BB12_234 Depth=3
	s_waitcnt vmcnt(0) lgkmcnt(0)
	v_lshl_add_u64 v[10:11], v[38:39], 0, 8
	v_cmp_ge_u64_e64 s[22:23], v[10:11], v[8:9]
	s_or_b64 s[52:53], s[52:53], exec
	s_orn2_b64 s[50:51], s[22:23], exec
.LBB12_232:                             ;   in Loop: Header=BB12_234 Depth=3
	s_or_b64 exec, exec, s[64:65]
	s_andn2_b64 s[22:23], s[58:59], exec
	s_and_b64 s[58:59], s[52:53], exec
	s_or_b64 s[58:59], s[22:23], s[58:59]
	s_andn2_b64 s[22:23], s[56:57], exec
	s_and_b64 s[56:57], s[50:51], exec
	s_or_b64 s[56:57], s[22:23], s[56:57]
.LBB12_233:                             ;   in Loop: Header=BB12_234 Depth=3
	s_or_b64 exec, exec, s[60:61]
	s_and_b64 s[22:23], exec, s[56:57]
	s_or_b64 s[44:45], s[22:23], s[44:45]
	s_andn2_b64 s[22:23], s[46:47], exec
	s_and_b64 s[46:47], s[58:59], exec
	s_or_b64 s[46:47], s[22:23], s[46:47]
	s_andn2_b64 exec, exec, s[44:45]
	s_cbranch_execz .LBB12_238
.LBB12_234:                             ;   Parent Loop BB12_47 Depth=1
                                        ;     Parent Loop BB12_228 Depth=2
                                        ; =>    This Inner Loop Header: Depth=3
	s_sleep 1
	s_waitcnt vmcnt(0) lgkmcnt(0)
	flat_load_dwordx2 v[38:39], v[32:33] sc0 sc1
	s_or_b64 s[58:59], s[58:59], exec
	s_or_b64 s[56:57], s[56:57], exec
                                        ; implicit-def: $vgpr2
	s_and_saveexec_b64 s[60:61], vcc
	s_cbranch_execz .LBB12_233
; %bb.235:                              ;   in Loop: Header=BB12_234 Depth=3
	s_cmpk_lt_i32 s74, 0x270f
	s_cselect_b64 s[54:55], -1, 0
	s_cmpk_gt_i32 s74, 0x270e
	s_mov_b64 s[50:51], -1
	s_cbranch_scc0 .LBB12_237
; %bb.236:                              ;   in Loop: Header=BB12_234 Depth=3
	s_trap 2
	ds_read_b64 v[10:11], v0
	s_andn2_b64 s[30:31], s[54:55], exec
	s_mov_b32 s74, 0
	s_mov_b64 s[52:53], 0
	s_waitcnt vmcnt(0) lgkmcnt(0)
	flat_load_dword v2, v[10:11] sc0 sc1
	s_waitcnt vmcnt(0) lgkmcnt(0)
	buffer_inv sc0 sc1
	v_cmp_eq_u32_e64 s[22:23], 0, v2
	s_and_b64 s[22:23], s[22:23], exec
	s_or_b64 s[54:55], s[30:31], s[22:23]
	s_and_saveexec_b64 s[64:65], s[54:55]
	s_cbranch_execz .LBB12_232
	s_branch .LBB12_231
.LBB12_237:                             ;   in Loop: Header=BB12_234 Depth=3
	s_add_i32 s74, s74, 1
	s_mov_b64 s[52:53], -1
                                        ; implicit-def: $vgpr2
	s_and_saveexec_b64 s[64:65], s[54:55]
	s_cbranch_execz .LBB12_232
	s_branch .LBB12_231
.LBB12_238:                             ;   in Loop: Header=BB12_228 Depth=2
	s_or_b64 exec, exec, s[44:45]
	s_xor_b64 s[22:23], s[46:47], -1
	s_and_saveexec_b64 s[44:45], s[22:23]
	s_xor_b64 s[22:23], exec, s[44:45]
	s_cbranch_execz .LBB12_240
; %bb.239:                              ;   in Loop: Header=BB12_228 Depth=2
	v_or_b32_e32 v94, 64, v94
	s_waitcnt lgkmcnt(0)
	ds_write_b32 v0, v2
	s_trap 2
.LBB12_240:                             ;   in Loop: Header=BB12_228 Depth=2
	s_or_b64 exec, exec, s[22:23]
.LBB12_241:                             ;   in Loop: Header=BB12_228 Depth=2
	s_or_b64 exec, exec, s[42:43]
	v_and_b32_e32 v2, 0x100, v94
	v_cmp_ne_u32_e32 vcc, 0, v2
	v_and_b32_e32 v2, 7, v44
	s_mov_b64 s[22:23], -1
	;;#ASMSTART
	s_wakeup
	;;#ASMEND
                                        ; implicit-def: $vgpr10_vgpr11
	s_and_saveexec_b64 s[42:43], vcc
	s_cbranch_execz .LBB12_245
; %bb.242:                              ;   in Loop: Header=BB12_228 Depth=2
	v_mad_u64_u32 v[12:13], s[22:23], v2, 24, v[6:7]
	flat_load_dword v14, v[12:13]
	v_ashrrev_i32_e32 v59, 31, v58
	v_lshlrev_b64 v[10:11], 1, v[58:59]
	flat_store_dwordx2 v[12:13], v[10:11] offset:8
                                        ; implicit-def: $vgpr10_vgpr11
	s_waitcnt vmcnt(0) lgkmcnt(0)
	v_cmp_ne_u32_e32 vcc, 1, v14
	v_cmp_eq_u32_e64 s[22:23], 1, v14
	s_and_saveexec_b64 s[44:45], s[22:23]
	s_cbranch_execz .LBB12_244
; %bb.243:                              ;   in Loop: Header=BB12_228 Depth=2
	flat_load_dword v10, v[12:13] offset:4 sc0 sc1
	s_waitcnt vmcnt(0) lgkmcnt(0)
	v_ashrrev_i32_e32 v11, 31, v10
	v_lshrrev_b64 v[10:11], 1, v[10:11]
.LBB12_244:                             ;   in Loop: Header=BB12_228 Depth=2
	s_or_b64 exec, exec, s[44:45]
	s_orn2_b64 s[22:23], vcc, exec
.LBB12_245:                             ;   in Loop: Header=BB12_228 Depth=2
	s_or_b64 exec, exec, s[42:43]
	s_and_saveexec_b64 s[42:43], s[22:23]
; %bb.246:                              ;   in Loop: Header=BB12_228 Depth=2
	v_mad_i64_i32 v[10:11], s[22:23], v2, v30, 0
; %bb.247:                              ;   in Loop: Header=BB12_228 Depth=2
	s_or_b64 exec, exec, s[42:43]
	v_and_b32_e32 v2, 0x2000, v94
	v_lshl_add_u64 v[10:11], v[10:11], 1, v[34:35]
	v_cmp_ne_u32_e32 vcc, 0, v2
	ds_write_b64 v0, v[10:11] offset:784
	s_and_saveexec_b64 s[22:23], vcc
	s_cbranch_execz .LBB12_249
; %bb.248:                              ;   in Loop: Header=BB12_228 Depth=2
	ds_read_b64 v[10:11], v0 offset:872
	s_waitcnt lgkmcnt(0)
	v_lshl_add_u64 v[10:11], v[10:11], 0, 1
	ds_write_b64 v0, v[10:11] offset:872
.LBB12_249:                             ;   in Loop: Header=BB12_228 Depth=2
	s_or_b64 exec, exec, s[22:23]
	v_mov_b64_e32 v[44:45], v[8:9]
.LBB12_250:                             ;   in Loop: Header=BB12_228 Depth=2
	s_or_b64 exec, exec, s[40:41]
	s_xor_b64 s[22:23], s[28:29], -1
	s_and_b64 s[22:23], exec, s[22:23]
	s_or_b64 s[26:27], s[22:23], s[26:27]
	s_and_saveexec_b64 s[22:23], s[4:5]
	s_cbranch_execz .LBB12_269
; %bb.251:                              ;   in Loop: Header=BB12_228 Depth=2
	s_and_saveexec_b64 s[28:29], s[76:77]
	s_xor_b64 s[28:29], exec, s[28:29]
	s_cbranch_execz .LBB12_266
; %bb.252:                              ;   in Loop: Header=BB12_228 Depth=2
	s_and_saveexec_b64 s[40:41], s[12:13]
	s_cbranch_execz .LBB12_265
; %bb.253:                              ;   in Loop: Header=BB12_228 Depth=2
	s_mov_b64 s[44:45], exec
	v_mbcnt_lo_u32_b32 v2, s44, 0
	v_mbcnt_hi_u32_b32 v2, s45, v2
	v_cmp_eq_u32_e32 vcc, 0, v2
	s_waitcnt lgkmcnt(0)
	s_and_saveexec_b64 s[42:43], vcc
	s_cbranch_execz .LBB12_255
; %bb.254:                              ;   in Loop: Header=BB12_228 Depth=2
	s_bcnt1_i32_b64 s44, s[44:45]
	v_mov_b32_e32 v2, s44
	ds_add_u64 v0, v[2:3]
	s_trap 2
.LBB12_255:                             ;   in Loop: Header=BB12_228 Depth=2
	s_or_b64 exec, exec, s[42:43]
	s_trap 2
	ds_read_b64 v[8:9], v0
	s_waitcnt lgkmcnt(0)
	v_lshl_add_u64 v[48:49], v[48:49], 0, v[52:53]
	v_cmp_lt_u64_e32 vcc, v[8:9], v[48:49]
	s_and_saveexec_b64 s[42:43], vcc
	s_cbranch_execz .LBB12_264
; %bb.256:                              ;   in Loop: Header=BB12_228 Depth=2
	s_mov_b32 s74, 0
	s_mov_b64 s[44:45], 0
                                        ; implicit-def: $sgpr46_sgpr47
                                        ; implicit-def: $sgpr56_sgpr57
	s_branch .LBB12_258
.LBB12_257:                             ;   in Loop: Header=BB12_258 Depth=3
	s_or_b64 exec, exec, s[60:61]
	s_and_b64 s[58:59], exec, vcc
	s_or_b64 s[44:45], s[58:59], s[44:45]
	s_andn2_b64 s[46:47], s[46:47], exec
	s_and_b64 s[58:59], s[56:57], exec
	s_or_b64 s[46:47], s[46:47], s[58:59]
	s_andn2_b64 exec, exec, s[44:45]
	s_cbranch_execz .LBB12_262
.LBB12_258:                             ;   Parent Loop BB12_47 Depth=1
                                        ;     Parent Loop BB12_228 Depth=2
                                        ; =>    This Inner Loop Header: Depth=3
	s_add_i32 s74, s74, 1
	s_cmpk_lg_i32 s74, 0x2710
	s_cselect_b64 s[58:59], -1, 0
	s_and_b64 vcc, exec, s[58:59]
	s_cbranch_vccz .LBB12_260
; %bb.259:                              ;   in Loop: Header=BB12_258 Depth=3
	s_mov_b64 vcc, -1
	s_or_b64 s[56:57], s[56:57], exec
	s_and_saveexec_b64 s[60:61], s[58:59]
	s_cbranch_execz .LBB12_257
	s_branch .LBB12_261
.LBB12_260:                             ;   in Loop: Header=BB12_258 Depth=3
	s_trap 2
	ds_read_b64 v[8:9], v0
	s_andn2_b64 s[58:59], s[58:59], exec
	s_mov_b32 s74, 0
	s_waitcnt vmcnt(0) lgkmcnt(0)
	flat_load_dword v2, v[8:9] sc0 sc1
	s_waitcnt vmcnt(0) lgkmcnt(0)
	buffer_inv sc0 sc1
	v_cmp_eq_u32_e32 vcc, 0, v2
	s_and_b64 s[60:61], vcc, exec
	s_or_b64 s[58:59], s[58:59], s[60:61]
	s_mov_b64 vcc, -1
	s_or_b64 s[56:57], s[56:57], exec
	s_and_saveexec_b64 s[60:61], s[58:59]
	s_cbranch_execz .LBB12_257
.LBB12_261:                             ;   in Loop: Header=BB12_258 Depth=3
	s_sleep 1
	s_trap 2
	ds_read_b64 v[8:9], v0
	s_waitcnt lgkmcnt(0)
	s_andn2_b64 s[56:57], s[56:57], exec
	v_cmp_ge_u64_e32 vcc, v[8:9], v[48:49]
	s_orn2_b64 vcc, vcc, exec
	s_branch .LBB12_257
.LBB12_262:                             ;   in Loop: Header=BB12_228 Depth=2
	s_or_b64 exec, exec, s[44:45]
	s_and_saveexec_b64 s[44:45], s[46:47]
	s_xor_b64 s[44:45], exec, s[44:45]
	s_cbranch_execz .LBB12_264
; %bb.263:                              ;   in Loop: Header=BB12_228 Depth=2
	ds_write_b32 v0, v106
	s_trap 2
.LBB12_264:                             ;   in Loop: Header=BB12_228 Depth=2
	s_or_b64 exec, exec, s[42:43]
	;;#ASMSTART
	s_wakeup
	;;#ASMEND
.LBB12_265:                             ;   in Loop: Header=BB12_228 Depth=2
	s_or_b64 exec, exec, s[40:41]
.LBB12_266:                             ;   in Loop: Header=BB12_228 Depth=2
	s_andn2_saveexec_b64 s[28:29], s[28:29]
	s_cbranch_execz .LBB12_268
; %bb.267:                              ;   in Loop: Header=BB12_228 Depth=2
	s_waitcnt lgkmcnt(0)
	s_barrier
.LBB12_268:                             ;   in Loop: Header=BB12_228 Depth=2
	s_or_b64 exec, exec, s[28:29]
.LBB12_269:                             ;   in Loop: Header=BB12_228 Depth=2
	s_or_b64 exec, exec, s[22:23]
	v_and_b32_e32 v8, 16, v94
	s_and_saveexec_b64 s[22:23], s[20:21]
	s_xor_b64 s[22:23], exec, s[22:23]
	s_cbranch_execz .LBB12_274
; %bb.270:                              ;   in Loop: Header=BB12_228 Depth=2
	s_trap 2
	ds_read_b32 v2, v0
	v_cmp_lt_i32_e32 vcc, 0, v58
	v_and_b32_e32 v9, 16, v94
	v_and_b32_e32 v8, 16, v94
	s_waitcnt lgkmcnt(0)
	v_readfirstlane_b32 s28, v2
	s_cmp_eq_u32 s28, 0
	s_cselect_b64 s[28:29], -1, 0
	s_and_b64 s[28:29], vcc, s[28:29]
	v_cmp_ne_u32_e32 vcc, 0, v9
	s_and_b64 s[40:41], vcc, s[28:29]
	s_and_saveexec_b64 s[28:29], s[40:41]
	s_cbranch_execz .LBB12_272
; %bb.271:                              ;   in Loop: Header=BB12_228 Depth=2
	v_mov_b32_e32 v8, 1
	buffer_wbl2 sc1
	s_waitcnt vmcnt(0)
	buffer_inv sc1
.LBB12_272:                             ;   in Loop: Header=BB12_228 Depth=2
	s_or_b64 exec, exec, s[28:29]
	s_andn2_saveexec_b64 s[22:23], s[22:23]
	s_cbranch_execnz .LBB12_275
.LBB12_273:                             ;   in Loop: Header=BB12_228 Depth=2
	s_or_b64 exec, exec, s[22:23]
	v_cmp_ne_u32_e32 vcc, 0, v8
	s_and_saveexec_b64 s[22:23], vcc
	s_cbranch_execz .LBB12_227
	s_branch .LBB12_293
.LBB12_274:                             ;   in Loop: Header=BB12_228 Depth=2
	s_andn2_saveexec_b64 s[22:23], s[22:23]
	s_cbranch_execz .LBB12_273
.LBB12_275:                             ;   in Loop: Header=BB12_228 Depth=2
	s_and_saveexec_b64 s[28:29], s[76:77]
	s_xor_b64 s[28:29], exec, s[28:29]
	s_cbranch_execz .LBB12_290
; %bb.276:                              ;   in Loop: Header=BB12_228 Depth=2
	s_and_saveexec_b64 s[40:41], s[12:13]
	s_cbranch_execz .LBB12_289
; %bb.277:                              ;   in Loop: Header=BB12_228 Depth=2
	s_mov_b64 s[44:45], exec
	v_mbcnt_lo_u32_b32 v2, s44, 0
	v_mbcnt_hi_u32_b32 v2, s45, v2
	v_cmp_eq_u32_e32 vcc, 0, v2
	;;#ASMSTART
	s_waitcnt lgkmcnt(0) vmcnt(0)
	;;#ASMEND
	s_and_saveexec_b64 s[42:43], vcc
	s_cbranch_execz .LBB12_279
; %bb.278:                              ;   in Loop: Header=BB12_228 Depth=2
	s_bcnt1_i32_b64 s44, s[44:45]
	v_mov_b32_e32 v2, s44
	s_waitcnt lgkmcnt(0)
	ds_add_u64 v0, v[2:3]
	s_trap 2
.LBB12_279:                             ;   in Loop: Header=BB12_228 Depth=2
	s_or_b64 exec, exec, s[42:43]
	s_trap 2
	ds_read_b64 v[10:11], v0
	s_waitcnt lgkmcnt(0)
	v_lshl_add_u64 v[48:49], v[48:49], 0, v[52:53]
	v_cmp_lt_u64_e32 vcc, v[10:11], v[48:49]
	s_and_saveexec_b64 s[42:43], vcc
	s_cbranch_execz .LBB12_288
; %bb.280:                              ;   in Loop: Header=BB12_228 Depth=2
	s_mov_b32 s74, 0
	s_mov_b64 s[44:45], 0
                                        ; implicit-def: $sgpr46_sgpr47
                                        ; implicit-def: $sgpr56_sgpr57
	s_branch .LBB12_282
.LBB12_281:                             ;   in Loop: Header=BB12_282 Depth=3
	s_or_b64 exec, exec, s[60:61]
	s_and_b64 s[58:59], exec, vcc
	s_or_b64 s[44:45], s[58:59], s[44:45]
	s_andn2_b64 s[46:47], s[46:47], exec
	s_and_b64 s[58:59], s[56:57], exec
	s_or_b64 s[46:47], s[46:47], s[58:59]
	s_andn2_b64 exec, exec, s[44:45]
	s_cbranch_execz .LBB12_286
.LBB12_282:                             ;   Parent Loop BB12_47 Depth=1
                                        ;     Parent Loop BB12_228 Depth=2
                                        ; =>    This Inner Loop Header: Depth=3
	s_add_i32 s74, s74, 1
	s_cmpk_lg_i32 s74, 0x2710
	s_cselect_b64 s[58:59], -1, 0
	s_and_b64 vcc, exec, s[58:59]
	s_cbranch_vccz .LBB12_284
; %bb.283:                              ;   in Loop: Header=BB12_282 Depth=3
	s_mov_b64 vcc, -1
	s_or_b64 s[56:57], s[56:57], exec
	s_and_saveexec_b64 s[60:61], s[58:59]
	s_cbranch_execz .LBB12_281
	s_branch .LBB12_285
.LBB12_284:                             ;   in Loop: Header=BB12_282 Depth=3
	s_trap 2
	ds_read_b64 v[10:11], v0
	s_andn2_b64 s[58:59], s[58:59], exec
	s_mov_b32 s74, 0
	s_waitcnt vmcnt(0) lgkmcnt(0)
	flat_load_dword v2, v[10:11] sc0 sc1
	s_waitcnt vmcnt(0) lgkmcnt(0)
	buffer_inv sc0 sc1
	v_cmp_eq_u32_e32 vcc, 0, v2
	s_and_b64 s[60:61], vcc, exec
	s_or_b64 s[58:59], s[58:59], s[60:61]
	s_mov_b64 vcc, -1
	s_or_b64 s[56:57], s[56:57], exec
	s_and_saveexec_b64 s[60:61], s[58:59]
	s_cbranch_execz .LBB12_281
.LBB12_285:                             ;   in Loop: Header=BB12_282 Depth=3
	s_sleep 1
	s_trap 2
	ds_read_b64 v[10:11], v0
	s_waitcnt lgkmcnt(0)
	s_andn2_b64 s[56:57], s[56:57], exec
	v_cmp_ge_u64_e32 vcc, v[10:11], v[48:49]
	s_orn2_b64 vcc, vcc, exec
	s_branch .LBB12_281
.LBB12_286:                             ;   in Loop: Header=BB12_228 Depth=2
	s_or_b64 exec, exec, s[44:45]
	s_and_saveexec_b64 s[44:45], s[46:47]
	s_xor_b64 s[44:45], exec, s[44:45]
	s_cbranch_execz .LBB12_288
; %bb.287:                              ;   in Loop: Header=BB12_228 Depth=2
	ds_write_b32 v0, v106
	s_trap 2
.LBB12_288:                             ;   in Loop: Header=BB12_228 Depth=2
	s_or_b64 exec, exec, s[42:43]
	;;#ASMSTART
	s_wakeup
	;;#ASMEND
.LBB12_289:                             ;   in Loop: Header=BB12_228 Depth=2
	s_or_b64 exec, exec, s[40:41]
.LBB12_290:                             ;   in Loop: Header=BB12_228 Depth=2
	s_andn2_saveexec_b64 s[28:29], s[28:29]
	s_cbranch_execz .LBB12_292
; %bb.291:                              ;   in Loop: Header=BB12_228 Depth=2
	;;#ASMSTART
	s_waitcnt lgkmcnt(0) vmcnt(0)
	;;#ASMEND
	s_barrier
.LBB12_292:                             ;   in Loop: Header=BB12_228 Depth=2
	s_or_b64 exec, exec, s[28:29]
	s_or_b64 exec, exec, s[22:23]
	v_cmp_ne_u32_e32 vcc, 0, v8
	s_and_saveexec_b64 s[22:23], vcc
	s_cbranch_execz .LBB12_227
.LBB12_293:                             ;   in Loop: Header=BB12_228 Depth=2
	s_and_saveexec_b64 s[28:29], s[10:11]
	s_cbranch_execz .LBB12_226
; %bb.294:                              ;   in Loop: Header=BB12_228 Depth=2
	flat_store_dword v[36:37], v106 sc0 sc1
	s_branch .LBB12_226
.LBB12_295:                             ;   in Loop: Header=BB12_47 Depth=1
	s_or_b64 exec, exec, s[26:27]
.LBB12_296:                             ;   in Loop: Header=BB12_47 Depth=1
	s_or_b64 exec, exec, s[24:25]
	v_cndmask_b32_e64 v2, 0, 1, s[34:35]
	v_cmp_ne_u32_e64 s[22:23], 1, v2
	s_andn2_b64 vcc, exec, s[34:35]
	s_cbranch_vccnz .LBB12_813
; %bb.297:                              ;   in Loop: Header=BB12_47 Depth=1
	s_mov_b32 s74, 2
	s_branch .LBB12_300
.LBB12_298:                             ;   in Loop: Header=BB12_300 Depth=2
	s_or_b64 exec, exec, s[28:29]
.LBB12_299:                             ;   in Loop: Header=BB12_300 Depth=2
	s_or_b64 exec, exec, s[26:27]
	s_add_i32 s74, s74, 1
	s_cmp_eq_u32 s74, s70
	s_cbranch_scc1 .LBB12_813
.LBB12_300:                             ;   Parent Loop BB12_47 Depth=1
                                        ; =>  This Loop Header: Depth=2
                                        ;       Child Loop BB12_303 Depth 3
                                        ;         Child Loop BB12_311 Depth 4
                                        ;         Child Loop BB12_339 Depth 4
	;; [unrolled: 1-line block ×4, first 2 shown]
                                        ;           Child Loop BB12_388 Depth 5
                                        ;           Child Loop BB12_425 Depth 5
                                        ;         Child Loop BB12_500 Depth 4
                                        ;           Child Loop BB12_501 Depth 5
                                        ;           Child Loop BB12_538 Depth 5
                                        ;         Child Loop BB12_615 Depth 4
                                        ;         Child Loop BB12_674 Depth 4
                                        ;           Child Loop BB12_675 Depth 5
                                        ;           Child Loop BB12_684 Depth 5
                                        ;         Child Loop BB12_703 Depth 4
                                        ;         Child Loop BB12_722 Depth 4
                                        ;       Child Loop BB12_741 Depth 3
                                        ;         Child Loop BB12_747 Depth 4
                                        ;         Child Loop BB12_775 Depth 4
	;; [unrolled: 1-line block ×3, first 2 shown]
	s_sub_i32 s24, s81, s74
	s_cmp_ge_i32 s24, s70
	s_cselect_b32 s25, s70, 0
	s_sub_i32 s24, s24, s25
	s_ashr_i32 s25, s24, 31
	v_mul_lo_u32 v2, v42, s25
	v_mul_lo_u32 v4, v43, s24
	v_mad_u64_u32 v[20:21], s[24:25], v42, s24, 0
	v_add3_u32 v21, v21, v2, v4
	v_sub_co_u32_e32 v8, vcc, v46, v20
	v_mov_b32_e32 v18, 0
	s_nop 0
	v_subb_co_u32_e32 v9, vcc, v47, v21, vcc
	v_cmp_lt_i64_e32 vcc, v[42:43], v[8:9]
	s_nop 1
	v_cndmask_b32_e32 v2, v8, v42, vcc
	v_max_i32_e32 v76, 0, v2
	v_add_u32_e32 v4, 31, v76
	v_ashrrev_i32_e32 v5, 31, v4
	v_lshrrev_b32_e32 v5, 27, v5
	v_add_u32_e32 v4, v4, v5
	v_ashrrev_i32_e32 v4, 5, v4
	v_lshlrev_b32_e32 v4, 4, v4
	v_cmp_lt_i32_e32 vcc, 0, v2
	v_max_i32_e32 v16, s84, v4
	s_and_b64 s[24:25], s[38:39], vcc
	v_mov_b32_e32 v2, 0
	s_and_saveexec_b64 s[40:41], s[24:25]
	s_cbranch_execz .LBB12_738
; %bb.301:                              ;   in Loop: Header=BB12_300 Depth=2
	s_mov_b32 s30, 1
	s_mov_b64 s[44:45], -1
	v_mov_b32_e32 v18, 0
	s_mov_b64 s[42:43], 0
	s_branch .LBB12_303
.LBB12_302:                             ;   in Loop: Header=BB12_303 Depth=3
	s_or_b64 exec, exec, s[24:25]
	v_add_u32_e32 v18, v16, v18
	v_cmp_ge_i32_e32 vcc, v18, v76
	s_xor_b64 s[24:25], s[44:45], -1
	s_or_b64 s[24:25], s[24:25], vcc
	s_and_b64 s[24:25], exec, s[24:25]
	s_or_b64 s[42:43], s[24:25], s[42:43]
	s_mov_b64 s[44:45], 0
	v_mov_b32_e32 v2, s30
	s_mov_b32 s30, 2
	s_andn2_b64 exec, exec, s[42:43]
	s_cbranch_execz .LBB12_737
.LBB12_303:                             ;   Parent Loop BB12_47 Depth=1
                                        ;     Parent Loop BB12_300 Depth=2
                                        ; =>    This Loop Header: Depth=3
                                        ;         Child Loop BB12_311 Depth 4
                                        ;         Child Loop BB12_339 Depth 4
	;; [unrolled: 1-line block ×4, first 2 shown]
                                        ;           Child Loop BB12_388 Depth 5
                                        ;           Child Loop BB12_425 Depth 5
                                        ;         Child Loop BB12_500 Depth 4
                                        ;           Child Loop BB12_501 Depth 5
                                        ;           Child Loop BB12_538 Depth 5
                                        ;         Child Loop BB12_615 Depth 4
                                        ;         Child Loop BB12_674 Depth 4
                                        ;           Child Loop BB12_675 Depth 5
                                        ;           Child Loop BB12_684 Depth 5
                                        ;         Child Loop BB12_703 Depth 4
                                        ;         Child Loop BB12_722 Depth 4
	s_and_saveexec_b64 s[24:25], s[0:1]
	s_cbranch_execz .LBB12_305
; %bb.304:                              ;   in Loop: Header=BB12_303 Depth=3
	s_trap 2
	ds_read_b64 v[8:9], v0
	v_ashrrev_i32_e32 v19, 31, v18
	s_waitcnt lgkmcnt(0)
	v_lshl_add_u64 v[8:9], v[56:57], 1, v[8:9]
	v_lshl_add_u64 v[8:9], v[20:21], 1, v[8:9]
	v_lshl_add_u64 v[8:9], v[18:19], 1, v[8:9]
	ds_write_b64 v0, v[8:9]
	ds_write_b64 v0, v[28:29]
.LBB12_305:                             ;   in Loop: Header=BB12_303 Depth=3
	s_or_b64 exec, exec, s[24:25]
	v_sub_u32_e32 v2, v76, v18
	v_min_i32_e32 v16, v16, v2
	v_and_b32_e32 v2, 12, v94
	v_cmp_ne_u32_e32 vcc, 0, v2
	s_and_saveexec_b64 s[26:27], vcc
	s_cbranch_execz .LBB12_331
; %bb.306:                              ;   in Loop: Header=BB12_303 Depth=3
	v_and_b32_e32 v2, 8, v94
	s_waitcnt vmcnt(0) lgkmcnt(0)
	v_lshl_add_u64 v[10:11], v[38:39], 0, v[2:3]
	v_lshl_add_u64 v[8:9], v[44:45], 0, 2
	v_cmp_lt_u64_e32 vcc, v[10:11], v[8:9]
	s_and_saveexec_b64 s[28:29], vcc
	s_cbranch_execz .LBB12_318
; %bb.307:                              ;   in Loop: Header=BB12_303 Depth=3
	v_and_b32_e32 v4, 64, v94
	s_mov_b32 s31, 0
	v_cmp_eq_u32_e32 vcc, 0, v4
	s_mov_b64 s[46:47], 0
                                        ; implicit-def: $sgpr56_sgpr57
                                        ; implicit-def: $sgpr58_sgpr59
                                        ; implicit-def: $sgpr60_sgpr61
	s_branch .LBB12_311
.LBB12_308:                             ;   in Loop: Header=BB12_311 Depth=4
	s_waitcnt vmcnt(0) lgkmcnt(0)
	v_lshl_add_u64 v[12:13], v[38:39], 0, v[2:3]
	v_cmp_ge_u64_e64 s[24:25], v[12:13], v[8:9]
	s_or_b64 s[54:55], s[54:55], exec
	s_orn2_b64 s[52:53], s[24:25], exec
.LBB12_309:                             ;   in Loop: Header=BB12_311 Depth=4
	s_or_b64 exec, exec, s[66:67]
	s_andn2_b64 s[24:25], s[60:61], exec
	s_and_b64 s[60:61], s[54:55], exec
	s_or_b64 s[60:61], s[24:25], s[60:61]
	s_andn2_b64 s[24:25], s[58:59], exec
	s_and_b64 s[58:59], s[52:53], exec
	s_or_b64 s[58:59], s[24:25], s[58:59]
.LBB12_310:                             ;   in Loop: Header=BB12_311 Depth=4
	s_or_b64 exec, exec, s[50:51]
	s_and_b64 s[24:25], exec, s[58:59]
	s_or_b64 s[46:47], s[24:25], s[46:47]
	s_andn2_b64 s[24:25], s[56:57], exec
	s_and_b64 s[56:57], s[60:61], exec
	s_or_b64 s[56:57], s[24:25], s[56:57]
	s_andn2_b64 exec, exec, s[46:47]
	s_cbranch_execz .LBB12_315
.LBB12_311:                             ;   Parent Loop BB12_47 Depth=1
                                        ;     Parent Loop BB12_300 Depth=2
                                        ;       Parent Loop BB12_303 Depth=3
                                        ; =>      This Inner Loop Header: Depth=4
	s_sleep 1
	s_waitcnt vmcnt(0) lgkmcnt(0)
	flat_load_dwordx2 v[38:39], v[32:33] sc0 sc1
	s_or_b64 s[60:61], s[60:61], exec
	s_or_b64 s[58:59], s[58:59], exec
                                        ; implicit-def: $vgpr10
	s_and_saveexec_b64 s[50:51], vcc
	s_cbranch_execz .LBB12_310
; %bb.312:                              ;   in Loop: Header=BB12_311 Depth=4
	s_cmpk_lt_i32 s31, 0x270f
	s_cselect_b64 s[64:65], -1, 0
	s_cmpk_gt_i32 s31, 0x270e
	s_mov_b64 s[52:53], -1
	s_cbranch_scc0 .LBB12_314
; %bb.313:                              ;   in Loop: Header=BB12_311 Depth=4
	s_trap 2
	ds_read_b64 v[10:11], v0
	s_andn2_b64 s[64:65], s[64:65], exec
	s_mov_b32 s31, 0
	s_mov_b64 s[54:55], 0
	s_waitcnt vmcnt(0) lgkmcnt(0)
	flat_load_dword v10, v[10:11] sc0 sc1
	s_waitcnt vmcnt(0) lgkmcnt(0)
	buffer_inv sc0 sc1
	v_cmp_eq_u32_e64 s[24:25], 0, v10
	s_and_b64 s[24:25], s[24:25], exec
	s_or_b64 s[64:65], s[64:65], s[24:25]
	s_and_saveexec_b64 s[66:67], s[64:65]
	s_cbranch_execz .LBB12_309
	s_branch .LBB12_308
.LBB12_314:                             ;   in Loop: Header=BB12_311 Depth=4
	s_add_i32 s31, s31, 1
	s_mov_b64 s[54:55], -1
                                        ; implicit-def: $vgpr10
	s_and_saveexec_b64 s[66:67], s[64:65]
	s_cbranch_execz .LBB12_309
	s_branch .LBB12_308
.LBB12_315:                             ;   in Loop: Header=BB12_303 Depth=3
	s_or_b64 exec, exec, s[46:47]
	s_xor_b64 s[24:25], s[56:57], -1
	s_and_saveexec_b64 s[46:47], s[24:25]
	s_xor_b64 s[24:25], exec, s[46:47]
	s_cbranch_execz .LBB12_317
; %bb.316:                              ;   in Loop: Header=BB12_303 Depth=3
	v_or_b32_e32 v94, 64, v94
	s_waitcnt lgkmcnt(0)
	ds_write_b32 v0, v10
	s_trap 2
.LBB12_317:                             ;   in Loop: Header=BB12_303 Depth=3
	s_or_b64 exec, exec, s[24:25]
.LBB12_318:                             ;   in Loop: Header=BB12_303 Depth=3
	s_or_b64 exec, exec, s[28:29]
	v_and_b32_e32 v4, 0x108, v94
	v_cmp_ne_u32_e32 vcc, s72, v4
	;;#ASMSTART
	s_wakeup
	;;#ASMEND
                                        ; implicit-def: $vgpr10_vgpr11
	s_and_saveexec_b64 s[24:25], vcc
	s_xor_b64 s[24:25], exec, s[24:25]
; %bb.319:                              ;   in Loop: Header=BB12_303 Depth=3
	v_and_b32_e32 v10, 7, v44
	v_mov_b32_e32 v11, v3
                                        ; implicit-def: $vgpr44_vgpr45
; %bb.320:                              ;   in Loop: Header=BB12_303 Depth=3
	s_andn2_saveexec_b64 s[24:25], s[24:25]
	s_cbranch_execz .LBB12_322
; %bb.321:                              ;   in Loop: Header=BB12_303 Depth=3
	v_and_b32_e32 v10, 7, v44
	v_ashrrev_i32_e32 v17, 31, v16
	v_mov_b32_e32 v11, v3
	v_mad_u64_u32 v[12:13], s[28:29], v10, 24, v[6:7]
	v_lshlrev_b64 v[14:15], 1, v[16:17]
	flat_store_dwordx2 v[12:13], v[14:15] offset:8
.LBB12_322:                             ;   in Loop: Header=BB12_303 Depth=3
	s_or_b64 exec, exec, s[24:25]
	v_and_b32_e32 v4, 0x100, v94
	v_cmp_ne_u32_e32 vcc, 0, v4
	s_mov_b64 s[24:25], -1
                                        ; implicit-def: $vgpr12_vgpr13
	s_and_saveexec_b64 s[28:29], vcc
	s_cbranch_execz .LBB12_326
; %bb.323:                              ;   in Loop: Header=BB12_303 Depth=3
	v_mad_u64_u32 v[14:15], s[24:25], v10, 24, v[6:7]
	v_mov_b32_e32 v12, v15
	v_mad_u64_u32 v[12:13], s[24:25], v11, 24, v[12:13]
	v_mov_b32_e32 v15, v12
	flat_load_dword v4, v[14:15]
                                        ; implicit-def: $vgpr12_vgpr13
	s_waitcnt vmcnt(0) lgkmcnt(0)
	v_cmp_ne_u32_e32 vcc, 1, v4
	v_cmp_eq_u32_e64 s[24:25], 1, v4
	s_and_saveexec_b64 s[46:47], s[24:25]
	s_cbranch_execz .LBB12_325
; %bb.324:                              ;   in Loop: Header=BB12_303 Depth=3
	flat_load_dword v12, v[14:15] offset:4 sc0 sc1
	s_waitcnt vmcnt(0) lgkmcnt(0)
	v_ashrrev_i32_e32 v13, 31, v12
	v_lshrrev_b64 v[12:13], 1, v[12:13]
.LBB12_325:                             ;   in Loop: Header=BB12_303 Depth=3
	s_or_b64 exec, exec, s[46:47]
	s_orn2_b64 s[24:25], vcc, exec
.LBB12_326:                             ;   in Loop: Header=BB12_303 Depth=3
	s_or_b64 exec, exec, s[28:29]
	s_and_saveexec_b64 s[28:29], s[24:25]
; %bb.327:                              ;   in Loop: Header=BB12_303 Depth=3
	v_mul_lo_u32 v4, v11, v30
	v_mul_lo_u32 v5, v10, v51
	v_mad_u64_u32 v[12:13], s[24:25], v10, v30, 0
	v_add3_u32 v13, v13, v5, v4
; %bb.328:                              ;   in Loop: Header=BB12_303 Depth=3
	s_or_b64 exec, exec, s[28:29]
	v_cmp_eq_u32_e32 vcc, 0, v2
	v_lshl_add_u64 v[10:11], v[12:13], 1, v[34:35]
	s_nop 0
	v_cndmask_b32_e32 v2, v107, v108, vcc
	v_add_u32_e32 v2, v0, v2
	ds_write_b64 v2, v[10:11] offset:584
	v_and_b32_e32 v2, 0x2000, v94
	v_cmp_ne_u32_e32 vcc, 0, v2
	s_and_saveexec_b64 s[24:25], vcc
	s_cbranch_execz .LBB12_330
; %bb.329:                              ;   in Loop: Header=BB12_303 Depth=3
	ds_read_b64 v[10:11], v0 offset:872
	s_waitcnt lgkmcnt(0)
	v_lshl_add_u64 v[10:11], v[10:11], 0, 1
	ds_write_b64 v0, v[10:11] offset:872
.LBB12_330:                             ;   in Loop: Header=BB12_303 Depth=3
	s_or_b64 exec, exec, s[24:25]
	v_mov_b64_e32 v[44:45], v[8:9]
.LBB12_331:                             ;   in Loop: Header=BB12_303 Depth=3
	s_or_b64 exec, exec, s[26:27]
	s_and_saveexec_b64 s[24:25], s[4:5]
	s_cbranch_execz .LBB12_350
; %bb.332:                              ;   in Loop: Header=BB12_303 Depth=3
	s_and_saveexec_b64 s[26:27], s[76:77]
	s_xor_b64 s[26:27], exec, s[26:27]
	s_cbranch_execz .LBB12_347
; %bb.333:                              ;   in Loop: Header=BB12_303 Depth=3
	s_and_saveexec_b64 s[28:29], s[12:13]
	s_cbranch_execz .LBB12_346
; %bb.334:                              ;   in Loop: Header=BB12_303 Depth=3
	s_mov_b64 s[56:57], exec
	v_mbcnt_lo_u32_b32 v2, s56, 0
	v_mbcnt_hi_u32_b32 v2, s57, v2
	v_cmp_eq_u32_e32 vcc, 0, v2
	s_waitcnt lgkmcnt(0)
	s_and_saveexec_b64 s[46:47], vcc
	s_cbranch_execz .LBB12_336
; %bb.335:                              ;   in Loop: Header=BB12_303 Depth=3
	s_bcnt1_i32_b64 s56, s[56:57]
	v_mov_b32_e32 v2, s56
	ds_add_u64 v0, v[2:3]
	s_trap 2
.LBB12_336:                             ;   in Loop: Header=BB12_303 Depth=3
	s_or_b64 exec, exec, s[46:47]
	s_trap 2
	ds_read_b64 v[8:9], v0
	s_waitcnt lgkmcnt(0)
	v_lshl_add_u64 v[48:49], v[48:49], 0, v[52:53]
	v_cmp_lt_u64_e32 vcc, v[8:9], v[48:49]
	s_and_saveexec_b64 s[46:47], vcc
	s_cbranch_execz .LBB12_345
; %bb.337:                              ;   in Loop: Header=BB12_303 Depth=3
	s_mov_b32 s31, 0
	s_mov_b64 s[56:57], 0
                                        ; implicit-def: $sgpr58_sgpr59
                                        ; implicit-def: $sgpr60_sgpr61
	s_branch .LBB12_339
.LBB12_338:                             ;   in Loop: Header=BB12_339 Depth=4
	s_or_b64 exec, exec, s[52:53]
	s_and_b64 vcc, exec, vcc
	s_or_b64 s[56:57], vcc, s[56:57]
	s_andn2_b64 s[58:59], s[58:59], exec
	s_and_b64 vcc, s[60:61], exec
	s_or_b64 s[58:59], s[58:59], vcc
	s_andn2_b64 exec, exec, s[56:57]
	s_cbranch_execz .LBB12_343
.LBB12_339:                             ;   Parent Loop BB12_47 Depth=1
                                        ;     Parent Loop BB12_300 Depth=2
                                        ;       Parent Loop BB12_303 Depth=3
                                        ; =>      This Inner Loop Header: Depth=4
	s_add_i32 s31, s31, 1
	s_cmpk_lg_i32 s31, 0x2710
	s_cselect_b64 s[50:51], -1, 0
	s_and_b64 vcc, exec, s[50:51]
	s_cbranch_vccz .LBB12_341
; %bb.340:                              ;   in Loop: Header=BB12_339 Depth=4
	s_mov_b64 vcc, -1
	s_or_b64 s[60:61], s[60:61], exec
	s_and_saveexec_b64 s[52:53], s[50:51]
	s_cbranch_execz .LBB12_338
	s_branch .LBB12_342
.LBB12_341:                             ;   in Loop: Header=BB12_339 Depth=4
	s_trap 2
	ds_read_b64 v[8:9], v0
	s_andn2_b64 s[50:51], s[50:51], exec
	s_mov_b32 s31, 0
	s_waitcnt vmcnt(0) lgkmcnt(0)
	flat_load_dword v2, v[8:9] sc0 sc1
	s_waitcnt vmcnt(0) lgkmcnt(0)
	buffer_inv sc0 sc1
	v_cmp_eq_u32_e32 vcc, 0, v2
	s_and_b64 vcc, vcc, exec
	s_or_b64 s[50:51], s[50:51], vcc
	s_mov_b64 vcc, -1
	s_or_b64 s[60:61], s[60:61], exec
	s_and_saveexec_b64 s[52:53], s[50:51]
	s_cbranch_execz .LBB12_338
.LBB12_342:                             ;   in Loop: Header=BB12_339 Depth=4
	s_sleep 1
	s_trap 2
	ds_read_b64 v[8:9], v0
	s_waitcnt lgkmcnt(0)
	s_andn2_b64 s[60:61], s[60:61], exec
	v_cmp_ge_u64_e32 vcc, v[8:9], v[48:49]
	s_orn2_b64 vcc, vcc, exec
	s_branch .LBB12_338
.LBB12_343:                             ;   in Loop: Header=BB12_303 Depth=3
	s_or_b64 exec, exec, s[56:57]
	s_and_saveexec_b64 s[56:57], s[58:59]
	s_xor_b64 s[56:57], exec, s[56:57]
	s_cbranch_execz .LBB12_345
; %bb.344:                              ;   in Loop: Header=BB12_303 Depth=3
	ds_write_b32 v0, v106
	s_trap 2
.LBB12_345:                             ;   in Loop: Header=BB12_303 Depth=3
	s_or_b64 exec, exec, s[46:47]
	;;#ASMSTART
	s_wakeup
	;;#ASMEND
.LBB12_346:                             ;   in Loop: Header=BB12_303 Depth=3
	s_or_b64 exec, exec, s[28:29]
.LBB12_347:                             ;   in Loop: Header=BB12_303 Depth=3
	s_andn2_saveexec_b64 s[26:27], s[26:27]
	s_cbranch_execz .LBB12_349
; %bb.348:                              ;   in Loop: Header=BB12_303 Depth=3
	s_waitcnt lgkmcnt(0)
	s_barrier
.LBB12_349:                             ;   in Loop: Header=BB12_303 Depth=3
	s_or_b64 exec, exec, s[26:27]
.LBB12_350:                             ;   in Loop: Header=BB12_303 Depth=3
	s_or_b64 exec, exec, s[24:25]
	s_trap 2
	ds_read_b32 v8, v0
	v_and_b32_e32 v2, 0x4000, v94
	v_cmp_ne_u32_e32 vcc, 0, v2
	s_xor_b64 s[24:25], s[2:3], -1
	s_and_b64 s[26:27], s[24:25], vcc
	s_and_saveexec_b64 s[24:25], s[26:27]
	s_cbranch_execz .LBB12_369
; %bb.351:                              ;   in Loop: Header=BB12_303 Depth=3
	s_and_saveexec_b64 s[26:27], s[76:77]
	s_xor_b64 s[26:27], exec, s[26:27]
	s_cbranch_execz .LBB12_366
; %bb.352:                              ;   in Loop: Header=BB12_303 Depth=3
	s_and_saveexec_b64 s[28:29], s[12:13]
	s_cbranch_execz .LBB12_365
; %bb.353:                              ;   in Loop: Header=BB12_303 Depth=3
	s_mov_b64 s[56:57], exec
	v_mbcnt_lo_u32_b32 v2, s56, 0
	v_mbcnt_hi_u32_b32 v2, s57, v2
	v_cmp_eq_u32_e32 vcc, 0, v2
	s_waitcnt lgkmcnt(0)
	s_and_saveexec_b64 s[46:47], vcc
	s_cbranch_execz .LBB12_355
; %bb.354:                              ;   in Loop: Header=BB12_303 Depth=3
	s_bcnt1_i32_b64 s56, s[56:57]
	v_mov_b32_e32 v2, s56
	ds_add_u64 v0, v[2:3]
	s_trap 2
.LBB12_355:                             ;   in Loop: Header=BB12_303 Depth=3
	s_or_b64 exec, exec, s[46:47]
	s_trap 2
	ds_read_b64 v[10:11], v0
	s_waitcnt lgkmcnt(0)
	v_lshl_add_u64 v[48:49], v[48:49], 0, v[52:53]
	v_cmp_lt_u64_e32 vcc, v[10:11], v[48:49]
	s_and_saveexec_b64 s[46:47], vcc
	s_cbranch_execz .LBB12_364
; %bb.356:                              ;   in Loop: Header=BB12_303 Depth=3
	s_mov_b32 s31, 0
	s_mov_b64 s[56:57], 0
                                        ; implicit-def: $sgpr58_sgpr59
                                        ; implicit-def: $sgpr60_sgpr61
	s_branch .LBB12_358
.LBB12_357:                             ;   in Loop: Header=BB12_358 Depth=4
	s_or_b64 exec, exec, s[52:53]
	s_and_b64 vcc, exec, vcc
	s_or_b64 s[56:57], vcc, s[56:57]
	s_andn2_b64 s[58:59], s[58:59], exec
	s_and_b64 vcc, s[60:61], exec
	s_or_b64 s[58:59], s[58:59], vcc
	s_andn2_b64 exec, exec, s[56:57]
	s_cbranch_execz .LBB12_362
.LBB12_358:                             ;   Parent Loop BB12_47 Depth=1
                                        ;     Parent Loop BB12_300 Depth=2
                                        ;       Parent Loop BB12_303 Depth=3
                                        ; =>      This Inner Loop Header: Depth=4
	s_add_i32 s31, s31, 1
	s_cmpk_lg_i32 s31, 0x2710
	s_cselect_b64 s[50:51], -1, 0
	s_and_b64 vcc, exec, s[50:51]
	s_cbranch_vccz .LBB12_360
; %bb.359:                              ;   in Loop: Header=BB12_358 Depth=4
	s_mov_b64 vcc, -1
	s_or_b64 s[60:61], s[60:61], exec
	s_and_saveexec_b64 s[52:53], s[50:51]
	s_cbranch_execz .LBB12_357
	s_branch .LBB12_361
.LBB12_360:                             ;   in Loop: Header=BB12_358 Depth=4
	s_trap 2
	ds_read_b64 v[10:11], v0
	s_andn2_b64 s[50:51], s[50:51], exec
	s_mov_b32 s31, 0
	s_waitcnt vmcnt(0) lgkmcnt(0)
	flat_load_dword v2, v[10:11] sc0 sc1
	s_waitcnt vmcnt(0) lgkmcnt(0)
	buffer_inv sc0 sc1
	v_cmp_eq_u32_e32 vcc, 0, v2
	s_and_b64 vcc, vcc, exec
	s_or_b64 s[50:51], s[50:51], vcc
	s_mov_b64 vcc, -1
	s_or_b64 s[60:61], s[60:61], exec
	s_and_saveexec_b64 s[52:53], s[50:51]
	s_cbranch_execz .LBB12_357
.LBB12_361:                             ;   in Loop: Header=BB12_358 Depth=4
	s_sleep 1
	s_trap 2
	ds_read_b64 v[10:11], v0
	s_waitcnt lgkmcnt(0)
	s_andn2_b64 s[60:61], s[60:61], exec
	v_cmp_ge_u64_e32 vcc, v[10:11], v[48:49]
	s_orn2_b64 vcc, vcc, exec
	s_branch .LBB12_357
.LBB12_362:                             ;   in Loop: Header=BB12_303 Depth=3
	s_or_b64 exec, exec, s[56:57]
	s_and_saveexec_b64 s[56:57], s[58:59]
	s_xor_b64 s[56:57], exec, s[56:57]
	s_cbranch_execz .LBB12_364
; %bb.363:                              ;   in Loop: Header=BB12_303 Depth=3
	ds_write_b32 v0, v106
	s_trap 2
.LBB12_364:                             ;   in Loop: Header=BB12_303 Depth=3
	s_or_b64 exec, exec, s[46:47]
	;;#ASMSTART
	s_wakeup
	;;#ASMEND
.LBB12_365:                             ;   in Loop: Header=BB12_303 Depth=3
	s_or_b64 exec, exec, s[28:29]
.LBB12_366:                             ;   in Loop: Header=BB12_303 Depth=3
	s_andn2_saveexec_b64 s[26:27], s[26:27]
	s_cbranch_execz .LBB12_368
; %bb.367:                              ;   in Loop: Header=BB12_303 Depth=3
	s_waitcnt lgkmcnt(0)
	s_barrier
.LBB12_368:                             ;   in Loop: Header=BB12_303 Depth=3
	s_or_b64 exec, exec, s[26:27]
.LBB12_369:                             ;   in Loop: Header=BB12_303 Depth=3
	s_or_b64 exec, exec, s[24:25]
	s_trap 2
	ds_read_b64 v[22:23], v0
	s_waitcnt lgkmcnt(0)
	v_cmp_eq_u64_e32 vcc, 0, v[22:23]
	s_cbranch_vccnz .LBB12_377
; %bb.370:                              ;   in Loop: Header=BB12_303 Depth=3
	s_trap 2
	ds_read_b64 v[58:59], v0
	s_waitcnt lgkmcnt(0)
	v_cmp_eq_u64_e32 vcc, 0, v[58:59]
	s_cbranch_vccnz .LBB12_377
; %bb.371:                              ;   in Loop: Header=BB12_303 Depth=3
	s_trap 2
	ds_read_b64 v[10:11], v0
	s_mov_b64 s[26:27], -1
	s_waitcnt lgkmcnt(0)
	v_readfirstlane_b32 s56, v10
	s_and_saveexec_b64 s[24:25], s[18:19]
	s_cbranch_execz .LBB12_373
; %bb.372:                              ;   in Loop: Header=BB12_303 Depth=3
	ds_read_b32 v2, v0 offset:720
	s_waitcnt lgkmcnt(0)
	v_and_b32_e32 v2, 15, v2
	v_cmp_eq_u32_e32 vcc, 0, v2
	s_orn2_b64 s[26:27], vcc, exec
.LBB12_373:                             ;   in Loop: Header=BB12_303 Depth=3
	s_or_b64 exec, exec, s[24:25]
	s_and_saveexec_b64 s[24:25], s[16:17]
	s_cbranch_execz .LBB12_375
; %bb.374:                              ;   in Loop: Header=BB12_303 Depth=3
	ds_read_b32 v2, v0 offset:784
	s_waitcnt lgkmcnt(0)
	v_and_b32_e32 v2, 15, v2
	v_cmp_eq_u32_e32 vcc, 0, v2
	s_and_b64 s[28:29], s[26:27], vcc
	s_andn2_b64 s[26:27], s[26:27], exec
	s_and_b64 s[28:29], s[28:29], exec
	s_or_b64 s[26:27], s[26:27], s[28:29]
.LBB12_375:                             ;   in Loop: Header=BB12_303 Depth=3
	s_or_b64 exec, exec, s[24:25]
	s_xor_b64 s[26:27], s[26:27], -1
	v_cndmask_b32_e64 v2, 0, 1, s[26:27]
	v_cmp_eq_u32_e64 s[24:25], 0, v8
	s_mov_b64 s[28:29], -1
	v_cmp_ne_u32_e32 vcc, 0, v2
	s_cbranch_vccz .LBB12_382
; %bb.376:                              ;   in Loop: Header=BB12_303 Depth=3
	s_and_b32 s31, s56, 1
	s_mov_b64 s[28:29], 0
	s_mov_b64 s[46:47], -1
	s_branch .LBB12_383
.LBB12_377:                             ;   in Loop: Header=BB12_303 Depth=3
	s_mov_b64 s[24:25], 0
	s_and_saveexec_b64 s[26:27], s[4:5]
	s_cbranch_execnz .LBB12_696
.LBB12_378:                             ;   in Loop: Header=BB12_303 Depth=3
	s_or_b64 exec, exec, s[26:27]
                                        ; implicit-def: $vgpr2
	s_and_saveexec_b64 s[26:27], s[20:21]
	s_xor_b64 s[26:27], exec, s[26:27]
	s_cbranch_execz .LBB12_714
.LBB12_379:                             ;   in Loop: Header=BB12_303 Depth=3
	v_and_b32_e32 v4, 16, v94
	v_cmp_ne_u32_e32 vcc, 0, v4
	v_and_b32_e32 v2, 16, v94
	s_and_b64 s[28:29], vcc, s[24:25]
	s_and_saveexec_b64 s[24:25], s[28:29]
	s_cbranch_execz .LBB12_381
; %bb.380:                              ;   in Loop: Header=BB12_303 Depth=3
	v_mov_b32_e32 v2, 1
	buffer_wbl2 sc1
	s_waitcnt vmcnt(0) lgkmcnt(0)
	buffer_inv sc1
.LBB12_381:                             ;   in Loop: Header=BB12_303 Depth=3
	s_or_b64 exec, exec, s[24:25]
	s_andn2_saveexec_b64 s[24:25], s[26:27]
	s_cbranch_execz .LBB12_733
	s_branch .LBB12_715
.LBB12_382:                             ;   in Loop: Header=BB12_303 Depth=3
	s_mov_b64 s[46:47], 0
                                        ; implicit-def: $sgpr31
.LBB12_383:                             ;   in Loop: Header=BB12_303 Depth=3
	v_cndmask_b32_e64 v2, 0, v16, s[24:25]
	v_lshlrev_b32_e32 v17, 1, v2
	s_andn2_b64 vcc, exec, s[28:29]
	v_mov_b32_e32 v14, 0
	s_cbranch_vccnz .LBB12_460
; %bb.384:                              ;   in Loop: Header=BB12_303 Depth=3
	v_ashrrev_i32_e32 v4, 31, v17
	v_lshrrev_b32_e32 v4, 22, v4
	v_add_u32_e32 v4, v17, v4
	v_and_b32_e32 v77, 0xfffffc00, v4
	s_trap 2
	ds_read_b64 v[60:61], v0
	v_ashrrev_i32_e32 v5, 10, v4
	v_sub_u32_e32 v78, v17, v77
	v_sub_u32_e32 v4, v5, v104
	v_cmp_lt_i32_e64 s[24:25], 15, v78
	v_sub_u32_e32 v19, v17, v54
	s_and_b32 s31, s56, 1
	v_addc_co_u32_e64 v79, vcc, 0, v4, s[24:25]
	v_lshl_add_u64 v[62:63], v[58:59], 0, v[54:55]
	v_cmp_lt_i32_e32 vcc, 15, v19
	s_mov_b64 s[26:27], 0
	s_and_saveexec_b64 s[56:57], vcc
	s_cbranch_execz .LBB12_462
; %bb.385:                              ;   in Loop: Header=BB12_303 Depth=3
	s_and_b32 s26, 0xffff, s31
	s_cmp_eq_u32 s26, 0
	v_lshl_add_u64 v[72:73], v[22:23], 0, v[54:55]
	s_waitcnt lgkmcnt(0)
	v_lshl_add_u64 v[74:75], v[60:61], 0, v[54:55]
	s_mov_b64 s[50:51], 0
	s_mov_b64 s[58:59], 0
	s_cselect_b64 s[26:27], -1, 0
                                        ; implicit-def: $sgpr60_sgpr61
	s_branch .LBB12_387
.LBB12_386:                             ;   in Loop: Header=BB12_387 Depth=4
	s_or_b64 exec, exec, s[28:29]
	v_cmp_gt_i32_e32 vcc, 16, v19
	s_or_b64 s[58:59], vcc, s[58:59]
	s_andn2_b64 s[28:29], s[60:61], exec
	s_and_b64 s[60:61], s[50:51], exec
	s_or_b64 s[60:61], s[28:29], s[60:61]
	s_andn2_b64 exec, exec, s[58:59]
	s_cbranch_execz .LBB12_461
.LBB12_387:                             ;   Parent Loop BB12_47 Depth=1
                                        ;     Parent Loop BB12_300 Depth=2
                                        ;       Parent Loop BB12_303 Depth=3
                                        ; =>      This Loop Header: Depth=4
                                        ;           Child Loop BB12_388 Depth 5
                                        ;           Child Loop BB12_425 Depth 5
	s_add_i32 s28, s33, 0xc0
	s_mov_b32 s54, s28
	s_mov_b64 s[52:53], -1
	s_mov_b64 s[28:29], 0
.LBB12_388:                             ;   Parent Loop BB12_47 Depth=1
                                        ;     Parent Loop BB12_300 Depth=2
                                        ;       Parent Loop BB12_303 Depth=3
                                        ;         Parent Loop BB12_387 Depth=4
                                        ; =>        This Inner Loop Header: Depth=5
	s_cmp_eq_u32 s28, 1
	s_cselect_b64 vcc, -1, 0
	v_cndmask_b32_e32 v13, v73, v75, vcc
	v_cndmask_b32_e32 v12, v72, v74, vcc
	global_load_dwordx4 v[8:11], v[12:13], off nt
	s_cmp_eq_u32 s28, 0
	s_cselect_b64 s[28:29], -1, 0
	s_waitcnt vmcnt(0)
	scratch_store_dwordx4 off, v[8:11], s54
	s_nop 1
	v_lshl_add_u64 v[8:9], v[12:13], 0, s[88:89]
	v_cndmask_b32_e64 v73, v73, v9, s[28:29]
	v_cndmask_b32_e64 v72, v72, v8, s[28:29]
	v_cndmask_b32_e32 v75, v75, v9, vcc
	v_cndmask_b32_e32 v74, v74, v8, vcc
	s_mov_b64 s[28:29], 1
	s_and_b64 vcc, exec, s[52:53]
	s_mov_b64 s[52:53], 0
	s_mov_b32 s54, s86
	s_cbranch_vccnz .LBB12_388
; %bb.389:                              ;   in Loop: Header=BB12_387 Depth=4
	s_and_saveexec_b64 s[28:29], s[50:51]
	s_cbranch_execz .LBB12_423
; %bb.390:                              ;   in Loop: Header=BB12_387 Depth=4
	scratch_load_dwordx4 v[8:11], off, s33 offset:224
	scratch_load_dwordx4 v[12:15], off, s33 offset:240
                                        ; implicit-def: $vgpr26
	s_waitcnt vmcnt(1)
	v_lshlrev_b32_e32 v4, 16, v8
	s_waitcnt vmcnt(0)
	v_lshlrev_b32_e32 v5, 16, v12
	v_max_f32_e32 v5, v5, v5
	v_max_f32_e32 v4, v4, v4
	v_min_f32_e32 v24, v4, v5
	v_max_f32_e32 v4, v4, v5
	v_cndmask_b32_e64 v27, v4, v24, s[26:27]
	v_and_b32_e32 v4, 0x7f800000, v27
	v_cmp_ne_u32_e32 vcc, s73, v4
	s_and_saveexec_b64 s[50:51], vcc
	s_xor_b64 vcc, exec, s[50:51]
; %bb.391:                              ;   in Loop: Header=BB12_387 Depth=4
	v_bfe_u32 v4, v27, 16, 1
	v_add3_u32 v26, v27, v4, s62
                                        ; implicit-def: $vgpr27
; %bb.392:                              ;   in Loop: Header=BB12_387 Depth=4
	s_andn2_saveexec_b64 s[50:51], vcc
; %bb.393:                              ;   in Loop: Header=BB12_387 Depth=4
	v_or_b32_e32 v4, 0x10000, v27
	v_cmp_eq_u32_sdwa vcc, v27, v3 src0_sel:WORD_0 src1_sel:DWORD
	s_nop 1
	v_cndmask_b32_e32 v26, v4, v27, vcc
; %bb.394:                              ;   in Loop: Header=BB12_387 Depth=4
	s_or_b64 exec, exec, s[50:51]
	v_and_b32_e32 v4, 0xffff0000, v8
	v_and_b32_e32 v5, 0xffff0000, v12
	v_max_f32_e32 v5, v5, v5
	v_max_f32_e32 v4, v4, v4
	v_min_f32_e32 v8, v4, v5
	v_max_f32_e32 v4, v4, v5
	v_cndmask_b32_e64 v12, v4, v8, s[26:27]
	v_and_b32_e32 v4, 0x7f800000, v12
	v_cmp_ne_u32_e32 vcc, s73, v4
                                        ; implicit-def: $vgpr8
	s_and_saveexec_b64 s[50:51], vcc
	s_xor_b64 vcc, exec, s[50:51]
; %bb.395:                              ;   in Loop: Header=BB12_387 Depth=4
	v_bfe_u32 v4, v12, 16, 1
	v_add3_u32 v8, v12, v4, s62
                                        ; implicit-def: $vgpr12
; %bb.396:                              ;   in Loop: Header=BB12_387 Depth=4
	s_andn2_saveexec_b64 s[50:51], vcc
; %bb.397:                              ;   in Loop: Header=BB12_387 Depth=4
	v_or_b32_e32 v4, 0x10000, v12
	v_cmp_eq_u32_sdwa vcc, v12, v3 src0_sel:WORD_0 src1_sel:DWORD
	s_nop 1
	v_cndmask_b32_e32 v8, v4, v12, vcc
; %bb.398:                              ;   in Loop: Header=BB12_387 Depth=4
	s_or_b64 exec, exec, s[50:51]
	v_lshlrev_b32_e32 v4, 16, v9
	v_lshlrev_b32_e32 v5, 16, v13
	v_max_f32_e32 v5, v5, v5
	v_max_f32_e32 v4, v4, v4
	v_min_f32_e32 v12, v4, v5
	v_max_f32_e32 v4, v4, v5
	v_cndmask_b32_e64 v27, v4, v12, s[26:27]
	v_and_b32_e32 v4, 0x7f800000, v27
	v_cmp_ne_u32_e32 vcc, s73, v4
                                        ; implicit-def: $vgpr12
	s_and_saveexec_b64 s[50:51], vcc
	s_xor_b64 vcc, exec, s[50:51]
; %bb.399:                              ;   in Loop: Header=BB12_387 Depth=4
	v_bfe_u32 v4, v27, 16, 1
	v_add3_u32 v12, v27, v4, s62
                                        ; implicit-def: $vgpr27
; %bb.400:                              ;   in Loop: Header=BB12_387 Depth=4
	s_andn2_saveexec_b64 s[50:51], vcc
; %bb.401:                              ;   in Loop: Header=BB12_387 Depth=4
	v_or_b32_e32 v4, 0x10000, v27
	v_cmp_eq_u32_sdwa vcc, v27, v3 src0_sel:WORD_0 src1_sel:DWORD
	s_nop 1
	v_cndmask_b32_e32 v12, v4, v27, vcc
; %bb.402:                              ;   in Loop: Header=BB12_387 Depth=4
	s_or_b64 exec, exec, s[50:51]
	v_and_b32_e32 v4, 0xffff0000, v9
	v_and_b32_e32 v5, 0xffff0000, v13
	v_max_f32_e32 v5, v5, v5
	v_max_f32_e32 v4, v4, v4
	v_min_f32_e32 v9, v4, v5
	v_max_f32_e32 v4, v4, v5
	v_cndmask_b32_e64 v13, v4, v9, s[26:27]
	v_and_b32_e32 v4, 0x7f800000, v13
	v_cmp_ne_u32_e32 vcc, s73, v4
                                        ; implicit-def: $vgpr9
	s_and_saveexec_b64 s[50:51], vcc
	s_xor_b64 vcc, exec, s[50:51]
; %bb.403:                              ;   in Loop: Header=BB12_387 Depth=4
	v_bfe_u32 v4, v13, 16, 1
	v_add3_u32 v9, v13, v4, s62
                                        ; implicit-def: $vgpr13
; %bb.404:                              ;   in Loop: Header=BB12_387 Depth=4
	s_andn2_saveexec_b64 s[50:51], vcc
; %bb.405:                              ;   in Loop: Header=BB12_387 Depth=4
	v_or_b32_e32 v4, 0x10000, v13
	v_cmp_eq_u32_sdwa vcc, v13, v3 src0_sel:WORD_0 src1_sel:DWORD
	s_nop 1
	v_cndmask_b32_e32 v9, v4, v13, vcc
; %bb.406:                              ;   in Loop: Header=BB12_387 Depth=4
	s_or_b64 exec, exec, s[50:51]
	v_lshlrev_b32_e32 v4, 16, v10
	v_lshlrev_b32_e32 v5, 16, v14
	v_max_f32_e32 v5, v5, v5
	v_max_f32_e32 v4, v4, v4
	v_min_f32_e32 v13, v4, v5
	v_max_f32_e32 v4, v4, v5
	v_cndmask_b32_e64 v27, v4, v13, s[26:27]
	v_and_b32_e32 v4, 0x7f800000, v27
	v_cmp_ne_u32_e32 vcc, s73, v4
                                        ; implicit-def: $vgpr13
	s_and_saveexec_b64 s[50:51], vcc
	s_xor_b64 vcc, exec, s[50:51]
; %bb.407:                              ;   in Loop: Header=BB12_387 Depth=4
	v_bfe_u32 v4, v27, 16, 1
	v_add3_u32 v13, v27, v4, s62
                                        ; implicit-def: $vgpr27
; %bb.408:                              ;   in Loop: Header=BB12_387 Depth=4
	s_andn2_saveexec_b64 s[50:51], vcc
; %bb.409:                              ;   in Loop: Header=BB12_387 Depth=4
	v_or_b32_e32 v4, 0x10000, v27
	v_cmp_eq_u32_sdwa vcc, v27, v3 src0_sel:WORD_0 src1_sel:DWORD
	s_nop 1
	v_cndmask_b32_e32 v13, v4, v27, vcc
; %bb.410:                              ;   in Loop: Header=BB12_387 Depth=4
	s_or_b64 exec, exec, s[50:51]
	v_and_b32_e32 v4, 0xffff0000, v10
	v_and_b32_e32 v5, 0xffff0000, v14
	v_max_f32_e32 v5, v5, v5
	v_max_f32_e32 v4, v4, v4
	v_min_f32_e32 v10, v4, v5
	v_max_f32_e32 v4, v4, v5
	v_cndmask_b32_e64 v14, v4, v10, s[26:27]
	v_and_b32_e32 v4, 0x7f800000, v14
	v_cmp_ne_u32_e32 vcc, s73, v4
                                        ; implicit-def: $vgpr10
	s_and_saveexec_b64 s[50:51], vcc
	s_xor_b64 vcc, exec, s[50:51]
; %bb.411:                              ;   in Loop: Header=BB12_387 Depth=4
	v_bfe_u32 v4, v14, 16, 1
	v_add3_u32 v10, v14, v4, s62
                                        ; implicit-def: $vgpr14
; %bb.412:                              ;   in Loop: Header=BB12_387 Depth=4
	s_andn2_saveexec_b64 s[50:51], vcc
; %bb.413:                              ;   in Loop: Header=BB12_387 Depth=4
	v_or_b32_e32 v4, 0x10000, v14
	v_cmp_eq_u32_sdwa vcc, v14, v3 src0_sel:WORD_0 src1_sel:DWORD
	s_nop 1
	v_cndmask_b32_e32 v10, v4, v14, vcc
; %bb.414:                              ;   in Loop: Header=BB12_387 Depth=4
	s_or_b64 exec, exec, s[50:51]
	v_lshlrev_b32_e32 v4, 16, v11
	v_lshlrev_b32_e32 v5, 16, v15
	v_max_f32_e32 v5, v5, v5
	v_max_f32_e32 v4, v4, v4
	v_min_f32_e32 v14, v4, v5
	v_max_f32_e32 v4, v4, v5
	v_cndmask_b32_e64 v27, v4, v14, s[26:27]
	v_and_b32_e32 v4, 0x7f800000, v27
	v_cmp_ne_u32_e32 vcc, s73, v4
                                        ; implicit-def: $vgpr14
	s_and_saveexec_b64 s[50:51], vcc
	s_xor_b64 vcc, exec, s[50:51]
; %bb.415:                              ;   in Loop: Header=BB12_387 Depth=4
	v_bfe_u32 v4, v27, 16, 1
	v_add3_u32 v14, v27, v4, s62
                                        ; implicit-def: $vgpr27
; %bb.416:                              ;   in Loop: Header=BB12_387 Depth=4
	s_andn2_saveexec_b64 s[50:51], vcc
; %bb.417:                              ;   in Loop: Header=BB12_387 Depth=4
	v_or_b32_e32 v4, 0x10000, v27
	v_cmp_eq_u32_sdwa vcc, v27, v3 src0_sel:WORD_0 src1_sel:DWORD
	s_nop 1
	v_cndmask_b32_e32 v14, v4, v27, vcc
; %bb.418:                              ;   in Loop: Header=BB12_387 Depth=4
	s_or_b64 exec, exec, s[50:51]
	v_and_b32_e32 v4, 0xffff0000, v11
	v_and_b32_e32 v5, 0xffff0000, v15
	v_max_f32_e32 v5, v5, v5
	v_max_f32_e32 v4, v4, v4
	v_min_f32_e32 v11, v4, v5
	v_max_f32_e32 v4, v4, v5
	v_cndmask_b32_e64 v15, v4, v11, s[26:27]
	v_and_b32_e32 v4, 0x7f800000, v15
	v_cmp_ne_u32_e32 vcc, s73, v4
                                        ; implicit-def: $vgpr11
	s_and_saveexec_b64 s[50:51], vcc
	s_xor_b64 vcc, exec, s[50:51]
; %bb.419:                              ;   in Loop: Header=BB12_387 Depth=4
	v_bfe_u32 v4, v15, 16, 1
	v_add3_u32 v11, v15, v4, s62
                                        ; implicit-def: $vgpr15
; %bb.420:                              ;   in Loop: Header=BB12_387 Depth=4
	s_andn2_saveexec_b64 s[50:51], vcc
; %bb.421:                              ;   in Loop: Header=BB12_387 Depth=4
	v_or_b32_e32 v4, 0x10000, v15
	v_cmp_eq_u32_sdwa vcc, v15, v3 src0_sel:WORD_0 src1_sel:DWORD
	s_nop 1
	v_cndmask_b32_e32 v11, v4, v15, vcc
; %bb.422:                              ;   in Loop: Header=BB12_387 Depth=4
	s_or_b64 exec, exec, s[50:51]
	v_lshrrev_b32_e32 v4, 16, v12
	v_and_or_b32 v9, v9, s63, v4
	v_lshrrev_b32_e32 v4, 16, v26
	v_and_or_b32 v8, v8, s63, v4
	;; [unrolled: 2-line block ×4, first 2 shown]
	scratch_store_dwordx4 off, v[8:11], s33 offset:224
	global_store_dwordx4 v[62:63], v[8:11], off
	v_lshl_add_u64 v[62:63], v[102:103], 0, v[62:63]
.LBB12_423:                             ;   in Loop: Header=BB12_387 Depth=4
	s_or_b64 exec, exec, s[28:29]
	v_sub_u32_e32 v19, v19, v70
	v_lshl_add_u64 v[72:73], v[72:73], 0, v[86:87]
	v_lshl_add_u64 v[74:75], v[74:75], 0, v[86:87]
	v_cmp_lt_i32_e64 s[50:51], 15, v19
	s_and_saveexec_b64 s[52:53], s[50:51]
	s_cbranch_execz .LBB12_426
; %bb.424:                              ;   in Loop: Header=BB12_387 Depth=4
	s_add_i32 s28, s33, 0xe0
	s_mov_b32 s64, s28
	s_mov_b64 s[28:29], 0
	s_mov_b64 s[54:55], -1
.LBB12_425:                             ;   Parent Loop BB12_47 Depth=1
                                        ;     Parent Loop BB12_300 Depth=2
                                        ;       Parent Loop BB12_303 Depth=3
                                        ;         Parent Loop BB12_387 Depth=4
                                        ; =>        This Inner Loop Header: Depth=5
	s_cmp_eq_u32 s28, 1
	s_cselect_b64 vcc, -1, 0
	v_cndmask_b32_e32 v13, v73, v75, vcc
	v_cndmask_b32_e32 v12, v72, v74, vcc
	global_load_dwordx4 v[8:11], v[12:13], off nt
	s_cmp_eq_u32 s28, 0
	s_cselect_b64 s[28:29], -1, 0
	s_waitcnt vmcnt(0)
	scratch_store_dwordx4 off, v[8:11], s64
	s_nop 1
	v_lshl_add_u64 v[8:9], v[12:13], 0, s[88:89]
	v_cndmask_b32_e64 v73, v73, v9, s[28:29]
	v_cndmask_b32_e64 v72, v72, v8, s[28:29]
	v_cndmask_b32_e32 v75, v75, v9, vcc
	v_cndmask_b32_e32 v74, v74, v8, vcc
	s_mov_b64 s[28:29], 1
	s_and_b64 vcc, exec, s[54:55]
	s_mov_b64 s[54:55], 0
	s_mov_b32 s64, s85
	s_cbranch_vccnz .LBB12_425
.LBB12_426:                             ;   in Loop: Header=BB12_387 Depth=4
	s_or_b64 exec, exec, s[52:53]
	scratch_load_dwordx4 v[8:11], off, s33 offset:192
	scratch_load_dwordx4 v[12:15], off, s33 offset:208
                                        ; implicit-def: $vgpr26
	s_waitcnt vmcnt(1)
	v_lshlrev_b32_e32 v4, 16, v8
	s_waitcnt vmcnt(0)
	v_lshlrev_b32_e32 v5, 16, v12
	v_max_f32_e32 v5, v5, v5
	v_max_f32_e32 v4, v4, v4
	v_min_f32_e32 v24, v4, v5
	v_max_f32_e32 v4, v4, v5
	v_cndmask_b32_e64 v27, v4, v24, s[26:27]
	v_and_b32_e32 v4, 0x7f800000, v27
	v_cmp_ne_u32_e32 vcc, s73, v4
	s_and_saveexec_b64 s[28:29], vcc
	s_xor_b64 s[28:29], exec, s[28:29]
; %bb.427:                              ;   in Loop: Header=BB12_387 Depth=4
	v_bfe_u32 v4, v27, 16, 1
	v_add3_u32 v26, v27, v4, s62
                                        ; implicit-def: $vgpr27
; %bb.428:                              ;   in Loop: Header=BB12_387 Depth=4
	s_andn2_saveexec_b64 s[28:29], s[28:29]
; %bb.429:                              ;   in Loop: Header=BB12_387 Depth=4
	v_or_b32_e32 v4, 0x10000, v27
	v_cmp_eq_u32_sdwa vcc, v27, v3 src0_sel:WORD_0 src1_sel:DWORD
	s_nop 1
	v_cndmask_b32_e32 v26, v4, v27, vcc
; %bb.430:                              ;   in Loop: Header=BB12_387 Depth=4
	s_or_b64 exec, exec, s[28:29]
	v_and_b32_e32 v4, 0xffff0000, v8
	v_and_b32_e32 v5, 0xffff0000, v12
	v_max_f32_e32 v5, v5, v5
	v_max_f32_e32 v4, v4, v4
	v_min_f32_e32 v8, v4, v5
	v_max_f32_e32 v4, v4, v5
	v_cndmask_b32_e64 v12, v4, v8, s[26:27]
	v_and_b32_e32 v4, 0x7f800000, v12
	v_cmp_ne_u32_e32 vcc, s73, v4
                                        ; implicit-def: $vgpr8
	s_and_saveexec_b64 s[28:29], vcc
	s_xor_b64 s[28:29], exec, s[28:29]
; %bb.431:                              ;   in Loop: Header=BB12_387 Depth=4
	v_bfe_u32 v4, v12, 16, 1
	v_add3_u32 v8, v12, v4, s62
                                        ; implicit-def: $vgpr12
; %bb.432:                              ;   in Loop: Header=BB12_387 Depth=4
	s_andn2_saveexec_b64 s[28:29], s[28:29]
; %bb.433:                              ;   in Loop: Header=BB12_387 Depth=4
	v_or_b32_e32 v4, 0x10000, v12
	v_cmp_eq_u32_sdwa vcc, v12, v3 src0_sel:WORD_0 src1_sel:DWORD
	s_nop 1
	v_cndmask_b32_e32 v8, v4, v12, vcc
; %bb.434:                              ;   in Loop: Header=BB12_387 Depth=4
	s_or_b64 exec, exec, s[28:29]
	v_lshlrev_b32_e32 v4, 16, v9
	v_lshlrev_b32_e32 v5, 16, v13
	v_max_f32_e32 v5, v5, v5
	v_max_f32_e32 v4, v4, v4
	v_min_f32_e32 v12, v4, v5
	v_max_f32_e32 v4, v4, v5
	v_cndmask_b32_e64 v27, v4, v12, s[26:27]
	v_and_b32_e32 v4, 0x7f800000, v27
	v_cmp_ne_u32_e32 vcc, s73, v4
                                        ; implicit-def: $vgpr12
	s_and_saveexec_b64 s[28:29], vcc
	s_xor_b64 s[28:29], exec, s[28:29]
; %bb.435:                              ;   in Loop: Header=BB12_387 Depth=4
	v_bfe_u32 v4, v27, 16, 1
	v_add3_u32 v12, v27, v4, s62
                                        ; implicit-def: $vgpr27
; %bb.436:                              ;   in Loop: Header=BB12_387 Depth=4
	s_andn2_saveexec_b64 s[28:29], s[28:29]
; %bb.437:                              ;   in Loop: Header=BB12_387 Depth=4
	v_or_b32_e32 v4, 0x10000, v27
	v_cmp_eq_u32_sdwa vcc, v27, v3 src0_sel:WORD_0 src1_sel:DWORD
	s_nop 1
	v_cndmask_b32_e32 v12, v4, v27, vcc
; %bb.438:                              ;   in Loop: Header=BB12_387 Depth=4
	s_or_b64 exec, exec, s[28:29]
	v_and_b32_e32 v4, 0xffff0000, v9
	v_and_b32_e32 v5, 0xffff0000, v13
	v_max_f32_e32 v5, v5, v5
	v_max_f32_e32 v4, v4, v4
	v_min_f32_e32 v9, v4, v5
	v_max_f32_e32 v4, v4, v5
	v_cndmask_b32_e64 v13, v4, v9, s[26:27]
	v_and_b32_e32 v4, 0x7f800000, v13
	v_cmp_ne_u32_e32 vcc, s73, v4
                                        ; implicit-def: $vgpr9
	s_and_saveexec_b64 s[28:29], vcc
	s_xor_b64 s[28:29], exec, s[28:29]
; %bb.439:                              ;   in Loop: Header=BB12_387 Depth=4
	v_bfe_u32 v4, v13, 16, 1
	v_add3_u32 v9, v13, v4, s62
                                        ; implicit-def: $vgpr13
; %bb.440:                              ;   in Loop: Header=BB12_387 Depth=4
	s_andn2_saveexec_b64 s[28:29], s[28:29]
; %bb.441:                              ;   in Loop: Header=BB12_387 Depth=4
	v_or_b32_e32 v4, 0x10000, v13
	v_cmp_eq_u32_sdwa vcc, v13, v3 src0_sel:WORD_0 src1_sel:DWORD
	s_nop 1
	v_cndmask_b32_e32 v9, v4, v13, vcc
; %bb.442:                              ;   in Loop: Header=BB12_387 Depth=4
	s_or_b64 exec, exec, s[28:29]
	v_lshlrev_b32_e32 v4, 16, v10
	v_lshlrev_b32_e32 v5, 16, v14
	v_max_f32_e32 v5, v5, v5
	v_max_f32_e32 v4, v4, v4
	v_min_f32_e32 v13, v4, v5
	v_max_f32_e32 v4, v4, v5
	v_cndmask_b32_e64 v27, v4, v13, s[26:27]
	v_and_b32_e32 v4, 0x7f800000, v27
	v_cmp_ne_u32_e32 vcc, s73, v4
                                        ; implicit-def: $vgpr13
	s_and_saveexec_b64 s[28:29], vcc
	s_xor_b64 s[28:29], exec, s[28:29]
; %bb.443:                              ;   in Loop: Header=BB12_387 Depth=4
	v_bfe_u32 v4, v27, 16, 1
	v_add3_u32 v13, v27, v4, s62
                                        ; implicit-def: $vgpr27
; %bb.444:                              ;   in Loop: Header=BB12_387 Depth=4
	s_andn2_saveexec_b64 s[28:29], s[28:29]
; %bb.445:                              ;   in Loop: Header=BB12_387 Depth=4
	v_or_b32_e32 v4, 0x10000, v27
	v_cmp_eq_u32_sdwa vcc, v27, v3 src0_sel:WORD_0 src1_sel:DWORD
	s_nop 1
	v_cndmask_b32_e32 v13, v4, v27, vcc
; %bb.446:                              ;   in Loop: Header=BB12_387 Depth=4
	s_or_b64 exec, exec, s[28:29]
	v_and_b32_e32 v4, 0xffff0000, v10
	v_and_b32_e32 v5, 0xffff0000, v14
	v_max_f32_e32 v5, v5, v5
	v_max_f32_e32 v4, v4, v4
	v_min_f32_e32 v10, v4, v5
	v_max_f32_e32 v4, v4, v5
	v_cndmask_b32_e64 v14, v4, v10, s[26:27]
	v_and_b32_e32 v4, 0x7f800000, v14
	v_cmp_ne_u32_e32 vcc, s73, v4
                                        ; implicit-def: $vgpr10
	s_and_saveexec_b64 s[28:29], vcc
	s_xor_b64 s[28:29], exec, s[28:29]
; %bb.447:                              ;   in Loop: Header=BB12_387 Depth=4
	v_bfe_u32 v4, v14, 16, 1
	v_add3_u32 v10, v14, v4, s62
                                        ; implicit-def: $vgpr14
; %bb.448:                              ;   in Loop: Header=BB12_387 Depth=4
	s_andn2_saveexec_b64 s[28:29], s[28:29]
; %bb.449:                              ;   in Loop: Header=BB12_387 Depth=4
	v_or_b32_e32 v4, 0x10000, v14
	v_cmp_eq_u32_sdwa vcc, v14, v3 src0_sel:WORD_0 src1_sel:DWORD
	s_nop 1
	v_cndmask_b32_e32 v10, v4, v14, vcc
; %bb.450:                              ;   in Loop: Header=BB12_387 Depth=4
	s_or_b64 exec, exec, s[28:29]
	v_lshlrev_b32_e32 v4, 16, v11
	v_lshlrev_b32_e32 v5, 16, v15
	v_max_f32_e32 v5, v5, v5
	v_max_f32_e32 v4, v4, v4
	v_min_f32_e32 v14, v4, v5
	v_max_f32_e32 v4, v4, v5
	v_cndmask_b32_e64 v27, v4, v14, s[26:27]
	v_and_b32_e32 v4, 0x7f800000, v27
	v_cmp_ne_u32_e32 vcc, s73, v4
                                        ; implicit-def: $vgpr14
	s_and_saveexec_b64 s[28:29], vcc
	s_xor_b64 s[28:29], exec, s[28:29]
; %bb.451:                              ;   in Loop: Header=BB12_387 Depth=4
	v_bfe_u32 v4, v27, 16, 1
	v_add3_u32 v14, v27, v4, s62
                                        ; implicit-def: $vgpr27
; %bb.452:                              ;   in Loop: Header=BB12_387 Depth=4
	s_andn2_saveexec_b64 s[28:29], s[28:29]
; %bb.453:                              ;   in Loop: Header=BB12_387 Depth=4
	v_or_b32_e32 v4, 0x10000, v27
	v_cmp_eq_u32_sdwa vcc, v27, v3 src0_sel:WORD_0 src1_sel:DWORD
	s_nop 1
	v_cndmask_b32_e32 v14, v4, v27, vcc
; %bb.454:                              ;   in Loop: Header=BB12_387 Depth=4
	s_or_b64 exec, exec, s[28:29]
	v_and_b32_e32 v4, 0xffff0000, v11
	v_and_b32_e32 v5, 0xffff0000, v15
	v_max_f32_e32 v5, v5, v5
	v_max_f32_e32 v4, v4, v4
	v_min_f32_e32 v11, v4, v5
	v_max_f32_e32 v4, v4, v5
	v_cndmask_b32_e64 v15, v4, v11, s[26:27]
	v_and_b32_e32 v4, 0x7f800000, v15
	v_cmp_ne_u32_e32 vcc, s73, v4
                                        ; implicit-def: $vgpr11
	s_and_saveexec_b64 s[28:29], vcc
	s_xor_b64 s[28:29], exec, s[28:29]
; %bb.455:                              ;   in Loop: Header=BB12_387 Depth=4
	v_bfe_u32 v4, v15, 16, 1
	v_add3_u32 v11, v15, v4, s62
                                        ; implicit-def: $vgpr15
; %bb.456:                              ;   in Loop: Header=BB12_387 Depth=4
	s_andn2_saveexec_b64 s[28:29], s[28:29]
; %bb.457:                              ;   in Loop: Header=BB12_387 Depth=4
	v_or_b32_e32 v4, 0x10000, v15
	v_cmp_eq_u32_sdwa vcc, v15, v3 src0_sel:WORD_0 src1_sel:DWORD
	s_nop 1
	v_cndmask_b32_e32 v11, v4, v15, vcc
; %bb.458:                              ;   in Loop: Header=BB12_387 Depth=4
	s_or_b64 exec, exec, s[28:29]
	v_lshrrev_b32_e32 v4, 16, v12
	v_and_or_b32 v9, v9, s63, v4
	v_lshrrev_b32_e32 v4, 16, v26
	v_and_or_b32 v8, v8, s63, v4
	;; [unrolled: 2-line block ×4, first 2 shown]
	v_sub_u32_e32 v79, v79, v52
	scratch_store_dwordx4 off, v[8:11], s33 offset:192
	global_store_dwordx4 v[62:63], v[8:11], off
	v_lshl_add_u64 v[62:63], v[62:63], 0, s[88:89]
	s_and_saveexec_b64 s[28:29], s[50:51]
	s_cbranch_execz .LBB12_386
; %bb.459:                              ;   in Loop: Header=BB12_387 Depth=4
	v_lshl_add_u64 v[72:73], v[72:73], 0, v[86:87]
	v_lshl_add_u64 v[74:75], v[74:75], 0, v[86:87]
	;; [unrolled: 1-line block ×3, first 2 shown]
	v_sub_u32_e32 v19, v19, v70
	v_sub_u32_e32 v79, v79, v52
	s_branch .LBB12_386
.LBB12_460:                             ;   in Loop: Header=BB12_303 Depth=3
	v_mov_b32_e32 v8, v0
	v_mov_b32_e32 v15, v95
	s_and_saveexec_b64 s[56:57], s[46:47]
	s_cbranch_execnz .LBB12_612
	s_branch .LBB12_695
.LBB12_461:                             ;   in Loop: Header=BB12_303 Depth=3
	s_or_b64 exec, exec, s[58:59]
	s_and_b64 s[26:27], s[60:61], exec
.LBB12_462:                             ;   in Loop: Header=BB12_303 Depth=3
	s_or_b64 exec, exec, s[56:57]
	s_and_saveexec_b64 s[28:29], s[26:27]
	s_cbranch_execz .LBB12_496
; %bb.463:                              ;   in Loop: Header=BB12_303 Depth=3
	scratch_load_dwordx4 v[8:11], off, s33 offset:224
	scratch_load_dwordx4 v[12:15], off, s33 offset:240
	s_and_b32 s26, 0xffff, s31
	s_cmp_eq_u32 s26, 0
	s_cselect_b64 vcc, -1, 0
	s_waitcnt vmcnt(0)
	v_lshlrev_b32_e32 v4, 16, v8
	v_lshlrev_b32_e32 v5, 16, v12
	v_max_f32_e32 v5, v5, v5
	v_max_f32_e32 v4, v4, v4
	v_min_f32_e32 v19, v4, v5
	v_max_f32_e32 v4, v4, v5
	v_cndmask_b32_e32 v26, v4, v19, vcc
	v_and_b32_e32 v4, 0x7f800000, v26
	v_cmp_ne_u32_e64 s[26:27], s73, v4
                                        ; implicit-def: $vgpr19
	s_and_saveexec_b64 s[56:57], s[26:27]
	s_xor_b64 s[26:27], exec, s[56:57]
; %bb.464:                              ;   in Loop: Header=BB12_303 Depth=3
	v_bfe_u32 v4, v26, 16, 1
	v_add3_u32 v19, v26, v4, s62
                                        ; implicit-def: $vgpr26
; %bb.465:                              ;   in Loop: Header=BB12_303 Depth=3
	s_andn2_saveexec_b64 s[56:57], s[26:27]
; %bb.466:                              ;   in Loop: Header=BB12_303 Depth=3
	v_or_b32_e32 v4, 0x10000, v26
	v_cmp_eq_u32_sdwa s[26:27], v26, v3 src0_sel:WORD_0 src1_sel:DWORD
	s_nop 1
	v_cndmask_b32_e64 v19, v4, v26, s[26:27]
; %bb.467:                              ;   in Loop: Header=BB12_303 Depth=3
	s_or_b64 exec, exec, s[56:57]
	v_and_b32_e32 v4, 0xffff0000, v8
	v_and_b32_e32 v5, 0xffff0000, v12
	v_max_f32_e32 v5, v5, v5
	v_max_f32_e32 v4, v4, v4
	v_min_f32_e32 v8, v4, v5
	v_max_f32_e32 v4, v4, v5
	v_cndmask_b32_e32 v12, v4, v8, vcc
	v_and_b32_e32 v4, 0x7f800000, v12
	v_cmp_ne_u32_e64 s[26:27], s73, v4
                                        ; implicit-def: $vgpr8
	s_and_saveexec_b64 s[56:57], s[26:27]
	s_xor_b64 s[26:27], exec, s[56:57]
; %bb.468:                              ;   in Loop: Header=BB12_303 Depth=3
	v_bfe_u32 v4, v12, 16, 1
	v_add3_u32 v8, v12, v4, s62
                                        ; implicit-def: $vgpr12
; %bb.469:                              ;   in Loop: Header=BB12_303 Depth=3
	s_andn2_saveexec_b64 s[56:57], s[26:27]
; %bb.470:                              ;   in Loop: Header=BB12_303 Depth=3
	v_or_b32_e32 v4, 0x10000, v12
	v_cmp_eq_u32_sdwa s[26:27], v12, v3 src0_sel:WORD_0 src1_sel:DWORD
	s_nop 1
	v_cndmask_b32_e64 v8, v4, v12, s[26:27]
; %bb.471:                              ;   in Loop: Header=BB12_303 Depth=3
	s_or_b64 exec, exec, s[56:57]
	v_lshlrev_b32_e32 v4, 16, v9
	v_lshlrev_b32_e32 v5, 16, v13
	v_max_f32_e32 v5, v5, v5
	v_max_f32_e32 v4, v4, v4
	v_min_f32_e32 v12, v4, v5
	v_max_f32_e32 v4, v4, v5
	v_cndmask_b32_e32 v26, v4, v12, vcc
	v_and_b32_e32 v4, 0x7f800000, v26
	v_cmp_ne_u32_e64 s[26:27], s73, v4
                                        ; implicit-def: $vgpr12
	s_and_saveexec_b64 s[56:57], s[26:27]
	s_xor_b64 s[26:27], exec, s[56:57]
; %bb.472:                              ;   in Loop: Header=BB12_303 Depth=3
	v_bfe_u32 v4, v26, 16, 1
	v_add3_u32 v12, v26, v4, s62
                                        ; implicit-def: $vgpr26
; %bb.473:                              ;   in Loop: Header=BB12_303 Depth=3
	s_andn2_saveexec_b64 s[56:57], s[26:27]
; %bb.474:                              ;   in Loop: Header=BB12_303 Depth=3
	v_or_b32_e32 v4, 0x10000, v26
	v_cmp_eq_u32_sdwa s[26:27], v26, v3 src0_sel:WORD_0 src1_sel:DWORD
	s_nop 1
	v_cndmask_b32_e64 v12, v4, v26, s[26:27]
; %bb.475:                              ;   in Loop: Header=BB12_303 Depth=3
	s_or_b64 exec, exec, s[56:57]
	v_and_b32_e32 v4, 0xffff0000, v9
	v_and_b32_e32 v5, 0xffff0000, v13
	v_max_f32_e32 v5, v5, v5
	v_max_f32_e32 v4, v4, v4
	v_min_f32_e32 v9, v4, v5
	v_max_f32_e32 v4, v4, v5
	v_cndmask_b32_e32 v13, v4, v9, vcc
	v_and_b32_e32 v4, 0x7f800000, v13
	v_cmp_ne_u32_e64 s[26:27], s73, v4
                                        ; implicit-def: $vgpr9
	s_and_saveexec_b64 s[56:57], s[26:27]
	s_xor_b64 s[26:27], exec, s[56:57]
; %bb.476:                              ;   in Loop: Header=BB12_303 Depth=3
	v_bfe_u32 v4, v13, 16, 1
	v_add3_u32 v9, v13, v4, s62
                                        ; implicit-def: $vgpr13
; %bb.477:                              ;   in Loop: Header=BB12_303 Depth=3
	s_andn2_saveexec_b64 s[56:57], s[26:27]
; %bb.478:                              ;   in Loop: Header=BB12_303 Depth=3
	v_or_b32_e32 v4, 0x10000, v13
	v_cmp_eq_u32_sdwa s[26:27], v13, v3 src0_sel:WORD_0 src1_sel:DWORD
	s_nop 1
	v_cndmask_b32_e64 v9, v4, v13, s[26:27]
; %bb.479:                              ;   in Loop: Header=BB12_303 Depth=3
	s_or_b64 exec, exec, s[56:57]
	v_lshlrev_b32_e32 v4, 16, v10
	v_lshlrev_b32_e32 v5, 16, v14
	v_max_f32_e32 v5, v5, v5
	v_max_f32_e32 v4, v4, v4
	v_min_f32_e32 v13, v4, v5
	v_max_f32_e32 v4, v4, v5
	v_cndmask_b32_e32 v26, v4, v13, vcc
	v_and_b32_e32 v4, 0x7f800000, v26
	v_cmp_ne_u32_e64 s[26:27], s73, v4
                                        ; implicit-def: $vgpr13
	s_and_saveexec_b64 s[56:57], s[26:27]
	s_xor_b64 s[26:27], exec, s[56:57]
; %bb.480:                              ;   in Loop: Header=BB12_303 Depth=3
	v_bfe_u32 v4, v26, 16, 1
	v_add3_u32 v13, v26, v4, s62
                                        ; implicit-def: $vgpr26
; %bb.481:                              ;   in Loop: Header=BB12_303 Depth=3
	s_andn2_saveexec_b64 s[56:57], s[26:27]
; %bb.482:                              ;   in Loop: Header=BB12_303 Depth=3
	v_or_b32_e32 v4, 0x10000, v26
	v_cmp_eq_u32_sdwa s[26:27], v26, v3 src0_sel:WORD_0 src1_sel:DWORD
	s_nop 1
	v_cndmask_b32_e64 v13, v4, v26, s[26:27]
; %bb.483:                              ;   in Loop: Header=BB12_303 Depth=3
	s_or_b64 exec, exec, s[56:57]
	v_and_b32_e32 v4, 0xffff0000, v10
	v_and_b32_e32 v5, 0xffff0000, v14
	v_max_f32_e32 v5, v5, v5
	v_max_f32_e32 v4, v4, v4
	v_min_f32_e32 v10, v4, v5
	v_max_f32_e32 v4, v4, v5
	v_cndmask_b32_e32 v14, v4, v10, vcc
	v_and_b32_e32 v4, 0x7f800000, v14
	v_cmp_ne_u32_e64 s[26:27], s73, v4
                                        ; implicit-def: $vgpr10
	s_and_saveexec_b64 s[56:57], s[26:27]
	s_xor_b64 s[26:27], exec, s[56:57]
; %bb.484:                              ;   in Loop: Header=BB12_303 Depth=3
	v_bfe_u32 v4, v14, 16, 1
	v_add3_u32 v10, v14, v4, s62
                                        ; implicit-def: $vgpr14
; %bb.485:                              ;   in Loop: Header=BB12_303 Depth=3
	s_andn2_saveexec_b64 s[56:57], s[26:27]
; %bb.486:                              ;   in Loop: Header=BB12_303 Depth=3
	v_or_b32_e32 v4, 0x10000, v14
	v_cmp_eq_u32_sdwa s[26:27], v14, v3 src0_sel:WORD_0 src1_sel:DWORD
	s_nop 1
	v_cndmask_b32_e64 v10, v4, v14, s[26:27]
; %bb.487:                              ;   in Loop: Header=BB12_303 Depth=3
	s_or_b64 exec, exec, s[56:57]
	v_lshlrev_b32_e32 v4, 16, v11
	v_lshlrev_b32_e32 v5, 16, v15
	v_max_f32_e32 v5, v5, v5
	v_max_f32_e32 v4, v4, v4
	v_min_f32_e32 v14, v4, v5
	v_max_f32_e32 v4, v4, v5
	v_cndmask_b32_e32 v26, v4, v14, vcc
	v_and_b32_e32 v4, 0x7f800000, v26
	v_cmp_ne_u32_e64 s[26:27], s73, v4
                                        ; implicit-def: $vgpr14
	s_and_saveexec_b64 s[56:57], s[26:27]
	s_xor_b64 s[26:27], exec, s[56:57]
; %bb.488:                              ;   in Loop: Header=BB12_303 Depth=3
	v_bfe_u32 v4, v26, 16, 1
	v_add3_u32 v14, v26, v4, s62
                                        ; implicit-def: $vgpr26
; %bb.489:                              ;   in Loop: Header=BB12_303 Depth=3
	s_andn2_saveexec_b64 s[56:57], s[26:27]
; %bb.490:                              ;   in Loop: Header=BB12_303 Depth=3
	v_or_b32_e32 v4, 0x10000, v26
	v_cmp_eq_u32_sdwa s[26:27], v26, v3 src0_sel:WORD_0 src1_sel:DWORD
	s_nop 1
	v_cndmask_b32_e64 v14, v4, v26, s[26:27]
; %bb.491:                              ;   in Loop: Header=BB12_303 Depth=3
	s_or_b64 exec, exec, s[56:57]
	v_and_b32_e32 v4, 0xffff0000, v11
	v_and_b32_e32 v5, 0xffff0000, v15
	v_max_f32_e32 v5, v5, v5
	v_max_f32_e32 v4, v4, v4
	v_min_f32_e32 v11, v4, v5
	v_max_f32_e32 v4, v4, v5
	v_cndmask_b32_e32 v15, v4, v11, vcc
	v_and_b32_e32 v4, 0x7f800000, v15
	v_cmp_ne_u32_e32 vcc, s73, v4
                                        ; implicit-def: $vgpr11
	s_and_saveexec_b64 s[26:27], vcc
	s_xor_b64 s[26:27], exec, s[26:27]
; %bb.492:                              ;   in Loop: Header=BB12_303 Depth=3
	v_bfe_u32 v4, v15, 16, 1
	v_add3_u32 v11, v15, v4, s62
                                        ; implicit-def: $vgpr15
; %bb.493:                              ;   in Loop: Header=BB12_303 Depth=3
	s_andn2_saveexec_b64 s[26:27], s[26:27]
; %bb.494:                              ;   in Loop: Header=BB12_303 Depth=3
	v_or_b32_e32 v4, 0x10000, v15
	v_cmp_eq_u32_sdwa vcc, v15, v3 src0_sel:WORD_0 src1_sel:DWORD
	s_nop 1
	v_cndmask_b32_e32 v11, v4, v15, vcc
; %bb.495:                              ;   in Loop: Header=BB12_303 Depth=3
	s_or_b64 exec, exec, s[26:27]
	v_lshrrev_b32_e32 v4, 16, v12
	v_and_or_b32 v9, v9, s63, v4
	v_lshrrev_b32_e32 v4, 16, v19
	v_and_or_b32 v8, v8, s63, v4
	;; [unrolled: 2-line block ×4, first 2 shown]
	global_store_dwordx4 v[62:63], v[8:11], off
.LBB12_496:                             ;   in Loop: Header=BB12_303 Depth=3
	s_or_b64 exec, exec, s[28:29]
	s_nop 0
	v_and_b32_e32 v9, 14, v17
	v_cndmask_b32_e64 v19, v78, v9, s[24:25]
	v_cmp_ne_u32_e32 vcc, 0, v19
                                        ; implicit-def: $vgpr17
                                        ; implicit-def: $vgpr14
                                        ; implicit-def: $vgpr8
                                        ; implicit-def: $vgpr15
	s_and_saveexec_b64 s[56:57], vcc
	s_cbranch_execz .LBB12_611
; %bb.497:                              ;   in Loop: Header=BB12_303 Depth=3
	v_sub_u32_e32 v4, v78, v9
	v_cndmask_b32_e64 v4, 0, v4, s[24:25]
	v_cmp_lt_i32_e32 vcc, 0, v79
	v_add_u32_e32 v74, v4, v77
	s_mov_b64 s[26:27], 0
	v_cndmask_b32_e32 v4, 0, v52, vcc
	v_sub_u32_e32 v4, v4, v79
	v_lshl_or_b32 v4, v4, 6, v95
	v_ashrrev_i32_e32 v5, 31, v4
	v_lshrrev_b32_e32 v5, 26, v5
	v_add_u32_e32 v5, v4, v5
	v_ashrrev_i32_e32 v10, 6, v5
	v_and_b32_e32 v5, 0xffffffc0, v5
	v_sub_u32_e32 v75, v4, v5
	v_lshlrev_b32_e32 v4, 4, v75
	v_lshl_add_u32 v4, v10, 10, v4
	v_add_u32_e32 v8, v4, v74
	v_sub_u32_e32 v17, v19, v4
	v_ashrrev_i32_e32 v4, 31, v19
	v_lshrrev_b32_e32 v4, 22, v4
	v_add_u32_e32 v4, v19, v4
	v_and_b32_e32 v77, 0xfffffc00, v4
	v_sub_u32_e32 v78, v19, v77
	v_ashrrev_i32_e32 v5, 10, v4
	v_cmp_lt_i32_e64 s[24:25], 15, v78
	v_ashrrev_i32_e32 v9, 31, v8
	v_lshl_add_u64 v[62:63], v[8:9], 0, v[58:59]
	v_addc_co_u32_e64 v4, vcc, 0, v5, s[24:25]
	v_sub_u32_e32 v79, v4, v10
	v_cmp_lt_i32_e32 vcc, 15, v17
	s_and_saveexec_b64 s[58:59], vcc
	s_cbranch_execz .LBB12_574
; %bb.498:                              ;   in Loop: Header=BB12_303 Depth=3
	s_and_b32 s26, 0xffff, s31
	s_cmp_eq_u32 s26, 0
	v_lshl_add_u64 v[72:73], v[8:9], 0, v[22:23]
	s_waitcnt lgkmcnt(0)
	v_lshl_add_u64 v[60:61], v[8:9], 0, v[60:61]
	s_mov_b64 s[52:53], 0
	s_mov_b64 s[60:61], 0
	s_cselect_b64 s[26:27], -1, 0
                                        ; implicit-def: $sgpr50_sgpr51
	s_branch .LBB12_500
.LBB12_499:                             ;   in Loop: Header=BB12_500 Depth=4
	s_or_b64 exec, exec, s[28:29]
	v_cmp_gt_i32_e32 vcc, 16, v17
	s_or_b64 s[60:61], vcc, s[60:61]
	s_andn2_b64 s[28:29], s[50:51], exec
	s_and_b64 vcc, s[52:53], exec
	s_or_b64 s[50:51], s[28:29], vcc
	s_andn2_b64 exec, exec, s[60:61]
	s_cbranch_execz .LBB12_573
.LBB12_500:                             ;   Parent Loop BB12_47 Depth=1
                                        ;     Parent Loop BB12_300 Depth=2
                                        ;       Parent Loop BB12_303 Depth=3
                                        ; =>      This Loop Header: Depth=4
                                        ;           Child Loop BB12_501 Depth 5
                                        ;           Child Loop BB12_538 Depth 5
	s_add_i32 s28, s33, 0xc0
	s_mov_b32 s64, s28
	s_mov_b64 s[54:55], -1
	s_mov_b64 s[28:29], 0
.LBB12_501:                             ;   Parent Loop BB12_47 Depth=1
                                        ;     Parent Loop BB12_300 Depth=2
                                        ;       Parent Loop BB12_303 Depth=3
                                        ;         Parent Loop BB12_500 Depth=4
                                        ; =>        This Inner Loop Header: Depth=5
	s_cmp_eq_u32 s28, 1
	s_cselect_b64 vcc, -1, 0
	v_cndmask_b32_e32 v13, v73, v61, vcc
	v_cndmask_b32_e32 v12, v72, v60, vcc
	global_load_dwordx4 v[8:11], v[12:13], off nt
	s_cmp_eq_u32 s28, 0
	s_cselect_b64 s[28:29], -1, 0
	s_waitcnt vmcnt(0)
	scratch_store_dwordx4 off, v[8:11], s64
	s_nop 1
	v_lshl_add_u64 v[8:9], v[12:13], 0, s[88:89]
	v_cndmask_b32_e64 v73, v73, v9, s[28:29]
	v_cndmask_b32_e64 v72, v72, v8, s[28:29]
	v_cndmask_b32_e32 v61, v61, v9, vcc
	v_cndmask_b32_e32 v60, v60, v8, vcc
	s_mov_b64 s[28:29], 1
	s_and_b64 vcc, exec, s[54:55]
	s_mov_b64 s[54:55], 0
	s_mov_b32 s64, s96
	s_cbranch_vccnz .LBB12_501
; %bb.502:                              ;   in Loop: Header=BB12_500 Depth=4
	s_and_saveexec_b64 s[28:29], s[52:53]
	s_cbranch_execz .LBB12_536
; %bb.503:                              ;   in Loop: Header=BB12_500 Depth=4
	scratch_load_dwordx4 v[8:11], off, s33 offset:224
	scratch_load_dwordx4 v[12:15], off, s33 offset:240
                                        ; implicit-def: $vgpr26
	s_waitcnt vmcnt(1)
	v_lshlrev_b32_e32 v4, 16, v8
	s_waitcnt vmcnt(0)
	v_lshlrev_b32_e32 v5, 16, v12
	v_max_f32_e32 v5, v5, v5
	v_max_f32_e32 v4, v4, v4
	v_min_f32_e32 v24, v4, v5
	v_max_f32_e32 v4, v4, v5
	v_cndmask_b32_e64 v27, v4, v24, s[26:27]
	v_and_b32_e32 v4, 0x7f800000, v27
	v_cmp_ne_u32_e32 vcc, s73, v4
	s_and_saveexec_b64 s[52:53], vcc
	s_xor_b64 vcc, exec, s[52:53]
; %bb.504:                              ;   in Loop: Header=BB12_500 Depth=4
	v_bfe_u32 v4, v27, 16, 1
	v_add3_u32 v26, v27, v4, s62
                                        ; implicit-def: $vgpr27
; %bb.505:                              ;   in Loop: Header=BB12_500 Depth=4
	s_andn2_saveexec_b64 s[52:53], vcc
; %bb.506:                              ;   in Loop: Header=BB12_500 Depth=4
	v_or_b32_e32 v4, 0x10000, v27
	v_cmp_eq_u32_sdwa vcc, v27, v3 src0_sel:WORD_0 src1_sel:DWORD
	s_nop 1
	v_cndmask_b32_e32 v26, v4, v27, vcc
; %bb.507:                              ;   in Loop: Header=BB12_500 Depth=4
	s_or_b64 exec, exec, s[52:53]
	v_and_b32_e32 v4, 0xffff0000, v8
	v_and_b32_e32 v5, 0xffff0000, v12
	v_max_f32_e32 v5, v5, v5
	v_max_f32_e32 v4, v4, v4
	v_min_f32_e32 v8, v4, v5
	v_max_f32_e32 v4, v4, v5
	v_cndmask_b32_e64 v12, v4, v8, s[26:27]
	v_and_b32_e32 v4, 0x7f800000, v12
	v_cmp_ne_u32_e32 vcc, s73, v4
                                        ; implicit-def: $vgpr8
	s_and_saveexec_b64 s[52:53], vcc
	s_xor_b64 vcc, exec, s[52:53]
; %bb.508:                              ;   in Loop: Header=BB12_500 Depth=4
	v_bfe_u32 v4, v12, 16, 1
	v_add3_u32 v8, v12, v4, s62
                                        ; implicit-def: $vgpr12
; %bb.509:                              ;   in Loop: Header=BB12_500 Depth=4
	s_andn2_saveexec_b64 s[52:53], vcc
; %bb.510:                              ;   in Loop: Header=BB12_500 Depth=4
	v_or_b32_e32 v4, 0x10000, v12
	v_cmp_eq_u32_sdwa vcc, v12, v3 src0_sel:WORD_0 src1_sel:DWORD
	s_nop 1
	v_cndmask_b32_e32 v8, v4, v12, vcc
; %bb.511:                              ;   in Loop: Header=BB12_500 Depth=4
	s_or_b64 exec, exec, s[52:53]
	v_lshlrev_b32_e32 v4, 16, v9
	v_lshlrev_b32_e32 v5, 16, v13
	v_max_f32_e32 v5, v5, v5
	v_max_f32_e32 v4, v4, v4
	v_min_f32_e32 v12, v4, v5
	v_max_f32_e32 v4, v4, v5
	v_cndmask_b32_e64 v27, v4, v12, s[26:27]
	v_and_b32_e32 v4, 0x7f800000, v27
	v_cmp_ne_u32_e32 vcc, s73, v4
                                        ; implicit-def: $vgpr12
	s_and_saveexec_b64 s[52:53], vcc
	s_xor_b64 vcc, exec, s[52:53]
; %bb.512:                              ;   in Loop: Header=BB12_500 Depth=4
	v_bfe_u32 v4, v27, 16, 1
	v_add3_u32 v12, v27, v4, s62
                                        ; implicit-def: $vgpr27
; %bb.513:                              ;   in Loop: Header=BB12_500 Depth=4
	s_andn2_saveexec_b64 s[52:53], vcc
; %bb.514:                              ;   in Loop: Header=BB12_500 Depth=4
	v_or_b32_e32 v4, 0x10000, v27
	v_cmp_eq_u32_sdwa vcc, v27, v3 src0_sel:WORD_0 src1_sel:DWORD
	s_nop 1
	v_cndmask_b32_e32 v12, v4, v27, vcc
; %bb.515:                              ;   in Loop: Header=BB12_500 Depth=4
	s_or_b64 exec, exec, s[52:53]
	v_and_b32_e32 v4, 0xffff0000, v9
	v_and_b32_e32 v5, 0xffff0000, v13
	v_max_f32_e32 v5, v5, v5
	v_max_f32_e32 v4, v4, v4
	v_min_f32_e32 v9, v4, v5
	v_max_f32_e32 v4, v4, v5
	v_cndmask_b32_e64 v13, v4, v9, s[26:27]
	v_and_b32_e32 v4, 0x7f800000, v13
	v_cmp_ne_u32_e32 vcc, s73, v4
                                        ; implicit-def: $vgpr9
	s_and_saveexec_b64 s[52:53], vcc
	s_xor_b64 vcc, exec, s[52:53]
; %bb.516:                              ;   in Loop: Header=BB12_500 Depth=4
	v_bfe_u32 v4, v13, 16, 1
	v_add3_u32 v9, v13, v4, s62
                                        ; implicit-def: $vgpr13
; %bb.517:                              ;   in Loop: Header=BB12_500 Depth=4
	s_andn2_saveexec_b64 s[52:53], vcc
; %bb.518:                              ;   in Loop: Header=BB12_500 Depth=4
	v_or_b32_e32 v4, 0x10000, v13
	v_cmp_eq_u32_sdwa vcc, v13, v3 src0_sel:WORD_0 src1_sel:DWORD
	s_nop 1
	v_cndmask_b32_e32 v9, v4, v13, vcc
; %bb.519:                              ;   in Loop: Header=BB12_500 Depth=4
	s_or_b64 exec, exec, s[52:53]
	v_lshlrev_b32_e32 v4, 16, v10
	v_lshlrev_b32_e32 v5, 16, v14
	v_max_f32_e32 v5, v5, v5
	v_max_f32_e32 v4, v4, v4
	v_min_f32_e32 v13, v4, v5
	v_max_f32_e32 v4, v4, v5
	v_cndmask_b32_e64 v27, v4, v13, s[26:27]
	v_and_b32_e32 v4, 0x7f800000, v27
	v_cmp_ne_u32_e32 vcc, s73, v4
                                        ; implicit-def: $vgpr13
	s_and_saveexec_b64 s[52:53], vcc
	s_xor_b64 vcc, exec, s[52:53]
; %bb.520:                              ;   in Loop: Header=BB12_500 Depth=4
	v_bfe_u32 v4, v27, 16, 1
	v_add3_u32 v13, v27, v4, s62
                                        ; implicit-def: $vgpr27
; %bb.521:                              ;   in Loop: Header=BB12_500 Depth=4
	s_andn2_saveexec_b64 s[52:53], vcc
; %bb.522:                              ;   in Loop: Header=BB12_500 Depth=4
	v_or_b32_e32 v4, 0x10000, v27
	v_cmp_eq_u32_sdwa vcc, v27, v3 src0_sel:WORD_0 src1_sel:DWORD
	s_nop 1
	v_cndmask_b32_e32 v13, v4, v27, vcc
; %bb.523:                              ;   in Loop: Header=BB12_500 Depth=4
	s_or_b64 exec, exec, s[52:53]
	v_and_b32_e32 v4, 0xffff0000, v10
	v_and_b32_e32 v5, 0xffff0000, v14
	v_max_f32_e32 v5, v5, v5
	v_max_f32_e32 v4, v4, v4
	v_min_f32_e32 v10, v4, v5
	v_max_f32_e32 v4, v4, v5
	v_cndmask_b32_e64 v14, v4, v10, s[26:27]
	v_and_b32_e32 v4, 0x7f800000, v14
	v_cmp_ne_u32_e32 vcc, s73, v4
                                        ; implicit-def: $vgpr10
	s_and_saveexec_b64 s[52:53], vcc
	s_xor_b64 vcc, exec, s[52:53]
; %bb.524:                              ;   in Loop: Header=BB12_500 Depth=4
	v_bfe_u32 v4, v14, 16, 1
	v_add3_u32 v10, v14, v4, s62
                                        ; implicit-def: $vgpr14
; %bb.525:                              ;   in Loop: Header=BB12_500 Depth=4
	s_andn2_saveexec_b64 s[52:53], vcc
; %bb.526:                              ;   in Loop: Header=BB12_500 Depth=4
	v_or_b32_e32 v4, 0x10000, v14
	v_cmp_eq_u32_sdwa vcc, v14, v3 src0_sel:WORD_0 src1_sel:DWORD
	s_nop 1
	v_cndmask_b32_e32 v10, v4, v14, vcc
; %bb.527:                              ;   in Loop: Header=BB12_500 Depth=4
	s_or_b64 exec, exec, s[52:53]
	v_lshlrev_b32_e32 v4, 16, v11
	v_lshlrev_b32_e32 v5, 16, v15
	v_max_f32_e32 v5, v5, v5
	v_max_f32_e32 v4, v4, v4
	v_min_f32_e32 v14, v4, v5
	v_max_f32_e32 v4, v4, v5
	v_cndmask_b32_e64 v27, v4, v14, s[26:27]
	v_and_b32_e32 v4, 0x7f800000, v27
	v_cmp_ne_u32_e32 vcc, s73, v4
                                        ; implicit-def: $vgpr14
	s_and_saveexec_b64 s[52:53], vcc
	s_xor_b64 vcc, exec, s[52:53]
; %bb.528:                              ;   in Loop: Header=BB12_500 Depth=4
	v_bfe_u32 v4, v27, 16, 1
	v_add3_u32 v14, v27, v4, s62
                                        ; implicit-def: $vgpr27
; %bb.529:                              ;   in Loop: Header=BB12_500 Depth=4
	s_andn2_saveexec_b64 s[52:53], vcc
; %bb.530:                              ;   in Loop: Header=BB12_500 Depth=4
	v_or_b32_e32 v4, 0x10000, v27
	v_cmp_eq_u32_sdwa vcc, v27, v3 src0_sel:WORD_0 src1_sel:DWORD
	s_nop 1
	v_cndmask_b32_e32 v14, v4, v27, vcc
; %bb.531:                              ;   in Loop: Header=BB12_500 Depth=4
	s_or_b64 exec, exec, s[52:53]
	v_and_b32_e32 v4, 0xffff0000, v11
	v_and_b32_e32 v5, 0xffff0000, v15
	v_max_f32_e32 v5, v5, v5
	v_max_f32_e32 v4, v4, v4
	v_min_f32_e32 v11, v4, v5
	v_max_f32_e32 v4, v4, v5
	v_cndmask_b32_e64 v15, v4, v11, s[26:27]
	v_and_b32_e32 v4, 0x7f800000, v15
	v_cmp_ne_u32_e32 vcc, s73, v4
                                        ; implicit-def: $vgpr11
	s_and_saveexec_b64 s[52:53], vcc
	s_xor_b64 vcc, exec, s[52:53]
; %bb.532:                              ;   in Loop: Header=BB12_500 Depth=4
	v_bfe_u32 v4, v15, 16, 1
	v_add3_u32 v11, v15, v4, s62
                                        ; implicit-def: $vgpr15
; %bb.533:                              ;   in Loop: Header=BB12_500 Depth=4
	s_andn2_saveexec_b64 s[52:53], vcc
; %bb.534:                              ;   in Loop: Header=BB12_500 Depth=4
	v_or_b32_e32 v4, 0x10000, v15
	v_cmp_eq_u32_sdwa vcc, v15, v3 src0_sel:WORD_0 src1_sel:DWORD
	s_nop 1
	v_cndmask_b32_e32 v11, v4, v15, vcc
; %bb.535:                              ;   in Loop: Header=BB12_500 Depth=4
	s_or_b64 exec, exec, s[52:53]
	v_lshrrev_b32_e32 v4, 16, v12
	v_and_or_b32 v9, v9, s63, v4
	v_lshrrev_b32_e32 v4, 16, v26
	v_and_or_b32 v8, v8, s63, v4
	;; [unrolled: 2-line block ×4, first 2 shown]
	scratch_store_dwordx4 off, v[8:11], s33 offset:224
	global_store_dwordx4 v[62:63], v[8:11], off
	v_lshl_add_u64 v[62:63], v[102:103], 0, v[62:63]
.LBB12_536:                             ;   in Loop: Header=BB12_500 Depth=4
	s_or_b64 exec, exec, s[28:29]
	v_sub_u32_e32 v17, v17, v70
	v_lshl_add_u64 v[72:73], v[72:73], 0, v[86:87]
	v_lshl_add_u64 v[60:61], v[60:61], 0, v[86:87]
	v_cmp_lt_i32_e64 s[52:53], 15, v17
	s_and_saveexec_b64 s[54:55], s[52:53]
	s_cbranch_execz .LBB12_539
; %bb.537:                              ;   in Loop: Header=BB12_500 Depth=4
	s_add_i32 s28, s33, 0xe0
	s_mov_b32 s66, s28
	s_mov_b64 s[28:29], 0
	s_mov_b64 s[64:65], -1
.LBB12_538:                             ;   Parent Loop BB12_47 Depth=1
                                        ;     Parent Loop BB12_300 Depth=2
                                        ;       Parent Loop BB12_303 Depth=3
                                        ;         Parent Loop BB12_500 Depth=4
                                        ; =>        This Inner Loop Header: Depth=5
	s_cmp_eq_u32 s28, 1
	s_cselect_b64 vcc, -1, 0
	v_cndmask_b32_e32 v13, v73, v61, vcc
	v_cndmask_b32_e32 v12, v72, v60, vcc
	global_load_dwordx4 v[8:11], v[12:13], off nt
	s_cmp_eq_u32 s28, 0
	s_cselect_b64 s[28:29], -1, 0
	s_waitcnt vmcnt(0)
	scratch_store_dwordx4 off, v[8:11], s66
	s_nop 1
	v_lshl_add_u64 v[8:9], v[12:13], 0, s[88:89]
	v_cndmask_b32_e64 v73, v73, v9, s[28:29]
	v_cndmask_b32_e64 v72, v72, v8, s[28:29]
	v_cndmask_b32_e32 v61, v61, v9, vcc
	v_cndmask_b32_e32 v60, v60, v8, vcc
	s_mov_b64 s[28:29], 1
	s_and_b64 vcc, exec, s[64:65]
	s_mov_b64 s[64:65], 0
	s_mov_b32 s66, s87
	s_cbranch_vccnz .LBB12_538
.LBB12_539:                             ;   in Loop: Header=BB12_500 Depth=4
	s_or_b64 exec, exec, s[54:55]
	scratch_load_dwordx4 v[8:11], off, s33 offset:192
	scratch_load_dwordx4 v[12:15], off, s33 offset:208
                                        ; implicit-def: $vgpr26
	s_waitcnt vmcnt(1)
	v_lshlrev_b32_e32 v4, 16, v8
	s_waitcnt vmcnt(0)
	v_lshlrev_b32_e32 v5, 16, v12
	v_max_f32_e32 v5, v5, v5
	v_max_f32_e32 v4, v4, v4
	v_min_f32_e32 v24, v4, v5
	v_max_f32_e32 v4, v4, v5
	v_cndmask_b32_e64 v27, v4, v24, s[26:27]
	v_and_b32_e32 v4, 0x7f800000, v27
	v_cmp_ne_u32_e32 vcc, s73, v4
	s_and_saveexec_b64 s[28:29], vcc
	s_xor_b64 s[28:29], exec, s[28:29]
; %bb.540:                              ;   in Loop: Header=BB12_500 Depth=4
	v_bfe_u32 v4, v27, 16, 1
	v_add3_u32 v26, v27, v4, s62
                                        ; implicit-def: $vgpr27
; %bb.541:                              ;   in Loop: Header=BB12_500 Depth=4
	s_andn2_saveexec_b64 s[28:29], s[28:29]
; %bb.542:                              ;   in Loop: Header=BB12_500 Depth=4
	v_or_b32_e32 v4, 0x10000, v27
	v_cmp_eq_u32_sdwa vcc, v27, v3 src0_sel:WORD_0 src1_sel:DWORD
	s_nop 1
	v_cndmask_b32_e32 v26, v4, v27, vcc
; %bb.543:                              ;   in Loop: Header=BB12_500 Depth=4
	s_or_b64 exec, exec, s[28:29]
	v_and_b32_e32 v4, 0xffff0000, v8
	v_and_b32_e32 v5, 0xffff0000, v12
	v_max_f32_e32 v5, v5, v5
	v_max_f32_e32 v4, v4, v4
	v_min_f32_e32 v8, v4, v5
	v_max_f32_e32 v4, v4, v5
	v_cndmask_b32_e64 v12, v4, v8, s[26:27]
	v_and_b32_e32 v4, 0x7f800000, v12
	v_cmp_ne_u32_e32 vcc, s73, v4
                                        ; implicit-def: $vgpr8
	s_and_saveexec_b64 s[28:29], vcc
	s_xor_b64 s[28:29], exec, s[28:29]
; %bb.544:                              ;   in Loop: Header=BB12_500 Depth=4
	v_bfe_u32 v4, v12, 16, 1
	v_add3_u32 v8, v12, v4, s62
                                        ; implicit-def: $vgpr12
; %bb.545:                              ;   in Loop: Header=BB12_500 Depth=4
	s_andn2_saveexec_b64 s[28:29], s[28:29]
; %bb.546:                              ;   in Loop: Header=BB12_500 Depth=4
	v_or_b32_e32 v4, 0x10000, v12
	v_cmp_eq_u32_sdwa vcc, v12, v3 src0_sel:WORD_0 src1_sel:DWORD
	s_nop 1
	v_cndmask_b32_e32 v8, v4, v12, vcc
; %bb.547:                              ;   in Loop: Header=BB12_500 Depth=4
	s_or_b64 exec, exec, s[28:29]
	v_lshlrev_b32_e32 v4, 16, v9
	v_lshlrev_b32_e32 v5, 16, v13
	v_max_f32_e32 v5, v5, v5
	v_max_f32_e32 v4, v4, v4
	v_min_f32_e32 v12, v4, v5
	v_max_f32_e32 v4, v4, v5
	v_cndmask_b32_e64 v27, v4, v12, s[26:27]
	v_and_b32_e32 v4, 0x7f800000, v27
	v_cmp_ne_u32_e32 vcc, s73, v4
                                        ; implicit-def: $vgpr12
	s_and_saveexec_b64 s[28:29], vcc
	s_xor_b64 s[28:29], exec, s[28:29]
; %bb.548:                              ;   in Loop: Header=BB12_500 Depth=4
	v_bfe_u32 v4, v27, 16, 1
	v_add3_u32 v12, v27, v4, s62
                                        ; implicit-def: $vgpr27
; %bb.549:                              ;   in Loop: Header=BB12_500 Depth=4
	s_andn2_saveexec_b64 s[28:29], s[28:29]
; %bb.550:                              ;   in Loop: Header=BB12_500 Depth=4
	v_or_b32_e32 v4, 0x10000, v27
	v_cmp_eq_u32_sdwa vcc, v27, v3 src0_sel:WORD_0 src1_sel:DWORD
	s_nop 1
	v_cndmask_b32_e32 v12, v4, v27, vcc
; %bb.551:                              ;   in Loop: Header=BB12_500 Depth=4
	s_or_b64 exec, exec, s[28:29]
	v_and_b32_e32 v4, 0xffff0000, v9
	v_and_b32_e32 v5, 0xffff0000, v13
	v_max_f32_e32 v5, v5, v5
	v_max_f32_e32 v4, v4, v4
	v_min_f32_e32 v9, v4, v5
	v_max_f32_e32 v4, v4, v5
	v_cndmask_b32_e64 v13, v4, v9, s[26:27]
	v_and_b32_e32 v4, 0x7f800000, v13
	v_cmp_ne_u32_e32 vcc, s73, v4
                                        ; implicit-def: $vgpr9
	s_and_saveexec_b64 s[28:29], vcc
	s_xor_b64 s[28:29], exec, s[28:29]
; %bb.552:                              ;   in Loop: Header=BB12_500 Depth=4
	v_bfe_u32 v4, v13, 16, 1
	v_add3_u32 v9, v13, v4, s62
                                        ; implicit-def: $vgpr13
; %bb.553:                              ;   in Loop: Header=BB12_500 Depth=4
	s_andn2_saveexec_b64 s[28:29], s[28:29]
; %bb.554:                              ;   in Loop: Header=BB12_500 Depth=4
	v_or_b32_e32 v4, 0x10000, v13
	v_cmp_eq_u32_sdwa vcc, v13, v3 src0_sel:WORD_0 src1_sel:DWORD
	s_nop 1
	v_cndmask_b32_e32 v9, v4, v13, vcc
; %bb.555:                              ;   in Loop: Header=BB12_500 Depth=4
	s_or_b64 exec, exec, s[28:29]
	v_lshlrev_b32_e32 v4, 16, v10
	v_lshlrev_b32_e32 v5, 16, v14
	v_max_f32_e32 v5, v5, v5
	v_max_f32_e32 v4, v4, v4
	v_min_f32_e32 v13, v4, v5
	v_max_f32_e32 v4, v4, v5
	v_cndmask_b32_e64 v27, v4, v13, s[26:27]
	v_and_b32_e32 v4, 0x7f800000, v27
	v_cmp_ne_u32_e32 vcc, s73, v4
                                        ; implicit-def: $vgpr13
	s_and_saveexec_b64 s[28:29], vcc
	s_xor_b64 s[28:29], exec, s[28:29]
; %bb.556:                              ;   in Loop: Header=BB12_500 Depth=4
	v_bfe_u32 v4, v27, 16, 1
	v_add3_u32 v13, v27, v4, s62
                                        ; implicit-def: $vgpr27
; %bb.557:                              ;   in Loop: Header=BB12_500 Depth=4
	s_andn2_saveexec_b64 s[28:29], s[28:29]
; %bb.558:                              ;   in Loop: Header=BB12_500 Depth=4
	v_or_b32_e32 v4, 0x10000, v27
	v_cmp_eq_u32_sdwa vcc, v27, v3 src0_sel:WORD_0 src1_sel:DWORD
	s_nop 1
	v_cndmask_b32_e32 v13, v4, v27, vcc
; %bb.559:                              ;   in Loop: Header=BB12_500 Depth=4
	s_or_b64 exec, exec, s[28:29]
	v_and_b32_e32 v4, 0xffff0000, v10
	v_and_b32_e32 v5, 0xffff0000, v14
	v_max_f32_e32 v5, v5, v5
	v_max_f32_e32 v4, v4, v4
	v_min_f32_e32 v10, v4, v5
	v_max_f32_e32 v4, v4, v5
	v_cndmask_b32_e64 v14, v4, v10, s[26:27]
	v_and_b32_e32 v4, 0x7f800000, v14
	v_cmp_ne_u32_e32 vcc, s73, v4
                                        ; implicit-def: $vgpr10
	s_and_saveexec_b64 s[28:29], vcc
	s_xor_b64 s[28:29], exec, s[28:29]
; %bb.560:                              ;   in Loop: Header=BB12_500 Depth=4
	v_bfe_u32 v4, v14, 16, 1
	v_add3_u32 v10, v14, v4, s62
                                        ; implicit-def: $vgpr14
; %bb.561:                              ;   in Loop: Header=BB12_500 Depth=4
	s_andn2_saveexec_b64 s[28:29], s[28:29]
; %bb.562:                              ;   in Loop: Header=BB12_500 Depth=4
	v_or_b32_e32 v4, 0x10000, v14
	v_cmp_eq_u32_sdwa vcc, v14, v3 src0_sel:WORD_0 src1_sel:DWORD
	s_nop 1
	v_cndmask_b32_e32 v10, v4, v14, vcc
; %bb.563:                              ;   in Loop: Header=BB12_500 Depth=4
	s_or_b64 exec, exec, s[28:29]
	v_lshlrev_b32_e32 v4, 16, v11
	v_lshlrev_b32_e32 v5, 16, v15
	v_max_f32_e32 v5, v5, v5
	v_max_f32_e32 v4, v4, v4
	v_min_f32_e32 v14, v4, v5
	v_max_f32_e32 v4, v4, v5
	v_cndmask_b32_e64 v27, v4, v14, s[26:27]
	v_and_b32_e32 v4, 0x7f800000, v27
	v_cmp_ne_u32_e32 vcc, s73, v4
                                        ; implicit-def: $vgpr14
	s_and_saveexec_b64 s[28:29], vcc
	s_xor_b64 s[28:29], exec, s[28:29]
; %bb.564:                              ;   in Loop: Header=BB12_500 Depth=4
	v_bfe_u32 v4, v27, 16, 1
	v_add3_u32 v14, v27, v4, s62
                                        ; implicit-def: $vgpr27
; %bb.565:                              ;   in Loop: Header=BB12_500 Depth=4
	s_andn2_saveexec_b64 s[28:29], s[28:29]
; %bb.566:                              ;   in Loop: Header=BB12_500 Depth=4
	v_or_b32_e32 v4, 0x10000, v27
	v_cmp_eq_u32_sdwa vcc, v27, v3 src0_sel:WORD_0 src1_sel:DWORD
	s_nop 1
	v_cndmask_b32_e32 v14, v4, v27, vcc
; %bb.567:                              ;   in Loop: Header=BB12_500 Depth=4
	s_or_b64 exec, exec, s[28:29]
	v_and_b32_e32 v4, 0xffff0000, v11
	v_and_b32_e32 v5, 0xffff0000, v15
	v_max_f32_e32 v5, v5, v5
	v_max_f32_e32 v4, v4, v4
	v_min_f32_e32 v11, v4, v5
	v_max_f32_e32 v4, v4, v5
	v_cndmask_b32_e64 v15, v4, v11, s[26:27]
	v_and_b32_e32 v4, 0x7f800000, v15
	v_cmp_ne_u32_e32 vcc, s73, v4
                                        ; implicit-def: $vgpr11
	s_and_saveexec_b64 s[28:29], vcc
	s_xor_b64 s[28:29], exec, s[28:29]
; %bb.568:                              ;   in Loop: Header=BB12_500 Depth=4
	v_bfe_u32 v4, v15, 16, 1
	v_add3_u32 v11, v15, v4, s62
                                        ; implicit-def: $vgpr15
; %bb.569:                              ;   in Loop: Header=BB12_500 Depth=4
	s_andn2_saveexec_b64 s[28:29], s[28:29]
; %bb.570:                              ;   in Loop: Header=BB12_500 Depth=4
	v_or_b32_e32 v4, 0x10000, v15
	v_cmp_eq_u32_sdwa vcc, v15, v3 src0_sel:WORD_0 src1_sel:DWORD
	s_nop 1
	v_cndmask_b32_e32 v11, v4, v15, vcc
; %bb.571:                              ;   in Loop: Header=BB12_500 Depth=4
	s_or_b64 exec, exec, s[28:29]
	v_lshrrev_b32_e32 v4, 16, v12
	v_and_or_b32 v9, v9, s63, v4
	v_lshrrev_b32_e32 v4, 16, v26
	v_and_or_b32 v8, v8, s63, v4
	;; [unrolled: 2-line block ×4, first 2 shown]
	v_sub_u32_e32 v79, v79, v52
	scratch_store_dwordx4 off, v[8:11], s33 offset:192
	global_store_dwordx4 v[62:63], v[8:11], off
	v_lshl_add_u64 v[62:63], v[62:63], 0, s[88:89]
	s_and_saveexec_b64 s[28:29], s[52:53]
	s_cbranch_execz .LBB12_499
; %bb.572:                              ;   in Loop: Header=BB12_500 Depth=4
	v_lshl_add_u64 v[72:73], v[72:73], 0, v[86:87]
	v_lshl_add_u64 v[60:61], v[60:61], 0, v[86:87]
	;; [unrolled: 1-line block ×3, first 2 shown]
	v_sub_u32_e32 v17, v17, v70
	v_sub_u32_e32 v79, v79, v52
	s_branch .LBB12_499
.LBB12_573:                             ;   in Loop: Header=BB12_303 Depth=3
	s_or_b64 exec, exec, s[60:61]
	s_and_b64 s[26:27], s[50:51], exec
.LBB12_574:                             ;   in Loop: Header=BB12_303 Depth=3
	s_or_b64 exec, exec, s[58:59]
	s_and_saveexec_b64 s[28:29], s[26:27]
	s_cbranch_execz .LBB12_608
; %bb.575:                              ;   in Loop: Header=BB12_303 Depth=3
	scratch_load_dwordx4 v[8:11], off, s33 offset:224
	scratch_load_dwordx4 v[12:15], off, s33 offset:240
	s_and_b32 s26, 0xffff, s31
	s_cmp_eq_u32 s26, 0
	s_cselect_b64 vcc, -1, 0
	s_waitcnt vmcnt(0)
	v_lshlrev_b32_e32 v4, 16, v8
	v_lshlrev_b32_e32 v5, 16, v12
	v_max_f32_e32 v5, v5, v5
	v_max_f32_e32 v4, v4, v4
	v_min_f32_e32 v17, v4, v5
	v_max_f32_e32 v4, v4, v5
	v_cndmask_b32_e32 v26, v4, v17, vcc
	v_and_b32_e32 v4, 0x7f800000, v26
	v_cmp_ne_u32_e64 s[26:27], s73, v4
                                        ; implicit-def: $vgpr17
	s_and_saveexec_b64 s[58:59], s[26:27]
	s_xor_b64 s[26:27], exec, s[58:59]
; %bb.576:                              ;   in Loop: Header=BB12_303 Depth=3
	v_bfe_u32 v4, v26, 16, 1
	v_add3_u32 v17, v26, v4, s62
                                        ; implicit-def: $vgpr26
; %bb.577:                              ;   in Loop: Header=BB12_303 Depth=3
	s_andn2_saveexec_b64 s[58:59], s[26:27]
; %bb.578:                              ;   in Loop: Header=BB12_303 Depth=3
	v_or_b32_e32 v4, 0x10000, v26
	v_cmp_eq_u32_sdwa s[26:27], v26, v3 src0_sel:WORD_0 src1_sel:DWORD
	s_nop 1
	v_cndmask_b32_e64 v17, v4, v26, s[26:27]
; %bb.579:                              ;   in Loop: Header=BB12_303 Depth=3
	s_or_b64 exec, exec, s[58:59]
	v_and_b32_e32 v4, 0xffff0000, v8
	v_and_b32_e32 v5, 0xffff0000, v12
	v_max_f32_e32 v5, v5, v5
	v_max_f32_e32 v4, v4, v4
	v_min_f32_e32 v8, v4, v5
	v_max_f32_e32 v4, v4, v5
	v_cndmask_b32_e32 v12, v4, v8, vcc
	v_and_b32_e32 v4, 0x7f800000, v12
	v_cmp_ne_u32_e64 s[26:27], s73, v4
                                        ; implicit-def: $vgpr8
	s_and_saveexec_b64 s[58:59], s[26:27]
	s_xor_b64 s[26:27], exec, s[58:59]
; %bb.580:                              ;   in Loop: Header=BB12_303 Depth=3
	v_bfe_u32 v4, v12, 16, 1
	v_add3_u32 v8, v12, v4, s62
                                        ; implicit-def: $vgpr12
; %bb.581:                              ;   in Loop: Header=BB12_303 Depth=3
	s_andn2_saveexec_b64 s[58:59], s[26:27]
; %bb.582:                              ;   in Loop: Header=BB12_303 Depth=3
	v_or_b32_e32 v4, 0x10000, v12
	v_cmp_eq_u32_sdwa s[26:27], v12, v3 src0_sel:WORD_0 src1_sel:DWORD
	s_nop 1
	v_cndmask_b32_e64 v8, v4, v12, s[26:27]
; %bb.583:                              ;   in Loop: Header=BB12_303 Depth=3
	s_or_b64 exec, exec, s[58:59]
	v_lshlrev_b32_e32 v4, 16, v9
	v_lshlrev_b32_e32 v5, 16, v13
	v_max_f32_e32 v5, v5, v5
	v_max_f32_e32 v4, v4, v4
	v_min_f32_e32 v12, v4, v5
	v_max_f32_e32 v4, v4, v5
	v_cndmask_b32_e32 v26, v4, v12, vcc
	v_and_b32_e32 v4, 0x7f800000, v26
	v_cmp_ne_u32_e64 s[26:27], s73, v4
                                        ; implicit-def: $vgpr12
	s_and_saveexec_b64 s[58:59], s[26:27]
	s_xor_b64 s[26:27], exec, s[58:59]
; %bb.584:                              ;   in Loop: Header=BB12_303 Depth=3
	v_bfe_u32 v4, v26, 16, 1
	v_add3_u32 v12, v26, v4, s62
                                        ; implicit-def: $vgpr26
; %bb.585:                              ;   in Loop: Header=BB12_303 Depth=3
	s_andn2_saveexec_b64 s[58:59], s[26:27]
; %bb.586:                              ;   in Loop: Header=BB12_303 Depth=3
	v_or_b32_e32 v4, 0x10000, v26
	v_cmp_eq_u32_sdwa s[26:27], v26, v3 src0_sel:WORD_0 src1_sel:DWORD
	s_nop 1
	v_cndmask_b32_e64 v12, v4, v26, s[26:27]
; %bb.587:                              ;   in Loop: Header=BB12_303 Depth=3
	s_or_b64 exec, exec, s[58:59]
	v_and_b32_e32 v4, 0xffff0000, v9
	v_and_b32_e32 v5, 0xffff0000, v13
	v_max_f32_e32 v5, v5, v5
	v_max_f32_e32 v4, v4, v4
	v_min_f32_e32 v9, v4, v5
	v_max_f32_e32 v4, v4, v5
	v_cndmask_b32_e32 v13, v4, v9, vcc
	v_and_b32_e32 v4, 0x7f800000, v13
	v_cmp_ne_u32_e64 s[26:27], s73, v4
                                        ; implicit-def: $vgpr9
	s_and_saveexec_b64 s[58:59], s[26:27]
	s_xor_b64 s[26:27], exec, s[58:59]
; %bb.588:                              ;   in Loop: Header=BB12_303 Depth=3
	v_bfe_u32 v4, v13, 16, 1
	v_add3_u32 v9, v13, v4, s62
                                        ; implicit-def: $vgpr13
; %bb.589:                              ;   in Loop: Header=BB12_303 Depth=3
	s_andn2_saveexec_b64 s[58:59], s[26:27]
; %bb.590:                              ;   in Loop: Header=BB12_303 Depth=3
	v_or_b32_e32 v4, 0x10000, v13
	v_cmp_eq_u32_sdwa s[26:27], v13, v3 src0_sel:WORD_0 src1_sel:DWORD
	s_nop 1
	v_cndmask_b32_e64 v9, v4, v13, s[26:27]
; %bb.591:                              ;   in Loop: Header=BB12_303 Depth=3
	s_or_b64 exec, exec, s[58:59]
	v_lshlrev_b32_e32 v4, 16, v10
	v_lshlrev_b32_e32 v5, 16, v14
	v_max_f32_e32 v5, v5, v5
	v_max_f32_e32 v4, v4, v4
	v_min_f32_e32 v13, v4, v5
	v_max_f32_e32 v4, v4, v5
	v_cndmask_b32_e32 v26, v4, v13, vcc
	v_and_b32_e32 v4, 0x7f800000, v26
	v_cmp_ne_u32_e64 s[26:27], s73, v4
                                        ; implicit-def: $vgpr13
	s_and_saveexec_b64 s[58:59], s[26:27]
	s_xor_b64 s[26:27], exec, s[58:59]
; %bb.592:                              ;   in Loop: Header=BB12_303 Depth=3
	v_bfe_u32 v4, v26, 16, 1
	v_add3_u32 v13, v26, v4, s62
                                        ; implicit-def: $vgpr26
; %bb.593:                              ;   in Loop: Header=BB12_303 Depth=3
	s_andn2_saveexec_b64 s[58:59], s[26:27]
; %bb.594:                              ;   in Loop: Header=BB12_303 Depth=3
	v_or_b32_e32 v4, 0x10000, v26
	v_cmp_eq_u32_sdwa s[26:27], v26, v3 src0_sel:WORD_0 src1_sel:DWORD
	s_nop 1
	v_cndmask_b32_e64 v13, v4, v26, s[26:27]
; %bb.595:                              ;   in Loop: Header=BB12_303 Depth=3
	s_or_b64 exec, exec, s[58:59]
	v_and_b32_e32 v4, 0xffff0000, v10
	v_and_b32_e32 v5, 0xffff0000, v14
	v_max_f32_e32 v5, v5, v5
	v_max_f32_e32 v4, v4, v4
	v_min_f32_e32 v10, v4, v5
	v_max_f32_e32 v4, v4, v5
	v_cndmask_b32_e32 v14, v4, v10, vcc
	v_and_b32_e32 v4, 0x7f800000, v14
	v_cmp_ne_u32_e64 s[26:27], s73, v4
                                        ; implicit-def: $vgpr10
	s_and_saveexec_b64 s[58:59], s[26:27]
	s_xor_b64 s[26:27], exec, s[58:59]
; %bb.596:                              ;   in Loop: Header=BB12_303 Depth=3
	v_bfe_u32 v4, v14, 16, 1
	v_add3_u32 v10, v14, v4, s62
                                        ; implicit-def: $vgpr14
; %bb.597:                              ;   in Loop: Header=BB12_303 Depth=3
	s_andn2_saveexec_b64 s[58:59], s[26:27]
; %bb.598:                              ;   in Loop: Header=BB12_303 Depth=3
	v_or_b32_e32 v4, 0x10000, v14
	v_cmp_eq_u32_sdwa s[26:27], v14, v3 src0_sel:WORD_0 src1_sel:DWORD
	s_nop 1
	v_cndmask_b32_e64 v10, v4, v14, s[26:27]
; %bb.599:                              ;   in Loop: Header=BB12_303 Depth=3
	s_or_b64 exec, exec, s[58:59]
	v_lshlrev_b32_e32 v4, 16, v11
	v_lshlrev_b32_e32 v5, 16, v15
	v_max_f32_e32 v5, v5, v5
	v_max_f32_e32 v4, v4, v4
	v_min_f32_e32 v14, v4, v5
	v_max_f32_e32 v4, v4, v5
	v_cndmask_b32_e32 v26, v4, v14, vcc
	v_and_b32_e32 v4, 0x7f800000, v26
	v_cmp_ne_u32_e64 s[26:27], s73, v4
                                        ; implicit-def: $vgpr14
	s_and_saveexec_b64 s[58:59], s[26:27]
	s_xor_b64 s[26:27], exec, s[58:59]
; %bb.600:                              ;   in Loop: Header=BB12_303 Depth=3
	v_bfe_u32 v4, v26, 16, 1
	v_add3_u32 v14, v26, v4, s62
                                        ; implicit-def: $vgpr26
; %bb.601:                              ;   in Loop: Header=BB12_303 Depth=3
	s_andn2_saveexec_b64 s[58:59], s[26:27]
; %bb.602:                              ;   in Loop: Header=BB12_303 Depth=3
	v_or_b32_e32 v4, 0x10000, v26
	v_cmp_eq_u32_sdwa s[26:27], v26, v3 src0_sel:WORD_0 src1_sel:DWORD
	s_nop 1
	v_cndmask_b32_e64 v14, v4, v26, s[26:27]
; %bb.603:                              ;   in Loop: Header=BB12_303 Depth=3
	s_or_b64 exec, exec, s[58:59]
	v_and_b32_e32 v4, 0xffff0000, v11
	v_and_b32_e32 v5, 0xffff0000, v15
	v_max_f32_e32 v5, v5, v5
	v_max_f32_e32 v4, v4, v4
	v_min_f32_e32 v11, v4, v5
	v_max_f32_e32 v4, v4, v5
	v_cndmask_b32_e32 v15, v4, v11, vcc
	v_and_b32_e32 v4, 0x7f800000, v15
	v_cmp_ne_u32_e32 vcc, s73, v4
                                        ; implicit-def: $vgpr11
	s_and_saveexec_b64 s[26:27], vcc
	s_xor_b64 s[26:27], exec, s[26:27]
; %bb.604:                              ;   in Loop: Header=BB12_303 Depth=3
	v_bfe_u32 v4, v15, 16, 1
	v_add3_u32 v11, v15, v4, s62
                                        ; implicit-def: $vgpr15
; %bb.605:                              ;   in Loop: Header=BB12_303 Depth=3
	s_andn2_saveexec_b64 s[26:27], s[26:27]
; %bb.606:                              ;   in Loop: Header=BB12_303 Depth=3
	v_or_b32_e32 v4, 0x10000, v15
	v_cmp_eq_u32_sdwa vcc, v15, v3 src0_sel:WORD_0 src1_sel:DWORD
	s_nop 1
	v_cndmask_b32_e32 v11, v4, v15, vcc
; %bb.607:                              ;   in Loop: Header=BB12_303 Depth=3
	s_or_b64 exec, exec, s[26:27]
	v_lshrrev_b32_e32 v4, 16, v12
	v_and_or_b32 v9, v9, s63, v4
	v_lshrrev_b32_e32 v4, 16, v17
	v_and_or_b32 v8, v8, s63, v4
	;; [unrolled: 2-line block ×4, first 2 shown]
	global_store_dwordx4 v[62:63], v[8:11], off
.LBB12_608:                             ;   in Loop: Header=BB12_303 Depth=3
	s_or_b64 exec, exec, s[28:29]
	s_nop 0
	v_and_b32_e32 v9, 14, v19
	v_cndmask_b32_e64 v17, v78, v9, s[24:25]
	v_cmp_ne_u32_e32 vcc, 0, v17
	s_mov_b64 s[28:29], s[46:47]
                                        ; implicit-def: $vgpr14
                                        ; implicit-def: $vgpr8
                                        ; implicit-def: $vgpr15
	s_and_saveexec_b64 s[26:27], vcc
	s_cbranch_execz .LBB12_610
; %bb.609:                              ;   in Loop: Header=BB12_303 Depth=3
	v_sub_u32_e32 v4, v78, v9
	v_cndmask_b32_e64 v4, 0, v4, s[24:25]
	v_cmp_lt_i32_e32 vcc, 0, v79
	v_add3_u32 v14, v77, v74, v4
	s_or_b64 s[28:29], s[46:47], exec
	v_cndmask_b32_e32 v4, 0, v52, vcc
	v_sub_u32_e32 v4, v4, v79
	v_lshl_add_u32 v8, v4, 6, v75
	v_ashrrev_i32_e32 v4, 31, v8
	v_lshrrev_b32_e32 v4, 26, v4
	v_add_u32_e32 v4, v8, v4
	v_and_b32_e32 v4, 0xffffffc0, v4
	v_sub_u32_e32 v15, v8, v4
.LBB12_610:                             ;   in Loop: Header=BB12_303 Depth=3
	s_or_b64 exec, exec, s[26:27]
	s_andn2_b64 s[24:25], s[46:47], exec
	s_and_b64 s[26:27], s[28:29], exec
	s_or_b64 s[46:47], s[24:25], s[26:27]
.LBB12_611:                             ;   in Loop: Header=BB12_303 Depth=3
	s_or_b64 exec, exec, s[56:57]
	s_and_saveexec_b64 s[56:57], s[46:47]
	s_cbranch_execz .LBB12_695
.LBB12_612:                             ;   in Loop: Header=BB12_303 Depth=3
	v_ashrrev_i32_e32 v4, 31, v8
	v_lshrrev_b32_e32 v4, 26, v4
	v_add_u32_e32 v4, v8, v4
	v_ashrrev_i32_e32 v4, 6, v4
	v_lshlrev_b32_e32 v5, 9, v4
	v_lshlrev_b32_e32 v8, 1, v15
	v_add3_u32 v12, v14, v8, v5
	v_ashrrev_i32_e32 v5, 31, v17
	v_lshrrev_b32_e32 v5, 23, v5
	v_add_u32_e32 v5, v17, v5
	v_ashrrev_i32_e32 v19, 9, v5
	v_ashrrev_i32_e32 v13, 31, v12
	s_waitcnt lgkmcnt(0)
	v_sub_u32_e32 v60, v19, v4
	v_lshl_add_u64 v[8:9], v[58:59], 0, v[12:13]
	v_cmp_lt_i32_e32 vcc, 0, v60
	v_mov_b32_e32 v77, 0
	s_mov_b64 s[24:25], 0
	v_mov_b32_e32 v61, 0
	v_mov_b32_e32 v26, 0
	;; [unrolled: 1-line block ×7, first 2 shown]
	s_and_saveexec_b64 s[26:27], vcc
	s_cbranch_execz .LBB12_652
; %bb.613:                              ;   in Loop: Header=BB12_303 Depth=3
	s_trap 2
	ds_read_b64 v[26:27], v0
	s_and_b32 s24, s31, 0xff
	s_cmp_eq_u32 s24, 0
	v_lshl_add_u64 v[10:11], v[12:13], 0, v[22:23]
	s_mov_b64 s[58:59], 0
	s_waitcnt lgkmcnt(0)
	v_lshl_add_u64 v[12:13], v[26:27], 0, v[12:13]
	s_mov_b64 s[46:47], 0
	s_cselect_b64 vcc, -1, 0
                                        ; implicit-def: $sgpr28_sgpr29
                                        ; implicit-def: $vgpr79
                                        ; implicit-def: $vgpr75
                                        ; implicit-def: $vgpr74
                                        ; implicit-def: $vgpr73
                                        ; implicit-def: $vgpr61
                                        ; implicit-def: $vgpr62
                                        ; implicit-def: $vgpr63
                                        ; implicit-def: $vgpr72
	s_branch .LBB12_615
.LBB12_614:                             ;   in Loop: Header=BB12_615 Depth=4
	s_or_b64 exec, exec, s[60:61]
	v_mov_b32_e32 v4, 0x200
	flat_store_short_d16_hi v[8:9], v90 nt
	flat_store_short_d16_hi v[8:9], v88 offset:128 nt
	flat_store_short_d16_hi v[8:9], v77 offset:256 nt
	;; [unrolled: 1-line block ×3, first 2 shown]
	v_cndmask_b32_e64 v90, v4, v112, s[58:59]
	v_cndmask_b32_e64 v4, 0, v52, s[58:59]
	v_sub_u32_e32 v60, v60, v4
	v_cmp_gt_i32_e64 s[24:25], 1, v60
	s_or_b64 s[46:47], s[24:25], s[46:47]
	v_lshl_add_u64 v[26:27], v[10:11], 0, v[96:97]
	v_lshl_add_u64 v[88:89], v[12:13], 0, v[96:97]
	v_cndmask_b32_e64 v91, 0, v113, s[58:59]
	s_andn2_b64 s[24:25], s[28:29], exec
	s_and_b64 s[28:29], s[58:59], exec
	v_lshl_add_u64 v[8:9], v[8:9], 0, v[90:91]
	v_cndmask_b32_e64 v11, v11, v27, s[58:59]
	v_cndmask_b32_e64 v10, v10, v26, s[58:59]
	;; [unrolled: 1-line block ×4, first 2 shown]
	s_or_b64 s[28:29], s[24:25], s[28:29]
	s_andn2_b64 exec, exec, s[46:47]
	s_cbranch_execz .LBB12_651
.LBB12_615:                             ;   Parent Loop BB12_47 Depth=1
                                        ;     Parent Loop BB12_300 Depth=2
                                        ;       Parent Loop BB12_303 Depth=3
                                        ; =>      This Inner Loop Header: Depth=4
	flat_load_ushort v90, v[10:11] nt
	flat_load_ushort v88, v[10:11] offset:128 nt
	flat_load_ushort v77, v[10:11] offset:256 nt
	;; [unrolled: 1-line block ×3, first 2 shown]
	flat_load_ushort v91, v[12:13] nt
	flat_load_ushort v89, v[12:13] offset:128 nt
	flat_load_ushort v78, v[12:13] offset:256 nt
	flat_load_ushort v27, v[12:13] offset:384 nt
	s_and_saveexec_b64 s[60:61], s[58:59]
	s_cbranch_execz .LBB12_633
; %bb.616:                              ;   in Loop: Header=BB12_615 Depth=4
	v_lshlrev_b32_e32 v4, 16, v79
	v_lshlrev_b32_e32 v5, 16, v61
	v_max_f32_e32 v5, v5, v5
	v_max_f32_e32 v4, v4, v4
	v_min_f32_e32 v24, v4, v5
	v_max_f32_e32 v4, v4, v5
	v_cndmask_b32_e32 v92, v4, v24, vcc
	v_and_b32_e32 v4, 0x7f800000, v92
	v_cmp_ne_u32_e64 s[24:25], s73, v4
                                        ; implicit-def: $vgpr79
	s_and_saveexec_b64 s[58:59], s[24:25]
	s_xor_b64 s[24:25], exec, s[58:59]
; %bb.617:                              ;   in Loop: Header=BB12_615 Depth=4
	v_bfe_u32 v4, v92, 16, 1
	v_add3_u32 v79, v92, v4, s62
                                        ; implicit-def: $vgpr92
; %bb.618:                              ;   in Loop: Header=BB12_615 Depth=4
	s_andn2_saveexec_b64 s[58:59], s[24:25]
; %bb.619:                              ;   in Loop: Header=BB12_615 Depth=4
	v_or_b32_e32 v4, 0x10000, v92
	v_cmp_eq_u32_sdwa s[24:25], v92, v3 src0_sel:WORD_0 src1_sel:DWORD
	s_nop 1
	v_cndmask_b32_e64 v79, v4, v92, s[24:25]
; %bb.620:                              ;   in Loop: Header=BB12_615 Depth=4
	s_or_b64 exec, exec, s[58:59]
	v_lshlrev_b32_e32 v4, 16, v75
	v_lshlrev_b32_e32 v5, 16, v62
	v_max_f32_e32 v5, v5, v5
	v_max_f32_e32 v4, v4, v4
	v_min_f32_e32 v24, v4, v5
	v_max_f32_e32 v4, v4, v5
	v_cndmask_b32_e32 v92, v4, v24, vcc
	v_and_b32_e32 v4, 0x7f800000, v92
	v_cmp_ne_u32_e64 s[24:25], s73, v4
                                        ; implicit-def: $vgpr75
	s_and_saveexec_b64 s[58:59], s[24:25]
	s_xor_b64 s[24:25], exec, s[58:59]
; %bb.621:                              ;   in Loop: Header=BB12_615 Depth=4
	v_bfe_u32 v4, v92, 16, 1
	v_add3_u32 v75, v92, v4, s62
                                        ; implicit-def: $vgpr92
; %bb.622:                              ;   in Loop: Header=BB12_615 Depth=4
	s_andn2_saveexec_b64 s[58:59], s[24:25]
; %bb.623:                              ;   in Loop: Header=BB12_615 Depth=4
	v_or_b32_e32 v4, 0x10000, v92
	v_cmp_eq_u32_sdwa s[24:25], v92, v3 src0_sel:WORD_0 src1_sel:DWORD
	s_nop 1
	v_cndmask_b32_e64 v75, v4, v92, s[24:25]
; %bb.624:                              ;   in Loop: Header=BB12_615 Depth=4
	s_or_b64 exec, exec, s[58:59]
	v_lshlrev_b32_e32 v4, 16, v74
	v_lshlrev_b32_e32 v5, 16, v63
	v_max_f32_e32 v5, v5, v5
	v_max_f32_e32 v4, v4, v4
	v_min_f32_e32 v24, v4, v5
	v_max_f32_e32 v4, v4, v5
	v_cndmask_b32_e32 v92, v4, v24, vcc
	v_and_b32_e32 v4, 0x7f800000, v92
	v_cmp_ne_u32_e64 s[24:25], s73, v4
                                        ; implicit-def: $vgpr74
	s_and_saveexec_b64 s[58:59], s[24:25]
	s_xor_b64 s[24:25], exec, s[58:59]
; %bb.625:                              ;   in Loop: Header=BB12_615 Depth=4
	v_bfe_u32 v4, v92, 16, 1
	v_add3_u32 v74, v92, v4, s62
                                        ; implicit-def: $vgpr92
; %bb.626:                              ;   in Loop: Header=BB12_615 Depth=4
	s_andn2_saveexec_b64 s[58:59], s[24:25]
; %bb.627:                              ;   in Loop: Header=BB12_615 Depth=4
	v_or_b32_e32 v4, 0x10000, v92
	v_cmp_eq_u32_sdwa s[24:25], v92, v3 src0_sel:WORD_0 src1_sel:DWORD
	s_nop 1
	v_cndmask_b32_e64 v74, v4, v92, s[24:25]
; %bb.628:                              ;   in Loop: Header=BB12_615 Depth=4
	s_or_b64 exec, exec, s[58:59]
	v_lshlrev_b32_e32 v4, 16, v73
	v_lshlrev_b32_e32 v5, 16, v72
	v_max_f32_e32 v5, v5, v5
	v_max_f32_e32 v4, v4, v4
	v_min_f32_e32 v24, v4, v5
	v_max_f32_e32 v4, v4, v5
	v_cndmask_b32_e32 v92, v4, v24, vcc
	v_and_b32_e32 v4, 0x7f800000, v92
	v_cmp_ne_u32_e64 s[24:25], s73, v4
                                        ; implicit-def: $vgpr73
	s_and_saveexec_b64 s[58:59], s[24:25]
	s_xor_b64 s[24:25], exec, s[58:59]
; %bb.629:                              ;   in Loop: Header=BB12_615 Depth=4
	v_bfe_u32 v4, v92, 16, 1
	v_add3_u32 v73, v92, v4, s62
                                        ; implicit-def: $vgpr92
; %bb.630:                              ;   in Loop: Header=BB12_615 Depth=4
	s_andn2_saveexec_b64 s[58:59], s[24:25]
; %bb.631:                              ;   in Loop: Header=BB12_615 Depth=4
	v_or_b32_e32 v4, 0x10000, v92
	v_cmp_eq_u32_sdwa s[24:25], v92, v3 src0_sel:WORD_0 src1_sel:DWORD
	s_nop 1
	v_cndmask_b32_e64 v73, v4, v92, s[24:25]
; %bb.632:                              ;   in Loop: Header=BB12_615 Depth=4
	s_or_b64 exec, exec, s[58:59]
	v_lshrrev_b32_e32 v79, 16, v79
	v_lshrrev_b32_e32 v74, 16, v74
	v_lshrrev_b32_e32 v75, 16, v75
	v_lshrrev_b32_e32 v73, 16, v73
	flat_store_short v[8:9], v79 nt
	flat_store_short v[8:9], v75 offset:128 nt
	flat_store_short v[8:9], v74 offset:256 nt
	;; [unrolled: 1-line block ×3, first 2 shown]
	v_lshl_add_u64 v[8:9], v[8:9], 0, v[112:113]
.LBB12_633:                             ;   in Loop: Header=BB12_615 Depth=4
	s_or_b64 exec, exec, s[60:61]
	v_sub_u32_e32 v60, v60, v52
	v_lshl_add_u64 v[10:11], v[10:11], 0, v[112:113]
	v_lshl_add_u64 v[12:13], v[12:13], 0, v[112:113]
	v_cmp_lt_i32_e64 s[58:59], 0, v60
	s_and_saveexec_b64 s[24:25], s[58:59]
	s_cbranch_execz .LBB12_635
; %bb.634:                              ;   in Loop: Header=BB12_615 Depth=4
	flat_load_ushort v79, v[10:11] nt
	flat_load_ushort v75, v[10:11] offset:128 nt
	flat_load_ushort v74, v[10:11] offset:256 nt
	;; [unrolled: 1-line block ×3, first 2 shown]
	flat_load_ushort v61, v[12:13] nt
	flat_load_ushort v62, v[12:13] offset:128 nt
	flat_load_ushort v63, v[12:13] offset:256 nt
	;; [unrolled: 1-line block ×3, first 2 shown]
	v_lshl_add_u64 v[10:11], v[10:11], 0, s[90:91]
	v_lshl_add_u64 v[12:13], v[12:13], 0, s[90:91]
.LBB12_635:                             ;   in Loop: Header=BB12_615 Depth=4
	s_or_b64 exec, exec, s[24:25]
	s_waitcnt vmcnt(0) lgkmcnt(0)
	v_lshlrev_b32_e32 v4, 16, v90
	v_lshlrev_b32_e32 v5, 16, v91
	v_max_f32_e32 v5, v5, v5
	v_max_f32_e32 v4, v4, v4
	v_min_f32_e32 v24, v4, v5
	v_max_f32_e32 v4, v4, v5
	v_cndmask_b32_e32 v91, v4, v24, vcc
	v_and_b32_e32 v4, 0x7f800000, v91
	v_cmp_ne_u32_e64 s[24:25], s73, v4
                                        ; implicit-def: $vgpr90
	s_and_saveexec_b64 s[60:61], s[24:25]
	s_xor_b64 s[24:25], exec, s[60:61]
; %bb.636:                              ;   in Loop: Header=BB12_615 Depth=4
	v_bfe_u32 v4, v91, 16, 1
	v_add3_u32 v90, v91, v4, s62
                                        ; implicit-def: $vgpr91
; %bb.637:                              ;   in Loop: Header=BB12_615 Depth=4
	s_andn2_saveexec_b64 s[60:61], s[24:25]
; %bb.638:                              ;   in Loop: Header=BB12_615 Depth=4
	v_or_b32_e32 v4, 0x10000, v91
	v_cmp_eq_u32_sdwa s[24:25], v91, v3 src0_sel:WORD_0 src1_sel:DWORD
	s_nop 1
	v_cndmask_b32_e64 v90, v4, v91, s[24:25]
; %bb.639:                              ;   in Loop: Header=BB12_615 Depth=4
	s_or_b64 exec, exec, s[60:61]
	v_lshlrev_b32_e32 v4, 16, v88
	v_lshlrev_b32_e32 v5, 16, v89
	v_max_f32_e32 v5, v5, v5
	v_max_f32_e32 v4, v4, v4
	v_min_f32_e32 v24, v4, v5
	v_max_f32_e32 v4, v4, v5
	v_cndmask_b32_e32 v89, v4, v24, vcc
	v_and_b32_e32 v4, 0x7f800000, v89
	v_cmp_ne_u32_e64 s[24:25], s73, v4
                                        ; implicit-def: $vgpr88
	s_and_saveexec_b64 s[60:61], s[24:25]
	s_xor_b64 s[24:25], exec, s[60:61]
; %bb.640:                              ;   in Loop: Header=BB12_615 Depth=4
	v_bfe_u32 v4, v89, 16, 1
	v_add3_u32 v88, v89, v4, s62
                                        ; implicit-def: $vgpr89
; %bb.641:                              ;   in Loop: Header=BB12_615 Depth=4
	s_andn2_saveexec_b64 s[60:61], s[24:25]
; %bb.642:                              ;   in Loop: Header=BB12_615 Depth=4
	v_or_b32_e32 v4, 0x10000, v89
	v_cmp_eq_u32_sdwa s[24:25], v89, v3 src0_sel:WORD_0 src1_sel:DWORD
	s_nop 1
	v_cndmask_b32_e64 v88, v4, v89, s[24:25]
; %bb.643:                              ;   in Loop: Header=BB12_615 Depth=4
	s_or_b64 exec, exec, s[60:61]
	v_lshlrev_b32_e32 v4, 16, v77
	v_lshlrev_b32_e32 v5, 16, v78
	v_max_f32_e32 v5, v5, v5
	v_max_f32_e32 v4, v4, v4
	v_min_f32_e32 v24, v4, v5
	v_max_f32_e32 v4, v4, v5
	v_cndmask_b32_e32 v78, v4, v24, vcc
	v_and_b32_e32 v4, 0x7f800000, v78
	v_cmp_ne_u32_e64 s[24:25], s73, v4
                                        ; implicit-def: $vgpr77
	s_and_saveexec_b64 s[60:61], s[24:25]
	s_xor_b64 s[24:25], exec, s[60:61]
; %bb.644:                              ;   in Loop: Header=BB12_615 Depth=4
	v_bfe_u32 v4, v78, 16, 1
	v_add3_u32 v77, v78, v4, s62
                                        ; implicit-def: $vgpr78
; %bb.645:                              ;   in Loop: Header=BB12_615 Depth=4
	s_andn2_saveexec_b64 s[60:61], s[24:25]
; %bb.646:                              ;   in Loop: Header=BB12_615 Depth=4
	v_or_b32_e32 v4, 0x10000, v78
	v_cmp_eq_u32_sdwa s[24:25], v78, v3 src0_sel:WORD_0 src1_sel:DWORD
	s_nop 1
	v_cndmask_b32_e64 v77, v4, v78, s[24:25]
; %bb.647:                              ;   in Loop: Header=BB12_615 Depth=4
	s_or_b64 exec, exec, s[60:61]
	v_lshlrev_b32_e32 v4, 16, v26
	v_lshlrev_b32_e32 v5, 16, v27
	v_max_f32_e32 v5, v5, v5
	v_max_f32_e32 v4, v4, v4
	v_min_f32_e32 v24, v4, v5
	v_max_f32_e32 v4, v4, v5
	v_cndmask_b32_e32 v27, v4, v24, vcc
	v_and_b32_e32 v4, 0x7f800000, v27
	v_cmp_ne_u32_e64 s[24:25], s73, v4
                                        ; implicit-def: $vgpr26
	s_and_saveexec_b64 s[60:61], s[24:25]
	s_xor_b64 s[24:25], exec, s[60:61]
; %bb.648:                              ;   in Loop: Header=BB12_615 Depth=4
	v_bfe_u32 v4, v27, 16, 1
	v_add3_u32 v26, v27, v4, s62
                                        ; implicit-def: $vgpr27
; %bb.649:                              ;   in Loop: Header=BB12_615 Depth=4
	s_andn2_saveexec_b64 s[60:61], s[24:25]
	s_cbranch_execz .LBB12_614
; %bb.650:                              ;   in Loop: Header=BB12_615 Depth=4
	v_or_b32_e32 v4, 0x10000, v27
	v_cmp_eq_u32_sdwa s[24:25], v27, v3 src0_sel:WORD_0 src1_sel:DWORD
	s_nop 1
	v_cndmask_b32_e64 v26, v4, v27, s[24:25]
	s_branch .LBB12_614
.LBB12_651:                             ;   in Loop: Header=BB12_303 Depth=3
	s_or_b64 exec, exec, s[46:47]
	v_lshlrev_b32_e32 v77, 16, v79
	v_lshlrev_b32_e32 v78, 16, v61
	;; [unrolled: 1-line block ×8, first 2 shown]
	s_and_b64 s[24:25], s[28:29], exec
.LBB12_652:                             ;   in Loop: Header=BB12_303 Depth=3
	s_or_b64 exec, exec, s[26:27]
	s_and_saveexec_b64 s[26:27], s[24:25]
	s_cbranch_execz .LBB12_670
; %bb.653:                              ;   in Loop: Header=BB12_303 Depth=3
	s_and_b32 s24, s31, 0xff
	s_cmp_eq_u32 s24, 0
	v_max_f32_e32 v4, v78, v78
	v_max_f32_e32 v5, v77, v77
	v_min_f32_e32 v12, v5, v4
	v_max_f32_e32 v4, v5, v4
	s_cselect_b64 vcc, -1, 0
	v_cndmask_b32_e32 v13, v4, v12, vcc
	v_and_b32_e32 v4, 0x7f800000, v13
	v_cmp_ne_u32_e64 s[24:25], s73, v4
                                        ; implicit-def: $vgpr12
	s_and_saveexec_b64 s[28:29], s[24:25]
	s_xor_b64 s[24:25], exec, s[28:29]
; %bb.654:                              ;   in Loop: Header=BB12_303 Depth=3
	v_bfe_u32 v4, v13, 16, 1
	v_add3_u32 v12, v13, v4, s62
                                        ; implicit-def: $vgpr13
; %bb.655:                              ;   in Loop: Header=BB12_303 Depth=3
	s_andn2_saveexec_b64 s[28:29], s[24:25]
; %bb.656:                              ;   in Loop: Header=BB12_303 Depth=3
	v_or_b32_e32 v4, 0x10000, v13
	v_cmp_eq_u32_sdwa s[24:25], v13, v3 src0_sel:WORD_0 src1_sel:DWORD
	s_nop 1
	v_cndmask_b32_e64 v12, v4, v13, s[24:25]
; %bb.657:                              ;   in Loop: Header=BB12_303 Depth=3
	s_or_b64 exec, exec, s[28:29]
	v_max_f32_e32 v4, v62, v62
	v_max_f32_e32 v5, v61, v61
	v_min_f32_e32 v13, v5, v4
	v_max_f32_e32 v4, v5, v4
	v_cndmask_b32_e32 v61, v4, v13, vcc
	v_and_b32_e32 v4, 0x7f800000, v61
	v_cmp_ne_u32_e64 s[24:25], s73, v4
                                        ; implicit-def: $vgpr13
	s_and_saveexec_b64 s[28:29], s[24:25]
	s_xor_b64 s[24:25], exec, s[28:29]
; %bb.658:                              ;   in Loop: Header=BB12_303 Depth=3
	v_bfe_u32 v4, v61, 16, 1
	v_add3_u32 v13, v61, v4, s62
                                        ; implicit-def: $vgpr61
; %bb.659:                              ;   in Loop: Header=BB12_303 Depth=3
	s_andn2_saveexec_b64 s[28:29], s[24:25]
; %bb.660:                              ;   in Loop: Header=BB12_303 Depth=3
	v_or_b32_e32 v4, 0x10000, v61
	v_cmp_eq_u32_sdwa s[24:25], v61, v3 src0_sel:WORD_0 src1_sel:DWORD
	s_nop 1
	v_cndmask_b32_e64 v13, v4, v61, s[24:25]
; %bb.661:                              ;   in Loop: Header=BB12_303 Depth=3
	s_or_b64 exec, exec, s[28:29]
	v_max_f32_e32 v4, v27, v27
	v_max_f32_e32 v5, v26, v26
	v_min_f32_e32 v24, v5, v4
	v_max_f32_e32 v4, v5, v4
	v_cndmask_b32_e32 v27, v4, v24, vcc
	v_and_b32_e32 v4, 0x7f800000, v27
	v_cmp_ne_u32_e64 s[24:25], s73, v4
                                        ; implicit-def: $vgpr26
	s_and_saveexec_b64 s[28:29], s[24:25]
	s_xor_b64 s[24:25], exec, s[28:29]
; %bb.662:                              ;   in Loop: Header=BB12_303 Depth=3
	v_bfe_u32 v4, v27, 16, 1
	v_add3_u32 v26, v27, v4, s62
                                        ; implicit-def: $vgpr27
; %bb.663:                              ;   in Loop: Header=BB12_303 Depth=3
	s_andn2_saveexec_b64 s[28:29], s[24:25]
; %bb.664:                              ;   in Loop: Header=BB12_303 Depth=3
	v_or_b32_e32 v4, 0x10000, v27
	v_cmp_eq_u32_sdwa s[24:25], v27, v3 src0_sel:WORD_0 src1_sel:DWORD
	s_nop 1
	v_cndmask_b32_e64 v26, v4, v27, s[24:25]
; %bb.665:                              ;   in Loop: Header=BB12_303 Depth=3
	s_or_b64 exec, exec, s[28:29]
	v_max_f32_e32 v4, v11, v11
	v_max_f32_e32 v5, v10, v10
	v_min_f32_e32 v10, v5, v4
	v_max_f32_e32 v4, v5, v4
	v_cndmask_b32_e32 v11, v4, v10, vcc
	v_and_b32_e32 v4, 0x7f800000, v11
	v_cmp_ne_u32_e32 vcc, s73, v4
                                        ; implicit-def: $vgpr10
	s_and_saveexec_b64 s[24:25], vcc
	s_xor_b64 s[24:25], exec, s[24:25]
; %bb.666:                              ;   in Loop: Header=BB12_303 Depth=3
	v_bfe_u32 v4, v11, 16, 1
	v_add3_u32 v10, v11, v4, s62
                                        ; implicit-def: $vgpr11
; %bb.667:                              ;   in Loop: Header=BB12_303 Depth=3
	s_andn2_saveexec_b64 s[24:25], s[24:25]
; %bb.668:                              ;   in Loop: Header=BB12_303 Depth=3
	v_or_b32_e32 v4, 0x10000, v11
	v_cmp_eq_u32_sdwa vcc, v11, v3 src0_sel:WORD_0 src1_sel:DWORD
	s_nop 1
	v_cndmask_b32_e32 v10, v4, v11, vcc
; %bb.669:                              ;   in Loop: Header=BB12_303 Depth=3
	s_or_b64 exec, exec, s[24:25]
	flat_store_short_d16_hi v[8:9], v12 nt
	flat_store_short_d16_hi v[8:9], v13 offset:128 nt
	flat_store_short_d16_hi v[8:9], v26 offset:256 nt
	;; [unrolled: 1-line block ×3, first 2 shown]
.LBB12_670:                             ;   in Loop: Header=BB12_303 Depth=3
	s_or_b64 exec, exec, s[26:27]
	v_lshlrev_b32_e32 v8, 9, v19
	v_cmp_ne_u32_e32 vcc, v17, v8
	s_and_b64 exec, exec, vcc
	s_cbranch_execz .LBB12_695
; %bb.671:                              ;   in Loop: Header=BB12_303 Depth=3
	v_lshlrev_b32_e32 v4, 6, v60
	v_sub_u32_e32 v4, v15, v4
	v_ashrrev_i32_e32 v5, 31, v4
	v_lshrrev_b32_e32 v5, 26, v5
	v_add_u32_e32 v5, v4, v5
	v_and_b32_e32 v9, 0x7fffffc0, v5
	v_sub_u32_e32 v4, v4, v9
	v_lshlrev_b32_e32 v5, 1, v5
	v_and_b32_e32 v5, 0xffffff80, v5
	v_lshlrev_b32_e32 v4, 1, v4
	v_add3_u32 v8, v5, v4, v8
	v_sub_u32_e32 v15, v17, v8
	v_cmp_lt_i32_e32 vcc, 1, v15
	s_and_b64 exec, exec, vcc
	s_cbranch_execz .LBB12_695
; %bb.672:                              ;   in Loop: Header=BB12_303 Depth=3
	s_trap 2
	ds_read_b64 v[10:11], v0
	v_add_u32_e32 v26, v8, v14
	s_and_b32 s24, s31, 0xff
	v_ashrrev_i32_e32 v27, 31, v26
	s_cmp_eq_u32 s24, 0
	v_lshl_add_u64 v[8:9], v[58:59], 0, v[26:27]
	v_lshl_add_u64 v[12:13], v[26:27], 0, v[22:23]
	s_waitcnt lgkmcnt(0)
	v_lshl_add_u64 v[10:11], v[10:11], 0, v[26:27]
	s_mov_b64 s[60:61], 0
	s_mov_b64 s[46:47], 0
	s_cselect_b64 s[24:25], -1, 0
                                        ; implicit-def: $sgpr58_sgpr59
	s_branch .LBB12_674
.LBB12_673:                             ;   in Loop: Header=BB12_674 Depth=4
	s_or_b64 exec, exec, s[26:27]
	v_lshrrev_b32_e32 v4, 16, v17
	scratch_store_short off, v4, s33 offset:192
	flat_store_short v[8:9], v4 nt
	v_mov_b32_e32 v4, 0x80
	v_cndmask_b32_e64 v58, v4, v114, s[60:61]
	v_cndmask_b32_e64 v4, 0, v105, s[60:61]
	v_sub_u32_e32 v15, v14, v4
	v_cmp_gt_i32_e32 vcc, 2, v15
	s_or_b64 s[46:47], vcc, s[46:47]
	v_lshl_add_u64 v[22:23], v[12:13], 0, v[98:99]
	v_lshl_add_u64 v[26:27], v[10:11], 0, v[98:99]
	v_cndmask_b32_e64 v59, 0, v115, s[60:61]
	s_andn2_b64 s[26:27], s[58:59], exec
	s_and_b64 s[28:29], s[60:61], exec
	v_lshl_add_u64 v[8:9], v[8:9], 0, v[58:59]
	v_cndmask_b32_e64 v11, v11, v27, s[60:61]
	v_cndmask_b32_e64 v10, v10, v26, s[60:61]
	;; [unrolled: 1-line block ×4, first 2 shown]
	s_or_b64 s[58:59], s[26:27], s[28:29]
	s_andn2_b64 exec, exec, s[46:47]
	s_cbranch_execz .LBB12_689
.LBB12_674:                             ;   Parent Loop BB12_47 Depth=1
                                        ;     Parent Loop BB12_300 Depth=2
                                        ;       Parent Loop BB12_303 Depth=3
                                        ; =>      This Loop Header: Depth=4
                                        ;           Child Loop BB12_675 Depth 5
                                        ;           Child Loop BB12_684 Depth 5
	s_add_i32 s26, s33, 0xc0
	s_mov_b32 s31, s26
	s_mov_b64 s[50:51], -1
	s_mov_b64 s[52:53], 0
.LBB12_675:                             ;   Parent Loop BB12_47 Depth=1
                                        ;     Parent Loop BB12_300 Depth=2
                                        ;       Parent Loop BB12_303 Depth=3
                                        ;         Parent Loop BB12_674 Depth=4
                                        ; =>        This Inner Loop Header: Depth=5
	s_cmp_eq_u32 s52, 1
	s_cselect_b64 vcc, -1, 0
	v_cndmask_b32_e32 v23, v13, v11, vcc
	v_cndmask_b32_e32 v22, v12, v10, vcc
	flat_load_ushort v4, v[22:23] nt
	s_cmp_eq_u32 s52, 0
	v_lshl_add_u64 v[22:23], v[22:23], 0, s[92:93]
	s_cselect_b64 s[26:27], -1, 0
	s_and_b64 s[28:29], exec, s[50:51]
	v_cndmask_b32_e64 v13, v13, v23, s[26:27]
	v_cndmask_b32_e64 v12, v12, v22, s[26:27]
	s_add_i32 s26, s33, 0xe0
	s_mov_b64 s[52:53], 1
	s_mov_b64 s[50:51], 0
	v_cndmask_b32_e32 v11, v11, v23, vcc
	v_cndmask_b32_e32 v10, v10, v22, vcc
	s_mov_b64 vcc, s[28:29]
	s_waitcnt vmcnt(0) lgkmcnt(0)
	scratch_store_short off, v4, s31
	s_mov_b32 s31, s26
	s_cbranch_vccnz .LBB12_675
; %bb.676:                              ;   in Loop: Header=BB12_674 Depth=4
	s_and_saveexec_b64 s[26:27], s[60:61]
	s_cbranch_execz .LBB12_682
; %bb.677:                              ;   in Loop: Header=BB12_674 Depth=4
	scratch_load_ushort v4, off, s33 offset:184
	scratch_load_ushort v5, off, s33 offset:186
                                        ; implicit-def: $vgpr17
	s_waitcnt vmcnt(1)
	v_lshlrev_b32_e32 v4, 16, v4
	s_waitcnt vmcnt(0)
	v_lshlrev_b32_e32 v5, 16, v5
	v_max_f32_e32 v5, v5, v5
	v_max_f32_e32 v4, v4, v4
	v_min_f32_e32 v14, v4, v5
	v_max_f32_e32 v4, v4, v5
	v_cndmask_b32_e64 v14, v4, v14, s[24:25]
	v_and_b32_e32 v4, 0x7f800000, v14
	v_cmp_ne_u32_e32 vcc, s73, v4
	s_and_saveexec_b64 s[28:29], vcc
	s_xor_b64 s[28:29], exec, s[28:29]
; %bb.678:                              ;   in Loop: Header=BB12_674 Depth=4
	v_bfe_u32 v4, v14, 16, 1
	v_add3_u32 v17, v14, v4, s62
                                        ; implicit-def: $vgpr14
; %bb.679:                              ;   in Loop: Header=BB12_674 Depth=4
	s_andn2_saveexec_b64 s[28:29], s[28:29]
; %bb.680:                              ;   in Loop: Header=BB12_674 Depth=4
	v_or_b32_e32 v4, 0x10000, v14
	v_cmp_eq_u32_sdwa vcc, v14, v3 src0_sel:WORD_0 src1_sel:DWORD
	s_nop 1
	v_cndmask_b32_e32 v17, v4, v14, vcc
; %bb.681:                              ;   in Loop: Header=BB12_674 Depth=4
	s_or_b64 exec, exec, s[28:29]
	v_lshrrev_b32_e32 v4, 16, v17
	scratch_store_short off, v4, s33 offset:184
	flat_store_short v[8:9], v4 nt
	v_lshl_add_u64 v[8:9], v[8:9], 0, v[114:115]
.LBB12_682:                             ;   in Loop: Header=BB12_674 Depth=4
	s_or_b64 exec, exec, s[26:27]
	v_sub_u32_e32 v14, v15, v105
	v_lshl_add_u64 v[12:13], v[12:13], 0, v[98:99]
	v_lshl_add_u64 v[10:11], v[10:11], 0, v[98:99]
	v_cmp_lt_i32_e64 s[60:61], 1, v14
	s_and_saveexec_b64 s[50:51], s[60:61]
	s_cbranch_execz .LBB12_685
; %bb.683:                              ;   in Loop: Header=BB12_674 Depth=4
	s_add_i32 s26, s33, 0xb8
	s_mov_b32 s31, s26
	s_mov_b64 s[54:55], 0
	s_mov_b64 s[52:53], -1
.LBB12_684:                             ;   Parent Loop BB12_47 Depth=1
                                        ;     Parent Loop BB12_300 Depth=2
                                        ;       Parent Loop BB12_303 Depth=3
                                        ;         Parent Loop BB12_674 Depth=4
                                        ; =>        This Inner Loop Header: Depth=5
	s_cmp_eq_u32 s54, 1
	s_cselect_b64 vcc, -1, 0
	v_cndmask_b32_e32 v23, v13, v11, vcc
	v_cndmask_b32_e32 v22, v12, v10, vcc
	flat_load_ushort v4, v[22:23] nt
	s_cmp_eq_u32 s54, 0
	v_lshl_add_u64 v[22:23], v[22:23], 0, s[92:93]
	s_cselect_b64 s[26:27], -1, 0
	s_and_b64 s[28:29], exec, s[52:53]
	v_cndmask_b32_e64 v13, v13, v23, s[26:27]
	v_cndmask_b32_e64 v12, v12, v22, s[26:27]
	s_add_i32 s26, s33, 0xba
	s_mov_b64 s[54:55], 1
	s_mov_b64 s[52:53], 0
	v_cndmask_b32_e32 v11, v11, v23, vcc
	v_cndmask_b32_e32 v10, v10, v22, vcc
	s_mov_b64 vcc, s[28:29]
	s_waitcnt vmcnt(0) lgkmcnt(0)
	scratch_store_short off, v4, s31
	s_mov_b32 s31, s26
	s_cbranch_vccnz .LBB12_684
.LBB12_685:                             ;   in Loop: Header=BB12_674 Depth=4
	s_or_b64 exec, exec, s[50:51]
	scratch_load_ushort v4, off, s33 offset:192
	scratch_load_ushort v5, off, s33 offset:224
                                        ; implicit-def: $vgpr17
	s_waitcnt vmcnt(0)
	v_lshlrev_b32_e32 v4, 16, v4
	v_lshlrev_b32_e32 v5, 16, v5
	v_max_f32_e32 v5, v5, v5
	v_max_f32_e32 v4, v4, v4
	v_min_f32_e32 v15, v4, v5
	v_max_f32_e32 v4, v4, v5
	v_cndmask_b32_e64 v15, v4, v15, s[24:25]
	v_and_b32_e32 v4, 0x7f800000, v15
	v_cmp_ne_u32_e32 vcc, s73, v4
	s_and_saveexec_b64 s[26:27], vcc
	s_xor_b64 s[26:27], exec, s[26:27]
; %bb.686:                              ;   in Loop: Header=BB12_674 Depth=4
	v_bfe_u32 v4, v15, 16, 1
	v_add3_u32 v17, v15, v4, s62
                                        ; implicit-def: $vgpr15
; %bb.687:                              ;   in Loop: Header=BB12_674 Depth=4
	s_andn2_saveexec_b64 s[26:27], s[26:27]
	s_cbranch_execz .LBB12_673
; %bb.688:                              ;   in Loop: Header=BB12_674 Depth=4
	v_or_b32_e32 v4, 0x10000, v15
	v_cmp_eq_u32_sdwa vcc, v15, v3 src0_sel:WORD_0 src1_sel:DWORD
	s_nop 1
	v_cndmask_b32_e32 v17, v4, v15, vcc
	s_branch .LBB12_673
.LBB12_689:                             ;   in Loop: Header=BB12_303 Depth=3
	s_or_b64 exec, exec, s[46:47]
	s_and_b64 exec, exec, s[58:59]
	s_cbranch_execz .LBB12_695
; %bb.690:                              ;   in Loop: Header=BB12_303 Depth=3
	scratch_load_ushort v4, off, s33 offset:184
	scratch_load_ushort v5, off, s33 offset:186
                                        ; implicit-def: $vgpr11
	s_waitcnt vmcnt(0)
	v_lshlrev_b32_e32 v4, 16, v4
	v_lshlrev_b32_e32 v5, 16, v5
	v_max_f32_e32 v5, v5, v5
	v_max_f32_e32 v4, v4, v4
	v_min_f32_e32 v10, v4, v5
	v_max_f32_e32 v4, v4, v5
	v_cndmask_b32_e64 v10, v4, v10, s[24:25]
	v_and_b32_e32 v4, 0x7f800000, v10
	v_cmp_ne_u32_e32 vcc, s73, v4
	s_and_saveexec_b64 s[24:25], vcc
	s_xor_b64 s[24:25], exec, s[24:25]
; %bb.691:                              ;   in Loop: Header=BB12_303 Depth=3
	v_bfe_u32 v4, v10, 16, 1
	v_add3_u32 v11, v10, v4, s62
                                        ; implicit-def: $vgpr10
; %bb.692:                              ;   in Loop: Header=BB12_303 Depth=3
	s_andn2_saveexec_b64 s[24:25], s[24:25]
; %bb.693:                              ;   in Loop: Header=BB12_303 Depth=3
	v_or_b32_e32 v4, 0x10000, v10
	v_cmp_eq_u32_sdwa vcc, v10, v3 src0_sel:WORD_0 src1_sel:DWORD
	s_nop 1
	v_cndmask_b32_e32 v11, v4, v10, vcc
; %bb.694:                              ;   in Loop: Header=BB12_303 Depth=3
	s_or_b64 exec, exec, s[24:25]
	flat_store_short_d16_hi v[8:9], v11 nt
.LBB12_695:                             ;   in Loop: Header=BB12_303 Depth=3
	s_or_b64 exec, exec, s[56:57]
	v_cmp_lt_i32_e64 s[24:25], 0, v2
	s_and_saveexec_b64 s[26:27], s[4:5]
	s_cbranch_execz .LBB12_378
.LBB12_696:                             ;   in Loop: Header=BB12_303 Depth=3
	s_and_saveexec_b64 s[28:29], s[76:77]
	s_xor_b64 s[28:29], exec, s[28:29]
	s_cbranch_execz .LBB12_711
; %bb.697:                              ;   in Loop: Header=BB12_303 Depth=3
	s_and_saveexec_b64 s[46:47], s[12:13]
	s_cbranch_execz .LBB12_710
; %bb.698:                              ;   in Loop: Header=BB12_303 Depth=3
	s_mov_b64 s[58:59], exec
	v_mbcnt_lo_u32_b32 v2, s58, 0
	v_mbcnt_hi_u32_b32 v2, s59, v2
	v_cmp_eq_u32_e32 vcc, 0, v2
	s_waitcnt lgkmcnt(0)
	s_and_saveexec_b64 s[56:57], vcc
	s_cbranch_execz .LBB12_700
; %bb.699:                              ;   in Loop: Header=BB12_303 Depth=3
	s_bcnt1_i32_b64 s58, s[58:59]
	v_mov_b32_e32 v2, s58
	ds_add_u64 v0, v[2:3]
	s_trap 2
.LBB12_700:                             ;   in Loop: Header=BB12_303 Depth=3
	s_or_b64 exec, exec, s[56:57]
	s_trap 2
	ds_read_b64 v[8:9], v0
	s_waitcnt lgkmcnt(0)
	v_lshl_add_u64 v[48:49], v[48:49], 0, v[52:53]
	v_cmp_lt_u64_e32 vcc, v[8:9], v[48:49]
	s_and_saveexec_b64 s[56:57], vcc
	s_cbranch_execz .LBB12_709
; %bb.701:                              ;   in Loop: Header=BB12_303 Depth=3
	s_mov_b32 s31, 0
	s_mov_b64 s[58:59], 0
                                        ; implicit-def: $sgpr60_sgpr61
                                        ; implicit-def: $sgpr50_sgpr51
	s_branch .LBB12_703
.LBB12_702:                             ;   in Loop: Header=BB12_703 Depth=4
	s_or_b64 exec, exec, s[54:55]
	s_and_b64 vcc, exec, vcc
	s_or_b64 s[58:59], vcc, s[58:59]
	s_andn2_b64 s[60:61], s[60:61], exec
	s_and_b64 vcc, s[50:51], exec
	s_or_b64 s[60:61], s[60:61], vcc
	s_andn2_b64 exec, exec, s[58:59]
	s_cbranch_execz .LBB12_707
.LBB12_703:                             ;   Parent Loop BB12_47 Depth=1
                                        ;     Parent Loop BB12_300 Depth=2
                                        ;       Parent Loop BB12_303 Depth=3
                                        ; =>      This Inner Loop Header: Depth=4
	s_add_i32 s31, s31, 1
	s_cmpk_lg_i32 s31, 0x2710
	s_cselect_b64 s[52:53], -1, 0
	s_and_b64 vcc, exec, s[52:53]
	s_cbranch_vccz .LBB12_705
; %bb.704:                              ;   in Loop: Header=BB12_703 Depth=4
	s_mov_b64 vcc, -1
	s_or_b64 s[50:51], s[50:51], exec
	s_and_saveexec_b64 s[54:55], s[52:53]
	s_cbranch_execz .LBB12_702
	s_branch .LBB12_706
.LBB12_705:                             ;   in Loop: Header=BB12_703 Depth=4
	s_trap 2
	ds_read_b64 v[8:9], v0
	s_andn2_b64 s[52:53], s[52:53], exec
	s_mov_b32 s31, 0
	s_waitcnt vmcnt(0) lgkmcnt(0)
	flat_load_dword v2, v[8:9] sc0 sc1
	s_waitcnt vmcnt(0) lgkmcnt(0)
	buffer_inv sc0 sc1
	v_cmp_eq_u32_e32 vcc, 0, v2
	s_and_b64 vcc, vcc, exec
	s_or_b64 s[52:53], s[52:53], vcc
	s_mov_b64 vcc, -1
	s_or_b64 s[50:51], s[50:51], exec
	s_and_saveexec_b64 s[54:55], s[52:53]
	s_cbranch_execz .LBB12_702
.LBB12_706:                             ;   in Loop: Header=BB12_703 Depth=4
	s_sleep 1
	s_trap 2
	ds_read_b64 v[8:9], v0
	s_waitcnt lgkmcnt(0)
	s_andn2_b64 s[50:51], s[50:51], exec
	v_cmp_ge_u64_e32 vcc, v[8:9], v[48:49]
	s_orn2_b64 vcc, vcc, exec
	s_branch .LBB12_702
.LBB12_707:                             ;   in Loop: Header=BB12_303 Depth=3
	s_or_b64 exec, exec, s[58:59]
	s_and_saveexec_b64 s[58:59], s[60:61]
	s_xor_b64 s[58:59], exec, s[58:59]
	s_cbranch_execz .LBB12_709
; %bb.708:                              ;   in Loop: Header=BB12_303 Depth=3
	ds_write_b32 v0, v106
	s_trap 2
.LBB12_709:                             ;   in Loop: Header=BB12_303 Depth=3
	s_or_b64 exec, exec, s[56:57]
	;;#ASMSTART
	s_wakeup
	;;#ASMEND
.LBB12_710:                             ;   in Loop: Header=BB12_303 Depth=3
	s_or_b64 exec, exec, s[46:47]
.LBB12_711:                             ;   in Loop: Header=BB12_303 Depth=3
	s_andn2_saveexec_b64 s[28:29], s[28:29]
	s_cbranch_execz .LBB12_713
; %bb.712:                              ;   in Loop: Header=BB12_303 Depth=3
	s_waitcnt lgkmcnt(0)
	s_barrier
.LBB12_713:                             ;   in Loop: Header=BB12_303 Depth=3
	s_or_b64 exec, exec, s[28:29]
	s_or_b64 exec, exec, s[26:27]
                                        ; implicit-def: $vgpr2
	s_and_saveexec_b64 s[26:27], s[20:21]
	s_xor_b64 s[26:27], exec, s[26:27]
	s_cbranch_execnz .LBB12_379
.LBB12_714:                             ;   in Loop: Header=BB12_303 Depth=3
	s_andn2_saveexec_b64 s[24:25], s[26:27]
	s_cbranch_execz .LBB12_733
.LBB12_715:                             ;   in Loop: Header=BB12_303 Depth=3
	s_and_saveexec_b64 s[26:27], s[76:77]
	s_xor_b64 s[26:27], exec, s[26:27]
	s_cbranch_execz .LBB12_730
; %bb.716:                              ;   in Loop: Header=BB12_303 Depth=3
	s_and_saveexec_b64 s[28:29], s[12:13]
	s_cbranch_execz .LBB12_729
; %bb.717:                              ;   in Loop: Header=BB12_303 Depth=3
	s_mov_b64 s[56:57], exec
	v_mbcnt_lo_u32_b32 v2, s56, 0
	v_mbcnt_hi_u32_b32 v2, s57, v2
	v_cmp_eq_u32_e32 vcc, 0, v2
	;;#ASMSTART
	s_waitcnt lgkmcnt(0) vmcnt(0)
	;;#ASMEND
	s_and_saveexec_b64 s[46:47], vcc
	s_cbranch_execz .LBB12_719
; %bb.718:                              ;   in Loop: Header=BB12_303 Depth=3
	s_bcnt1_i32_b64 s56, s[56:57]
	v_mov_b32_e32 v2, s56
	s_waitcnt lgkmcnt(0)
	ds_add_u64 v0, v[2:3]
	s_trap 2
.LBB12_719:                             ;   in Loop: Header=BB12_303 Depth=3
	s_or_b64 exec, exec, s[46:47]
	s_trap 2
	ds_read_b64 v[8:9], v0
	s_waitcnt lgkmcnt(0)
	v_lshl_add_u64 v[48:49], v[48:49], 0, v[52:53]
	v_cmp_lt_u64_e32 vcc, v[8:9], v[48:49]
	s_and_saveexec_b64 s[46:47], vcc
	s_cbranch_execz .LBB12_728
; %bb.720:                              ;   in Loop: Header=BB12_303 Depth=3
	s_mov_b32 s31, 0
	s_mov_b64 s[56:57], 0
                                        ; implicit-def: $sgpr58_sgpr59
                                        ; implicit-def: $sgpr60_sgpr61
	s_branch .LBB12_722
.LBB12_721:                             ;   in Loop: Header=BB12_722 Depth=4
	s_or_b64 exec, exec, s[52:53]
	s_and_b64 vcc, exec, vcc
	s_or_b64 s[56:57], vcc, s[56:57]
	s_andn2_b64 s[58:59], s[58:59], exec
	s_and_b64 vcc, s[60:61], exec
	s_or_b64 s[58:59], s[58:59], vcc
	s_andn2_b64 exec, exec, s[56:57]
	s_cbranch_execz .LBB12_726
.LBB12_722:                             ;   Parent Loop BB12_47 Depth=1
                                        ;     Parent Loop BB12_300 Depth=2
                                        ;       Parent Loop BB12_303 Depth=3
                                        ; =>      This Inner Loop Header: Depth=4
	s_add_i32 s31, s31, 1
	s_cmpk_lg_i32 s31, 0x2710
	s_cselect_b64 s[50:51], -1, 0
	s_and_b64 vcc, exec, s[50:51]
	s_cbranch_vccz .LBB12_724
; %bb.723:                              ;   in Loop: Header=BB12_722 Depth=4
	s_mov_b64 vcc, -1
	s_or_b64 s[60:61], s[60:61], exec
	s_and_saveexec_b64 s[52:53], s[50:51]
	s_cbranch_execz .LBB12_721
	s_branch .LBB12_725
.LBB12_724:                             ;   in Loop: Header=BB12_722 Depth=4
	s_trap 2
	ds_read_b64 v[8:9], v0
	s_andn2_b64 s[50:51], s[50:51], exec
	s_mov_b32 s31, 0
	s_waitcnt vmcnt(0) lgkmcnt(0)
	flat_load_dword v2, v[8:9] sc0 sc1
	s_waitcnt vmcnt(0) lgkmcnt(0)
	buffer_inv sc0 sc1
	v_cmp_eq_u32_e32 vcc, 0, v2
	s_and_b64 vcc, vcc, exec
	s_or_b64 s[50:51], s[50:51], vcc
	s_mov_b64 vcc, -1
	s_or_b64 s[60:61], s[60:61], exec
	s_and_saveexec_b64 s[52:53], s[50:51]
	s_cbranch_execz .LBB12_721
.LBB12_725:                             ;   in Loop: Header=BB12_722 Depth=4
	s_sleep 1
	s_trap 2
	ds_read_b64 v[8:9], v0
	s_waitcnt lgkmcnt(0)
	s_andn2_b64 s[60:61], s[60:61], exec
	v_cmp_ge_u64_e32 vcc, v[8:9], v[48:49]
	s_orn2_b64 vcc, vcc, exec
	s_branch .LBB12_721
.LBB12_726:                             ;   in Loop: Header=BB12_303 Depth=3
	s_or_b64 exec, exec, s[56:57]
	s_and_saveexec_b64 s[56:57], s[58:59]
	s_xor_b64 s[56:57], exec, s[56:57]
	s_cbranch_execz .LBB12_728
; %bb.727:                              ;   in Loop: Header=BB12_303 Depth=3
	ds_write_b32 v0, v106
	s_trap 2
.LBB12_728:                             ;   in Loop: Header=BB12_303 Depth=3
	s_or_b64 exec, exec, s[46:47]
	;;#ASMSTART
	s_wakeup
	;;#ASMEND
.LBB12_729:                             ;   in Loop: Header=BB12_303 Depth=3
	s_or_b64 exec, exec, s[28:29]
.LBB12_730:                             ;   in Loop: Header=BB12_303 Depth=3
	s_andn2_saveexec_b64 s[26:27], s[26:27]
	s_cbranch_execz .LBB12_732
; %bb.731:                              ;   in Loop: Header=BB12_303 Depth=3
	;;#ASMSTART
	s_waitcnt lgkmcnt(0) vmcnt(0)
	;;#ASMEND
	s_barrier
.LBB12_732:                             ;   in Loop: Header=BB12_303 Depth=3
	s_or_b64 exec, exec, s[26:27]
	v_and_b32_e32 v2, 16, v94
.LBB12_733:                             ;   in Loop: Header=BB12_303 Depth=3
	s_or_b64 exec, exec, s[24:25]
	v_cmp_ne_u32_e32 vcc, 0, v2
	s_xor_b64 s[24:25], s[6:7], -1
	s_and_b64 s[26:27], vcc, s[24:25]
	s_and_saveexec_b64 s[24:25], s[26:27]
	s_cbranch_execz .LBB12_735
; %bb.734:                              ;   in Loop: Header=BB12_303 Depth=3
	flat_store_dword v[36:37], v106 sc0 sc1
.LBB12_735:                             ;   in Loop: Header=BB12_303 Depth=3
	s_or_b64 exec, exec, s[24:25]
	v_and_b32_e32 v2, 48, v94
	v_cmp_ne_u32_e32 vcc, 0, v2
	s_and_saveexec_b64 s[24:25], vcc
	s_cbranch_execz .LBB12_302
; %bb.736:                              ;   in Loop: Header=BB12_303 Depth=3
	v_lshl_add_u64 v[44:45], v[44:45], 0, 2
	flat_store_dwordx2 v[32:33], v[44:45] sc0 sc1
	s_branch .LBB12_302
.LBB12_737:                             ;   in Loop: Header=BB12_300 Depth=2
	s_or_b64 exec, exec, s[42:43]
.LBB12_738:                             ;   in Loop: Header=BB12_300 Depth=2
	s_or_b64 exec, exec, s[40:41]
	v_cmp_gt_i32_e32 vcc, 2, v2
	s_and_saveexec_b64 s[26:27], vcc
	s_cbranch_execz .LBB12_299
; %bb.739:                              ;   in Loop: Header=BB12_300 Depth=2
	v_cmp_eq_u32_e64 s[40:41], 0, v2
	s_mov_b64 s[28:29], 0
	s_branch .LBB12_741
.LBB12_740:                             ;   in Loop: Header=BB12_741 Depth=3
	s_or_b64 exec, exec, s[24:25]
	v_add_u32_e32 v18, v16, v18
	s_mov_b64 s[40:41], 0
	s_andn2_b64 exec, exec, s[28:29]
	s_cbranch_execz .LBB12_298
.LBB12_741:                             ;   Parent Loop BB12_47 Depth=1
                                        ;     Parent Loop BB12_300 Depth=2
                                        ; =>    This Loop Header: Depth=3
                                        ;         Child Loop BB12_747 Depth 4
                                        ;         Child Loop BB12_775 Depth 4
	;; [unrolled: 1-line block ×3, first 2 shown]
	v_sub_u32_e32 v2, v76, v18
	v_min_i32_e32 v16, v16, v2
	v_and_b32_e32 v2, 12, v94
	v_cmp_ne_u32_e32 vcc, 0, v2
	s_and_saveexec_b64 s[42:43], vcc
	s_cbranch_execz .LBB12_767
; %bb.742:                              ;   in Loop: Header=BB12_741 Depth=3
	v_and_b32_e32 v2, 8, v94
	s_waitcnt vmcnt(0) lgkmcnt(0)
	v_lshl_add_u64 v[10:11], v[38:39], 0, v[2:3]
	v_lshl_add_u64 v[8:9], v[44:45], 0, 2
	v_cmp_lt_u64_e32 vcc, v[10:11], v[8:9]
	s_and_saveexec_b64 s[44:45], vcc
	s_cbranch_execz .LBB12_754
; %bb.743:                              ;   in Loop: Header=BB12_741 Depth=3
	v_and_b32_e32 v4, 64, v94
	s_mov_b32 s30, 0
	v_cmp_eq_u32_e32 vcc, 0, v4
	s_mov_b64 s[46:47], 0
                                        ; implicit-def: $sgpr56_sgpr57
                                        ; implicit-def: $sgpr58_sgpr59
                                        ; implicit-def: $sgpr60_sgpr61
	s_branch .LBB12_747
.LBB12_744:                             ;   in Loop: Header=BB12_747 Depth=4
	s_waitcnt vmcnt(0) lgkmcnt(0)
	v_lshl_add_u64 v[12:13], v[38:39], 0, v[2:3]
	v_cmp_ge_u64_e64 s[24:25], v[12:13], v[8:9]
	s_or_b64 s[54:55], s[54:55], exec
	s_orn2_b64 s[52:53], s[24:25], exec
.LBB12_745:                             ;   in Loop: Header=BB12_747 Depth=4
	s_or_b64 exec, exec, s[66:67]
	s_andn2_b64 s[24:25], s[60:61], exec
	s_and_b64 s[60:61], s[54:55], exec
	s_or_b64 s[60:61], s[24:25], s[60:61]
	s_andn2_b64 s[24:25], s[58:59], exec
	s_and_b64 s[58:59], s[52:53], exec
	s_or_b64 s[58:59], s[24:25], s[58:59]
.LBB12_746:                             ;   in Loop: Header=BB12_747 Depth=4
	s_or_b64 exec, exec, s[50:51]
	s_and_b64 s[24:25], exec, s[58:59]
	s_or_b64 s[46:47], s[24:25], s[46:47]
	s_andn2_b64 s[24:25], s[56:57], exec
	s_and_b64 s[56:57], s[60:61], exec
	s_or_b64 s[56:57], s[24:25], s[56:57]
	s_andn2_b64 exec, exec, s[46:47]
	s_cbranch_execz .LBB12_751
.LBB12_747:                             ;   Parent Loop BB12_47 Depth=1
                                        ;     Parent Loop BB12_300 Depth=2
                                        ;       Parent Loop BB12_741 Depth=3
                                        ; =>      This Inner Loop Header: Depth=4
	s_sleep 1
	s_waitcnt vmcnt(0) lgkmcnt(0)
	flat_load_dwordx2 v[38:39], v[32:33] sc0 sc1
	s_or_b64 s[60:61], s[60:61], exec
	s_or_b64 s[58:59], s[58:59], exec
                                        ; implicit-def: $vgpr10
	s_and_saveexec_b64 s[50:51], vcc
	s_cbranch_execz .LBB12_746
; %bb.748:                              ;   in Loop: Header=BB12_747 Depth=4
	s_cmpk_lt_i32 s30, 0x270f
	s_cselect_b64 s[64:65], -1, 0
	s_cmpk_gt_i32 s30, 0x270e
	s_mov_b64 s[52:53], -1
	s_cbranch_scc0 .LBB12_750
; %bb.749:                              ;   in Loop: Header=BB12_747 Depth=4
	s_trap 2
	ds_read_b64 v[10:11], v0
	s_andn2_b64 s[64:65], s[64:65], exec
	s_mov_b32 s30, 0
	s_mov_b64 s[54:55], 0
	s_waitcnt vmcnt(0) lgkmcnt(0)
	flat_load_dword v10, v[10:11] sc0 sc1
	s_waitcnt vmcnt(0) lgkmcnt(0)
	buffer_inv sc0 sc1
	v_cmp_eq_u32_e64 s[24:25], 0, v10
	s_and_b64 s[24:25], s[24:25], exec
	s_or_b64 s[64:65], s[64:65], s[24:25]
	s_and_saveexec_b64 s[66:67], s[64:65]
	s_cbranch_execz .LBB12_745
	s_branch .LBB12_744
.LBB12_750:                             ;   in Loop: Header=BB12_747 Depth=4
	s_add_i32 s30, s30, 1
	s_mov_b64 s[54:55], -1
                                        ; implicit-def: $vgpr10
	s_and_saveexec_b64 s[66:67], s[64:65]
	s_cbranch_execz .LBB12_745
	s_branch .LBB12_744
.LBB12_751:                             ;   in Loop: Header=BB12_741 Depth=3
	s_or_b64 exec, exec, s[46:47]
	s_xor_b64 s[24:25], s[56:57], -1
	s_and_saveexec_b64 s[46:47], s[24:25]
	s_xor_b64 s[24:25], exec, s[46:47]
	s_cbranch_execz .LBB12_753
; %bb.752:                              ;   in Loop: Header=BB12_741 Depth=3
	v_or_b32_e32 v94, 64, v94
	s_waitcnt lgkmcnt(0)
	ds_write_b32 v0, v10
	s_trap 2
.LBB12_753:                             ;   in Loop: Header=BB12_741 Depth=3
	s_or_b64 exec, exec, s[24:25]
.LBB12_754:                             ;   in Loop: Header=BB12_741 Depth=3
	s_or_b64 exec, exec, s[44:45]
	v_and_b32_e32 v4, 0x108, v94
	v_cmp_ne_u32_e32 vcc, s72, v4
	;;#ASMSTART
	s_wakeup
	;;#ASMEND
                                        ; implicit-def: $vgpr10_vgpr11
	s_and_saveexec_b64 s[24:25], vcc
	s_xor_b64 s[24:25], exec, s[24:25]
; %bb.755:                              ;   in Loop: Header=BB12_741 Depth=3
	v_and_b32_e32 v10, 7, v44
	v_mov_b32_e32 v11, v3
                                        ; implicit-def: $vgpr44_vgpr45
; %bb.756:                              ;   in Loop: Header=BB12_741 Depth=3
	s_andn2_saveexec_b64 s[24:25], s[24:25]
	s_cbranch_execz .LBB12_758
; %bb.757:                              ;   in Loop: Header=BB12_741 Depth=3
	v_and_b32_e32 v10, 7, v44
	v_ashrrev_i32_e32 v17, 31, v16
	v_mov_b32_e32 v11, v3
	v_mad_u64_u32 v[12:13], s[44:45], v10, 24, v[6:7]
	v_lshlrev_b64 v[14:15], 1, v[16:17]
	flat_store_dwordx2 v[12:13], v[14:15] offset:8
.LBB12_758:                             ;   in Loop: Header=BB12_741 Depth=3
	s_or_b64 exec, exec, s[24:25]
	v_and_b32_e32 v4, 0x100, v94
	v_cmp_ne_u32_e32 vcc, 0, v4
	s_mov_b64 s[24:25], -1
                                        ; implicit-def: $vgpr12_vgpr13
	s_and_saveexec_b64 s[44:45], vcc
	s_cbranch_execz .LBB12_762
; %bb.759:                              ;   in Loop: Header=BB12_741 Depth=3
	v_mad_u64_u32 v[14:15], s[24:25], v10, 24, v[6:7]
	v_mov_b32_e32 v12, v15
	v_mad_u64_u32 v[12:13], s[24:25], v11, 24, v[12:13]
	v_mov_b32_e32 v15, v12
	flat_load_dword v4, v[14:15]
                                        ; implicit-def: $vgpr12_vgpr13
	s_waitcnt vmcnt(0) lgkmcnt(0)
	v_cmp_ne_u32_e32 vcc, 1, v4
	v_cmp_eq_u32_e64 s[24:25], 1, v4
	s_and_saveexec_b64 s[46:47], s[24:25]
	s_cbranch_execz .LBB12_761
; %bb.760:                              ;   in Loop: Header=BB12_741 Depth=3
	flat_load_dword v12, v[14:15] offset:4 sc0 sc1
	s_waitcnt vmcnt(0) lgkmcnt(0)
	v_ashrrev_i32_e32 v13, 31, v12
	v_lshrrev_b64 v[12:13], 1, v[12:13]
.LBB12_761:                             ;   in Loop: Header=BB12_741 Depth=3
	s_or_b64 exec, exec, s[46:47]
	s_orn2_b64 s[24:25], vcc, exec
.LBB12_762:                             ;   in Loop: Header=BB12_741 Depth=3
	s_or_b64 exec, exec, s[44:45]
	s_and_saveexec_b64 s[44:45], s[24:25]
; %bb.763:                              ;   in Loop: Header=BB12_741 Depth=3
	v_mul_lo_u32 v4, v11, v30
	v_mul_lo_u32 v5, v10, v51
	v_mad_u64_u32 v[12:13], s[24:25], v10, v30, 0
	v_add3_u32 v13, v13, v5, v4
; %bb.764:                              ;   in Loop: Header=BB12_741 Depth=3
	s_or_b64 exec, exec, s[44:45]
	v_cmp_eq_u32_e32 vcc, 0, v2
	v_lshl_add_u64 v[10:11], v[12:13], 1, v[34:35]
	s_nop 0
	v_cndmask_b32_e32 v2, v107, v108, vcc
	v_add_u32_e32 v2, v0, v2
	ds_write_b64 v2, v[10:11] offset:584
	v_and_b32_e32 v2, 0x2000, v94
	v_cmp_ne_u32_e32 vcc, 0, v2
	s_and_saveexec_b64 s[24:25], vcc
	s_cbranch_execz .LBB12_766
; %bb.765:                              ;   in Loop: Header=BB12_741 Depth=3
	ds_read_b64 v[10:11], v0 offset:872
	s_waitcnt lgkmcnt(0)
	v_lshl_add_u64 v[10:11], v[10:11], 0, 1
	ds_write_b64 v0, v[10:11] offset:872
.LBB12_766:                             ;   in Loop: Header=BB12_741 Depth=3
	s_or_b64 exec, exec, s[24:25]
	v_mov_b64_e32 v[44:45], v[8:9]
.LBB12_767:                             ;   in Loop: Header=BB12_741 Depth=3
	s_or_b64 exec, exec, s[42:43]
	s_xor_b64 s[24:25], s[40:41], -1
	s_and_b64 s[24:25], exec, s[24:25]
	s_or_b64 s[28:29], s[24:25], s[28:29]
	s_and_saveexec_b64 s[24:25], s[4:5]
	s_cbranch_execz .LBB12_786
; %bb.768:                              ;   in Loop: Header=BB12_741 Depth=3
	s_and_saveexec_b64 s[40:41], s[76:77]
	s_xor_b64 s[40:41], exec, s[40:41]
	s_cbranch_execz .LBB12_783
; %bb.769:                              ;   in Loop: Header=BB12_741 Depth=3
	s_and_saveexec_b64 s[42:43], s[12:13]
	s_cbranch_execz .LBB12_782
; %bb.770:                              ;   in Loop: Header=BB12_741 Depth=3
	s_mov_b64 s[46:47], exec
	v_mbcnt_lo_u32_b32 v2, s46, 0
	v_mbcnt_hi_u32_b32 v2, s47, v2
	v_cmp_eq_u32_e32 vcc, 0, v2
	s_waitcnt lgkmcnt(0)
	s_and_saveexec_b64 s[44:45], vcc
	s_cbranch_execz .LBB12_772
; %bb.771:                              ;   in Loop: Header=BB12_741 Depth=3
	s_bcnt1_i32_b64 s46, s[46:47]
	v_mov_b32_e32 v2, s46
	ds_add_u64 v0, v[2:3]
	s_trap 2
.LBB12_772:                             ;   in Loop: Header=BB12_741 Depth=3
	s_or_b64 exec, exec, s[44:45]
	s_trap 2
	ds_read_b64 v[8:9], v0
	s_waitcnt lgkmcnt(0)
	v_lshl_add_u64 v[48:49], v[48:49], 0, v[52:53]
	v_cmp_lt_u64_e32 vcc, v[8:9], v[48:49]
	s_and_saveexec_b64 s[44:45], vcc
	s_cbranch_execz .LBB12_781
; %bb.773:                              ;   in Loop: Header=BB12_741 Depth=3
	s_mov_b32 s30, 0
	s_mov_b64 s[46:47], 0
                                        ; implicit-def: $sgpr56_sgpr57
                                        ; implicit-def: $sgpr58_sgpr59
	s_branch .LBB12_775
.LBB12_774:                             ;   in Loop: Header=BB12_775 Depth=4
	s_or_b64 exec, exec, s[50:51]
	s_and_b64 s[60:61], exec, vcc
	s_or_b64 s[46:47], s[60:61], s[46:47]
	s_andn2_b64 s[56:57], s[56:57], exec
	s_and_b64 s[60:61], s[58:59], exec
	s_or_b64 s[56:57], s[56:57], s[60:61]
	s_andn2_b64 exec, exec, s[46:47]
	s_cbranch_execz .LBB12_779
.LBB12_775:                             ;   Parent Loop BB12_47 Depth=1
                                        ;     Parent Loop BB12_300 Depth=2
                                        ;       Parent Loop BB12_741 Depth=3
                                        ; =>      This Inner Loop Header: Depth=4
	s_add_i32 s30, s30, 1
	s_cmpk_lg_i32 s30, 0x2710
	s_cselect_b64 s[60:61], -1, 0
	s_and_b64 vcc, exec, s[60:61]
	s_cbranch_vccz .LBB12_777
; %bb.776:                              ;   in Loop: Header=BB12_775 Depth=4
	s_mov_b64 vcc, -1
	s_or_b64 s[58:59], s[58:59], exec
	s_and_saveexec_b64 s[50:51], s[60:61]
	s_cbranch_execz .LBB12_774
	s_branch .LBB12_778
.LBB12_777:                             ;   in Loop: Header=BB12_775 Depth=4
	s_trap 2
	ds_read_b64 v[8:9], v0
	s_andn2_b64 s[60:61], s[60:61], exec
	s_mov_b32 s30, 0
	s_waitcnt vmcnt(0) lgkmcnt(0)
	flat_load_dword v2, v[8:9] sc0 sc1
	s_waitcnt vmcnt(0) lgkmcnt(0)
	buffer_inv sc0 sc1
	v_cmp_eq_u32_e32 vcc, 0, v2
	s_and_b64 vcc, vcc, exec
	s_or_b64 s[60:61], s[60:61], vcc
	s_mov_b64 vcc, -1
	s_or_b64 s[58:59], s[58:59], exec
	s_and_saveexec_b64 s[50:51], s[60:61]
	s_cbranch_execz .LBB12_774
.LBB12_778:                             ;   in Loop: Header=BB12_775 Depth=4
	s_sleep 1
	s_trap 2
	ds_read_b64 v[8:9], v0
	s_waitcnt lgkmcnt(0)
	s_andn2_b64 s[58:59], s[58:59], exec
	v_cmp_ge_u64_e32 vcc, v[8:9], v[48:49]
	s_orn2_b64 vcc, vcc, exec
	s_branch .LBB12_774
.LBB12_779:                             ;   in Loop: Header=BB12_741 Depth=3
	s_or_b64 exec, exec, s[46:47]
	s_and_saveexec_b64 s[46:47], s[56:57]
	s_xor_b64 s[46:47], exec, s[46:47]
	s_cbranch_execz .LBB12_781
; %bb.780:                              ;   in Loop: Header=BB12_741 Depth=3
	ds_write_b32 v0, v106
	s_trap 2
.LBB12_781:                             ;   in Loop: Header=BB12_741 Depth=3
	s_or_b64 exec, exec, s[44:45]
	;;#ASMSTART
	s_wakeup
	;;#ASMEND
.LBB12_782:                             ;   in Loop: Header=BB12_741 Depth=3
	s_or_b64 exec, exec, s[42:43]
.LBB12_783:                             ;   in Loop: Header=BB12_741 Depth=3
	s_andn2_saveexec_b64 s[40:41], s[40:41]
	s_cbranch_execz .LBB12_785
; %bb.784:                              ;   in Loop: Header=BB12_741 Depth=3
	s_waitcnt lgkmcnt(0)
	s_barrier
.LBB12_785:                             ;   in Loop: Header=BB12_741 Depth=3
	s_or_b64 exec, exec, s[40:41]
.LBB12_786:                             ;   in Loop: Header=BB12_741 Depth=3
	s_or_b64 exec, exec, s[24:25]
                                        ; implicit-def: $vgpr2
	s_and_saveexec_b64 s[24:25], s[36:37]
	s_xor_b64 s[24:25], exec, s[24:25]
	s_cbranch_execz .LBB12_798
; %bb.787:                              ;   in Loop: Header=BB12_741 Depth=3
	s_and_saveexec_b64 s[40:41], s[76:77]
	s_xor_b64 s[40:41], exec, s[40:41]
	s_cbranch_execz .LBB12_803
; %bb.788:                              ;   in Loop: Header=BB12_741 Depth=3
	s_and_saveexec_b64 s[42:43], s[12:13]
	s_cbranch_execz .LBB12_802
; %bb.789:                              ;   in Loop: Header=BB12_741 Depth=3
	s_mov_b64 s[46:47], exec
	v_mbcnt_lo_u32_b32 v2, s46, 0
	v_mbcnt_hi_u32_b32 v2, s47, v2
	v_cmp_eq_u32_e32 vcc, 0, v2
	;;#ASMSTART
	s_waitcnt lgkmcnt(0) vmcnt(0)
	;;#ASMEND
	s_and_saveexec_b64 s[44:45], vcc
	s_cbranch_execz .LBB12_791
; %bb.790:                              ;   in Loop: Header=BB12_741 Depth=3
	s_bcnt1_i32_b64 s46, s[46:47]
	v_mov_b32_e32 v2, s46
	s_waitcnt lgkmcnt(0)
	ds_add_u64 v0, v[2:3]
	s_trap 2
.LBB12_791:                             ;   in Loop: Header=BB12_741 Depth=3
	s_or_b64 exec, exec, s[44:45]
	s_trap 2
	ds_read_b64 v[8:9], v0
	s_waitcnt lgkmcnt(0)
	v_lshl_add_u64 v[48:49], v[48:49], 0, v[52:53]
	v_cmp_lt_u64_e32 vcc, v[8:9], v[48:49]
	s_and_saveexec_b64 s[44:45], vcc
	s_cbranch_execz .LBB12_801
; %bb.792:                              ;   in Loop: Header=BB12_741 Depth=3
	s_mov_b32 s30, 0
	s_mov_b64 s[46:47], 0
                                        ; implicit-def: $sgpr56_sgpr57
                                        ; implicit-def: $sgpr58_sgpr59
	s_branch .LBB12_794
.LBB12_793:                             ;   in Loop: Header=BB12_794 Depth=4
	s_or_b64 exec, exec, s[50:51]
	s_and_b64 s[60:61], exec, vcc
	s_or_b64 s[46:47], s[60:61], s[46:47]
	s_andn2_b64 s[56:57], s[56:57], exec
	s_and_b64 s[60:61], s[58:59], exec
	s_or_b64 s[56:57], s[56:57], s[60:61]
	s_andn2_b64 exec, exec, s[46:47]
	s_cbranch_execz .LBB12_799
.LBB12_794:                             ;   Parent Loop BB12_47 Depth=1
                                        ;     Parent Loop BB12_300 Depth=2
                                        ;       Parent Loop BB12_741 Depth=3
                                        ; =>      This Inner Loop Header: Depth=4
	s_add_i32 s30, s30, 1
	s_cmpk_lg_i32 s30, 0x2710
	s_cselect_b64 s[60:61], -1, 0
	s_and_b64 vcc, exec, s[60:61]
	s_cbranch_vccz .LBB12_796
; %bb.795:                              ;   in Loop: Header=BB12_794 Depth=4
	s_mov_b64 vcc, -1
	s_or_b64 s[58:59], s[58:59], exec
	s_and_saveexec_b64 s[50:51], s[60:61]
	s_cbranch_execz .LBB12_793
	s_branch .LBB12_797
.LBB12_796:                             ;   in Loop: Header=BB12_794 Depth=4
	s_trap 2
	ds_read_b64 v[8:9], v0
	s_andn2_b64 s[60:61], s[60:61], exec
	s_mov_b32 s30, 0
	s_waitcnt vmcnt(0) lgkmcnt(0)
	flat_load_dword v2, v[8:9] sc0 sc1
	s_waitcnt vmcnt(0) lgkmcnt(0)
	buffer_inv sc0 sc1
	v_cmp_eq_u32_e32 vcc, 0, v2
	s_and_b64 vcc, vcc, exec
	s_or_b64 s[60:61], s[60:61], vcc
	s_mov_b64 vcc, -1
	s_or_b64 s[58:59], s[58:59], exec
	s_and_saveexec_b64 s[50:51], s[60:61]
	s_cbranch_execz .LBB12_793
.LBB12_797:                             ;   in Loop: Header=BB12_794 Depth=4
	s_sleep 1
	s_trap 2
	ds_read_b64 v[8:9], v0
	s_waitcnt lgkmcnt(0)
	s_andn2_b64 s[58:59], s[58:59], exec
	v_cmp_ge_u64_e32 vcc, v[8:9], v[48:49]
	s_orn2_b64 vcc, vcc, exec
	s_branch .LBB12_793
.LBB12_798:                             ;   in Loop: Header=BB12_741 Depth=3
	s_andn2_saveexec_b64 s[24:25], s[24:25]
	s_cbranch_execnz .LBB12_806
	s_branch .LBB12_809
.LBB12_799:                             ;   in Loop: Header=BB12_741 Depth=3
	s_or_b64 exec, exec, s[46:47]
	s_and_saveexec_b64 s[46:47], s[56:57]
	s_xor_b64 s[46:47], exec, s[46:47]
	s_cbranch_execz .LBB12_801
; %bb.800:                              ;   in Loop: Header=BB12_741 Depth=3
	ds_write_b32 v0, v106
	s_trap 2
.LBB12_801:                             ;   in Loop: Header=BB12_741 Depth=3
	s_or_b64 exec, exec, s[44:45]
	;;#ASMSTART
	s_wakeup
	;;#ASMEND
.LBB12_802:                             ;   in Loop: Header=BB12_741 Depth=3
	s_or_b64 exec, exec, s[42:43]
.LBB12_803:                             ;   in Loop: Header=BB12_741 Depth=3
	s_andn2_saveexec_b64 s[40:41], s[40:41]
	s_cbranch_execz .LBB12_805
; %bb.804:                              ;   in Loop: Header=BB12_741 Depth=3
	;;#ASMSTART
	s_waitcnt lgkmcnt(0) vmcnt(0)
	;;#ASMEND
	s_barrier
.LBB12_805:                             ;   in Loop: Header=BB12_741 Depth=3
	s_or_b64 exec, exec, s[40:41]
	v_and_b32_e32 v2, 16, v94
	s_andn2_saveexec_b64 s[24:25], s[24:25]
	s_cbranch_execz .LBB12_809
.LBB12_806:                             ;   in Loop: Header=BB12_741 Depth=3
	s_trap 2
	ds_read_b32 v4, v0
	v_cmp_lt_i32_e32 vcc, 0, v16
	v_and_b32_e32 v5, 16, v94
	v_and_b32_e32 v2, 16, v94
	s_waitcnt lgkmcnt(0)
	v_readfirstlane_b32 s40, v4
	s_cmp_eq_u32 s40, 0
	s_cselect_b64 s[40:41], -1, 0
	s_and_b64 s[40:41], vcc, s[40:41]
	v_cmp_ne_u32_e32 vcc, 0, v5
	s_and_b64 s[42:43], vcc, s[40:41]
	s_and_saveexec_b64 s[40:41], s[42:43]
	s_cbranch_execz .LBB12_808
; %bb.807:                              ;   in Loop: Header=BB12_741 Depth=3
	v_mov_b32_e32 v2, 1
	buffer_wbl2 sc1
	s_waitcnt vmcnt(0)
	buffer_inv sc1
.LBB12_808:                             ;   in Loop: Header=BB12_741 Depth=3
	s_or_b64 exec, exec, s[40:41]
.LBB12_809:                             ;   in Loop: Header=BB12_741 Depth=3
	s_or_b64 exec, exec, s[24:25]
	v_cmp_ne_u32_e32 vcc, 0, v2
	s_xor_b64 s[24:25], s[6:7], -1
	s_and_b64 s[40:41], vcc, s[24:25]
	s_and_saveexec_b64 s[24:25], s[40:41]
	s_cbranch_execz .LBB12_811
; %bb.810:                              ;   in Loop: Header=BB12_741 Depth=3
	flat_store_dword v[36:37], v106 sc0 sc1
.LBB12_811:                             ;   in Loop: Header=BB12_741 Depth=3
	s_or_b64 exec, exec, s[24:25]
	v_and_b32_e32 v2, 48, v94
	v_cmp_ne_u32_e32 vcc, 0, v2
	s_and_saveexec_b64 s[24:25], vcc
	s_cbranch_execz .LBB12_740
; %bb.812:                              ;   in Loop: Header=BB12_741 Depth=3
	v_lshl_add_u64 v[44:45], v[44:45], 0, 2
	flat_store_dwordx2 v[32:33], v[44:45] sc0 sc1
	s_branch .LBB12_740
.LBB12_813:                             ;   in Loop: Header=BB12_47 Depth=1
	v_mul_lo_u32 v2, v43, s70
	v_mul_lo_u32 v10, v42, s71
	v_mad_u64_u32 v[8:9], s[24:25], v42, s70, 0
	v_add3_u32 v9, v9, v10, v2
	v_sub_co_u32_e32 v10, vcc, v46, v8
	v_mov_b32_e32 v2, 0
	s_nop 0
	v_subb_co_u32_e32 v11, vcc, v47, v9, vcc
	v_cmp_lt_i64_e32 vcc, v[42:43], v[10:11]
	v_mov_b32_e32 v22, 0
	s_nop 0
	v_cndmask_b32_e32 v10, v10, v42, vcc
	v_max_i32_e32 v111, 0, v10
	v_add_u32_e32 v11, 31, v111
	v_ashrrev_i32_e32 v12, 31, v11
	v_lshrrev_b32_e32 v12, 27, v12
	v_add_u32_e32 v11, v11, v12
	v_ashrrev_i32_e32 v11, 5, v11
	v_lshlrev_b32_e32 v11, 4, v11
	v_cmp_lt_i32_e32 vcc, 0, v10
	v_max_i32_e32 v20, s84, v11
	s_and_b64 s[24:25], s[38:39], vcc
	s_and_saveexec_b64 s[50:51], s[24:25]
	s_cbranch_execz .LBB12_1191
; %bb.814:                              ;   in Loop: Header=BB12_47 Depth=1
	v_lshl_add_u64 v[8:9], v[8:9], 0, v[56:57]
	s_mov_b32 s30, 1
	s_mov_b64 s[54:55], -1
	v_mov_b32_e32 v22, 0
	s_mov_b64 s[52:53], 0
	v_lshlrev_b64 v[58:59], 1, v[8:9]
	s_branch .LBB12_816
.LBB12_815:                             ;   in Loop: Header=BB12_816 Depth=2
	s_or_b64 exec, exec, s[24:25]
	v_add_u32_e32 v22, v20, v22
	v_cmp_ge_i32_e32 vcc, v22, v111
	s_xor_b64 s[24:25], s[54:55], -1
	s_or_b64 s[24:25], s[24:25], vcc
	s_and_b64 s[24:25], exec, s[24:25]
	s_or_b64 s[52:53], s[24:25], s[52:53]
	s_mov_b64 s[54:55], 0
	v_mov_b32_e32 v2, s30
	s_mov_b32 s30, 2
	s_andn2_b64 exec, exec, s[52:53]
	s_cbranch_execz .LBB12_1266
.LBB12_816:                             ;   Parent Loop BB12_47 Depth=1
                                        ; =>  This Loop Header: Depth=2
                                        ;       Child Loop BB12_824 Depth 3
                                        ;       Child Loop BB12_852 Depth 3
	;; [unrolled: 1-line block ×8, first 2 shown]
                                        ;         Child Loop BB12_929 Depth 4
                                        ;       Child Loop BB12_935 Depth 3
                                        ;         Child Loop BB12_968 Depth 4
                                        ;       Child Loop BB12_976 Depth 3
                                        ;       Child Loop BB12_1012 Depth 3
                                        ;         Child Loop BB12_1017 Depth 4
                                        ;       Child Loop BB12_1153 Depth 3
                                        ;       Child Loop BB12_1176 Depth 3
	s_and_saveexec_b64 s[24:25], s[0:1]
	s_cbranch_execz .LBB12_818
; %bb.817:                              ;   in Loop: Header=BB12_816 Depth=2
	s_trap 2
	ds_read2_b64 v[8:11], v0 offset1:1
	ds_read_b64 v[12:13], v0
	v_ashrrev_i32_e32 v23, 31, v22
	v_lshlrev_b64 v[14:15], 1, v[22:23]
	s_waitcnt lgkmcnt(0)
	v_lshl_add_u64 v[8:9], v[8:9], 0, v[58:59]
	v_lshl_add_u64 v[8:9], v[8:9], 0, v[14:15]
	ds_write_b64 v0, v[8:9]
	v_lshl_add_u64 v[8:9], v[10:11], 0, v[58:59]
	v_lshl_add_u64 v[8:9], v[8:9], 0, v[14:15]
	ds_write_b64 v0, v[8:9]
	v_lshl_add_u64 v[8:9], v[12:13], 0, v[58:59]
	v_lshl_add_u64 v[8:9], v[8:9], 0, v[14:15]
	v_cmp_ne_u64_e32 vcc, 0, v[12:13]
	s_nop 1
	v_cndmask_b32_e32 v9, 0, v9, vcc
	v_cndmask_b32_e32 v8, 0, v8, vcc
	ds_write_b64 v0, v[8:9]
.LBB12_818:                             ;   in Loop: Header=BB12_816 Depth=2
	s_or_b64 exec, exec, s[24:25]
	v_sub_u32_e32 v2, v111, v22
	v_min_i32_e32 v20, v20, v2
	v_and_b32_e32 v2, 12, v94
	v_cmp_ne_u32_e32 vcc, 0, v2
	s_and_saveexec_b64 s[26:27], vcc
	s_cbranch_execz .LBB12_844
; %bb.819:                              ;   in Loop: Header=BB12_816 Depth=2
	v_and_b32_e32 v2, 8, v94
	s_waitcnt vmcnt(0) lgkmcnt(0)
	v_lshl_add_u64 v[10:11], v[38:39], 0, v[2:3]
	v_lshl_add_u64 v[8:9], v[44:45], 0, 2
	v_cmp_lt_u64_e32 vcc, v[10:11], v[8:9]
	s_and_saveexec_b64 s[28:29], vcc
	s_cbranch_execz .LBB12_831
; %bb.820:                              ;   in Loop: Header=BB12_816 Depth=2
	v_and_b32_e32 v10, 64, v94
	s_mov_b32 s74, 0
	v_cmp_eq_u32_e32 vcc, 0, v10
	s_mov_b64 s[40:41], 0
                                        ; implicit-def: $sgpr42_sgpr43
                                        ; implicit-def: $sgpr44_sgpr45
                                        ; implicit-def: $sgpr46_sgpr47
	s_branch .LBB12_824
.LBB12_821:                             ;   in Loop: Header=BB12_824 Depth=3
	s_waitcnt vmcnt(0) lgkmcnt(0)
	v_lshl_add_u64 v[12:13], v[38:39], 0, v[2:3]
	v_cmp_ge_u64_e64 s[24:25], v[12:13], v[8:9]
	s_or_b64 s[60:61], s[60:61], exec
	s_orn2_b64 s[58:59], s[24:25], exec
.LBB12_822:                             ;   in Loop: Header=BB12_824 Depth=3
	s_or_b64 exec, exec, s[66:67]
	s_andn2_b64 s[24:25], s[46:47], exec
	s_and_b64 s[46:47], s[60:61], exec
	s_or_b64 s[46:47], s[24:25], s[46:47]
	s_andn2_b64 s[24:25], s[44:45], exec
	s_and_b64 s[44:45], s[58:59], exec
	s_or_b64 s[44:45], s[24:25], s[44:45]
.LBB12_823:                             ;   in Loop: Header=BB12_824 Depth=3
	s_or_b64 exec, exec, s[56:57]
	s_and_b64 s[24:25], exec, s[44:45]
	s_or_b64 s[40:41], s[24:25], s[40:41]
	s_andn2_b64 s[24:25], s[42:43], exec
	s_and_b64 s[42:43], s[46:47], exec
	s_or_b64 s[42:43], s[24:25], s[42:43]
	s_andn2_b64 exec, exec, s[40:41]
	s_cbranch_execz .LBB12_828
.LBB12_824:                             ;   Parent Loop BB12_47 Depth=1
                                        ;     Parent Loop BB12_816 Depth=2
                                        ; =>    This Inner Loop Header: Depth=3
	s_sleep 1
	s_waitcnt vmcnt(0) lgkmcnt(0)
	flat_load_dwordx2 v[38:39], v[32:33] sc0 sc1
	s_or_b64 s[46:47], s[46:47], exec
	s_or_b64 s[44:45], s[44:45], exec
                                        ; implicit-def: $vgpr10
	s_and_saveexec_b64 s[56:57], vcc
	s_cbranch_execz .LBB12_823
; %bb.825:                              ;   in Loop: Header=BB12_824 Depth=3
	s_cmpk_lt_i32 s74, 0x270f
	s_cselect_b64 s[64:65], -1, 0
	s_cmpk_gt_i32 s74, 0x270e
	s_mov_b64 s[58:59], -1
	s_cbranch_scc0 .LBB12_827
; %bb.826:                              ;   in Loop: Header=BB12_824 Depth=3
	s_trap 2
	ds_read_b64 v[10:11], v0
	s_andn2_b64 s[64:65], s[64:65], exec
	s_mov_b32 s74, 0
	s_mov_b64 s[60:61], 0
	s_waitcnt vmcnt(0) lgkmcnt(0)
	flat_load_dword v10, v[10:11] sc0 sc1
	s_waitcnt vmcnt(0) lgkmcnt(0)
	buffer_inv sc0 sc1
	v_cmp_eq_u32_e64 s[24:25], 0, v10
	s_and_b64 s[24:25], s[24:25], exec
	s_or_b64 s[64:65], s[64:65], s[24:25]
	s_and_saveexec_b64 s[66:67], s[64:65]
	s_cbranch_execz .LBB12_822
	s_branch .LBB12_821
.LBB12_827:                             ;   in Loop: Header=BB12_824 Depth=3
	s_add_i32 s74, s74, 1
	s_mov_b64 s[60:61], -1
                                        ; implicit-def: $vgpr10
	s_and_saveexec_b64 s[66:67], s[64:65]
	s_cbranch_execz .LBB12_822
	s_branch .LBB12_821
.LBB12_828:                             ;   in Loop: Header=BB12_816 Depth=2
	s_or_b64 exec, exec, s[40:41]
	s_xor_b64 s[24:25], s[42:43], -1
	s_and_saveexec_b64 s[40:41], s[24:25]
	s_xor_b64 s[24:25], exec, s[40:41]
	s_cbranch_execz .LBB12_830
; %bb.829:                              ;   in Loop: Header=BB12_816 Depth=2
	v_or_b32_e32 v94, 64, v94
	s_waitcnt lgkmcnt(0)
	ds_write_b32 v0, v10
	s_trap 2
.LBB12_830:                             ;   in Loop: Header=BB12_816 Depth=2
	s_or_b64 exec, exec, s[24:25]
.LBB12_831:                             ;   in Loop: Header=BB12_816 Depth=2
	s_or_b64 exec, exec, s[28:29]
	v_and_b32_e32 v10, 0x108, v94
	v_cmp_ne_u32_e32 vcc, s72, v10
	;;#ASMSTART
	s_wakeup
	;;#ASMEND
                                        ; implicit-def: $vgpr10_vgpr11
	s_and_saveexec_b64 s[24:25], vcc
	s_xor_b64 s[24:25], exec, s[24:25]
; %bb.832:                              ;   in Loop: Header=BB12_816 Depth=2
	v_and_b32_e32 v10, 7, v44
	v_mov_b32_e32 v11, v3
                                        ; implicit-def: $vgpr44_vgpr45
; %bb.833:                              ;   in Loop: Header=BB12_816 Depth=2
	s_andn2_saveexec_b64 s[24:25], s[24:25]
	s_cbranch_execz .LBB12_835
; %bb.834:                              ;   in Loop: Header=BB12_816 Depth=2
	v_and_b32_e32 v10, 7, v44
	v_ashrrev_i32_e32 v21, 31, v20
	v_mov_b32_e32 v11, v3
	v_mad_u64_u32 v[12:13], s[28:29], v10, 24, v[6:7]
	v_lshlrev_b64 v[14:15], 1, v[20:21]
	flat_store_dwordx2 v[12:13], v[14:15] offset:8
.LBB12_835:                             ;   in Loop: Header=BB12_816 Depth=2
	s_or_b64 exec, exec, s[24:25]
	v_and_b32_e32 v12, 0x100, v94
	v_cmp_ne_u32_e32 vcc, 0, v12
	s_mov_b64 s[24:25], -1
                                        ; implicit-def: $vgpr12_vgpr13
	s_and_saveexec_b64 s[28:29], vcc
	s_cbranch_execz .LBB12_839
; %bb.836:                              ;   in Loop: Header=BB12_816 Depth=2
	v_mad_u64_u32 v[14:15], s[24:25], v10, 24, v[6:7]
	v_mov_b32_e32 v12, v15
	v_mad_u64_u32 v[12:13], s[24:25], v11, 24, v[12:13]
	v_mov_b32_e32 v15, v12
	flat_load_dword v12, v[14:15]
	s_waitcnt vmcnt(0) lgkmcnt(0)
	v_cmp_ne_u32_e32 vcc, 1, v12
	v_cmp_eq_u32_e64 s[24:25], 1, v12
                                        ; implicit-def: $vgpr12_vgpr13
	s_and_saveexec_b64 s[40:41], s[24:25]
	s_cbranch_execz .LBB12_838
; %bb.837:                              ;   in Loop: Header=BB12_816 Depth=2
	flat_load_dword v12, v[14:15] offset:4 sc0 sc1
	s_waitcnt vmcnt(0) lgkmcnt(0)
	v_ashrrev_i32_e32 v13, 31, v12
	v_lshrrev_b64 v[12:13], 1, v[12:13]
.LBB12_838:                             ;   in Loop: Header=BB12_816 Depth=2
	s_or_b64 exec, exec, s[40:41]
	s_orn2_b64 s[24:25], vcc, exec
.LBB12_839:                             ;   in Loop: Header=BB12_816 Depth=2
	s_or_b64 exec, exec, s[28:29]
	s_and_saveexec_b64 s[28:29], s[24:25]
; %bb.840:                              ;   in Loop: Header=BB12_816 Depth=2
	v_mul_lo_u32 v11, v11, v30
	v_mul_lo_u32 v14, v10, v51
	v_mad_u64_u32 v[12:13], s[24:25], v10, v30, 0
	v_add3_u32 v13, v13, v14, v11
; %bb.841:                              ;   in Loop: Header=BB12_816 Depth=2
	s_or_b64 exec, exec, s[28:29]
	v_cmp_eq_u32_e32 vcc, 0, v2
	v_lshl_add_u64 v[10:11], v[12:13], 1, v[34:35]
	s_nop 0
	v_cndmask_b32_e32 v2, v109, v108, vcc
	v_add_u32_e32 v2, v0, v2
	ds_write_b64 v2, v[10:11] offset:584
	v_and_b32_e32 v2, 0x2000, v94
	v_cmp_ne_u32_e32 vcc, 0, v2
	s_and_saveexec_b64 s[24:25], vcc
	s_cbranch_execz .LBB12_843
; %bb.842:                              ;   in Loop: Header=BB12_816 Depth=2
	ds_read_b64 v[10:11], v0 offset:872
	s_waitcnt lgkmcnt(0)
	v_lshl_add_u64 v[10:11], v[10:11], 0, 1
	ds_write_b64 v0, v[10:11] offset:872
.LBB12_843:                             ;   in Loop: Header=BB12_816 Depth=2
	s_or_b64 exec, exec, s[24:25]
	v_mov_b64_e32 v[44:45], v[8:9]
.LBB12_844:                             ;   in Loop: Header=BB12_816 Depth=2
	s_or_b64 exec, exec, s[26:27]
	s_and_saveexec_b64 s[24:25], s[4:5]
	s_cbranch_execz .LBB12_863
; %bb.845:                              ;   in Loop: Header=BB12_816 Depth=2
	s_and_saveexec_b64 s[26:27], s[76:77]
	s_xor_b64 s[26:27], exec, s[26:27]
	s_cbranch_execz .LBB12_860
; %bb.846:                              ;   in Loop: Header=BB12_816 Depth=2
	s_and_saveexec_b64 s[28:29], s[12:13]
	s_cbranch_execz .LBB12_859
; %bb.847:                              ;   in Loop: Header=BB12_816 Depth=2
	s_mov_b64 s[42:43], exec
	v_mbcnt_lo_u32_b32 v2, s42, 0
	v_mbcnt_hi_u32_b32 v2, s43, v2
	v_cmp_eq_u32_e32 vcc, 0, v2
	s_waitcnt lgkmcnt(0)
	s_and_saveexec_b64 s[40:41], vcc
	s_cbranch_execz .LBB12_849
; %bb.848:                              ;   in Loop: Header=BB12_816 Depth=2
	s_bcnt1_i32_b64 s42, s[42:43]
	v_mov_b32_e32 v2, s42
	ds_add_u64 v0, v[2:3]
	s_trap 2
.LBB12_849:                             ;   in Loop: Header=BB12_816 Depth=2
	s_or_b64 exec, exec, s[40:41]
	s_trap 2
	ds_read_b64 v[8:9], v0
	s_waitcnt lgkmcnt(0)
	v_lshl_add_u64 v[48:49], v[48:49], 0, v[52:53]
	v_cmp_lt_u64_e32 vcc, v[8:9], v[48:49]
	s_and_saveexec_b64 s[40:41], vcc
	s_cbranch_execz .LBB12_858
; %bb.850:                              ;   in Loop: Header=BB12_816 Depth=2
	s_mov_b32 s74, 0
	s_mov_b64 s[42:43], 0
                                        ; implicit-def: $sgpr44_sgpr45
                                        ; implicit-def: $sgpr46_sgpr47
	s_branch .LBB12_852
.LBB12_851:                             ;   in Loop: Header=BB12_852 Depth=3
	s_or_b64 exec, exec, s[58:59]
	s_and_b64 s[56:57], exec, s[60:61]
	s_or_b64 s[42:43], s[56:57], s[42:43]
	s_andn2_b64 s[44:45], s[44:45], exec
	s_and_b64 s[56:57], s[46:47], exec
	s_or_b64 s[44:45], s[44:45], s[56:57]
	s_andn2_b64 exec, exec, s[42:43]
	s_cbranch_execz .LBB12_856
.LBB12_852:                             ;   Parent Loop BB12_47 Depth=1
                                        ;     Parent Loop BB12_816 Depth=2
                                        ; =>    This Inner Loop Header: Depth=3
	s_add_i32 s74, s74, 1
	s_cmpk_lg_i32 s74, 0x2710
	s_cselect_b64 s[56:57], -1, 0
	s_and_b64 vcc, exec, s[56:57]
	s_cbranch_vccz .LBB12_854
; %bb.853:                              ;   in Loop: Header=BB12_852 Depth=3
	s_mov_b64 s[60:61], -1
	s_or_b64 s[46:47], s[46:47], exec
	s_and_saveexec_b64 s[58:59], s[56:57]
	s_cbranch_execz .LBB12_851
	s_branch .LBB12_855
.LBB12_854:                             ;   in Loop: Header=BB12_852 Depth=3
	s_trap 2
	ds_read_b64 v[8:9], v0
	s_andn2_b64 s[56:57], s[56:57], exec
	s_mov_b32 s74, 0
	s_waitcnt vmcnt(0) lgkmcnt(0)
	flat_load_dword v2, v[8:9] sc0 sc1
	s_waitcnt vmcnt(0) lgkmcnt(0)
	buffer_inv sc0 sc1
	v_cmp_eq_u32_e32 vcc, 0, v2
	s_and_b64 s[58:59], vcc, exec
	s_or_b64 s[56:57], s[56:57], s[58:59]
	s_mov_b64 s[60:61], -1
	s_or_b64 s[46:47], s[46:47], exec
	s_and_saveexec_b64 s[58:59], s[56:57]
	s_cbranch_execz .LBB12_851
.LBB12_855:                             ;   in Loop: Header=BB12_852 Depth=3
	s_sleep 1
	s_trap 2
	ds_read_b64 v[8:9], v0
	s_waitcnt lgkmcnt(0)
	s_andn2_b64 s[46:47], s[46:47], exec
	v_cmp_ge_u64_e32 vcc, v[8:9], v[48:49]
	s_orn2_b64 s[60:61], vcc, exec
	s_branch .LBB12_851
.LBB12_856:                             ;   in Loop: Header=BB12_816 Depth=2
	s_or_b64 exec, exec, s[42:43]
	s_and_saveexec_b64 s[42:43], s[44:45]
	s_xor_b64 s[42:43], exec, s[42:43]
	s_cbranch_execz .LBB12_858
; %bb.857:                              ;   in Loop: Header=BB12_816 Depth=2
	ds_write_b32 v0, v106
	s_trap 2
.LBB12_858:                             ;   in Loop: Header=BB12_816 Depth=2
	s_or_b64 exec, exec, s[40:41]
	;;#ASMSTART
	s_wakeup
	;;#ASMEND
.LBB12_859:                             ;   in Loop: Header=BB12_816 Depth=2
	s_or_b64 exec, exec, s[28:29]
.LBB12_860:                             ;   in Loop: Header=BB12_816 Depth=2
	s_andn2_saveexec_b64 s[26:27], s[26:27]
	s_cbranch_execz .LBB12_862
; %bb.861:                              ;   in Loop: Header=BB12_816 Depth=2
	s_waitcnt lgkmcnt(0)
	s_barrier
.LBB12_862:                             ;   in Loop: Header=BB12_816 Depth=2
	s_or_b64 exec, exec, s[26:27]
.LBB12_863:                             ;   in Loop: Header=BB12_816 Depth=2
	s_or_b64 exec, exec, s[24:25]
	s_trap 2
	ds_read_b32 v8, v0
	v_and_b32_e32 v2, 0x4000, v94
	v_cmp_ne_u32_e32 vcc, 0, v2
	s_xor_b64 s[24:25], s[2:3], -1
	s_and_b64 s[26:27], s[24:25], vcc
	s_and_saveexec_b64 s[24:25], s[26:27]
	s_cbranch_execz .LBB12_882
; %bb.864:                              ;   in Loop: Header=BB12_816 Depth=2
	s_and_saveexec_b64 s[26:27], s[76:77]
	s_xor_b64 s[26:27], exec, s[26:27]
	s_cbranch_execz .LBB12_879
; %bb.865:                              ;   in Loop: Header=BB12_816 Depth=2
	s_and_saveexec_b64 s[28:29], s[12:13]
	s_cbranch_execz .LBB12_878
; %bb.866:                              ;   in Loop: Header=BB12_816 Depth=2
	s_mov_b64 s[42:43], exec
	v_mbcnt_lo_u32_b32 v2, s42, 0
	v_mbcnt_hi_u32_b32 v2, s43, v2
	v_cmp_eq_u32_e32 vcc, 0, v2
	s_waitcnt lgkmcnt(0)
	s_and_saveexec_b64 s[40:41], vcc
	s_cbranch_execz .LBB12_868
; %bb.867:                              ;   in Loop: Header=BB12_816 Depth=2
	s_bcnt1_i32_b64 s42, s[42:43]
	v_mov_b32_e32 v2, s42
	ds_add_u64 v0, v[2:3]
	s_trap 2
.LBB12_868:                             ;   in Loop: Header=BB12_816 Depth=2
	s_or_b64 exec, exec, s[40:41]
	s_trap 2
	ds_read_b64 v[10:11], v0
	s_waitcnt lgkmcnt(0)
	v_lshl_add_u64 v[48:49], v[48:49], 0, v[52:53]
	v_cmp_lt_u64_e32 vcc, v[10:11], v[48:49]
	s_and_saveexec_b64 s[40:41], vcc
	s_cbranch_execz .LBB12_877
; %bb.869:                              ;   in Loop: Header=BB12_816 Depth=2
	s_mov_b32 s74, 0
	s_mov_b64 s[42:43], 0
                                        ; implicit-def: $sgpr44_sgpr45
                                        ; implicit-def: $sgpr46_sgpr47
	s_branch .LBB12_871
.LBB12_870:                             ;   in Loop: Header=BB12_871 Depth=3
	s_or_b64 exec, exec, s[58:59]
	s_and_b64 s[56:57], exec, s[60:61]
	s_or_b64 s[42:43], s[56:57], s[42:43]
	s_andn2_b64 s[44:45], s[44:45], exec
	s_and_b64 s[56:57], s[46:47], exec
	s_or_b64 s[44:45], s[44:45], s[56:57]
	s_andn2_b64 exec, exec, s[42:43]
	s_cbranch_execz .LBB12_875
.LBB12_871:                             ;   Parent Loop BB12_47 Depth=1
                                        ;     Parent Loop BB12_816 Depth=2
                                        ; =>    This Inner Loop Header: Depth=3
	s_add_i32 s74, s74, 1
	s_cmpk_lg_i32 s74, 0x2710
	s_cselect_b64 s[56:57], -1, 0
	s_and_b64 vcc, exec, s[56:57]
	s_cbranch_vccz .LBB12_873
; %bb.872:                              ;   in Loop: Header=BB12_871 Depth=3
	s_mov_b64 s[60:61], -1
	s_or_b64 s[46:47], s[46:47], exec
	s_and_saveexec_b64 s[58:59], s[56:57]
	s_cbranch_execz .LBB12_870
	s_branch .LBB12_874
.LBB12_873:                             ;   in Loop: Header=BB12_871 Depth=3
	s_trap 2
	ds_read_b64 v[10:11], v0
	s_andn2_b64 s[56:57], s[56:57], exec
	s_mov_b32 s74, 0
	s_waitcnt vmcnt(0) lgkmcnt(0)
	flat_load_dword v2, v[10:11] sc0 sc1
	s_waitcnt vmcnt(0) lgkmcnt(0)
	buffer_inv sc0 sc1
	v_cmp_eq_u32_e32 vcc, 0, v2
	s_and_b64 s[58:59], vcc, exec
	s_or_b64 s[56:57], s[56:57], s[58:59]
	s_mov_b64 s[60:61], -1
	s_or_b64 s[46:47], s[46:47], exec
	s_and_saveexec_b64 s[58:59], s[56:57]
	s_cbranch_execz .LBB12_870
.LBB12_874:                             ;   in Loop: Header=BB12_871 Depth=3
	s_sleep 1
	s_trap 2
	ds_read_b64 v[10:11], v0
	s_waitcnt lgkmcnt(0)
	s_andn2_b64 s[46:47], s[46:47], exec
	v_cmp_ge_u64_e32 vcc, v[10:11], v[48:49]
	s_orn2_b64 s[60:61], vcc, exec
	s_branch .LBB12_870
.LBB12_875:                             ;   in Loop: Header=BB12_816 Depth=2
	s_or_b64 exec, exec, s[42:43]
	s_and_saveexec_b64 s[42:43], s[44:45]
	s_xor_b64 s[42:43], exec, s[42:43]
	s_cbranch_execz .LBB12_877
; %bb.876:                              ;   in Loop: Header=BB12_816 Depth=2
	ds_write_b32 v0, v106
	s_trap 2
.LBB12_877:                             ;   in Loop: Header=BB12_816 Depth=2
	s_or_b64 exec, exec, s[40:41]
	;;#ASMSTART
	s_wakeup
	;;#ASMEND
.LBB12_878:                             ;   in Loop: Header=BB12_816 Depth=2
	s_or_b64 exec, exec, s[28:29]
.LBB12_879:                             ;   in Loop: Header=BB12_816 Depth=2
	s_andn2_saveexec_b64 s[26:27], s[26:27]
	s_cbranch_execz .LBB12_881
; %bb.880:                              ;   in Loop: Header=BB12_816 Depth=2
	s_waitcnt lgkmcnt(0)
	s_barrier
.LBB12_881:                             ;   in Loop: Header=BB12_816 Depth=2
	s_or_b64 exec, exec, s[26:27]
.LBB12_882:                             ;   in Loop: Header=BB12_816 Depth=2
	s_or_b64 exec, exec, s[24:25]
	s_trap 2
	ds_read_b64 v[62:63], v0
	s_waitcnt lgkmcnt(0)
	v_cmp_eq_u64_e32 vcc, 0, v[62:63]
	s_cbranch_vccnz .LBB12_891
; %bb.883:                              ;   in Loop: Header=BB12_816 Depth=2
	s_trap 2
	ds_read_b64 v[60:61], v0
	s_waitcnt lgkmcnt(0)
	v_cmp_eq_u64_e32 vcc, 0, v[60:61]
	s_cbranch_vccnz .LBB12_891
; %bb.884:                              ;   in Loop: Header=BB12_816 Depth=2
	s_trap 2
	ds_read_b64 v[72:73], v0
	v_cmp_eq_u32_e32 vcc, 0, v8
	s_waitcnt lgkmcnt(0)
	v_readfirstlane_b32 s31, v72
	v_cndmask_b32_e32 v21, 0, v20, vcc
	v_cmp_ne_u64_e32 vcc, 0, v[72:73]
	s_cbranch_vccz .LBB12_892
; %bb.885:                              ;   in Loop: Header=BB12_816 Depth=2
	s_trap 2
	ds_read_b64 v[74:75], v0
	s_mov_b64 s[24:25], -1
	s_and_saveexec_b64 s[26:27], s[18:19]
	s_cbranch_execz .LBB12_887
; %bb.886:                              ;   in Loop: Header=BB12_816 Depth=2
	ds_read_b32 v2, v0 offset:720
	s_waitcnt lgkmcnt(0)
	v_and_b32_e32 v2, 15, v2
	v_cmp_eq_u32_e32 vcc, 0, v2
	s_orn2_b64 s[24:25], vcc, exec
.LBB12_887:                             ;   in Loop: Header=BB12_816 Depth=2
	s_or_b64 exec, exec, s[26:27]
	s_and_saveexec_b64 s[26:27], s[18:19]
	s_cbranch_execz .LBB12_889
; %bb.888:                              ;   in Loop: Header=BB12_816 Depth=2
	ds_read_b32 v2, v0 offset:784
	s_waitcnt lgkmcnt(0)
	v_and_b32_e32 v2, 15, v2
	v_cmp_eq_u32_e32 vcc, 0, v2
	s_and_b64 s[28:29], s[24:25], vcc
	s_andn2_b64 s[24:25], s[24:25], exec
	s_and_b64 s[28:29], s[28:29], exec
	s_or_b64 s[24:25], s[24:25], s[28:29]
.LBB12_889:                             ;   in Loop: Header=BB12_816 Depth=2
	s_or_b64 exec, exec, s[26:27]
	s_xor_b64 s[24:25], s[24:25], -1
	v_cndmask_b32_e64 v8, 0, 1, s[24:25]
	v_lshlrev_b32_e32 v23, 1, v21
	s_mov_b64 s[26:27], -1
	v_mov_b32_e32 v2, 0
	v_cmp_ne_u32_e32 vcc, 0, v8
	s_cbranch_vccz .LBB12_894
; %bb.890:                              ;   in Loop: Header=BB12_816 Depth=2
	v_mov_b32_e32 v18, v0
	s_and_saveexec_b64 s[40:41], s[26:27]
	s_cbranch_execnz .LBB12_973
	s_branch .LBB12_1019
.LBB12_891:                             ;   in Loop: Header=BB12_816 Depth=2
	s_mov_b64 s[24:25], 0
	s_and_saveexec_b64 s[26:27], s[4:5]
	s_cbranch_execz .LBB12_1164
	s_branch .LBB12_1146
.LBB12_892:                             ;   in Loop: Header=BB12_816 Depth=2
	s_cbranch_execnz .LBB12_1020
.LBB12_893:                             ;   in Loop: Header=BB12_816 Depth=2
	v_cmp_lt_i32_e64 s[24:25], 0, v21
	s_and_saveexec_b64 s[26:27], s[4:5]
	s_cbranch_execnz .LBB12_1146
	s_branch .LBB12_1164
.LBB12_894:                             ;   in Loop: Header=BB12_816 Depth=2
	v_ashrrev_i32_e32 v2, 31, v23
	v_lshrrev_b32_e32 v2, 22, v2
	v_add_u32_e32 v2, v23, v2
	v_and_b32_e32 v121, 0xfffffc00, v2
	v_ashrrev_i32_e32 v8, 10, v2
	v_sub_u32_e32 v123, v23, v121
	v_sub_u32_e32 v2, v8, v104
	v_cmp_lt_i32_e64 s[24:25], 15, v123
	v_sub_u32_e32 v120, v23, v54
	s_nop 0
	v_addc_co_u32_e64 v122, vcc, 0, v2, s[24:25]
	v_cmp_lt_i32_e32 vcc, 15, v120
	s_and_saveexec_b64 s[64:65], vcc
	s_cbranch_execz .LBB12_932
; %bb.895:                              ;   in Loop: Header=BB12_816 Depth=2
	s_trap 2
	ds_read_b64 v[8:9], v0
	s_and_b32 s74, s31, 1
	s_cmp_eq_u64 s[74:75], 0
	s_waitcnt lgkmcnt(0)
	v_lshl_add_u64 v[76:77], v[74:75], 0, v[54:55]
	v_lshl_add_u64 v[78:79], v[60:61], 0, v[54:55]
	;; [unrolled: 1-line block ×5, first 2 shown]
	s_mov_b64 s[66:67], 0
	s_cselect_b64 s[26:27], -1, 0
.LBB12_896:                             ;   Parent Loop BB12_47 Depth=1
                                        ;     Parent Loop BB12_816 Depth=2
                                        ; =>    This Loop Header: Depth=3
                                        ;         Child Loop BB12_929 Depth 4
	global_load_dwordx4 v[12:15], v[92:93], off nt
	global_load_dwordx4 v[16:19], v[90:91], off nt
	;; [unrolled: 1-line block ×3, first 2 shown]
	s_waitcnt vmcnt(0)
	v_lshlrev_b32_e32 v2, 16, v12
	v_lshlrev_b32_e32 v26, 16, v16
	v_max_f32_e32 v2, v2, v2
	v_max_f32_e32 v26, v26, v26
	v_min_f32_e32 v27, v26, v2
	v_max_f32_e32 v2, v26, v2
	v_cndmask_b32_e64 v2, v2, v27, s[26:27]
	v_and_b32_e32 v26, 0x7f800000, v2
	v_cmp_ne_u32_e32 vcc, s73, v26
                                        ; implicit-def: $vgpr26
	s_and_saveexec_b64 s[28:29], vcc
	s_xor_b64 s[28:29], exec, s[28:29]
; %bb.897:                              ;   in Loop: Header=BB12_896 Depth=3
	v_bfe_u32 v26, v2, 16, 1
	v_add3_u32 v26, v2, v26, s62
                                        ; implicit-def: $vgpr2
; %bb.898:                              ;   in Loop: Header=BB12_896 Depth=3
	s_andn2_saveexec_b64 s[28:29], s[28:29]
; %bb.899:                              ;   in Loop: Header=BB12_896 Depth=3
	v_or_b32_e32 v26, 0x10000, v2
	v_cmp_eq_u32_sdwa vcc, v2, v3 src0_sel:WORD_0 src1_sel:DWORD
	s_nop 1
	v_cndmask_b32_e32 v26, v26, v2, vcc
; %bb.900:                              ;   in Loop: Header=BB12_896 Depth=3
	s_or_b64 exec, exec, s[28:29]
	v_and_b32_e32 v2, 0xffff0000, v12
	v_and_b32_e32 v12, 0xffff0000, v16
	v_max_f32_e32 v2, v2, v2
	v_max_f32_e32 v12, v12, v12
	v_min_f32_e32 v16, v12, v2
	v_max_f32_e32 v2, v12, v2
	v_cndmask_b32_e64 v12, v2, v16, s[26:27]
	v_and_b32_e32 v2, 0x7f800000, v12
	v_cmp_ne_u32_e32 vcc, s73, v2
                                        ; implicit-def: $vgpr2
	s_and_saveexec_b64 s[28:29], vcc
	s_xor_b64 s[28:29], exec, s[28:29]
; %bb.901:                              ;   in Loop: Header=BB12_896 Depth=3
	v_bfe_u32 v2, v12, 16, 1
	v_add3_u32 v2, v12, v2, s62
                                        ; implicit-def: $vgpr12
; %bb.902:                              ;   in Loop: Header=BB12_896 Depth=3
	s_andn2_saveexec_b64 s[28:29], s[28:29]
; %bb.903:                              ;   in Loop: Header=BB12_896 Depth=3
	v_or_b32_e32 v2, 0x10000, v12
	v_cmp_eq_u32_sdwa vcc, v12, v3 src0_sel:WORD_0 src1_sel:DWORD
	s_nop 1
	v_cndmask_b32_e32 v2, v2, v12, vcc
; %bb.904:                              ;   in Loop: Header=BB12_896 Depth=3
	s_or_b64 exec, exec, s[28:29]
	v_lshlrev_b32_e32 v12, 16, v13
	v_lshlrev_b32_e32 v16, 16, v17
	v_max_f32_e32 v12, v12, v12
	v_max_f32_e32 v16, v16, v16
	v_min_f32_e32 v27, v16, v12
	v_max_f32_e32 v12, v16, v12
	v_cndmask_b32_e64 v12, v12, v27, s[26:27]
	v_and_b32_e32 v16, 0x7f800000, v12
	v_cmp_ne_u32_e32 vcc, s73, v16
                                        ; implicit-def: $vgpr16
	s_and_saveexec_b64 s[28:29], vcc
	s_xor_b64 s[28:29], exec, s[28:29]
; %bb.905:                              ;   in Loop: Header=BB12_896 Depth=3
	v_bfe_u32 v16, v12, 16, 1
	v_add3_u32 v16, v12, v16, s62
                                        ; implicit-def: $vgpr12
; %bb.906:                              ;   in Loop: Header=BB12_896 Depth=3
	s_andn2_saveexec_b64 s[28:29], s[28:29]
; %bb.907:                              ;   in Loop: Header=BB12_896 Depth=3
	v_or_b32_e32 v16, 0x10000, v12
	v_cmp_eq_u32_sdwa vcc, v12, v3 src0_sel:WORD_0 src1_sel:DWORD
	s_nop 1
	v_cndmask_b32_e32 v16, v16, v12, vcc
; %bb.908:                              ;   in Loop: Header=BB12_896 Depth=3
	s_or_b64 exec, exec, s[28:29]
	v_and_b32_e32 v12, 0xffff0000, v17
	v_and_b32_e32 v13, 0xffff0000, v13
	v_max_f32_e32 v13, v13, v13
	v_max_f32_e32 v12, v12, v12
	v_min_f32_e32 v17, v12, v13
	v_max_f32_e32 v12, v12, v13
	v_cndmask_b32_e64 v13, v12, v17, s[26:27]
	v_and_b32_e32 v12, 0x7f800000, v13
	v_cmp_ne_u32_e32 vcc, s73, v12
                                        ; implicit-def: $vgpr12
	s_and_saveexec_b64 s[28:29], vcc
	s_xor_b64 s[28:29], exec, s[28:29]
; %bb.909:                              ;   in Loop: Header=BB12_896 Depth=3
	v_bfe_u32 v12, v13, 16, 1
	v_add3_u32 v12, v13, v12, s62
                                        ; implicit-def: $vgpr13
; %bb.910:                              ;   in Loop: Header=BB12_896 Depth=3
	s_andn2_saveexec_b64 s[28:29], s[28:29]
; %bb.911:                              ;   in Loop: Header=BB12_896 Depth=3
	v_or_b32_e32 v12, 0x10000, v13
	v_cmp_eq_u32_sdwa vcc, v13, v3 src0_sel:WORD_0 src1_sel:DWORD
	s_nop 1
	v_cndmask_b32_e32 v12, v12, v13, vcc
; %bb.912:                              ;   in Loop: Header=BB12_896 Depth=3
	s_or_b64 exec, exec, s[28:29]
	v_lshlrev_b32_e32 v13, 16, v14
	v_lshlrev_b32_e32 v17, 16, v18
	v_max_f32_e32 v13, v13, v13
	v_max_f32_e32 v17, v17, v17
	v_min_f32_e32 v27, v17, v13
	v_max_f32_e32 v13, v17, v13
	v_cndmask_b32_e64 v13, v13, v27, s[26:27]
	v_and_b32_e32 v17, 0x7f800000, v13
	v_cmp_ne_u32_e32 vcc, s73, v17
                                        ; implicit-def: $vgpr17
	s_and_saveexec_b64 s[28:29], vcc
	s_xor_b64 s[28:29], exec, s[28:29]
; %bb.913:                              ;   in Loop: Header=BB12_896 Depth=3
	v_bfe_u32 v17, v13, 16, 1
	v_add3_u32 v17, v13, v17, s62
                                        ; implicit-def: $vgpr13
; %bb.914:                              ;   in Loop: Header=BB12_896 Depth=3
	s_andn2_saveexec_b64 s[28:29], s[28:29]
; %bb.915:                              ;   in Loop: Header=BB12_896 Depth=3
	v_or_b32_e32 v17, 0x10000, v13
	v_cmp_eq_u32_sdwa vcc, v13, v3 src0_sel:WORD_0 src1_sel:DWORD
	s_nop 1
	v_cndmask_b32_e32 v17, v17, v13, vcc
; %bb.916:                              ;   in Loop: Header=BB12_896 Depth=3
	s_or_b64 exec, exec, s[28:29]
	v_and_b32_e32 v13, 0xffff0000, v18
	v_and_b32_e32 v14, 0xffff0000, v14
	v_max_f32_e32 v14, v14, v14
	v_max_f32_e32 v13, v13, v13
	v_min_f32_e32 v18, v13, v14
	v_max_f32_e32 v13, v13, v14
	v_cndmask_b32_e64 v13, v13, v18, s[26:27]
	v_and_b32_e32 v14, 0x7f800000, v13
	v_cmp_ne_u32_e32 vcc, s73, v14
                                        ; implicit-def: $vgpr18
	s_and_saveexec_b64 s[28:29], vcc
	s_xor_b64 s[28:29], exec, s[28:29]
; %bb.917:                              ;   in Loop: Header=BB12_896 Depth=3
	v_bfe_u32 v14, v13, 16, 1
	v_add3_u32 v18, v13, v14, s62
                                        ; implicit-def: $vgpr13
; %bb.918:                              ;   in Loop: Header=BB12_896 Depth=3
	s_andn2_saveexec_b64 s[28:29], s[28:29]
; %bb.919:                              ;   in Loop: Header=BB12_896 Depth=3
	v_or_b32_e32 v14, 0x10000, v13
	v_cmp_eq_u32_sdwa vcc, v13, v3 src0_sel:WORD_0 src1_sel:DWORD
	s_nop 1
	v_cndmask_b32_e32 v18, v14, v13, vcc
; %bb.920:                              ;   in Loop: Header=BB12_896 Depth=3
	s_or_b64 exec, exec, s[28:29]
	v_lshlrev_b32_e32 v13, 16, v15
	v_lshlrev_b32_e32 v14, 16, v19
	v_max_f32_e32 v13, v13, v13
	v_max_f32_e32 v14, v14, v14
	v_min_f32_e32 v27, v14, v13
	v_max_f32_e32 v13, v14, v13
	v_cndmask_b32_e64 v13, v13, v27, s[26:27]
	v_and_b32_e32 v14, 0x7f800000, v13
	v_cmp_ne_u32_e32 vcc, s73, v14
                                        ; implicit-def: $vgpr14
	s_and_saveexec_b64 s[28:29], vcc
	s_xor_b64 s[28:29], exec, s[28:29]
; %bb.921:                              ;   in Loop: Header=BB12_896 Depth=3
	v_bfe_u32 v14, v13, 16, 1
	v_add3_u32 v14, v13, v14, s62
                                        ; implicit-def: $vgpr13
; %bb.922:                              ;   in Loop: Header=BB12_896 Depth=3
	s_andn2_saveexec_b64 s[28:29], s[28:29]
; %bb.923:                              ;   in Loop: Header=BB12_896 Depth=3
	v_or_b32_e32 v14, 0x10000, v13
	v_cmp_eq_u32_sdwa vcc, v13, v3 src0_sel:WORD_0 src1_sel:DWORD
	s_nop 1
	v_cndmask_b32_e32 v14, v14, v13, vcc
; %bb.924:                              ;   in Loop: Header=BB12_896 Depth=3
	s_or_b64 exec, exec, s[28:29]
	v_and_b32_e32 v13, 0xffff0000, v19
	v_and_b32_e32 v15, 0xffff0000, v15
	v_max_f32_e32 v15, v15, v15
	v_max_f32_e32 v13, v13, v13
	v_min_f32_e32 v19, v13, v15
	v_max_f32_e32 v13, v13, v15
	v_cndmask_b32_e64 v13, v13, v19, s[26:27]
	v_and_b32_e32 v15, 0x7f800000, v13
	v_cmp_ne_u32_e32 vcc, s73, v15
                                        ; implicit-def: $vgpr15
	s_and_saveexec_b64 s[28:29], vcc
	s_xor_b64 s[28:29], exec, s[28:29]
; %bb.925:                              ;   in Loop: Header=BB12_896 Depth=3
	v_bfe_u32 v15, v13, 16, 1
	v_add3_u32 v15, v13, v15, s62
                                        ; implicit-def: $vgpr13
; %bb.926:                              ;   in Loop: Header=BB12_896 Depth=3
	s_andn2_saveexec_b64 s[28:29], s[28:29]
; %bb.927:                              ;   in Loop: Header=BB12_896 Depth=3
	v_or_b32_e32 v15, 0x10000, v13
	v_cmp_eq_u32_sdwa vcc, v13, v3 src0_sel:WORD_0 src1_sel:DWORD
	s_nop 1
	v_cndmask_b32_e32 v15, v15, v13, vcc
; %bb.928:                              ;   in Loop: Header=BB12_896 Depth=3
	s_or_b64 exec, exec, s[28:29]
	v_and_b32_e32 v27, 0xffff0000, v2
	v_or_b32_sdwa v2, v27, v26 dst_sel:DWORD dst_unused:UNUSED_PAD src0_sel:DWORD src1_sel:WORD_1
	v_and_b32_e32 v125, 0xffff0000, v8
	v_and_b32_e32 v26, 0xffff0000, v26
	v_lshlrev_b32_e32 v8, 16, v8
	v_max_f32_e32 v26, v26, v26
	v_max_f32_e32 v8, v8, v8
	v_min_f32_e32 v50, v26, v8
	v_max_f32_e32 v8, v26, v8
	v_cndmask_b32_e64 v8, v8, v50, s[26:27]
	v_and_b32_e32 v26, 0x7f800000, v8
	v_cmp_eq_u32_e32 vcc, s73, v26
	v_bfe_u32 v26, v8, 16, 1
	v_cmp_eq_u32_sdwa s[28:29], v8, v3 src0_sel:WORD_0 src1_sel:DWORD
	v_or_b32_e32 v50, 0x10000, v8
	v_add3_u32 v26, v8, v26, s62
	v_cndmask_b32_e64 v8, v50, v8, s[28:29]
	v_max_f32_e32 v27, v27, v27
	v_max_f32_e32 v50, v125, v125
	v_min_f32_e32 v125, v27, v50
	v_max_f32_e32 v27, v27, v50
	v_cndmask_b32_e64 v27, v27, v125, s[26:27]
	v_and_b32_e32 v50, 0x7f800000, v27
	v_and_b32_e32 v19, 0xffff0000, v12
	v_cmp_eq_u32_e64 s[28:29], s73, v50
	v_bfe_u32 v50, v27, 16, 1
	v_cmp_eq_u32_sdwa s[40:41], v27, v3 src0_sel:WORD_0 src1_sel:DWORD
	v_or_b32_e32 v125, 0x10000, v27
	v_or_b32_sdwa v13, v19, v16 dst_sel:DWORD dst_unused:UNUSED_PAD src0_sel:DWORD src1_sel:WORD_1
	v_add3_u32 v50, v27, v50, s62
	v_cndmask_b32_e64 v27, v125, v27, s[40:41]
	v_and_b32_e32 v125, 0xffff0000, v9
	v_and_b32_e32 v16, 0xffff0000, v16
	v_lshlrev_b32_e32 v9, 16, v9
	v_max_f32_e32 v16, v16, v16
	v_max_f32_e32 v9, v9, v9
	v_min_f32_e32 v24, v16, v9
	v_max_f32_e32 v9, v16, v9
	v_cndmask_b32_e64 v9, v9, v24, s[26:27]
	v_and_b32_e32 v16, 0x7f800000, v9
	v_cmp_eq_u32_e64 s[40:41], s73, v16
	v_bfe_u32 v16, v9, 16, 1
	v_cmp_eq_u32_sdwa s[42:43], v9, v3 src0_sel:WORD_0 src1_sel:DWORD
	v_or_b32_e32 v24, 0x10000, v9
	v_add3_u32 v16, v9, v16, s62
	v_cndmask_b32_e64 v9, v24, v9, s[42:43]
	v_max_f32_e32 v19, v19, v19
	v_max_f32_e32 v24, v125, v125
	v_min_f32_e32 v25, v19, v24
	v_max_f32_e32 v19, v19, v24
	v_cndmask_b32_e64 v19, v19, v25, s[26:27]
	v_and_b32_e32 v24, 0x7f800000, v19
	v_and_b32_e32 v18, 0xffff0000, v18
	v_cmp_eq_u32_e64 s[42:43], s73, v24
	v_bfe_u32 v24, v19, 16, 1
	v_cmp_eq_u32_sdwa s[44:45], v19, v3 src0_sel:WORD_0 src1_sel:DWORD
	v_or_b32_e32 v25, 0x10000, v19
	v_or_b32_sdwa v12, v18, v17 dst_sel:DWORD dst_unused:UNUSED_PAD src0_sel:DWORD src1_sel:WORD_1
	v_add3_u32 v24, v19, v24, s62
	v_cndmask_b32_e64 v19, v25, v19, s[44:45]
	v_and_b32_e32 v25, 0xffff0000, v10
	v_and_b32_e32 v17, 0xffff0000, v17
	v_lshlrev_b32_e32 v10, 16, v10
	v_max_f32_e32 v17, v17, v17
	v_max_f32_e32 v10, v10, v10
	v_min_f32_e32 v125, v17, v10
	v_max_f32_e32 v10, v17, v10
	v_cndmask_b32_e64 v10, v10, v125, s[26:27]
	v_and_b32_e32 v17, 0x7f800000, v10
	v_cmp_eq_u32_e64 s[44:45], s73, v17
	v_bfe_u32 v17, v10, 16, 1
	v_cmp_eq_u32_sdwa s[46:47], v10, v3 src0_sel:WORD_0 src1_sel:DWORD
	v_or_b32_e32 v125, 0x10000, v10
	v_max_f32_e32 v18, v18, v18
	v_max_f32_e32 v25, v25, v25
	v_add3_u32 v17, v10, v17, s62
	v_cndmask_b32_e64 v10, v125, v10, s[46:47]
	v_min_f32_e32 v125, v18, v25
	v_max_f32_e32 v18, v18, v25
	v_cndmask_b32_e64 v18, v18, v125, s[26:27]
	v_and_b32_e32 v25, 0x7f800000, v18
	v_and_b32_e32 v124, 0xffff0000, v15
	v_cmp_eq_u32_e64 s[46:47], s73, v25
	v_bfe_u32 v25, v18, 16, 1
	v_cmp_eq_u32_sdwa s[56:57], v18, v3 src0_sel:WORD_0 src1_sel:DWORD
	v_or_b32_e32 v125, 0x10000, v18
	v_or_b32_sdwa v15, v124, v14 dst_sel:DWORD dst_unused:UNUSED_PAD src0_sel:DWORD src1_sel:WORD_1
	v_add3_u32 v25, v18, v25, s62
	v_cndmask_b32_e64 v18, v125, v18, s[56:57]
	v_and_b32_e32 v125, 0xffff0000, v11
	v_and_b32_e32 v14, 0xffff0000, v14
	v_lshlrev_b32_e32 v11, 16, v11
	v_max_f32_e32 v14, v14, v14
	v_max_f32_e32 v11, v11, v11
	v_min_f32_e32 v64, v14, v11
	v_max_f32_e32 v11, v14, v11
	v_cndmask_b32_e64 v11, v11, v64, s[26:27]
	v_and_b32_e32 v14, 0x7f800000, v11
	v_cmp_eq_u32_e64 s[56:57], s73, v14
	v_bfe_u32 v14, v11, 16, 1
	v_cmp_eq_u32_sdwa s[58:59], v11, v3 src0_sel:WORD_0 src1_sel:DWORD
	v_or_b32_e32 v64, 0x10000, v11
	v_add3_u32 v14, v11, v14, s62
	v_cndmask_b32_e64 v11, v64, v11, s[58:59]
	v_max_f32_e32 v64, v124, v124
	v_max_f32_e32 v65, v125, v125
	v_min_f32_e32 v124, v64, v65
	v_max_f32_e32 v64, v64, v65
	v_cndmask_b32_e64 v64, v64, v124, s[26:27]
	v_and_b32_e32 v65, 0x7f800000, v64
	v_cmp_eq_u32_e64 s[58:59], s73, v65
	v_bfe_u32 v65, v64, 16, 1
	v_cmp_eq_u32_sdwa s[60:61], v64, v3 src0_sel:WORD_0 src1_sel:DWORD
	v_or_b32_e32 v124, 0x10000, v64
	v_add3_u32 v65, v64, v65, s62
	v_cndmask_b32_e64 v64, v124, v64, s[60:61]
	v_cndmask_b32_e32 v8, v26, v8, vcc
	v_cndmask_b32_e64 v9, v16, v9, s[40:41]
	v_cndmask_b32_e64 v10, v17, v10, s[44:45]
	v_cndmask_b32_e64 v11, v14, v11, s[56:57]
	v_cndmask_b32_e64 v26, v50, v27, s[28:29]
	v_cndmask_b32_e64 v16, v24, v19, s[42:43]
	v_cndmask_b32_e64 v17, v25, v18, s[46:47]
	v_cndmask_b32_e64 v14, v65, v64, s[58:59]
	v_lshrrev_b32_e32 v9, 16, v9
	v_lshrrev_b32_e32 v8, 16, v8
	;; [unrolled: 1-line block ×4, first 2 shown]
	v_and_or_b32 v9, v16, s63, v9
	v_and_or_b32 v8, v26, s63, v8
	;; [unrolled: 1-line block ×4, first 2 shown]
	s_mov_b64 s[40:41], 0
	s_mov_b64 s[28:29], -1
.LBB12_929:                             ;   Parent Loop BB12_47 Depth=1
                                        ;     Parent Loop BB12_816 Depth=2
                                        ;       Parent Loop BB12_896 Depth=3
                                        ; =>      This Inner Loop Header: Depth=4
	v_cndmask_b32_e64 v14, 0, 1, s[28:29]
	v_cmp_ne_u32_e32 vcc, 1, v14
	s_cmp_eq_u32 s40, 1
	v_cndmask_b32_e64 v17, v13, v9, s[28:29]
	v_cndmask_b32_e64 v16, v2, v8, s[28:29]
	;; [unrolled: 1-line block ×4, first 2 shown]
	v_cndmask_b32_e32 v27, v79, v89, vcc
	v_cndmask_b32_e32 v26, v78, v88, vcc
	s_cselect_b64 vcc, -1, 0
	global_store_dwordx4 v[26:27], v[16:19], off
	s_cmp_eq_u32 s40, 0
	s_mov_b64 s[40:41], 1
	v_cndmask_b32_e32 v17, v79, v89, vcc
	v_cndmask_b32_e32 v16, v78, v88, vcc
	v_lshl_add_u64 v[16:17], v[16:17], 0, s[88:89]
	v_cndmask_b32_e32 v89, v89, v17, vcc
	v_cndmask_b32_e32 v88, v88, v16, vcc
	s_cselect_b64 vcc, -1, 0
	v_cndmask_b32_e32 v79, v79, v17, vcc
	v_cndmask_b32_e32 v78, v78, v16, vcc
	s_and_b64 vcc, exec, s[28:29]
	s_mov_b64 s[28:29], 0
	s_cbranch_vccnz .LBB12_929
; %bb.930:                              ;   in Loop: Header=BB12_896 Depth=3
	v_sub_u32_e32 v120, v120, v70
	v_cmp_gt_i32_e32 vcc, 16, v120
	v_lshl_add_u64 v[90:91], v[90:91], 0, v[102:103]
	v_lshl_add_u64 v[92:93], v[92:93], 0, v[102:103]
	;; [unrolled: 1-line block ×5, first 2 shown]
	s_or_b64 s[66:67], vcc, s[66:67]
	v_sub_u32_e32 v122, v122, v52
	s_andn2_b64 exec, exec, s[66:67]
	s_cbranch_execnz .LBB12_896
; %bb.931:                              ;   in Loop: Header=BB12_816 Depth=2
	s_or_b64 exec, exec, s[66:67]
.LBB12_932:                             ;   in Loop: Header=BB12_816 Depth=2
	s_or_b64 exec, exec, s[64:65]
	v_and_b32_e32 v8, 14, v23
	v_cndmask_b32_e64 v120, v123, v8, s[24:25]
	v_mov_b32_e32 v2, 0
	v_cmp_ne_u32_e32 vcc, 0, v120
	s_mov_b64 s[26:27], 0
                                        ; implicit-def: $vgpr23
                                        ; implicit-def: $vgpr18
	s_and_saveexec_b64 s[64:65], vcc
	s_cbranch_execz .LBB12_972
; %bb.933:                              ;   in Loop: Header=BB12_816 Depth=2
	v_sub_u32_e32 v2, v123, v8
	v_cndmask_b32_e64 v2, 0, v2, s[24:25]
	v_cmp_lt_i32_e32 vcc, 0, v122
	v_add_u32_e32 v23, v2, v121
	s_nop 0
	v_cndmask_b32_e32 v2, 0, v52, vcc
	v_sub_u32_e32 v2, v2, v122
	v_lshl_or_b32 v2, v2, 6, v95
	v_ashrrev_i32_e32 v8, 31, v2
	v_lshrrev_b32_e32 v8, 26, v8
	v_add_u32_e32 v8, v2, v8
	v_ashrrev_i32_e32 v9, 6, v8
	v_and_b32_e32 v8, 0xffffffc0, v8
	v_sub_u32_e32 v121, v2, v8
	v_ashrrev_i32_e32 v8, 31, v120
	v_lshrrev_b32_e32 v8, 22, v8
	v_add_u32_e32 v8, v120, v8
	v_and_b32_e32 v122, 0xfffffc00, v8
	v_lshlrev_b32_e32 v2, 4, v121
	v_sub_u32_e32 v123, v120, v122
	v_lshl_add_u32 v2, v9, 10, v2
	v_ashrrev_i32_e32 v10, 10, v8
	v_cmp_lt_i32_e64 s[24:25], 15, v123
	v_sub_u32_e32 v125, v120, v2
	s_nop 0
	v_addc_co_u32_e64 v8, vcc, 0, v10, s[24:25]
	v_sub_u32_e32 v124, v8, v9
	v_cmp_lt_i32_e32 vcc, 15, v125
	s_and_saveexec_b64 s[66:67], vcc
	s_cbranch_execz .LBB12_971
; %bb.934:                              ;   in Loop: Header=BB12_816 Depth=2
	s_trap 2
	ds_read_b64 v[10:11], v0
	v_add_u32_e32 v8, v2, v23
	s_and_b32 s74, s31, 1
	v_ashrrev_i32_e32 v9, 31, v8
	s_cmp_eq_u64 s[74:75], 0
	s_waitcnt lgkmcnt(0)
	v_lshl_add_u64 v[76:77], v[8:9], 0, v[74:75]
	v_lshl_add_u64 v[78:79], v[8:9], 0, v[60:61]
	;; [unrolled: 1-line block ×5, first 2 shown]
	s_mov_b64 s[68:69], 0
	s_cselect_b64 s[26:27], -1, 0
.LBB12_935:                             ;   Parent Loop BB12_47 Depth=1
                                        ;     Parent Loop BB12_816 Depth=2
                                        ; =>    This Loop Header: Depth=3
                                        ;         Child Loop BB12_968 Depth 4
	global_load_dwordx4 v[12:15], v[92:93], off nt
	global_load_dwordx4 v[16:19], v[90:91], off nt
	;; [unrolled: 1-line block ×3, first 2 shown]
                                        ; implicit-def: $vgpr26
	s_waitcnt vmcnt(0)
	v_lshlrev_b32_e32 v2, 16, v12
	v_lshlrev_b32_e32 v24, 16, v16
	v_max_f32_e32 v2, v2, v2
	v_max_f32_e32 v24, v24, v24
	v_min_f32_e32 v25, v24, v2
	v_max_f32_e32 v2, v24, v2
	v_cndmask_b32_e64 v2, v2, v25, s[26:27]
	v_and_b32_e32 v24, 0x7f800000, v2
	v_cmp_ne_u32_e32 vcc, s73, v24
	s_and_saveexec_b64 s[28:29], vcc
	s_xor_b64 s[28:29], exec, s[28:29]
; %bb.936:                              ;   in Loop: Header=BB12_935 Depth=3
	v_bfe_u32 v24, v2, 16, 1
	v_add3_u32 v26, v2, v24, s62
                                        ; implicit-def: $vgpr2
; %bb.937:                              ;   in Loop: Header=BB12_935 Depth=3
	s_andn2_saveexec_b64 s[28:29], s[28:29]
; %bb.938:                              ;   in Loop: Header=BB12_935 Depth=3
	v_or_b32_e32 v24, 0x10000, v2
	v_cmp_eq_u32_sdwa vcc, v2, v3 src0_sel:WORD_0 src1_sel:DWORD
	s_nop 1
	v_cndmask_b32_e32 v26, v24, v2, vcc
; %bb.939:                              ;   in Loop: Header=BB12_935 Depth=3
	s_or_b64 exec, exec, s[28:29]
	v_and_b32_e32 v2, 0xffff0000, v12
	v_and_b32_e32 v12, 0xffff0000, v16
	v_max_f32_e32 v2, v2, v2
	v_max_f32_e32 v12, v12, v12
	v_min_f32_e32 v16, v12, v2
	v_max_f32_e32 v2, v12, v2
	v_cndmask_b32_e64 v12, v2, v16, s[26:27]
	v_and_b32_e32 v2, 0x7f800000, v12
	v_cmp_ne_u32_e32 vcc, s73, v2
                                        ; implicit-def: $vgpr2
	s_and_saveexec_b64 s[28:29], vcc
	s_xor_b64 s[28:29], exec, s[28:29]
; %bb.940:                              ;   in Loop: Header=BB12_935 Depth=3
	v_bfe_u32 v2, v12, 16, 1
	v_add3_u32 v2, v12, v2, s62
                                        ; implicit-def: $vgpr12
; %bb.941:                              ;   in Loop: Header=BB12_935 Depth=3
	s_andn2_saveexec_b64 s[28:29], s[28:29]
; %bb.942:                              ;   in Loop: Header=BB12_935 Depth=3
	v_or_b32_e32 v2, 0x10000, v12
	v_cmp_eq_u32_sdwa vcc, v12, v3 src0_sel:WORD_0 src1_sel:DWORD
	s_nop 1
	v_cndmask_b32_e32 v2, v2, v12, vcc
; %bb.943:                              ;   in Loop: Header=BB12_935 Depth=3
	s_or_b64 exec, exec, s[28:29]
	v_lshlrev_b32_e32 v12, 16, v13
	v_lshlrev_b32_e32 v16, 16, v17
	v_max_f32_e32 v12, v12, v12
	v_max_f32_e32 v16, v16, v16
	v_min_f32_e32 v24, v16, v12
	v_max_f32_e32 v12, v16, v12
	v_cndmask_b32_e64 v12, v12, v24, s[26:27]
	v_and_b32_e32 v16, 0x7f800000, v12
	v_cmp_ne_u32_e32 vcc, s73, v16
                                        ; implicit-def: $vgpr16
	s_and_saveexec_b64 s[28:29], vcc
	s_xor_b64 s[28:29], exec, s[28:29]
; %bb.944:                              ;   in Loop: Header=BB12_935 Depth=3
	v_bfe_u32 v16, v12, 16, 1
	v_add3_u32 v16, v12, v16, s62
                                        ; implicit-def: $vgpr12
; %bb.945:                              ;   in Loop: Header=BB12_935 Depth=3
	s_andn2_saveexec_b64 s[28:29], s[28:29]
; %bb.946:                              ;   in Loop: Header=BB12_935 Depth=3
	v_or_b32_e32 v16, 0x10000, v12
	v_cmp_eq_u32_sdwa vcc, v12, v3 src0_sel:WORD_0 src1_sel:DWORD
	s_nop 1
	v_cndmask_b32_e32 v16, v16, v12, vcc
; %bb.947:                              ;   in Loop: Header=BB12_935 Depth=3
	s_or_b64 exec, exec, s[28:29]
	v_and_b32_e32 v12, 0xffff0000, v17
	v_and_b32_e32 v13, 0xffff0000, v13
	v_max_f32_e32 v13, v13, v13
	v_max_f32_e32 v12, v12, v12
	v_min_f32_e32 v17, v12, v13
	v_max_f32_e32 v12, v12, v13
	v_cndmask_b32_e64 v13, v12, v17, s[26:27]
	v_and_b32_e32 v12, 0x7f800000, v13
	v_cmp_ne_u32_e32 vcc, s73, v12
                                        ; implicit-def: $vgpr12
	s_and_saveexec_b64 s[28:29], vcc
	s_xor_b64 s[28:29], exec, s[28:29]
; %bb.948:                              ;   in Loop: Header=BB12_935 Depth=3
	v_bfe_u32 v12, v13, 16, 1
	v_add3_u32 v12, v13, v12, s62
                                        ; implicit-def: $vgpr13
; %bb.949:                              ;   in Loop: Header=BB12_935 Depth=3
	s_andn2_saveexec_b64 s[28:29], s[28:29]
; %bb.950:                              ;   in Loop: Header=BB12_935 Depth=3
	v_or_b32_e32 v12, 0x10000, v13
	v_cmp_eq_u32_sdwa vcc, v13, v3 src0_sel:WORD_0 src1_sel:DWORD
	s_nop 1
	v_cndmask_b32_e32 v12, v12, v13, vcc
; %bb.951:                              ;   in Loop: Header=BB12_935 Depth=3
	s_or_b64 exec, exec, s[28:29]
	v_lshlrev_b32_e32 v13, 16, v14
	v_lshlrev_b32_e32 v17, 16, v18
	v_max_f32_e32 v13, v13, v13
	v_max_f32_e32 v17, v17, v17
	v_min_f32_e32 v24, v17, v13
	v_max_f32_e32 v13, v17, v13
	v_cndmask_b32_e64 v13, v13, v24, s[26:27]
	v_and_b32_e32 v17, 0x7f800000, v13
	v_cmp_ne_u32_e32 vcc, s73, v17
                                        ; implicit-def: $vgpr17
	s_and_saveexec_b64 s[28:29], vcc
	s_xor_b64 s[28:29], exec, s[28:29]
; %bb.952:                              ;   in Loop: Header=BB12_935 Depth=3
	v_bfe_u32 v17, v13, 16, 1
	v_add3_u32 v17, v13, v17, s62
                                        ; implicit-def: $vgpr13
; %bb.953:                              ;   in Loop: Header=BB12_935 Depth=3
	s_andn2_saveexec_b64 s[28:29], s[28:29]
; %bb.954:                              ;   in Loop: Header=BB12_935 Depth=3
	v_or_b32_e32 v17, 0x10000, v13
	v_cmp_eq_u32_sdwa vcc, v13, v3 src0_sel:WORD_0 src1_sel:DWORD
	s_nop 1
	v_cndmask_b32_e32 v17, v17, v13, vcc
; %bb.955:                              ;   in Loop: Header=BB12_935 Depth=3
	s_or_b64 exec, exec, s[28:29]
	v_and_b32_e32 v13, 0xffff0000, v18
	v_and_b32_e32 v14, 0xffff0000, v14
	v_max_f32_e32 v14, v14, v14
	v_max_f32_e32 v13, v13, v13
	v_min_f32_e32 v18, v13, v14
	v_max_f32_e32 v13, v13, v14
	v_cndmask_b32_e64 v13, v13, v18, s[26:27]
	v_and_b32_e32 v14, 0x7f800000, v13
	v_cmp_ne_u32_e32 vcc, s73, v14
                                        ; implicit-def: $vgpr18
	s_and_saveexec_b64 s[28:29], vcc
	s_xor_b64 s[28:29], exec, s[28:29]
; %bb.956:                              ;   in Loop: Header=BB12_935 Depth=3
	v_bfe_u32 v14, v13, 16, 1
	v_add3_u32 v18, v13, v14, s62
                                        ; implicit-def: $vgpr13
; %bb.957:                              ;   in Loop: Header=BB12_935 Depth=3
	s_andn2_saveexec_b64 s[28:29], s[28:29]
; %bb.958:                              ;   in Loop: Header=BB12_935 Depth=3
	v_or_b32_e32 v14, 0x10000, v13
	v_cmp_eq_u32_sdwa vcc, v13, v3 src0_sel:WORD_0 src1_sel:DWORD
	s_nop 1
	v_cndmask_b32_e32 v18, v14, v13, vcc
; %bb.959:                              ;   in Loop: Header=BB12_935 Depth=3
	s_or_b64 exec, exec, s[28:29]
	v_lshlrev_b32_e32 v13, 16, v15
	v_lshlrev_b32_e32 v14, 16, v19
	v_max_f32_e32 v13, v13, v13
	v_max_f32_e32 v14, v14, v14
	v_min_f32_e32 v24, v14, v13
	v_max_f32_e32 v13, v14, v13
	v_cndmask_b32_e64 v13, v13, v24, s[26:27]
	v_and_b32_e32 v14, 0x7f800000, v13
	v_cmp_ne_u32_e32 vcc, s73, v14
                                        ; implicit-def: $vgpr14
	s_and_saveexec_b64 s[28:29], vcc
	s_xor_b64 s[28:29], exec, s[28:29]
; %bb.960:                              ;   in Loop: Header=BB12_935 Depth=3
	v_bfe_u32 v14, v13, 16, 1
	v_add3_u32 v14, v13, v14, s62
                                        ; implicit-def: $vgpr13
; %bb.961:                              ;   in Loop: Header=BB12_935 Depth=3
	s_andn2_saveexec_b64 s[28:29], s[28:29]
; %bb.962:                              ;   in Loop: Header=BB12_935 Depth=3
	v_or_b32_e32 v14, 0x10000, v13
	v_cmp_eq_u32_sdwa vcc, v13, v3 src0_sel:WORD_0 src1_sel:DWORD
	s_nop 1
	v_cndmask_b32_e32 v14, v14, v13, vcc
; %bb.963:                              ;   in Loop: Header=BB12_935 Depth=3
	s_or_b64 exec, exec, s[28:29]
	v_and_b32_e32 v13, 0xffff0000, v19
	v_and_b32_e32 v15, 0xffff0000, v15
	v_max_f32_e32 v15, v15, v15
	v_max_f32_e32 v13, v13, v13
	v_min_f32_e32 v19, v13, v15
	v_max_f32_e32 v13, v13, v15
	v_cndmask_b32_e64 v13, v13, v19, s[26:27]
	v_and_b32_e32 v15, 0x7f800000, v13
	v_cmp_ne_u32_e32 vcc, s73, v15
                                        ; implicit-def: $vgpr15
	s_and_saveexec_b64 s[28:29], vcc
	s_xor_b64 s[28:29], exec, s[28:29]
; %bb.964:                              ;   in Loop: Header=BB12_935 Depth=3
	v_bfe_u32 v15, v13, 16, 1
	v_add3_u32 v15, v13, v15, s62
                                        ; implicit-def: $vgpr13
; %bb.965:                              ;   in Loop: Header=BB12_935 Depth=3
	s_andn2_saveexec_b64 s[28:29], s[28:29]
; %bb.966:                              ;   in Loop: Header=BB12_935 Depth=3
	v_or_b32_e32 v15, 0x10000, v13
	v_cmp_eq_u32_sdwa vcc, v13, v3 src0_sel:WORD_0 src1_sel:DWORD
	s_nop 1
	v_cndmask_b32_e32 v15, v15, v13, vcc
; %bb.967:                              ;   in Loop: Header=BB12_935 Depth=3
	s_or_b64 exec, exec, s[28:29]
	v_and_b32_e32 v24, 0xffff0000, v2
	v_or_b32_sdwa v2, v24, v26 dst_sel:DWORD dst_unused:UNUSED_PAD src0_sel:DWORD src1_sel:WORD_1
	v_and_b32_e32 v27, 0xffff0000, v8
	v_and_b32_e32 v26, 0xffff0000, v26
	v_lshlrev_b32_e32 v8, 16, v8
	v_max_f32_e32 v26, v26, v26
	v_max_f32_e32 v8, v8, v8
	v_min_f32_e32 v50, v26, v8
	v_max_f32_e32 v8, v26, v8
	v_cndmask_b32_e64 v8, v8, v50, s[26:27]
	v_and_b32_e32 v26, 0x7f800000, v8
	v_cmp_eq_u32_e32 vcc, s73, v26
	v_bfe_u32 v26, v8, 16, 1
	v_cmp_eq_u32_sdwa s[28:29], v8, v3 src0_sel:WORD_0 src1_sel:DWORD
	v_or_b32_e32 v50, 0x10000, v8
	v_max_f32_e32 v24, v24, v24
	v_max_f32_e32 v27, v27, v27
	v_add3_u32 v26, v8, v26, s62
	v_cndmask_b32_e64 v8, v50, v8, s[28:29]
	v_min_f32_e32 v50, v24, v27
	v_max_f32_e32 v24, v24, v27
	v_cndmask_b32_e64 v24, v24, v50, s[26:27]
	v_and_b32_e32 v27, 0x7f800000, v24
	v_and_b32_e32 v19, 0xffff0000, v12
	v_cmp_eq_u32_e64 s[28:29], s73, v27
	v_bfe_u32 v27, v24, 16, 1
	v_cmp_eq_u32_sdwa s[40:41], v24, v3 src0_sel:WORD_0 src1_sel:DWORD
	v_or_b32_e32 v50, 0x10000, v24
	v_or_b32_sdwa v13, v19, v16 dst_sel:DWORD dst_unused:UNUSED_PAD src0_sel:DWORD src1_sel:WORD_1
	v_add3_u32 v27, v24, v27, s62
	v_cndmask_b32_e64 v24, v50, v24, s[40:41]
	v_and_b32_e32 v50, 0xffff0000, v9
	v_and_b32_e32 v16, 0xffff0000, v16
	v_lshlrev_b32_e32 v9, 16, v9
	v_max_f32_e32 v16, v16, v16
	v_max_f32_e32 v9, v9, v9
	v_min_f32_e32 v64, v16, v9
	v_max_f32_e32 v9, v16, v9
	v_cndmask_b32_e64 v9, v9, v64, s[26:27]
	v_and_b32_e32 v16, 0x7f800000, v9
	v_cmp_eq_u32_e64 s[40:41], s73, v16
	v_bfe_u32 v16, v9, 16, 1
	v_cmp_eq_u32_sdwa s[42:43], v9, v3 src0_sel:WORD_0 src1_sel:DWORD
	v_or_b32_e32 v64, 0x10000, v9
	v_max_f32_e32 v19, v19, v19
	v_max_f32_e32 v50, v50, v50
	v_add3_u32 v16, v9, v16, s62
	v_cndmask_b32_e64 v9, v64, v9, s[42:43]
	v_min_f32_e32 v64, v19, v50
	v_max_f32_e32 v19, v19, v50
	v_cndmask_b32_e64 v19, v19, v64, s[26:27]
	v_and_b32_e32 v50, 0x7f800000, v19
	v_and_b32_e32 v18, 0xffff0000, v18
	v_cmp_eq_u32_e64 s[42:43], s73, v50
	v_bfe_u32 v50, v19, 16, 1
	v_cmp_eq_u32_sdwa s[44:45], v19, v3 src0_sel:WORD_0 src1_sel:DWORD
	v_or_b32_e32 v64, 0x10000, v19
	v_or_b32_sdwa v12, v18, v17 dst_sel:DWORD dst_unused:UNUSED_PAD src0_sel:DWORD src1_sel:WORD_1
	v_add3_u32 v50, v19, v50, s62
	v_cndmask_b32_e64 v19, v64, v19, s[44:45]
	v_and_b32_e32 v64, 0xffff0000, v10
	v_and_b32_e32 v17, 0xffff0000, v17
	v_lshlrev_b32_e32 v10, 16, v10
	v_max_f32_e32 v17, v17, v17
	v_max_f32_e32 v10, v10, v10
	v_min_f32_e32 v65, v17, v10
	v_max_f32_e32 v10, v17, v10
	v_cndmask_b32_e64 v10, v10, v65, s[26:27]
	v_and_b32_e32 v17, 0x7f800000, v10
	v_cmp_eq_u32_e64 s[44:45], s73, v17
	;; [unrolled: 29-line block ×3, first 2 shown]
	v_bfe_u32 v5, v4, 16, 1
	v_cmp_eq_u32_sdwa s[58:59], v4, v3 src0_sel:WORD_0 src1_sel:DWORD
	v_or_b32_e32 v11, 0x10000, v4
	v_add3_u32 v5, v4, v5, s62
	v_cndmask_b32_e64 v4, v11, v4, s[58:59]
	v_max_f32_e32 v11, v25, v25
	v_max_f32_e32 v14, v65, v65
	v_min_f32_e32 v25, v11, v14
	v_max_f32_e32 v11, v11, v14
	v_cndmask_b32_e64 v11, v11, v25, s[26:27]
	v_and_b32_e32 v14, 0x7f800000, v11
	v_cmp_eq_u32_e64 s[58:59], s73, v14
	v_bfe_u32 v14, v11, 16, 1
	v_cmp_eq_u32_sdwa s[60:61], v11, v3 src0_sel:WORD_0 src1_sel:DWORD
	v_or_b32_e32 v25, 0x10000, v11
	v_add3_u32 v14, v11, v14, s62
	v_cndmask_b32_e64 v11, v25, v11, s[60:61]
	v_cndmask_b32_e32 v8, v26, v8, vcc
	v_cndmask_b32_e64 v9, v16, v9, s[40:41]
	v_cndmask_b32_e64 v10, v17, v10, s[44:45]
	;; [unrolled: 1-line block ×7, first 2 shown]
	v_lshrrev_b32_e32 v9, 16, v9
	v_lshrrev_b32_e32 v8, 16, v8
	;; [unrolled: 1-line block ×4, first 2 shown]
	v_and_or_b32 v9, v16, s63, v9
	v_and_or_b32 v8, v24, s63, v8
	;; [unrolled: 1-line block ×4, first 2 shown]
	s_mov_b64 s[40:41], 0
	s_mov_b64 s[28:29], -1
.LBB12_968:                             ;   Parent Loop BB12_47 Depth=1
                                        ;     Parent Loop BB12_816 Depth=2
                                        ;       Parent Loop BB12_935 Depth=3
                                        ; =>      This Inner Loop Header: Depth=4
	v_cndmask_b32_e64 v4, 0, 1, s[28:29]
	v_cmp_ne_u32_e32 vcc, 1, v4
	s_cmp_eq_u32 s40, 1
	v_cndmask_b32_e64 v17, v13, v9, s[28:29]
	v_cndmask_b32_e64 v16, v2, v8, s[28:29]
	;; [unrolled: 1-line block ×4, first 2 shown]
	v_cndmask_b32_e32 v27, v79, v89, vcc
	v_cndmask_b32_e32 v26, v78, v88, vcc
	s_cselect_b64 vcc, -1, 0
	global_store_dwordx4 v[26:27], v[16:19], off
	s_cmp_eq_u32 s40, 0
	s_mov_b64 s[40:41], 1
	v_cndmask_b32_e32 v17, v79, v89, vcc
	v_cndmask_b32_e32 v16, v78, v88, vcc
	v_lshl_add_u64 v[16:17], v[16:17], 0, s[88:89]
	v_cndmask_b32_e32 v89, v89, v17, vcc
	v_cndmask_b32_e32 v88, v88, v16, vcc
	s_cselect_b64 vcc, -1, 0
	v_cndmask_b32_e32 v79, v79, v17, vcc
	v_cndmask_b32_e32 v78, v78, v16, vcc
	s_and_b64 vcc, exec, s[28:29]
	s_mov_b64 s[28:29], 0
	s_cbranch_vccnz .LBB12_968
; %bb.969:                              ;   in Loop: Header=BB12_935 Depth=3
	v_sub_u32_e32 v125, v125, v70
	v_cmp_gt_i32_e32 vcc, 16, v125
	v_lshl_add_u64 v[90:91], v[90:91], 0, v[102:103]
	v_lshl_add_u64 v[92:93], v[92:93], 0, v[102:103]
	v_lshl_add_u64 v[78:79], v[78:79], 0, v[86:87]
	v_lshl_add_u64 v[88:89], v[88:89], 0, v[86:87]
	v_lshl_add_u64 v[76:77], v[76:77], 0, v[102:103]
	s_or_b64 s[68:69], vcc, s[68:69]
	v_sub_u32_e32 v124, v124, v52
	s_andn2_b64 exec, exec, s[68:69]
	s_cbranch_execnz .LBB12_935
; %bb.970:                              ;   in Loop: Header=BB12_816 Depth=2
	s_or_b64 exec, exec, s[68:69]
.LBB12_971:                             ;   in Loop: Header=BB12_816 Depth=2
	s_or_b64 exec, exec, s[66:67]
	v_and_b32_e32 v4, 14, v120
	v_sub_u32_e32 v2, v123, v4
	v_cndmask_b32_e64 v2, 0, v2, s[24:25]
	v_cmp_lt_i32_e32 vcc, 0, v124
	v_add3_u32 v2, v122, v23, v2
	v_cndmask_b32_e64 v23, v123, v4, s[24:25]
	v_cndmask_b32_e32 v4, 0, v52, vcc
	v_sub_u32_e32 v4, v4, v124
	v_cmp_ne_u32_e32 vcc, 0, v23
	v_lshl_add_u32 v18, v4, 6, v121
	s_and_b64 s[26:27], vcc, exec
.LBB12_972:                             ;   in Loop: Header=BB12_816 Depth=2
	s_or_b64 exec, exec, s[64:65]
	s_and_saveexec_b64 s[40:41], s[26:27]
	s_cbranch_execz .LBB12_1019
.LBB12_973:                             ;   in Loop: Header=BB12_816 Depth=2
	v_ashrrev_i32_e32 v4, 31, v18
	v_lshrrev_b32_e32 v4, 26, v4
	v_add_u32_e32 v8, v18, v4
	v_ashrrev_i32_e32 v4, 31, v23
	v_lshrrev_b32_e32 v4, 23, v4
	v_add_u32_e32 v4, v23, v4
	v_ashrrev_i32_e32 v19, 6, v8
	v_ashrrev_i32_e32 v77, 9, v4
	v_sub_u32_e32 v76, v77, v19
	v_cmp_lt_i32_e32 vcc, 0, v76
	s_and_saveexec_b64 s[26:27], vcc
	s_cbranch_execz .LBB12_1009
; %bb.974:                              ;   in Loop: Header=BB12_816 Depth=2
	v_and_b32_e32 v4, 0x7fffffc0, v8
	s_trap 2
	ds_read_b64 v[26:27], v0
	v_sub_u32_e32 v4, v18, v4
	v_lshlrev_b32_e32 v4, 1, v4
	v_lshlrev_b32_e32 v5, 9, v19
	v_add3_u32 v16, v4, v2, v5
	s_and_b32 s74, s31, 1
	v_ashrrev_i32_e32 v17, 31, v16
	s_cmp_eq_u64 s[74:75], 0
	s_waitcnt lgkmcnt(0)
	v_lshl_add_u64 v[8:9], v[16:17], 0, v[74:75]
	v_lshl_add_u64 v[10:11], v[16:17], 0, v[60:61]
	;; [unrolled: 1-line block ×5, first 2 shown]
	s_mov_b64 s[28:29], 0
	s_cselect_b64 vcc, -1, 0
	s_branch .LBB12_976
.LBB12_975:                             ;   in Loop: Header=BB12_976 Depth=3
	s_or_b64 exec, exec, s[42:43]
	v_sub_u32_e32 v76, v76, v52
	v_cmp_gt_i32_e64 s[24:25], 1, v76
	flat_store_short_d16_hi v[10:11], v79 offset:384 nt
	flat_store_short_d16_hi v[12:13], v26 nt
	flat_store_short_d16_hi v[12:13], v78 offset:128 nt
	flat_store_short_d16_hi v[12:13], v88 offset:256 nt
	flat_store_short_d16_hi v[12:13], v90 offset:384 nt
	v_lshl_add_u64 v[14:15], v[14:15], 0, v[80:81]
	v_lshl_add_u64 v[16:17], v[16:17], 0, v[80:81]
	;; [unrolled: 1-line block ×4, first 2 shown]
	s_or_b64 s[28:29], s[24:25], s[28:29]
	v_lshl_add_u64 v[8:9], v[8:9], 0, v[80:81]
	s_andn2_b64 exec, exec, s[28:29]
	s_cbranch_execz .LBB12_1008
.LBB12_976:                             ;   Parent Loop BB12_47 Depth=1
                                        ;     Parent Loop BB12_816 Depth=2
                                        ; =>    This Inner Loop Header: Depth=3
	flat_load_ushort v4, v[16:17] nt
	flat_load_ushort v88, v[14:15] offset:256 nt
	flat_load_ushort v5, v[14:15] nt
	flat_load_ushort v90, v[14:15] offset:384 nt
	flat_load_ushort v78, v[14:15] offset:128 nt
	;; [unrolled: 1-line block ×5, first 2 shown]
	flat_load_ushort v91, v[8:9] nt
	flat_load_ushort v89, v[8:9] offset:128 nt
	flat_load_ushort v79, v[8:9] offset:256 nt
	flat_load_ushort v27, v[8:9] offset:384 nt
                                        ; implicit-def: $vgpr26
	s_waitcnt vmcnt(0) lgkmcnt(0)
	v_lshlrev_b32_e32 v4, 16, v4
	v_max_f32_e32 v4, v4, v4
	v_lshlrev_b32_e32 v5, 16, v5
	v_max_f32_e32 v5, v5, v5
	v_min_f32_e32 v24, v5, v4
	v_max_f32_e32 v4, v5, v4
	v_cndmask_b32_e32 v121, v4, v24, vcc
	v_and_b32_e32 v4, 0x7f800000, v121
	v_cmp_ne_u32_e64 s[24:25], s73, v4
	s_and_saveexec_b64 s[42:43], s[24:25]
	s_xor_b64 s[24:25], exec, s[42:43]
; %bb.977:                              ;   in Loop: Header=BB12_976 Depth=3
	v_bfe_u32 v4, v121, 16, 1
	v_add3_u32 v26, v121, v4, s62
                                        ; implicit-def: $vgpr121
; %bb.978:                              ;   in Loop: Header=BB12_976 Depth=3
	s_andn2_saveexec_b64 s[42:43], s[24:25]
; %bb.979:                              ;   in Loop: Header=BB12_976 Depth=3
	v_or_b32_e32 v4, 0x10000, v121
	v_cmp_eq_u32_sdwa s[24:25], v121, v3 src0_sel:WORD_0 src1_sel:DWORD
	s_nop 1
	v_cndmask_b32_e64 v26, v4, v121, s[24:25]
; %bb.980:                              ;   in Loop: Header=BB12_976 Depth=3
	s_or_b64 exec, exec, s[42:43]
	v_lshlrev_b32_e32 v4, 16, v78
	v_lshlrev_b32_e32 v5, 16, v120
	v_max_f32_e32 v5, v5, v5
	v_max_f32_e32 v4, v4, v4
	v_min_f32_e32 v24, v4, v5
	v_max_f32_e32 v4, v4, v5
	v_cndmask_b32_e32 v120, v4, v24, vcc
	v_and_b32_e32 v4, 0x7f800000, v120
	v_cmp_ne_u32_e64 s[24:25], s73, v4
                                        ; implicit-def: $vgpr78
	s_and_saveexec_b64 s[42:43], s[24:25]
	s_xor_b64 s[24:25], exec, s[42:43]
; %bb.981:                              ;   in Loop: Header=BB12_976 Depth=3
	v_bfe_u32 v4, v120, 16, 1
	v_add3_u32 v78, v120, v4, s62
                                        ; implicit-def: $vgpr120
; %bb.982:                              ;   in Loop: Header=BB12_976 Depth=3
	s_andn2_saveexec_b64 s[42:43], s[24:25]
; %bb.983:                              ;   in Loop: Header=BB12_976 Depth=3
	v_or_b32_e32 v4, 0x10000, v120
	v_cmp_eq_u32_sdwa s[24:25], v120, v3 src0_sel:WORD_0 src1_sel:DWORD
	s_nop 1
	v_cndmask_b32_e64 v78, v4, v120, s[24:25]
; %bb.984:                              ;   in Loop: Header=BB12_976 Depth=3
	s_or_b64 exec, exec, s[42:43]
	v_lshlrev_b32_e32 v4, 16, v88
	v_lshlrev_b32_e32 v5, 16, v93
	v_max_f32_e32 v5, v5, v5
	v_max_f32_e32 v4, v4, v4
	v_min_f32_e32 v24, v4, v5
	v_max_f32_e32 v4, v4, v5
	v_cndmask_b32_e32 v93, v4, v24, vcc
	v_and_b32_e32 v4, 0x7f800000, v93
	v_cmp_ne_u32_e64 s[24:25], s73, v4
                                        ; implicit-def: $vgpr88
	s_and_saveexec_b64 s[42:43], s[24:25]
	s_xor_b64 s[24:25], exec, s[42:43]
; %bb.985:                              ;   in Loop: Header=BB12_976 Depth=3
	v_bfe_u32 v4, v93, 16, 1
	v_add3_u32 v88, v93, v4, s62
                                        ; implicit-def: $vgpr93
; %bb.986:                              ;   in Loop: Header=BB12_976 Depth=3
	s_andn2_saveexec_b64 s[42:43], s[24:25]
; %bb.987:                              ;   in Loop: Header=BB12_976 Depth=3
	v_or_b32_e32 v4, 0x10000, v93
	v_cmp_eq_u32_sdwa s[24:25], v93, v3 src0_sel:WORD_0 src1_sel:DWORD
	s_nop 1
	v_cndmask_b32_e64 v88, v4, v93, s[24:25]
; %bb.988:                              ;   in Loop: Header=BB12_976 Depth=3
	s_or_b64 exec, exec, s[42:43]
	v_lshlrev_b32_e32 v4, 16, v90
	v_lshlrev_b32_e32 v5, 16, v92
	v_max_f32_e32 v5, v5, v5
	v_max_f32_e32 v4, v4, v4
	v_min_f32_e32 v24, v4, v5
	v_max_f32_e32 v4, v4, v5
	v_cndmask_b32_e32 v92, v4, v24, vcc
	v_and_b32_e32 v4, 0x7f800000, v92
	v_cmp_ne_u32_e64 s[24:25], s73, v4
                                        ; implicit-def: $vgpr90
	s_and_saveexec_b64 s[42:43], s[24:25]
	s_xor_b64 s[24:25], exec, s[42:43]
; %bb.989:                              ;   in Loop: Header=BB12_976 Depth=3
	v_bfe_u32 v4, v92, 16, 1
	v_add3_u32 v90, v92, v4, s62
                                        ; implicit-def: $vgpr92
; %bb.990:                              ;   in Loop: Header=BB12_976 Depth=3
	s_andn2_saveexec_b64 s[42:43], s[24:25]
; %bb.991:                              ;   in Loop: Header=BB12_976 Depth=3
	v_or_b32_e32 v4, 0x10000, v92
	v_cmp_eq_u32_sdwa s[24:25], v92, v3 src0_sel:WORD_0 src1_sel:DWORD
	s_nop 1
	v_cndmask_b32_e64 v90, v4, v92, s[24:25]
; %bb.992:                              ;   in Loop: Header=BB12_976 Depth=3
	s_or_b64 exec, exec, s[42:43]
	v_and_b32_e32 v4, 0xffff0000, v26
	v_lshlrev_b32_e32 v5, 16, v91
	v_max_f32_e32 v4, v4, v4
	v_max_f32_e32 v5, v5, v5
	v_min_f32_e32 v24, v4, v5
	v_max_f32_e32 v4, v4, v5
	v_cndmask_b32_e32 v91, v4, v24, vcc
	v_and_b32_e32 v4, 0x7f800000, v91
	v_cmp_ne_u32_e64 s[24:25], s73, v4
                                        ; implicit-def: $vgpr92
	s_and_saveexec_b64 s[42:43], s[24:25]
	s_xor_b64 s[24:25], exec, s[42:43]
; %bb.993:                              ;   in Loop: Header=BB12_976 Depth=3
	v_bfe_u32 v4, v91, 16, 1
	v_add3_u32 v92, v91, v4, s62
                                        ; implicit-def: $vgpr91
; %bb.994:                              ;   in Loop: Header=BB12_976 Depth=3
	s_andn2_saveexec_b64 s[42:43], s[24:25]
; %bb.995:                              ;   in Loop: Header=BB12_976 Depth=3
	v_or_b32_e32 v4, 0x10000, v91
	v_cmp_eq_u32_sdwa s[24:25], v91, v3 src0_sel:WORD_0 src1_sel:DWORD
	s_nop 1
	v_cndmask_b32_e64 v92, v4, v91, s[24:25]
; %bb.996:                              ;   in Loop: Header=BB12_976 Depth=3
	s_or_b64 exec, exec, s[42:43]
	v_and_b32_e32 v4, 0xffff0000, v78
	v_lshlrev_b32_e32 v5, 16, v89
	v_max_f32_e32 v4, v4, v4
	v_max_f32_e32 v5, v5, v5
	v_min_f32_e32 v24, v4, v5
	v_max_f32_e32 v4, v4, v5
	v_cndmask_b32_e32 v89, v4, v24, vcc
	v_and_b32_e32 v4, 0x7f800000, v89
	v_cmp_ne_u32_e64 s[24:25], s73, v4
	flat_store_short_d16_hi v[10:11], v92 nt
                                        ; implicit-def: $vgpr91
	s_and_saveexec_b64 s[42:43], s[24:25]
	s_xor_b64 s[24:25], exec, s[42:43]
; %bb.997:                              ;   in Loop: Header=BB12_976 Depth=3
	v_bfe_u32 v4, v89, 16, 1
	v_add3_u32 v91, v89, v4, s62
                                        ; implicit-def: $vgpr89
; %bb.998:                              ;   in Loop: Header=BB12_976 Depth=3
	s_andn2_saveexec_b64 s[42:43], s[24:25]
; %bb.999:                              ;   in Loop: Header=BB12_976 Depth=3
	v_or_b32_e32 v4, 0x10000, v89
	v_cmp_eq_u32_sdwa s[24:25], v89, v3 src0_sel:WORD_0 src1_sel:DWORD
	s_nop 1
	v_cndmask_b32_e64 v91, v4, v89, s[24:25]
; %bb.1000:                             ;   in Loop: Header=BB12_976 Depth=3
	s_or_b64 exec, exec, s[42:43]
	v_and_b32_e32 v4, 0xffff0000, v88
	v_lshlrev_b32_e32 v5, 16, v79
	v_max_f32_e32 v4, v4, v4
	v_max_f32_e32 v5, v5, v5
	v_min_f32_e32 v24, v4, v5
	v_max_f32_e32 v4, v4, v5
	v_cndmask_b32_e32 v79, v4, v24, vcc
	v_and_b32_e32 v4, 0x7f800000, v79
	v_cmp_ne_u32_e64 s[24:25], s73, v4
	flat_store_short_d16_hi v[10:11], v91 offset:128 nt
                                        ; implicit-def: $vgpr89
	s_and_saveexec_b64 s[42:43], s[24:25]
	s_xor_b64 s[24:25], exec, s[42:43]
; %bb.1001:                             ;   in Loop: Header=BB12_976 Depth=3
	v_bfe_u32 v4, v79, 16, 1
	v_add3_u32 v89, v79, v4, s62
                                        ; implicit-def: $vgpr79
; %bb.1002:                             ;   in Loop: Header=BB12_976 Depth=3
	s_andn2_saveexec_b64 s[42:43], s[24:25]
; %bb.1003:                             ;   in Loop: Header=BB12_976 Depth=3
	v_or_b32_e32 v4, 0x10000, v79
	v_cmp_eq_u32_sdwa s[24:25], v79, v3 src0_sel:WORD_0 src1_sel:DWORD
	s_nop 1
	v_cndmask_b32_e64 v89, v4, v79, s[24:25]
; %bb.1004:                             ;   in Loop: Header=BB12_976 Depth=3
	s_or_b64 exec, exec, s[42:43]
	v_and_b32_e32 v4, 0xffff0000, v90
	v_lshlrev_b32_e32 v5, 16, v27
	v_max_f32_e32 v4, v4, v4
	v_max_f32_e32 v5, v5, v5
	v_min_f32_e32 v24, v4, v5
	v_max_f32_e32 v4, v4, v5
	v_cndmask_b32_e32 v27, v4, v24, vcc
	v_and_b32_e32 v4, 0x7f800000, v27
	v_cmp_ne_u32_e64 s[24:25], s73, v4
	flat_store_short_d16_hi v[10:11], v89 offset:256 nt
                                        ; implicit-def: $vgpr79
	s_and_saveexec_b64 s[42:43], s[24:25]
	s_xor_b64 s[24:25], exec, s[42:43]
; %bb.1005:                             ;   in Loop: Header=BB12_976 Depth=3
	v_bfe_u32 v4, v27, 16, 1
	v_add3_u32 v79, v27, v4, s62
                                        ; implicit-def: $vgpr27
; %bb.1006:                             ;   in Loop: Header=BB12_976 Depth=3
	s_andn2_saveexec_b64 s[42:43], s[24:25]
	s_cbranch_execz .LBB12_975
; %bb.1007:                             ;   in Loop: Header=BB12_976 Depth=3
	v_or_b32_e32 v4, 0x10000, v27
	v_cmp_eq_u32_sdwa s[24:25], v27, v3 src0_sel:WORD_0 src1_sel:DWORD
	s_nop 1
	v_cndmask_b32_e64 v79, v4, v27, s[24:25]
	s_branch .LBB12_975
.LBB12_1008:                            ;   in Loop: Header=BB12_816 Depth=2
	s_or_b64 exec, exec, s[28:29]
.LBB12_1009:                            ;   in Loop: Header=BB12_816 Depth=2
	s_or_b64 exec, exec, s[26:27]
	v_lshlrev_b32_e32 v8, 9, v77
	v_cmp_ne_u32_e32 vcc, v23, v8
	s_and_b64 exec, exec, vcc
	s_cbranch_execz .LBB12_1019
; %bb.1010:                             ;   in Loop: Header=BB12_816 Depth=2
	v_lshlrev_b32_e32 v4, 6, v19
	v_sub_u32_e32 v4, v18, v4
	v_lshlrev_b32_e32 v5, 6, v76
	v_sub_u32_e32 v4, v4, v5
	v_ashrrev_i32_e32 v5, 31, v4
	v_lshrrev_b32_e32 v5, 26, v5
	v_add_u32_e32 v5, v4, v5
	v_and_b32_e32 v9, 0x7fffffc0, v5
	v_sub_u32_e32 v4, v4, v9
	v_lshlrev_b32_e32 v5, 1, v5
	v_and_b32_e32 v5, 0xffffff80, v5
	v_lshlrev_b32_e32 v4, 1, v4
	v_add3_u32 v8, v5, v4, v8
	v_sub_u32_e32 v18, v23, v8
	v_cmp_lt_i32_e32 vcc, 1, v18
	s_and_b64 exec, exec, vcc
	s_cbranch_execz .LBB12_1019
; %bb.1011:                             ;   in Loop: Header=BB12_816 Depth=2
	s_trap 2
	ds_read_b64 v[26:27], v0
	v_add_u32_e32 v16, v8, v2
	s_and_b32 s74, s31, 1
	v_ashrrev_i32_e32 v17, 31, v16
	s_cmp_eq_u64 s[74:75], 0
	s_waitcnt lgkmcnt(0)
	v_lshl_add_u64 v[8:9], v[16:17], 0, v[74:75]
	v_lshl_add_u64 v[10:11], v[16:17], 0, v[60:61]
	;; [unrolled: 1-line block ×5, first 2 shown]
	s_mov_b64 s[42:43], 0
	s_cselect_b64 s[24:25], -1, 0
.LBB12_1012:                            ;   Parent Loop BB12_47 Depth=1
                                        ;     Parent Loop BB12_816 Depth=2
                                        ; =>    This Loop Header: Depth=3
                                        ;         Child Loop BB12_1017 Depth 4
	flat_load_ushort v2, v[16:17] nt
	flat_load_ushort v4, v[14:15] nt
	;; [unrolled: 1-line block ×3, first 2 shown]
	s_waitcnt vmcnt(0) lgkmcnt(0)
	v_lshlrev_b32_e32 v2, 16, v2
	v_lshlrev_b32_e32 v4, 16, v4
	v_max_f32_e32 v2, v2, v2
	v_max_f32_e32 v4, v4, v4
	v_min_f32_e32 v5, v4, v2
	v_max_f32_e32 v2, v4, v2
	v_cndmask_b32_e64 v23, v2, v5, s[24:25]
	v_and_b32_e32 v2, 0x7f800000, v23
	v_cmp_ne_u32_e32 vcc, s73, v2
                                        ; implicit-def: $vgpr2
	s_and_saveexec_b64 s[26:27], vcc
	s_xor_b64 s[26:27], exec, s[26:27]
; %bb.1013:                             ;   in Loop: Header=BB12_1012 Depth=3
	v_bfe_u32 v2, v23, 16, 1
	v_add3_u32 v2, v23, v2, s62
                                        ; implicit-def: $vgpr23
; %bb.1014:                             ;   in Loop: Header=BB12_1012 Depth=3
	s_andn2_saveexec_b64 s[26:27], s[26:27]
; %bb.1015:                             ;   in Loop: Header=BB12_1012 Depth=3
	v_or_b32_e32 v2, 0x10000, v23
	v_cmp_eq_u32_sdwa vcc, v23, v3 src0_sel:WORD_0 src1_sel:DWORD
	s_nop 1
	v_cndmask_b32_e32 v2, v2, v23, vcc
; %bb.1016:                             ;   in Loop: Header=BB12_1012 Depth=3
	s_or_b64 exec, exec, s[26:27]
	v_and_b32_e32 v4, 0xffff0000, v2
	v_lshlrev_b32_e32 v5, 16, v19
	v_max_f32_e32 v4, v4, v4
	v_max_f32_e32 v5, v5, v5
	v_min_f32_e32 v19, v4, v5
	v_max_f32_e32 v4, v4, v5
	v_cndmask_b32_e64 v4, v4, v19, s[24:25]
	v_and_b32_e32 v5, 0x7f800000, v4
	v_bfe_u32 v19, v4, 16, 1
	v_or_b32_e32 v23, 0x10000, v4
	v_cmp_eq_u32_sdwa vcc, v4, v3 src0_sel:WORD_0 src1_sel:DWORD
	v_add3_u32 v19, v4, v19, s62
	s_mov_b64 s[46:47], 0
	v_cndmask_b32_e32 v4, v23, v4, vcc
	v_cmp_eq_u32_e32 vcc, s73, v5
	s_mov_b64 s[44:45], -1
	s_nop 0
	v_cndmask_b32_e32 v19, v19, v4, vcc
.LBB12_1017:                            ;   Parent Loop BB12_47 Depth=1
                                        ;     Parent Loop BB12_816 Depth=2
                                        ;       Parent Loop BB12_1012 Depth=3
                                        ; =>      This Inner Loop Header: Depth=4
	v_cndmask_b32_e64 v5, 0, 1, s[44:45]
	s_cmp_eq_u32 s46, 1
	v_cmp_ne_u32_e32 vcc, 1, v5
	s_cselect_b64 s[26:27], -1, 0
	v_cndmask_b32_e64 v4, v2, v19, s[44:45]
	v_cndmask_b32_e32 v27, v11, v13, vcc
	v_cndmask_b32_e64 v73, v11, v13, s[26:27]
	s_cmp_eq_u32 s46, 0
	v_cndmask_b32_e32 v26, v10, v12, vcc
	v_cndmask_b32_e64 v72, v10, v12, s[26:27]
	flat_store_short_d16_hi v[26:27], v4 nt
	v_lshl_add_u64 v[26:27], v[72:73], 0, s[92:93]
	s_cselect_b64 vcc, -1, 0
	s_and_b64 s[28:29], exec, s[44:45]
	s_mov_b64 s[46:47], 1
	s_mov_b64 s[44:45], 0
	v_cndmask_b32_e64 v13, v13, v27, s[26:27]
	v_cndmask_b32_e64 v12, v12, v26, s[26:27]
	v_cndmask_b32_e32 v11, v11, v27, vcc
	v_cndmask_b32_e32 v10, v10, v26, vcc
	s_mov_b64 vcc, s[28:29]
	s_cbranch_vccnz .LBB12_1017
; %bb.1018:                             ;   in Loop: Header=BB12_1012 Depth=3
	v_sub_u32_e32 v18, v18, v82
	v_cmp_gt_i32_e32 vcc, 2, v18
	v_lshl_add_u64 v[14:15], v[14:15], 0, v[118:119]
	v_lshl_add_u64 v[16:17], v[16:17], 0, v[118:119]
	;; [unrolled: 1-line block ×4, first 2 shown]
	s_or_b64 s[42:43], vcc, s[42:43]
	v_lshl_add_u64 v[8:9], v[8:9], 0, v[118:119]
	s_andn2_b64 exec, exec, s[42:43]
	s_cbranch_execnz .LBB12_1012
.LBB12_1019:                            ;   in Loop: Header=BB12_816 Depth=2
	s_or_b64 exec, exec, s[40:41]
	s_branch .LBB12_893
.LBB12_1020:                            ;   in Loop: Header=BB12_816 Depth=2
	s_mov_b64 s[24:25], -1
	s_and_saveexec_b64 s[26:27], s[18:19]
	s_cbranch_execz .LBB12_1022
; %bb.1021:                             ;   in Loop: Header=BB12_816 Depth=2
	ds_read_b32 v2, v0 offset:720
	s_waitcnt lgkmcnt(0)
	v_and_b32_e32 v2, 15, v2
	v_cmp_eq_u32_e32 vcc, 0, v2
	s_orn2_b64 s[24:25], vcc, exec
.LBB12_1022:                            ;   in Loop: Header=BB12_816 Depth=2
	s_or_b64 exec, exec, s[26:27]
	s_and_saveexec_b64 s[26:27], s[14:15]
	s_cbranch_execz .LBB12_1024
; %bb.1023:                             ;   in Loop: Header=BB12_816 Depth=2
	ds_read_b32 v2, v0 offset:784
	s_waitcnt lgkmcnt(0)
	v_and_b32_e32 v2, 15, v2
	v_cmp_eq_u32_e32 vcc, 0, v2
	s_and_b64 s[28:29], s[24:25], vcc
	s_andn2_b64 s[24:25], s[24:25], exec
	s_and_b64 s[28:29], s[28:29], exec
	s_or_b64 s[24:25], s[24:25], s[28:29]
.LBB12_1024:                            ;   in Loop: Header=BB12_816 Depth=2
	s_or_b64 exec, exec, s[26:27]
	s_xor_b64 s[24:25], s[24:25], -1
	v_cndmask_b32_e64 v8, 0, 1, s[24:25]
	v_lshlrev_b32_e32 v2, 1, v21
	s_mov_b64 s[28:29], -1
	v_mov_b32_e32 v16, 0
	v_cmp_ne_u32_e32 vcc, 0, v8
	s_cbranch_vccz .LBB12_1026
; %bb.1025:                             ;   in Loop: Header=BB12_816 Depth=2
	v_mov_b32_e32 v17, v0
	s_and_saveexec_b64 s[26:27], s[28:29]
	s_cbranch_execnz .LBB12_1101
	s_branch .LBB12_1145
.LBB12_1026:                            ;   in Loop: Header=BB12_816 Depth=2
	v_ashrrev_i32_e32 v8, 31, v2
	v_lshrrev_b32_e32 v8, 22, v8
	v_add_u32_e32 v8, v2, v8
	v_and_b32_e32 v78, 0xfffffc00, v8
	v_ashrrev_i32_e32 v9, 10, v8
	v_sub_u32_e32 v88, v2, v78
	v_sub_u32_e32 v8, v9, v104
	v_cmp_lt_i32_e32 vcc, 15, v88
	v_sub_u32_e32 v23, v2, v54
	s_nop 0
	v_addc_co_u32_e64 v79, s[24:25], 0, v8, vcc
	v_cmp_lt_i32_e64 s[24:25], 15, v23
	s_and_saveexec_b64 s[64:65], s[24:25]
	s_cbranch_execz .LBB12_1062
; %bb.1027:                             ;   in Loop: Header=BB12_816 Depth=2
	s_trap 2
	ds_read_b64 v[8:9], v0
	s_and_b32 s74, s31, 1
	s_cmp_eq_u64 s[74:75], 0
	v_lshl_add_u64 v[72:73], v[62:63], 0, v[54:55]
	s_mov_b64 s[66:67], 0
	s_waitcnt lgkmcnt(0)
	v_lshl_add_u64 v[74:75], v[8:9], 0, v[54:55]
	s_cselect_b64 s[24:25], -1, 0
	v_mov_b64_e32 v[76:77], v[54:55]
	s_branch .LBB12_1029
.LBB12_1028:                            ;   in Loop: Header=BB12_1029 Depth=3
	s_or_b64 exec, exec, s[28:29]
	v_and_b32_e32 v19, 0xffff0000, v27
	v_and_b32_e32 v26, 0xffff0000, v26
	;; [unrolled: 1-line block ×4, first 2 shown]
	v_lshlrev_b32_e32 v8, 16, v8
	v_max_f32_e32 v26, v26, v26
	v_max_f32_e32 v8, v8, v8
	v_min_f32_e32 v90, v26, v8
	v_max_f32_e32 v8, v26, v8
	v_cndmask_b32_e64 v8, v8, v90, s[24:25]
	v_and_b32_e32 v16, 0xffff0000, v16
	v_and_b32_e32 v26, 0x7f800000, v8
	v_cmp_eq_u32_e64 s[26:27], s73, v26
	v_bfe_u32 v26, v8, 16, 1
	v_cmp_eq_u32_sdwa s[28:29], v8, v3 src0_sel:WORD_0 src1_sel:DWORD
	v_or_b32_e32 v90, 0x10000, v8
	v_max_f32_e32 v16, v16, v16
	v_max_f32_e32 v89, v89, v89
	v_add3_u32 v26, v8, v26, s62
	v_cndmask_b32_e64 v8, v90, v8, s[28:29]
	v_min_f32_e32 v90, v16, v89
	v_max_f32_e32 v16, v16, v89
	v_cndmask_b32_e64 v16, v16, v90, s[24:25]
	v_and_b32_e32 v89, 0x7f800000, v16
	v_cmp_eq_u32_e64 s[28:29], s73, v89
	v_bfe_u32 v89, v16, 16, 1
	v_cmp_eq_u32_sdwa s[40:41], v16, v3 src0_sel:WORD_0 src1_sel:DWORD
	v_or_b32_e32 v90, 0x10000, v16
	v_add3_u32 v89, v16, v89, s62
	v_cndmask_b32_e64 v16, v90, v16, s[40:41]
	v_and_b32_e32 v90, 0xffff0000, v9
	v_lshlrev_b32_e32 v9, 16, v9
	v_max_f32_e32 v19, v19, v19
	v_max_f32_e32 v9, v9, v9
	v_min_f32_e32 v91, v19, v9
	v_max_f32_e32 v9, v19, v9
	v_cndmask_b32_e64 v9, v9, v91, s[24:25]
	v_and_b32_e32 v17, 0xffff0000, v17
	v_and_b32_e32 v19, 0x7f800000, v9
	v_cmp_eq_u32_e64 s[40:41], s73, v19
	v_bfe_u32 v19, v9, 16, 1
	v_cmp_eq_u32_sdwa s[42:43], v9, v3 src0_sel:WORD_0 src1_sel:DWORD
	v_or_b32_e32 v91, 0x10000, v9
	v_max_f32_e32 v17, v17, v17
	v_max_f32_e32 v90, v90, v90
	v_add3_u32 v19, v9, v19, s62
	v_cndmask_b32_e64 v9, v91, v9, s[42:43]
	v_min_f32_e32 v91, v17, v90
	v_max_f32_e32 v17, v17, v90
	v_cndmask_b32_e64 v17, v17, v91, s[24:25]
	v_and_b32_e32 v90, 0x7f800000, v17
	v_cmp_eq_u32_e64 s[42:43], s73, v90
	v_bfe_u32 v90, v17, 16, 1
	v_cmp_eq_u32_sdwa s[44:45], v17, v3 src0_sel:WORD_0 src1_sel:DWORD
	v_or_b32_e32 v91, 0x10000, v17
	v_add3_u32 v90, v17, v90, s62
	v_cndmask_b32_e64 v17, v91, v17, s[44:45]
	v_and_b32_e32 v91, 0xffff0000, v10
	v_lshlrev_b32_e32 v10, 16, v10
	v_max_f32_e32 v27, v27, v27
	v_max_f32_e32 v10, v10, v10
	v_min_f32_e32 v92, v27, v10
	v_max_f32_e32 v10, v27, v10
	v_cndmask_b32_e64 v10, v10, v92, s[24:25]
	v_and_b32_e32 v14, 0xffff0000, v14
	v_and_b32_e32 v27, 0x7f800000, v10
	v_cmp_eq_u32_e64 s[44:45], s73, v27
	v_bfe_u32 v27, v10, 16, 1
	v_cmp_eq_u32_sdwa s[46:47], v10, v3 src0_sel:WORD_0 src1_sel:DWORD
	v_or_b32_e32 v92, 0x10000, v10
	v_max_f32_e32 v14, v14, v14
	v_max_f32_e32 v91, v91, v91
	v_add3_u32 v27, v10, v27, s62
	v_cndmask_b32_e64 v10, v92, v10, s[46:47]
	v_min_f32_e32 v92, v14, v91
	v_max_f32_e32 v14, v14, v91
	v_cndmask_b32_e64 v14, v14, v92, s[24:25]
	v_and_b32_e32 v91, 0x7f800000, v14
	v_cmp_eq_u32_e64 s[46:47], s73, v91
	v_bfe_u32 v91, v14, 16, 1
	v_cmp_eq_u32_sdwa s[56:57], v14, v3 src0_sel:WORD_0 src1_sel:DWORD
	v_or_b32_e32 v92, 0x10000, v14
	v_and_b32_e32 v18, 0xffff0000, v18
	v_add3_u32 v91, v14, v91, s62
	v_cndmask_b32_e64 v14, v92, v14, s[56:57]
	v_and_b32_e32 v92, 0xffff0000, v11
	v_lshlrev_b32_e32 v11, 16, v11
	v_max_f32_e32 v18, v18, v18
	v_max_f32_e32 v11, v11, v11
	v_min_f32_e32 v93, v18, v11
	v_max_f32_e32 v11, v18, v11
	v_cndmask_b32_e64 v11, v11, v93, s[24:25]
	v_and_b32_e32 v15, 0xffff0000, v15
	v_and_b32_e32 v18, 0x7f800000, v11
	v_cmp_eq_u32_e64 s[56:57], s73, v18
	v_bfe_u32 v18, v11, 16, 1
	v_cmp_eq_u32_sdwa s[58:59], v11, v3 src0_sel:WORD_0 src1_sel:DWORD
	v_or_b32_e32 v93, 0x10000, v11
	v_max_f32_e32 v15, v15, v15
	v_max_f32_e32 v92, v92, v92
	v_add3_u32 v18, v11, v18, s62
	v_cndmask_b32_e64 v11, v93, v11, s[58:59]
	v_min_f32_e32 v93, v15, v92
	v_max_f32_e32 v15, v15, v92
	v_cndmask_b32_e64 v15, v15, v93, s[24:25]
	v_and_b32_e32 v92, 0x7f800000, v15
	v_cmp_eq_u32_e64 s[58:59], s73, v92
	v_bfe_u32 v92, v15, 16, 1
	v_cmp_eq_u32_sdwa s[60:61], v15, v3 src0_sel:WORD_0 src1_sel:DWORD
	v_or_b32_e32 v93, 0x10000, v15
	v_add3_u32 v92, v15, v92, s62
	v_cndmask_b32_e64 v15, v93, v15, s[60:61]
	v_cndmask_b32_e64 v8, v26, v8, s[26:27]
	v_cndmask_b32_e64 v9, v19, v9, s[40:41]
	v_cndmask_b32_e64 v10, v27, v10, s[44:45]
	v_cndmask_b32_e64 v11, v18, v11, s[56:57]
	v_sub_u32_e32 v23, v23, v70
	v_cndmask_b32_e64 v16, v89, v16, s[28:29]
	v_cndmask_b32_e64 v17, v90, v17, s[42:43]
	;; [unrolled: 1-line block ×4, first 2 shown]
	v_lshrrev_b32_e32 v9, 16, v9
	v_lshrrev_b32_e32 v8, 16, v8
	v_lshrrev_b32_e32 v10, 16, v10
	v_lshrrev_b32_e32 v11, 16, v11
	v_cmp_gt_i32_e64 s[26:27], 16, v23
	v_lshl_add_u64 v[12:13], v[60:61], 0, v[76:77]
	v_and_or_b32 v9, v17, s63, v9
	v_and_or_b32 v8, v16, s63, v8
	;; [unrolled: 1-line block ×4, first 2 shown]
	v_lshl_add_u64 v[72:73], v[72:73], 0, v[70:71]
	v_lshl_add_u64 v[74:75], v[74:75], 0, v[70:71]
	;; [unrolled: 1-line block ×3, first 2 shown]
	v_sub_u32_e32 v79, v79, v52
	s_or_b64 s[66:67], s[26:27], s[66:67]
	global_store_dwordx4 v[12:13], v[8:11], off
	s_andn2_b64 exec, exec, s[66:67]
	s_cbranch_execz .LBB12_1061
.LBB12_1029:                            ;   Parent Loop BB12_47 Depth=1
                                        ;     Parent Loop BB12_816 Depth=2
                                        ; =>    This Inner Loop Header: Depth=3
	global_load_dwordx4 v[12:15], v[74:75], off nt
	global_load_dwordx4 v[16:19], v[72:73], off nt
	;; [unrolled: 1-line block ×3, first 2 shown]
	s_waitcnt vmcnt(0)
	v_lshlrev_b32_e32 v26, 16, v12
	v_lshlrev_b32_e32 v27, 16, v16
	v_max_f32_e32 v26, v26, v26
	v_max_f32_e32 v27, v27, v27
	v_min_f32_e32 v89, v27, v26
	v_max_f32_e32 v26, v27, v26
	v_cndmask_b32_e64 v27, v26, v89, s[24:25]
	v_and_b32_e32 v26, 0x7f800000, v27
	v_cmp_ne_u32_e64 s[26:27], s73, v26
                                        ; implicit-def: $vgpr26
	s_and_saveexec_b64 s[28:29], s[26:27]
	s_xor_b64 s[26:27], exec, s[28:29]
; %bb.1030:                             ;   in Loop: Header=BB12_1029 Depth=3
	v_bfe_u32 v26, v27, 16, 1
	v_add3_u32 v26, v27, v26, s62
                                        ; implicit-def: $vgpr27
; %bb.1031:                             ;   in Loop: Header=BB12_1029 Depth=3
	s_andn2_saveexec_b64 s[28:29], s[26:27]
; %bb.1032:                             ;   in Loop: Header=BB12_1029 Depth=3
	v_or_b32_e32 v26, 0x10000, v27
	v_cmp_eq_u32_sdwa s[26:27], v27, v3 src0_sel:WORD_0 src1_sel:DWORD
	s_nop 1
	v_cndmask_b32_e64 v26, v26, v27, s[26:27]
; %bb.1033:                             ;   in Loop: Header=BB12_1029 Depth=3
	s_or_b64 exec, exec, s[28:29]
	v_and_b32_e32 v12, 0xffff0000, v12
	v_and_b32_e32 v16, 0xffff0000, v16
	v_max_f32_e32 v12, v12, v12
	v_max_f32_e32 v16, v16, v16
	v_min_f32_e32 v27, v16, v12
	v_max_f32_e32 v12, v16, v12
	v_cndmask_b32_e64 v12, v12, v27, s[24:25]
	v_and_b32_e32 v16, 0x7f800000, v12
	v_cmp_ne_u32_e64 s[26:27], s73, v16
                                        ; implicit-def: $vgpr16
	s_and_saveexec_b64 s[28:29], s[26:27]
	s_xor_b64 s[26:27], exec, s[28:29]
; %bb.1034:                             ;   in Loop: Header=BB12_1029 Depth=3
	v_bfe_u32 v16, v12, 16, 1
	v_add3_u32 v16, v12, v16, s62
                                        ; implicit-def: $vgpr12
; %bb.1035:                             ;   in Loop: Header=BB12_1029 Depth=3
	s_andn2_saveexec_b64 s[28:29], s[26:27]
; %bb.1036:                             ;   in Loop: Header=BB12_1029 Depth=3
	v_or_b32_e32 v16, 0x10000, v12
	v_cmp_eq_u32_sdwa s[26:27], v12, v3 src0_sel:WORD_0 src1_sel:DWORD
	s_nop 1
	v_cndmask_b32_e64 v16, v16, v12, s[26:27]
; %bb.1037:                             ;   in Loop: Header=BB12_1029 Depth=3
	s_or_b64 exec, exec, s[28:29]
	v_lshlrev_b32_e32 v12, 16, v13
	v_lshlrev_b32_e32 v27, 16, v17
	v_max_f32_e32 v12, v12, v12
	v_max_f32_e32 v27, v27, v27
	v_min_f32_e32 v89, v27, v12
	v_max_f32_e32 v12, v27, v12
	v_cndmask_b32_e64 v12, v12, v89, s[24:25]
	v_and_b32_e32 v27, 0x7f800000, v12
	v_cmp_ne_u32_e64 s[26:27], s73, v27
                                        ; implicit-def: $vgpr27
	s_and_saveexec_b64 s[28:29], s[26:27]
	s_xor_b64 s[26:27], exec, s[28:29]
; %bb.1038:                             ;   in Loop: Header=BB12_1029 Depth=3
	v_bfe_u32 v27, v12, 16, 1
	v_add3_u32 v27, v12, v27, s62
                                        ; implicit-def: $vgpr12
; %bb.1039:                             ;   in Loop: Header=BB12_1029 Depth=3
	s_andn2_saveexec_b64 s[28:29], s[26:27]
; %bb.1040:                             ;   in Loop: Header=BB12_1029 Depth=3
	v_or_b32_e32 v27, 0x10000, v12
	v_cmp_eq_u32_sdwa s[26:27], v12, v3 src0_sel:WORD_0 src1_sel:DWORD
	s_nop 1
	v_cndmask_b32_e64 v27, v27, v12, s[26:27]
; %bb.1041:                             ;   in Loop: Header=BB12_1029 Depth=3
	s_or_b64 exec, exec, s[28:29]
	v_and_b32_e32 v12, 0xffff0000, v17
	v_and_b32_e32 v13, 0xffff0000, v13
	v_max_f32_e32 v13, v13, v13
	v_max_f32_e32 v12, v12, v12
	v_min_f32_e32 v17, v12, v13
	v_max_f32_e32 v12, v12, v13
	v_cndmask_b32_e64 v12, v12, v17, s[24:25]
	v_and_b32_e32 v13, 0x7f800000, v12
	v_cmp_ne_u32_e64 s[26:27], s73, v13
                                        ; implicit-def: $vgpr17
	s_and_saveexec_b64 s[28:29], s[26:27]
	s_xor_b64 s[26:27], exec, s[28:29]
; %bb.1042:                             ;   in Loop: Header=BB12_1029 Depth=3
	v_bfe_u32 v13, v12, 16, 1
	v_add3_u32 v17, v12, v13, s62
                                        ; implicit-def: $vgpr12
; %bb.1043:                             ;   in Loop: Header=BB12_1029 Depth=3
	s_andn2_saveexec_b64 s[28:29], s[26:27]
; %bb.1044:                             ;   in Loop: Header=BB12_1029 Depth=3
	v_or_b32_e32 v13, 0x10000, v12
	v_cmp_eq_u32_sdwa s[26:27], v12, v3 src0_sel:WORD_0 src1_sel:DWORD
	s_nop 1
	v_cndmask_b32_e64 v17, v13, v12, s[26:27]
; %bb.1045:                             ;   in Loop: Header=BB12_1029 Depth=3
	s_or_b64 exec, exec, s[28:29]
	v_lshlrev_b32_e32 v12, 16, v14
	v_lshlrev_b32_e32 v13, 16, v18
	v_max_f32_e32 v12, v12, v12
	v_max_f32_e32 v13, v13, v13
	v_min_f32_e32 v89, v13, v12
	v_max_f32_e32 v12, v13, v12
	v_cndmask_b32_e64 v12, v12, v89, s[24:25]
	v_and_b32_e32 v13, 0x7f800000, v12
	v_cmp_ne_u32_e64 s[26:27], s73, v13
                                        ; implicit-def: $vgpr89
	s_and_saveexec_b64 s[28:29], s[26:27]
	s_xor_b64 s[26:27], exec, s[28:29]
; %bb.1046:                             ;   in Loop: Header=BB12_1029 Depth=3
	v_bfe_u32 v13, v12, 16, 1
	v_add3_u32 v89, v12, v13, s62
                                        ; implicit-def: $vgpr12
; %bb.1047:                             ;   in Loop: Header=BB12_1029 Depth=3
	s_andn2_saveexec_b64 s[28:29], s[26:27]
; %bb.1048:                             ;   in Loop: Header=BB12_1029 Depth=3
	v_or_b32_e32 v13, 0x10000, v12
	v_cmp_eq_u32_sdwa s[26:27], v12, v3 src0_sel:WORD_0 src1_sel:DWORD
	s_nop 1
	v_cndmask_b32_e64 v89, v13, v12, s[26:27]
; %bb.1049:                             ;   in Loop: Header=BB12_1029 Depth=3
	s_or_b64 exec, exec, s[28:29]
	v_and_b32_e32 v12, 0xffff0000, v18
	v_and_b32_e32 v13, 0xffff0000, v14
	v_max_f32_e32 v13, v13, v13
	v_max_f32_e32 v12, v12, v12
	v_min_f32_e32 v14, v12, v13
	v_max_f32_e32 v12, v12, v13
	v_cndmask_b32_e64 v12, v12, v14, s[24:25]
	v_and_b32_e32 v13, 0x7f800000, v12
	v_cmp_ne_u32_e64 s[26:27], s73, v13
                                        ; implicit-def: $vgpr14
	s_and_saveexec_b64 s[28:29], s[26:27]
	s_xor_b64 s[26:27], exec, s[28:29]
; %bb.1050:                             ;   in Loop: Header=BB12_1029 Depth=3
	v_bfe_u32 v13, v12, 16, 1
	v_add3_u32 v14, v12, v13, s62
                                        ; implicit-def: $vgpr12
; %bb.1051:                             ;   in Loop: Header=BB12_1029 Depth=3
	s_andn2_saveexec_b64 s[28:29], s[26:27]
; %bb.1052:                             ;   in Loop: Header=BB12_1029 Depth=3
	v_or_b32_e32 v13, 0x10000, v12
	v_cmp_eq_u32_sdwa s[26:27], v12, v3 src0_sel:WORD_0 src1_sel:DWORD
	s_nop 1
	v_cndmask_b32_e64 v14, v13, v12, s[26:27]
; %bb.1053:                             ;   in Loop: Header=BB12_1029 Depth=3
	s_or_b64 exec, exec, s[28:29]
	v_lshlrev_b32_e32 v12, 16, v15
	v_lshlrev_b32_e32 v13, 16, v19
	v_max_f32_e32 v12, v12, v12
	v_max_f32_e32 v13, v13, v13
	v_min_f32_e32 v18, v13, v12
	v_max_f32_e32 v12, v13, v12
	v_cndmask_b32_e64 v12, v12, v18, s[24:25]
	v_and_b32_e32 v13, 0x7f800000, v12
	v_cmp_ne_u32_e64 s[26:27], s73, v13
                                        ; implicit-def: $vgpr18
	s_and_saveexec_b64 s[28:29], s[26:27]
	s_xor_b64 s[26:27], exec, s[28:29]
; %bb.1054:                             ;   in Loop: Header=BB12_1029 Depth=3
	v_bfe_u32 v13, v12, 16, 1
	v_add3_u32 v18, v12, v13, s62
                                        ; implicit-def: $vgpr12
; %bb.1055:                             ;   in Loop: Header=BB12_1029 Depth=3
	s_andn2_saveexec_b64 s[28:29], s[26:27]
; %bb.1056:                             ;   in Loop: Header=BB12_1029 Depth=3
	v_or_b32_e32 v13, 0x10000, v12
	v_cmp_eq_u32_sdwa s[26:27], v12, v3 src0_sel:WORD_0 src1_sel:DWORD
	s_nop 1
	v_cndmask_b32_e64 v18, v13, v12, s[26:27]
; %bb.1057:                             ;   in Loop: Header=BB12_1029 Depth=3
	s_or_b64 exec, exec, s[28:29]
	v_and_b32_e32 v12, 0xffff0000, v19
	v_and_b32_e32 v13, 0xffff0000, v15
	v_max_f32_e32 v13, v13, v13
	v_max_f32_e32 v12, v12, v12
	v_min_f32_e32 v15, v12, v13
	v_max_f32_e32 v12, v12, v13
	v_cndmask_b32_e64 v12, v12, v15, s[24:25]
	v_and_b32_e32 v13, 0x7f800000, v12
	v_cmp_ne_u32_e64 s[26:27], s73, v13
                                        ; implicit-def: $vgpr15
	s_and_saveexec_b64 s[28:29], s[26:27]
	s_xor_b64 s[26:27], exec, s[28:29]
; %bb.1058:                             ;   in Loop: Header=BB12_1029 Depth=3
	v_bfe_u32 v13, v12, 16, 1
	v_add3_u32 v15, v12, v13, s62
                                        ; implicit-def: $vgpr12
; %bb.1059:                             ;   in Loop: Header=BB12_1029 Depth=3
	s_andn2_saveexec_b64 s[28:29], s[26:27]
	s_cbranch_execz .LBB12_1028
; %bb.1060:                             ;   in Loop: Header=BB12_1029 Depth=3
	v_or_b32_e32 v13, 0x10000, v12
	v_cmp_eq_u32_sdwa s[26:27], v12, v3 src0_sel:WORD_0 src1_sel:DWORD
	s_nop 1
	v_cndmask_b32_e64 v15, v13, v12, s[26:27]
	s_branch .LBB12_1028
.LBB12_1061:                            ;   in Loop: Header=BB12_816 Depth=2
	s_or_b64 exec, exec, s[66:67]
.LBB12_1062:                            ;   in Loop: Header=BB12_816 Depth=2
	s_or_b64 exec, exec, s[64:65]
	v_and_b32_e32 v8, 14, v2
	v_cndmask_b32_e32 v23, v88, v8, vcc
	v_mov_b32_e32 v16, 0
	v_cmp_ne_u32_e64 s[24:25], 0, v23
	s_mov_b64 s[28:29], 0
                                        ; implicit-def: $vgpr2
                                        ; implicit-def: $vgpr17
	s_and_saveexec_b64 s[64:65], s[24:25]
	s_cbranch_execz .LBB12_1100
; %bb.1063:                             ;   in Loop: Header=BB12_816 Depth=2
	v_sub_u32_e32 v2, v88, v8
	v_cndmask_b32_e32 v2, 0, v2, vcc
	v_cmp_lt_i32_e32 vcc, 0, v79
	v_add_u32_e32 v2, v2, v78
	s_nop 0
	v_cndmask_b32_e32 v8, 0, v52, vcc
	v_sub_u32_e32 v8, v8, v79
	v_lshl_or_b32 v8, v8, 6, v95
	v_ashrrev_i32_e32 v9, 31, v8
	v_lshrrev_b32_e32 v9, 26, v9
	v_add_u32_e32 v9, v8, v9
	v_ashrrev_i32_e32 v10, 6, v9
	v_and_b32_e32 v9, 0xffffffc0, v9
	v_sub_u32_e32 v78, v8, v9
	v_ashrrev_i32_e32 v9, 31, v23
	v_lshrrev_b32_e32 v9, 22, v9
	v_add_u32_e32 v9, v23, v9
	v_and_b32_e32 v79, 0xfffffc00, v9
	v_lshlrev_b32_e32 v8, 4, v78
	v_sub_u32_e32 v88, v23, v79
	v_lshl_add_u32 v8, v10, 10, v8
	v_ashrrev_i32_e32 v11, 10, v9
	v_cmp_lt_i32_e32 vcc, 15, v88
	v_sub_u32_e32 v90, v23, v8
	s_nop 0
	v_addc_co_u32_e64 v9, s[24:25], 0, v11, vcc
	v_sub_u32_e32 v89, v9, v10
	v_cmp_lt_i32_e64 s[24:25], 15, v90
	s_and_saveexec_b64 s[66:67], s[24:25]
	s_cbranch_execz .LBB12_1099
; %bb.1064:                             ;   in Loop: Header=BB12_816 Depth=2
	s_trap 2
	ds_read_b64 v[10:11], v0
	v_add_u32_e32 v72, v8, v2
	s_and_b32 s74, s31, 1
	v_ashrrev_i32_e32 v73, 31, v72
	s_cmp_eq_u64 s[74:75], 0
	s_waitcnt lgkmcnt(0)
	v_lshl_add_u64 v[74:75], v[72:73], 0, v[62:63]
	v_lshl_add_u64 v[76:77], v[10:11], 0, v[72:73]
	s_mov_b64 s[68:69], 0
	s_cselect_b64 s[24:25], -1, 0
	s_branch .LBB12_1066
.LBB12_1065:                            ;   in Loop: Header=BB12_1066 Depth=3
	s_or_b64 exec, exec, s[28:29]
	v_and_b32_e32 v19, 0xffff0000, v27
	v_and_b32_e32 v26, 0xffff0000, v26
	;; [unrolled: 1-line block ×4, first 2 shown]
	v_lshlrev_b32_e32 v8, 16, v8
	v_max_f32_e32 v26, v26, v26
	v_max_f32_e32 v8, v8, v8
	v_min_f32_e32 v92, v26, v8
	v_max_f32_e32 v8, v26, v8
	v_cndmask_b32_e64 v8, v8, v92, s[24:25]
	v_and_b32_e32 v16, 0xffff0000, v16
	v_and_b32_e32 v26, 0x7f800000, v8
	v_cmp_eq_u32_e64 s[26:27], s73, v26
	v_bfe_u32 v26, v8, 16, 1
	v_cmp_eq_u32_sdwa s[28:29], v8, v3 src0_sel:WORD_0 src1_sel:DWORD
	v_or_b32_e32 v92, 0x10000, v8
	v_max_f32_e32 v16, v16, v16
	v_max_f32_e32 v91, v91, v91
	v_add3_u32 v26, v8, v26, s62
	v_cndmask_b32_e64 v8, v92, v8, s[28:29]
	v_min_f32_e32 v92, v16, v91
	v_max_f32_e32 v16, v16, v91
	v_cndmask_b32_e64 v16, v16, v92, s[24:25]
	v_and_b32_e32 v91, 0x7f800000, v16
	v_cmp_eq_u32_e64 s[28:29], s73, v91
	v_bfe_u32 v91, v16, 16, 1
	v_cmp_eq_u32_sdwa s[40:41], v16, v3 src0_sel:WORD_0 src1_sel:DWORD
	v_or_b32_e32 v92, 0x10000, v16
	v_add3_u32 v91, v16, v91, s62
	v_cndmask_b32_e64 v16, v92, v16, s[40:41]
	v_and_b32_e32 v92, 0xffff0000, v9
	v_lshlrev_b32_e32 v9, 16, v9
	v_max_f32_e32 v19, v19, v19
	v_max_f32_e32 v9, v9, v9
	v_min_f32_e32 v93, v19, v9
	v_max_f32_e32 v9, v19, v9
	v_cndmask_b32_e64 v9, v9, v93, s[24:25]
	v_and_b32_e32 v17, 0xffff0000, v17
	v_and_b32_e32 v19, 0x7f800000, v9
	v_cmp_eq_u32_e64 s[40:41], s73, v19
	v_bfe_u32 v19, v9, 16, 1
	v_cmp_eq_u32_sdwa s[42:43], v9, v3 src0_sel:WORD_0 src1_sel:DWORD
	v_or_b32_e32 v93, 0x10000, v9
	v_max_f32_e32 v17, v17, v17
	v_max_f32_e32 v92, v92, v92
	v_add3_u32 v19, v9, v19, s62
	v_cndmask_b32_e64 v9, v93, v9, s[42:43]
	v_min_f32_e32 v93, v17, v92
	v_max_f32_e32 v17, v17, v92
	v_cndmask_b32_e64 v17, v17, v93, s[24:25]
	v_and_b32_e32 v92, 0x7f800000, v17
	v_cmp_eq_u32_e64 s[42:43], s73, v92
	v_bfe_u32 v92, v17, 16, 1
	v_cmp_eq_u32_sdwa s[44:45], v17, v3 src0_sel:WORD_0 src1_sel:DWORD
	v_or_b32_e32 v93, 0x10000, v17
	v_add3_u32 v92, v17, v92, s62
	v_cndmask_b32_e64 v17, v93, v17, s[44:45]
	v_and_b32_e32 v93, 0xffff0000, v10
	v_lshlrev_b32_e32 v10, 16, v10
	v_max_f32_e32 v27, v27, v27
	v_max_f32_e32 v10, v10, v10
	v_min_f32_e32 v120, v27, v10
	v_max_f32_e32 v10, v27, v10
	v_cndmask_b32_e64 v10, v10, v120, s[24:25]
	v_and_b32_e32 v14, 0xffff0000, v14
	v_and_b32_e32 v27, 0x7f800000, v10
	v_cmp_eq_u32_e64 s[44:45], s73, v27
	v_bfe_u32 v27, v10, 16, 1
	v_cmp_eq_u32_sdwa s[46:47], v10, v3 src0_sel:WORD_0 src1_sel:DWORD
	v_or_b32_e32 v120, 0x10000, v10
	v_max_f32_e32 v14, v14, v14
	v_max_f32_e32 v93, v93, v93
	v_add3_u32 v27, v10, v27, s62
	v_cndmask_b32_e64 v10, v120, v10, s[46:47]
	v_min_f32_e32 v120, v14, v93
	v_max_f32_e32 v14, v14, v93
	v_cndmask_b32_e64 v14, v14, v120, s[24:25]
	v_and_b32_e32 v93, 0x7f800000, v14
	v_cmp_eq_u32_e64 s[46:47], s73, v93
	v_bfe_u32 v93, v14, 16, 1
	v_cmp_eq_u32_sdwa s[56:57], v14, v3 src0_sel:WORD_0 src1_sel:DWORD
	v_or_b32_e32 v120, 0x10000, v14
	v_and_b32_e32 v18, 0xffff0000, v18
	v_add3_u32 v93, v14, v93, s62
	v_cndmask_b32_e64 v14, v120, v14, s[56:57]
	v_and_b32_e32 v120, 0xffff0000, v11
	v_lshlrev_b32_e32 v11, 16, v11
	v_max_f32_e32 v18, v18, v18
	v_max_f32_e32 v11, v11, v11
	v_min_f32_e32 v121, v18, v11
	v_max_f32_e32 v11, v18, v11
	v_cndmask_b32_e64 v11, v11, v121, s[24:25]
	v_and_b32_e32 v15, 0xffff0000, v15
	v_and_b32_e32 v18, 0x7f800000, v11
	v_cmp_eq_u32_e64 s[56:57], s73, v18
	v_bfe_u32 v18, v11, 16, 1
	v_cmp_eq_u32_sdwa s[58:59], v11, v3 src0_sel:WORD_0 src1_sel:DWORD
	v_or_b32_e32 v121, 0x10000, v11
	v_max_f32_e32 v15, v15, v15
	v_max_f32_e32 v120, v120, v120
	v_add3_u32 v18, v11, v18, s62
	v_cndmask_b32_e64 v11, v121, v11, s[58:59]
	v_min_f32_e32 v121, v15, v120
	v_max_f32_e32 v15, v15, v120
	v_cndmask_b32_e64 v15, v15, v121, s[24:25]
	v_and_b32_e32 v120, 0x7f800000, v15
	v_cmp_eq_u32_e64 s[58:59], s73, v120
	v_bfe_u32 v120, v15, 16, 1
	v_cmp_eq_u32_sdwa s[60:61], v15, v3 src0_sel:WORD_0 src1_sel:DWORD
	v_or_b32_e32 v121, 0x10000, v15
	v_add3_u32 v120, v15, v120, s62
	v_cndmask_b32_e64 v15, v121, v15, s[60:61]
	v_cndmask_b32_e64 v8, v26, v8, s[26:27]
	;; [unrolled: 1-line block ×5, first 2 shown]
	v_sub_u32_e32 v90, v90, v70
	v_cndmask_b32_e64 v16, v91, v16, s[28:29]
	v_cndmask_b32_e64 v17, v92, v17, s[42:43]
	;; [unrolled: 1-line block ×4, first 2 shown]
	v_lshrrev_b32_e32 v9, 16, v9
	v_lshrrev_b32_e32 v8, 16, v8
	;; [unrolled: 1-line block ×4, first 2 shown]
	v_cmp_gt_i32_e64 s[26:27], 16, v90
	v_lshl_add_u64 v[12:13], v[60:61], 0, v[72:73]
	v_and_or_b32 v9, v17, s63, v9
	v_and_or_b32 v8, v16, s63, v8
	;; [unrolled: 1-line block ×4, first 2 shown]
	v_lshl_add_u64 v[74:75], v[74:75], 0, v[70:71]
	v_lshl_add_u64 v[76:77], v[76:77], 0, v[70:71]
	;; [unrolled: 1-line block ×3, first 2 shown]
	v_sub_u32_e32 v89, v89, v52
	s_or_b64 s[68:69], s[26:27], s[68:69]
	global_store_dwordx4 v[12:13], v[8:11], off
	s_andn2_b64 exec, exec, s[68:69]
	s_cbranch_execz .LBB12_1098
.LBB12_1066:                            ;   Parent Loop BB12_47 Depth=1
                                        ;     Parent Loop BB12_816 Depth=2
                                        ; =>    This Inner Loop Header: Depth=3
	global_load_dwordx4 v[12:15], v[76:77], off nt
	global_load_dwordx4 v[16:19], v[74:75], off nt
	;; [unrolled: 1-line block ×3, first 2 shown]
	s_waitcnt vmcnt(0)
	v_lshlrev_b32_e32 v26, 16, v12
	v_lshlrev_b32_e32 v27, 16, v16
	v_max_f32_e32 v26, v26, v26
	v_max_f32_e32 v27, v27, v27
	v_min_f32_e32 v91, v27, v26
	v_max_f32_e32 v26, v27, v26
	v_cndmask_b32_e64 v27, v26, v91, s[24:25]
	v_and_b32_e32 v26, 0x7f800000, v27
	v_cmp_ne_u32_e64 s[26:27], s73, v26
                                        ; implicit-def: $vgpr26
	s_and_saveexec_b64 s[28:29], s[26:27]
	s_xor_b64 s[26:27], exec, s[28:29]
; %bb.1067:                             ;   in Loop: Header=BB12_1066 Depth=3
	v_bfe_u32 v26, v27, 16, 1
	v_add3_u32 v26, v27, v26, s62
                                        ; implicit-def: $vgpr27
; %bb.1068:                             ;   in Loop: Header=BB12_1066 Depth=3
	s_andn2_saveexec_b64 s[28:29], s[26:27]
; %bb.1069:                             ;   in Loop: Header=BB12_1066 Depth=3
	v_or_b32_e32 v26, 0x10000, v27
	v_cmp_eq_u32_sdwa s[26:27], v27, v3 src0_sel:WORD_0 src1_sel:DWORD
	s_nop 1
	v_cndmask_b32_e64 v26, v26, v27, s[26:27]
; %bb.1070:                             ;   in Loop: Header=BB12_1066 Depth=3
	s_or_b64 exec, exec, s[28:29]
	v_and_b32_e32 v12, 0xffff0000, v12
	v_and_b32_e32 v16, 0xffff0000, v16
	v_max_f32_e32 v12, v12, v12
	v_max_f32_e32 v16, v16, v16
	v_min_f32_e32 v27, v16, v12
	v_max_f32_e32 v12, v16, v12
	v_cndmask_b32_e64 v12, v12, v27, s[24:25]
	v_and_b32_e32 v16, 0x7f800000, v12
	v_cmp_ne_u32_e64 s[26:27], s73, v16
                                        ; implicit-def: $vgpr16
	s_and_saveexec_b64 s[28:29], s[26:27]
	s_xor_b64 s[26:27], exec, s[28:29]
; %bb.1071:                             ;   in Loop: Header=BB12_1066 Depth=3
	v_bfe_u32 v16, v12, 16, 1
	v_add3_u32 v16, v12, v16, s62
                                        ; implicit-def: $vgpr12
; %bb.1072:                             ;   in Loop: Header=BB12_1066 Depth=3
	s_andn2_saveexec_b64 s[28:29], s[26:27]
; %bb.1073:                             ;   in Loop: Header=BB12_1066 Depth=3
	v_or_b32_e32 v16, 0x10000, v12
	v_cmp_eq_u32_sdwa s[26:27], v12, v3 src0_sel:WORD_0 src1_sel:DWORD
	s_nop 1
	v_cndmask_b32_e64 v16, v16, v12, s[26:27]
; %bb.1074:                             ;   in Loop: Header=BB12_1066 Depth=3
	s_or_b64 exec, exec, s[28:29]
	v_lshlrev_b32_e32 v12, 16, v13
	v_lshlrev_b32_e32 v27, 16, v17
	v_max_f32_e32 v12, v12, v12
	v_max_f32_e32 v27, v27, v27
	v_min_f32_e32 v91, v27, v12
	v_max_f32_e32 v12, v27, v12
	v_cndmask_b32_e64 v12, v12, v91, s[24:25]
	v_and_b32_e32 v27, 0x7f800000, v12
	v_cmp_ne_u32_e64 s[26:27], s73, v27
                                        ; implicit-def: $vgpr27
	s_and_saveexec_b64 s[28:29], s[26:27]
	s_xor_b64 s[26:27], exec, s[28:29]
; %bb.1075:                             ;   in Loop: Header=BB12_1066 Depth=3
	v_bfe_u32 v27, v12, 16, 1
	v_add3_u32 v27, v12, v27, s62
                                        ; implicit-def: $vgpr12
; %bb.1076:                             ;   in Loop: Header=BB12_1066 Depth=3
	s_andn2_saveexec_b64 s[28:29], s[26:27]
; %bb.1077:                             ;   in Loop: Header=BB12_1066 Depth=3
	v_or_b32_e32 v27, 0x10000, v12
	v_cmp_eq_u32_sdwa s[26:27], v12, v3 src0_sel:WORD_0 src1_sel:DWORD
	s_nop 1
	v_cndmask_b32_e64 v27, v27, v12, s[26:27]
; %bb.1078:                             ;   in Loop: Header=BB12_1066 Depth=3
	s_or_b64 exec, exec, s[28:29]
	v_and_b32_e32 v12, 0xffff0000, v17
	v_and_b32_e32 v13, 0xffff0000, v13
	v_max_f32_e32 v13, v13, v13
	v_max_f32_e32 v12, v12, v12
	v_min_f32_e32 v17, v12, v13
	v_max_f32_e32 v12, v12, v13
	v_cndmask_b32_e64 v12, v12, v17, s[24:25]
	v_and_b32_e32 v13, 0x7f800000, v12
	v_cmp_ne_u32_e64 s[26:27], s73, v13
                                        ; implicit-def: $vgpr17
	s_and_saveexec_b64 s[28:29], s[26:27]
	s_xor_b64 s[26:27], exec, s[28:29]
; %bb.1079:                             ;   in Loop: Header=BB12_1066 Depth=3
	v_bfe_u32 v13, v12, 16, 1
	v_add3_u32 v17, v12, v13, s62
                                        ; implicit-def: $vgpr12
; %bb.1080:                             ;   in Loop: Header=BB12_1066 Depth=3
	s_andn2_saveexec_b64 s[28:29], s[26:27]
; %bb.1081:                             ;   in Loop: Header=BB12_1066 Depth=3
	v_or_b32_e32 v13, 0x10000, v12
	v_cmp_eq_u32_sdwa s[26:27], v12, v3 src0_sel:WORD_0 src1_sel:DWORD
	s_nop 1
	v_cndmask_b32_e64 v17, v13, v12, s[26:27]
; %bb.1082:                             ;   in Loop: Header=BB12_1066 Depth=3
	s_or_b64 exec, exec, s[28:29]
	v_lshlrev_b32_e32 v12, 16, v14
	v_lshlrev_b32_e32 v13, 16, v18
	v_max_f32_e32 v12, v12, v12
	v_max_f32_e32 v13, v13, v13
	v_min_f32_e32 v91, v13, v12
	v_max_f32_e32 v12, v13, v12
	v_cndmask_b32_e64 v12, v12, v91, s[24:25]
	v_and_b32_e32 v13, 0x7f800000, v12
	v_cmp_ne_u32_e64 s[26:27], s73, v13
                                        ; implicit-def: $vgpr91
	s_and_saveexec_b64 s[28:29], s[26:27]
	s_xor_b64 s[26:27], exec, s[28:29]
; %bb.1083:                             ;   in Loop: Header=BB12_1066 Depth=3
	v_bfe_u32 v13, v12, 16, 1
	v_add3_u32 v91, v12, v13, s62
                                        ; implicit-def: $vgpr12
; %bb.1084:                             ;   in Loop: Header=BB12_1066 Depth=3
	s_andn2_saveexec_b64 s[28:29], s[26:27]
; %bb.1085:                             ;   in Loop: Header=BB12_1066 Depth=3
	v_or_b32_e32 v13, 0x10000, v12
	v_cmp_eq_u32_sdwa s[26:27], v12, v3 src0_sel:WORD_0 src1_sel:DWORD
	s_nop 1
	v_cndmask_b32_e64 v91, v13, v12, s[26:27]
; %bb.1086:                             ;   in Loop: Header=BB12_1066 Depth=3
	s_or_b64 exec, exec, s[28:29]
	v_and_b32_e32 v12, 0xffff0000, v18
	v_and_b32_e32 v13, 0xffff0000, v14
	v_max_f32_e32 v13, v13, v13
	v_max_f32_e32 v12, v12, v12
	v_min_f32_e32 v14, v12, v13
	v_max_f32_e32 v12, v12, v13
	v_cndmask_b32_e64 v12, v12, v14, s[24:25]
	v_and_b32_e32 v13, 0x7f800000, v12
	v_cmp_ne_u32_e64 s[26:27], s73, v13
                                        ; implicit-def: $vgpr14
	s_and_saveexec_b64 s[28:29], s[26:27]
	s_xor_b64 s[26:27], exec, s[28:29]
; %bb.1087:                             ;   in Loop: Header=BB12_1066 Depth=3
	v_bfe_u32 v13, v12, 16, 1
	v_add3_u32 v14, v12, v13, s62
                                        ; implicit-def: $vgpr12
; %bb.1088:                             ;   in Loop: Header=BB12_1066 Depth=3
	s_andn2_saveexec_b64 s[28:29], s[26:27]
; %bb.1089:                             ;   in Loop: Header=BB12_1066 Depth=3
	v_or_b32_e32 v13, 0x10000, v12
	v_cmp_eq_u32_sdwa s[26:27], v12, v3 src0_sel:WORD_0 src1_sel:DWORD
	s_nop 1
	v_cndmask_b32_e64 v14, v13, v12, s[26:27]
; %bb.1090:                             ;   in Loop: Header=BB12_1066 Depth=3
	s_or_b64 exec, exec, s[28:29]
	v_lshlrev_b32_e32 v12, 16, v15
	v_lshlrev_b32_e32 v13, 16, v19
	v_max_f32_e32 v12, v12, v12
	v_max_f32_e32 v13, v13, v13
	v_min_f32_e32 v18, v13, v12
	v_max_f32_e32 v12, v13, v12
	v_cndmask_b32_e64 v12, v12, v18, s[24:25]
	v_and_b32_e32 v13, 0x7f800000, v12
	v_cmp_ne_u32_e64 s[26:27], s73, v13
                                        ; implicit-def: $vgpr18
	s_and_saveexec_b64 s[28:29], s[26:27]
	s_xor_b64 s[26:27], exec, s[28:29]
; %bb.1091:                             ;   in Loop: Header=BB12_1066 Depth=3
	v_bfe_u32 v13, v12, 16, 1
	v_add3_u32 v18, v12, v13, s62
                                        ; implicit-def: $vgpr12
; %bb.1092:                             ;   in Loop: Header=BB12_1066 Depth=3
	s_andn2_saveexec_b64 s[28:29], s[26:27]
; %bb.1093:                             ;   in Loop: Header=BB12_1066 Depth=3
	v_or_b32_e32 v13, 0x10000, v12
	v_cmp_eq_u32_sdwa s[26:27], v12, v3 src0_sel:WORD_0 src1_sel:DWORD
	s_nop 1
	v_cndmask_b32_e64 v18, v13, v12, s[26:27]
; %bb.1094:                             ;   in Loop: Header=BB12_1066 Depth=3
	s_or_b64 exec, exec, s[28:29]
	v_and_b32_e32 v12, 0xffff0000, v19
	v_and_b32_e32 v13, 0xffff0000, v15
	v_max_f32_e32 v13, v13, v13
	v_max_f32_e32 v12, v12, v12
	v_min_f32_e32 v15, v12, v13
	v_max_f32_e32 v12, v12, v13
	v_cndmask_b32_e64 v12, v12, v15, s[24:25]
	v_and_b32_e32 v13, 0x7f800000, v12
	v_cmp_ne_u32_e64 s[26:27], s73, v13
                                        ; implicit-def: $vgpr15
	s_and_saveexec_b64 s[28:29], s[26:27]
	s_xor_b64 s[26:27], exec, s[28:29]
; %bb.1095:                             ;   in Loop: Header=BB12_1066 Depth=3
	v_bfe_u32 v13, v12, 16, 1
	v_add3_u32 v15, v12, v13, s62
                                        ; implicit-def: $vgpr12
; %bb.1096:                             ;   in Loop: Header=BB12_1066 Depth=3
	s_andn2_saveexec_b64 s[28:29], s[26:27]
	s_cbranch_execz .LBB12_1065
; %bb.1097:                             ;   in Loop: Header=BB12_1066 Depth=3
	v_or_b32_e32 v13, 0x10000, v12
	v_cmp_eq_u32_sdwa s[26:27], v12, v3 src0_sel:WORD_0 src1_sel:DWORD
	s_nop 1
	v_cndmask_b32_e64 v15, v13, v12, s[26:27]
	s_branch .LBB12_1065
.LBB12_1098:                            ;   in Loop: Header=BB12_816 Depth=2
	s_or_b64 exec, exec, s[68:69]
.LBB12_1099:                            ;   in Loop: Header=BB12_816 Depth=2
	s_or_b64 exec, exec, s[66:67]
	v_and_b32_e32 v8, 14, v23
	v_sub_u32_e32 v9, v88, v8
	v_cndmask_b32_e32 v9, 0, v9, vcc
	v_add3_u32 v16, v79, v2, v9
	v_cndmask_b32_e32 v2, v88, v8, vcc
	v_cmp_lt_i32_e32 vcc, 0, v89
	s_nop 1
	v_cndmask_b32_e32 v8, 0, v52, vcc
	v_sub_u32_e32 v8, v8, v89
	v_cmp_ne_u32_e32 vcc, 0, v2
	v_lshl_add_u32 v17, v8, 6, v78
	s_and_b64 s[28:29], vcc, exec
.LBB12_1100:                            ;   in Loop: Header=BB12_816 Depth=2
	s_or_b64 exec, exec, s[64:65]
	s_and_saveexec_b64 s[26:27], s[28:29]
	s_cbranch_execz .LBB12_1145
.LBB12_1101:                            ;   in Loop: Header=BB12_816 Depth=2
	v_ashrrev_i32_e32 v8, 31, v17
	v_ashrrev_i32_e32 v9, 31, v2
	v_lshrrev_b32_e32 v8, 26, v8
	v_lshrrev_b32_e32 v9, 23, v9
	v_add_u32_e32 v8, v17, v8
	v_add_u32_e32 v9, v2, v9
	v_ashrrev_i32_e32 v18, 6, v8
	v_ashrrev_i32_e32 v23, 9, v9
	v_sub_u32_e32 v19, v23, v18
	v_cmp_lt_i32_e32 vcc, 0, v19
	s_and_saveexec_b64 s[28:29], vcc
	s_cbranch_execz .LBB12_1137
; %bb.1102:                             ;   in Loop: Header=BB12_816 Depth=2
	v_and_b32_e32 v8, 0x7fffffc0, v8
	s_trap 2
	ds_read_b64 v[10:11], v0
	v_sub_u32_e32 v8, v17, v8
	v_lshlrev_b32_e32 v8, 1, v8
	v_lshlrev_b32_e32 v9, 9, v18
	v_add3_u32 v12, v8, v16, v9
	s_and_b32 s74, s31, 1
	v_ashrrev_i32_e32 v13, 31, v12
	s_cmp_eq_u64 s[74:75], 0
	v_lshl_add_u64 v[8:9], v[12:13], 0, v[62:63]
	s_waitcnt lgkmcnt(0)
	v_lshl_add_u64 v[10:11], v[10:11], 0, v[12:13]
	s_mov_b64 s[40:41], 0
	s_cselect_b64 s[24:25], -1, 0
	v_lshl_add_u64 v[12:13], v[12:13], 0, s[48:49]
	s_branch .LBB12_1104
.LBB12_1103:                            ;   in Loop: Header=BB12_1104 Depth=3
	s_or_b64 exec, exec, s[42:43]
	v_sub_u32_e32 v19, v19, v52
	v_cmp_gt_i32_e32 vcc, 1, v19
	v_lshl_add_u64 v[8:9], v[8:9], 0, v[80:81]
	v_lshl_add_u64 v[10:11], v[10:11], 0, v[80:81]
	s_or_b64 s[40:41], vcc, s[40:41]
	v_lshl_add_u64 v[12:13], v[12:13], 0, v[112:113]
	flat_store_short_d16_hi v[14:15], v27 nt
	s_andn2_b64 exec, exec, s[40:41]
	s_cbranch_execz .LBB12_1136
.LBB12_1104:                            ;   Parent Loop BB12_47 Depth=1
                                        ;     Parent Loop BB12_816 Depth=2
                                        ; =>    This Inner Loop Header: Depth=3
	v_add_co_u32_e32 v14, vcc, 0xfffffe80, v12
	s_nop 1
	v_addc_co_u32_e32 v15, vcc, -1, v13, vcc
	flat_load_ushort v14, v[14:15] nt
	s_nop 0
	flat_load_ushort v75, v[8:9] offset:128 nt
	flat_load_ushort v74, v[8:9] offset:256 nt
	flat_load_ushort v73, v[8:9] offset:384 nt
	flat_load_ushort v15, v[8:9] nt
	flat_load_ushort v78, v[10:11] offset:128 nt
	flat_load_ushort v77, v[10:11] offset:256 nt
	;; [unrolled: 1-line block ×3, first 2 shown]
	flat_load_ushort v79, v[10:11] nt
	v_add_co_u32_e32 v88, vcc, 0xffffff00, v12
	s_waitcnt vmcnt(0) lgkmcnt(0)
	v_lshlrev_b32_e32 v15, 16, v15
	v_addc_co_u32_e32 v89, vcc, -1, v13, vcc
	v_add_co_u32_e32 v26, vcc, s80, v12
	v_lshlrev_b32_e32 v79, 16, v79
	s_nop 0
	v_addc_co_u32_e32 v27, vcc, -1, v13, vcc
	flat_load_ushort v27, v[26:27] nt
	s_nop 0
	flat_load_ushort v26, v[12:13] nt
	flat_load_ushort v72, v[88:89] nt
	v_max_f32_e32 v79, v79, v79
	v_max_f32_e32 v15, v15, v15
	v_min_f32_e32 v88, v15, v79
	v_max_f32_e32 v15, v15, v79
	v_cndmask_b32_e64 v79, v15, v88, s[24:25]
	v_and_b32_e32 v15, 0x7f800000, v79
	v_cmp_ne_u32_e32 vcc, s73, v15
                                        ; implicit-def: $vgpr15
	s_and_saveexec_b64 s[42:43], vcc
	s_xor_b64 s[42:43], exec, s[42:43]
; %bb.1105:                             ;   in Loop: Header=BB12_1104 Depth=3
	v_bfe_u32 v15, v79, 16, 1
	v_add3_u32 v15, v79, v15, s62
                                        ; implicit-def: $vgpr79
; %bb.1106:                             ;   in Loop: Header=BB12_1104 Depth=3
	s_andn2_saveexec_b64 s[42:43], s[42:43]
; %bb.1107:                             ;   in Loop: Header=BB12_1104 Depth=3
	v_or_b32_e32 v15, 0x10000, v79
	v_cmp_eq_u32_sdwa vcc, v79, v3 src0_sel:WORD_0 src1_sel:DWORD
	s_nop 1
	v_cndmask_b32_e32 v15, v15, v79, vcc
; %bb.1108:                             ;   in Loop: Header=BB12_1104 Depth=3
	s_or_b64 exec, exec, s[42:43]
	v_lshlrev_b32_e32 v75, 16, v75
	v_lshlrev_b32_e32 v78, 16, v78
	v_max_f32_e32 v78, v78, v78
	v_max_f32_e32 v75, v75, v75
	v_min_f32_e32 v79, v75, v78
	v_max_f32_e32 v75, v75, v78
	v_cndmask_b32_e64 v78, v75, v79, s[24:25]
	v_and_b32_e32 v75, 0x7f800000, v78
	v_cmp_ne_u32_e32 vcc, s73, v75
                                        ; implicit-def: $vgpr75
	s_and_saveexec_b64 s[42:43], vcc
	s_xor_b64 s[42:43], exec, s[42:43]
; %bb.1109:                             ;   in Loop: Header=BB12_1104 Depth=3
	v_bfe_u32 v75, v78, 16, 1
	v_add3_u32 v75, v78, v75, s62
                                        ; implicit-def: $vgpr78
; %bb.1110:                             ;   in Loop: Header=BB12_1104 Depth=3
	s_andn2_saveexec_b64 s[42:43], s[42:43]
; %bb.1111:                             ;   in Loop: Header=BB12_1104 Depth=3
	v_or_b32_e32 v75, 0x10000, v78
	v_cmp_eq_u32_sdwa vcc, v78, v3 src0_sel:WORD_0 src1_sel:DWORD
	s_nop 1
	v_cndmask_b32_e32 v75, v75, v78, vcc
; %bb.1112:                             ;   in Loop: Header=BB12_1104 Depth=3
	s_or_b64 exec, exec, s[42:43]
	v_lshlrev_b32_e32 v74, 16, v74
	v_lshlrev_b32_e32 v77, 16, v77
	v_max_f32_e32 v77, v77, v77
	v_max_f32_e32 v74, v74, v74
	v_min_f32_e32 v78, v74, v77
	v_max_f32_e32 v74, v74, v77
	v_cndmask_b32_e64 v77, v74, v78, s[24:25]
	v_and_b32_e32 v74, 0x7f800000, v77
	v_cmp_ne_u32_e32 vcc, s73, v74
                                        ; implicit-def: $vgpr74
	s_and_saveexec_b64 s[42:43], vcc
	s_xor_b64 s[42:43], exec, s[42:43]
; %bb.1113:                             ;   in Loop: Header=BB12_1104 Depth=3
	v_bfe_u32 v74, v77, 16, 1
	v_add3_u32 v74, v77, v74, s62
                                        ; implicit-def: $vgpr77
; %bb.1114:                             ;   in Loop: Header=BB12_1104 Depth=3
	s_andn2_saveexec_b64 s[42:43], s[42:43]
; %bb.1115:                             ;   in Loop: Header=BB12_1104 Depth=3
	v_or_b32_e32 v74, 0x10000, v77
	v_cmp_eq_u32_sdwa vcc, v77, v3 src0_sel:WORD_0 src1_sel:DWORD
	s_nop 1
	v_cndmask_b32_e32 v74, v74, v77, vcc
; %bb.1116:                             ;   in Loop: Header=BB12_1104 Depth=3
	s_or_b64 exec, exec, s[42:43]
	v_lshlrev_b32_e32 v73, 16, v73
	v_lshlrev_b32_e32 v76, 16, v76
	v_max_f32_e32 v76, v76, v76
	v_max_f32_e32 v73, v73, v73
	v_min_f32_e32 v77, v73, v76
	v_max_f32_e32 v73, v73, v76
	v_cndmask_b32_e64 v76, v73, v77, s[24:25]
	v_and_b32_e32 v73, 0x7f800000, v76
	v_cmp_ne_u32_e32 vcc, s73, v73
                                        ; implicit-def: $vgpr73
	s_and_saveexec_b64 s[42:43], vcc
	s_xor_b64 s[42:43], exec, s[42:43]
; %bb.1117:                             ;   in Loop: Header=BB12_1104 Depth=3
	v_bfe_u32 v73, v76, 16, 1
	v_add3_u32 v73, v76, v73, s62
                                        ; implicit-def: $vgpr76
; %bb.1118:                             ;   in Loop: Header=BB12_1104 Depth=3
	s_andn2_saveexec_b64 s[42:43], s[42:43]
; %bb.1119:                             ;   in Loop: Header=BB12_1104 Depth=3
	v_or_b32_e32 v73, 0x10000, v76
	v_cmp_eq_u32_sdwa vcc, v76, v3 src0_sel:WORD_0 src1_sel:DWORD
	s_nop 1
	v_cndmask_b32_e32 v73, v73, v76, vcc
; %bb.1120:                             ;   in Loop: Header=BB12_1104 Depth=3
	s_or_b64 exec, exec, s[42:43]
	v_and_b32_e32 v15, 0xffff0000, v15
	v_lshlrev_b32_e32 v14, 16, v14
	v_max_f32_e32 v15, v15, v15
	v_max_f32_e32 v14, v14, v14
	v_min_f32_e32 v76, v15, v14
	v_max_f32_e32 v14, v15, v14
	v_cndmask_b32_e64 v14, v14, v76, s[24:25]
	v_and_b32_e32 v15, 0x7f800000, v14
	v_cmp_ne_u32_e32 vcc, s73, v15
                                        ; implicit-def: $vgpr76
	s_and_saveexec_b64 s[42:43], vcc
	s_xor_b64 s[42:43], exec, s[42:43]
; %bb.1121:                             ;   in Loop: Header=BB12_1104 Depth=3
	v_bfe_u32 v15, v14, 16, 1
	v_add3_u32 v76, v14, v15, s62
                                        ; implicit-def: $vgpr14
; %bb.1122:                             ;   in Loop: Header=BB12_1104 Depth=3
	s_andn2_saveexec_b64 s[42:43], s[42:43]
; %bb.1123:                             ;   in Loop: Header=BB12_1104 Depth=3
	v_or_b32_e32 v15, 0x10000, v14
	v_cmp_eq_u32_sdwa vcc, v14, v3 src0_sel:WORD_0 src1_sel:DWORD
	s_nop 1
	v_cndmask_b32_e32 v76, v15, v14, vcc
; %bb.1124:                             ;   in Loop: Header=BB12_1104 Depth=3
	s_or_b64 exec, exec, s[42:43]
	v_lshl_add_u64 v[14:15], v[60:61], 0, v[12:13]
	v_and_b32_e32 v75, 0xffff0000, v75
	v_add_co_u32_e32 v78, vcc, 0xfffffe80, v14
	s_waitcnt vmcnt(0) lgkmcnt(0)
	v_lshlrev_b32_e32 v72, 16, v72
	v_addc_co_u32_e32 v79, vcc, -1, v15, vcc
	v_max_f32_e32 v75, v75, v75
	v_max_f32_e32 v72, v72, v72
	flat_store_short_d16_hi v[78:79], v76 nt
	v_min_f32_e32 v76, v75, v72
	v_max_f32_e32 v72, v75, v72
	v_cndmask_b32_e64 v75, v72, v76, s[24:25]
	v_and_b32_e32 v72, 0x7f800000, v75
	v_cmp_ne_u32_e32 vcc, s73, v72
                                        ; implicit-def: $vgpr72
	s_and_saveexec_b64 s[42:43], vcc
	s_xor_b64 s[42:43], exec, s[42:43]
; %bb.1125:                             ;   in Loop: Header=BB12_1104 Depth=3
	v_bfe_u32 v72, v75, 16, 1
	v_add3_u32 v72, v75, v72, s62
                                        ; implicit-def: $vgpr75
; %bb.1126:                             ;   in Loop: Header=BB12_1104 Depth=3
	s_andn2_saveexec_b64 s[42:43], s[42:43]
; %bb.1127:                             ;   in Loop: Header=BB12_1104 Depth=3
	v_or_b32_e32 v72, 0x10000, v75
	v_cmp_eq_u32_sdwa vcc, v75, v3 src0_sel:WORD_0 src1_sel:DWORD
	s_nop 1
	v_cndmask_b32_e32 v72, v72, v75, vcc
; %bb.1128:                             ;   in Loop: Header=BB12_1104 Depth=3
	s_or_b64 exec, exec, s[42:43]
	v_and_b32_e32 v76, 0xffff0000, v74
	v_add_co_u32_e32 v74, vcc, 0xffffff00, v14
	v_lshlrev_b32_e32 v27, 16, v27
	s_nop 0
	v_addc_co_u32_e32 v75, vcc, -1, v15, vcc
	flat_store_short_d16_hi v[74:75], v72 nt
	v_max_f32_e32 v72, v76, v76
	v_max_f32_e32 v27, v27, v27
	v_min_f32_e32 v74, v72, v27
	v_max_f32_e32 v27, v72, v27
	v_cndmask_b32_e64 v72, v27, v74, s[24:25]
	v_and_b32_e32 v27, 0x7f800000, v72
	v_cmp_ne_u32_e32 vcc, s73, v27
                                        ; implicit-def: $vgpr27
	s_and_saveexec_b64 s[42:43], vcc
	s_xor_b64 s[42:43], exec, s[42:43]
; %bb.1129:                             ;   in Loop: Header=BB12_1104 Depth=3
	v_bfe_u32 v27, v72, 16, 1
	v_add3_u32 v27, v72, v27, s62
                                        ; implicit-def: $vgpr72
; %bb.1130:                             ;   in Loop: Header=BB12_1104 Depth=3
	s_andn2_saveexec_b64 s[42:43], s[42:43]
; %bb.1131:                             ;   in Loop: Header=BB12_1104 Depth=3
	v_or_b32_e32 v27, 0x10000, v72
	v_cmp_eq_u32_sdwa vcc, v72, v3 src0_sel:WORD_0 src1_sel:DWORD
	s_nop 1
	v_cndmask_b32_e32 v27, v27, v72, vcc
; %bb.1132:                             ;   in Loop: Header=BB12_1104 Depth=3
	s_or_b64 exec, exec, s[42:43]
	v_add_co_u32_e32 v72, vcc, 0xffffff80, v14
	v_and_b32_e32 v74, 0xffff0000, v73
	s_nop 0
	v_addc_co_u32_e32 v73, vcc, -1, v15, vcc
	v_lshlrev_b32_e32 v26, 16, v26
	flat_store_short_d16_hi v[72:73], v27 nt
	v_max_f32_e32 v27, v74, v74
	v_max_f32_e32 v26, v26, v26
	v_min_f32_e32 v72, v27, v26
	v_max_f32_e32 v26, v27, v26
	v_cndmask_b32_e64 v26, v26, v72, s[24:25]
	v_and_b32_e32 v27, 0x7f800000, v26
	v_cmp_ne_u32_e32 vcc, s73, v27
                                        ; implicit-def: $vgpr27
	s_and_saveexec_b64 s[42:43], vcc
	s_xor_b64 s[42:43], exec, s[42:43]
; %bb.1133:                             ;   in Loop: Header=BB12_1104 Depth=3
	v_bfe_u32 v27, v26, 16, 1
	v_add3_u32 v27, v26, v27, s62
                                        ; implicit-def: $vgpr26
; %bb.1134:                             ;   in Loop: Header=BB12_1104 Depth=3
	s_andn2_saveexec_b64 s[42:43], s[42:43]
	s_cbranch_execz .LBB12_1103
; %bb.1135:                             ;   in Loop: Header=BB12_1104 Depth=3
	v_or_b32_e32 v27, 0x10000, v26
	v_cmp_eq_u32_sdwa vcc, v26, v3 src0_sel:WORD_0 src1_sel:DWORD
	s_nop 1
	v_cndmask_b32_e32 v27, v27, v26, vcc
	s_branch .LBB12_1103
.LBB12_1136:                            ;   in Loop: Header=BB12_816 Depth=2
	s_or_b64 exec, exec, s[40:41]
.LBB12_1137:                            ;   in Loop: Header=BB12_816 Depth=2
	s_or_b64 exec, exec, s[28:29]
	v_lshlrev_b32_e32 v8, 9, v23
	v_cmp_ne_u32_e32 vcc, v2, v8
	s_and_b64 exec, exec, vcc
	s_cbranch_execz .LBB12_1145
; %bb.1138:                             ;   in Loop: Header=BB12_816 Depth=2
	v_lshlrev_b32_e32 v9, 6, v18
	v_sub_u32_e32 v9, v17, v9
	v_lshlrev_b32_e32 v10, 6, v19
	v_sub_u32_e32 v9, v9, v10
	v_ashrrev_i32_e32 v10, 31, v9
	v_lshrrev_b32_e32 v10, 26, v10
	v_add_u32_e32 v10, v9, v10
	v_and_b32_e32 v11, 0x7fffffc0, v10
	v_sub_u32_e32 v9, v9, v11
	v_lshlrev_b32_e32 v10, 1, v10
	v_and_b32_e32 v10, 0xffffff80, v10
	v_lshlrev_b32_e32 v9, 1, v9
	v_add3_u32 v8, v10, v9, v8
	v_sub_u32_e32 v2, v2, v8
	v_cmp_lt_i32_e32 vcc, 1, v2
	s_and_b64 exec, exec, vcc
	s_cbranch_execz .LBB12_1145
; %bb.1139:                             ;   in Loop: Header=BB12_816 Depth=2
	s_trap 2
	ds_read_b64 v[12:13], v0
	v_add_u32_e32 v8, v8, v16
	s_and_b32 s74, s31, 1
	v_ashrrev_i32_e32 v9, 31, v8
	s_cmp_eq_u64 s[74:75], 0
	v_lshl_add_u64 v[10:11], v[8:9], 0, v[62:63]
	s_waitcnt lgkmcnt(0)
	v_lshl_add_u64 v[12:13], v[12:13], 0, v[8:9]
	s_mov_b64 s[28:29], 0
	s_cselect_b64 vcc, -1, 0
	s_branch .LBB12_1141
.LBB12_1140:                            ;   in Loop: Header=BB12_1141 Depth=3
	s_or_b64 exec, exec, s[40:41]
	v_and_b32_e32 v15, 0xffff0000, v16
	v_lshlrev_b32_e32 v14, 16, v14
	v_max_f32_e32 v15, v15, v15
	v_max_f32_e32 v14, v14, v14
	v_min_f32_e32 v16, v15, v14
	v_max_f32_e32 v14, v15, v14
	v_cndmask_b32_e32 v14, v14, v16, vcc
	v_and_b32_e32 v15, 0x7f800000, v14
	v_bfe_u32 v16, v14, 16, 1
	v_or_b32_e32 v17, 0x10000, v14
	v_cmp_eq_u32_sdwa s[24:25], v14, v3 src0_sel:WORD_0 src1_sel:DWORD
	v_add3_u32 v16, v14, v16, s62
	v_sub_u32_e32 v2, v2, v82
	v_cndmask_b32_e64 v14, v17, v14, s[24:25]
	v_cmp_eq_u32_e64 s[24:25], s73, v15
	v_lshl_add_u64 v[18:19], v[60:61], 0, v[8:9]
	v_lshl_add_u64 v[10:11], v[10:11], 0, v[82:83]
	v_cndmask_b32_e64 v14, v16, v14, s[24:25]
	v_cmp_gt_i32_e64 s[24:25], 2, v2
	v_lshl_add_u64 v[12:13], v[12:13], 0, v[82:83]
	s_or_b64 s[28:29], s[24:25], s[28:29]
	v_lshl_add_u64 v[8:9], v[8:9], 0, v[82:83]
	flat_store_short_d16_hi v[18:19], v14 nt
	s_andn2_b64 exec, exec, s[28:29]
	s_cbranch_execz .LBB12_1145
.LBB12_1141:                            ;   Parent Loop BB12_47 Depth=1
                                        ;     Parent Loop BB12_816 Depth=2
                                        ; =>    This Inner Loop Header: Depth=3
	flat_load_ushort v15, v[12:13] nt
	flat_load_ushort v16, v[10:11] nt
	;; [unrolled: 1-line block ×3, first 2 shown]
	s_waitcnt vmcnt(0) lgkmcnt(0)
	v_lshlrev_b32_e32 v15, 16, v15
	v_lshlrev_b32_e32 v16, 16, v16
	v_max_f32_e32 v15, v15, v15
	v_max_f32_e32 v16, v16, v16
	v_min_f32_e32 v17, v16, v15
	v_max_f32_e32 v15, v16, v15
	v_cndmask_b32_e32 v15, v15, v17, vcc
	v_and_b32_e32 v16, 0x7f800000, v15
	v_cmp_ne_u32_e64 s[24:25], s73, v16
                                        ; implicit-def: $vgpr16
	s_and_saveexec_b64 s[40:41], s[24:25]
	s_xor_b64 s[24:25], exec, s[40:41]
; %bb.1142:                             ;   in Loop: Header=BB12_1141 Depth=3
	v_bfe_u32 v16, v15, 16, 1
	v_add3_u32 v16, v15, v16, s62
                                        ; implicit-def: $vgpr15
; %bb.1143:                             ;   in Loop: Header=BB12_1141 Depth=3
	s_andn2_saveexec_b64 s[40:41], s[24:25]
	s_cbranch_execz .LBB12_1140
; %bb.1144:                             ;   in Loop: Header=BB12_1141 Depth=3
	v_or_b32_e32 v16, 0x10000, v15
	v_cmp_eq_u32_sdwa s[24:25], v15, v3 src0_sel:WORD_0 src1_sel:DWORD
	s_nop 1
	v_cndmask_b32_e64 v16, v16, v15, s[24:25]
	s_branch .LBB12_1140
.LBB12_1145:                            ;   in Loop: Header=BB12_816 Depth=2
	s_or_b64 exec, exec, s[26:27]
	v_cmp_lt_i32_e64 s[24:25], 0, v21
	s_and_saveexec_b64 s[26:27], s[4:5]
	s_cbranch_execz .LBB12_1164
.LBB12_1146:                            ;   in Loop: Header=BB12_816 Depth=2
	s_and_saveexec_b64 s[28:29], s[76:77]
	s_xor_b64 s[28:29], exec, s[28:29]
	s_cbranch_execz .LBB12_1161
; %bb.1147:                             ;   in Loop: Header=BB12_816 Depth=2
	s_and_saveexec_b64 s[40:41], s[12:13]
	s_cbranch_execz .LBB12_1160
; %bb.1148:                             ;   in Loop: Header=BB12_816 Depth=2
	s_mov_b64 s[44:45], exec
	v_mbcnt_lo_u32_b32 v2, s44, 0
	v_mbcnt_hi_u32_b32 v2, s45, v2
	v_cmp_eq_u32_e32 vcc, 0, v2
	s_waitcnt lgkmcnt(0)
	s_and_saveexec_b64 s[42:43], vcc
	s_cbranch_execz .LBB12_1150
; %bb.1149:                             ;   in Loop: Header=BB12_816 Depth=2
	s_bcnt1_i32_b64 s44, s[44:45]
	v_mov_b32_e32 v2, s44
	ds_add_u64 v0, v[2:3]
	s_trap 2
.LBB12_1150:                            ;   in Loop: Header=BB12_816 Depth=2
	s_or_b64 exec, exec, s[42:43]
	s_trap 2
	ds_read_b64 v[8:9], v0
	s_waitcnt lgkmcnt(0)
	v_lshl_add_u64 v[48:49], v[48:49], 0, v[52:53]
	v_cmp_lt_u64_e32 vcc, v[8:9], v[48:49]
	s_and_saveexec_b64 s[42:43], vcc
	s_cbranch_execz .LBB12_1159
; %bb.1151:                             ;   in Loop: Header=BB12_816 Depth=2
	s_mov_b32 s74, 0
	s_mov_b64 s[44:45], 0
                                        ; implicit-def: $sgpr46_sgpr47
                                        ; implicit-def: $sgpr56_sgpr57
	s_branch .LBB12_1153
.LBB12_1152:                            ;   in Loop: Header=BB12_1153 Depth=3
	s_or_b64 exec, exec, s[60:61]
	s_and_b64 s[58:59], exec, vcc
	s_or_b64 s[44:45], s[58:59], s[44:45]
	s_andn2_b64 s[46:47], s[46:47], exec
	s_and_b64 s[58:59], s[56:57], exec
	s_or_b64 s[46:47], s[46:47], s[58:59]
	s_andn2_b64 exec, exec, s[44:45]
	s_cbranch_execz .LBB12_1157
.LBB12_1153:                            ;   Parent Loop BB12_47 Depth=1
                                        ;     Parent Loop BB12_816 Depth=2
                                        ; =>    This Inner Loop Header: Depth=3
	s_add_i32 s74, s74, 1
	s_cmpk_lg_i32 s74, 0x2710
	s_cselect_b64 s[58:59], -1, 0
	s_and_b64 vcc, exec, s[58:59]
	s_cbranch_vccz .LBB12_1155
; %bb.1154:                             ;   in Loop: Header=BB12_1153 Depth=3
	s_mov_b64 vcc, -1
	s_or_b64 s[56:57], s[56:57], exec
	s_and_saveexec_b64 s[60:61], s[58:59]
	s_cbranch_execz .LBB12_1152
	s_branch .LBB12_1156
.LBB12_1155:                            ;   in Loop: Header=BB12_1153 Depth=3
	s_trap 2
	ds_read_b64 v[8:9], v0
	s_andn2_b64 s[58:59], s[58:59], exec
	s_mov_b32 s74, 0
	s_waitcnt vmcnt(0) lgkmcnt(0)
	flat_load_dword v2, v[8:9] sc0 sc1
	s_waitcnt vmcnt(0) lgkmcnt(0)
	buffer_inv sc0 sc1
	v_cmp_eq_u32_e32 vcc, 0, v2
	s_and_b64 s[60:61], vcc, exec
	s_or_b64 s[58:59], s[58:59], s[60:61]
	s_mov_b64 vcc, -1
	s_or_b64 s[56:57], s[56:57], exec
	s_and_saveexec_b64 s[60:61], s[58:59]
	s_cbranch_execz .LBB12_1152
.LBB12_1156:                            ;   in Loop: Header=BB12_1153 Depth=3
	s_sleep 1
	s_trap 2
	ds_read_b64 v[8:9], v0
	s_waitcnt lgkmcnt(0)
	s_andn2_b64 s[56:57], s[56:57], exec
	v_cmp_ge_u64_e32 vcc, v[8:9], v[48:49]
	s_orn2_b64 vcc, vcc, exec
	s_branch .LBB12_1152
.LBB12_1157:                            ;   in Loop: Header=BB12_816 Depth=2
	s_or_b64 exec, exec, s[44:45]
	s_and_saveexec_b64 s[44:45], s[46:47]
	s_xor_b64 s[44:45], exec, s[44:45]
	s_cbranch_execz .LBB12_1159
; %bb.1158:                             ;   in Loop: Header=BB12_816 Depth=2
	ds_write_b32 v0, v106
	s_trap 2
.LBB12_1159:                            ;   in Loop: Header=BB12_816 Depth=2
	s_or_b64 exec, exec, s[42:43]
	;;#ASMSTART
	s_wakeup
	;;#ASMEND
.LBB12_1160:                            ;   in Loop: Header=BB12_816 Depth=2
	s_or_b64 exec, exec, s[40:41]
.LBB12_1161:                            ;   in Loop: Header=BB12_816 Depth=2
	s_andn2_saveexec_b64 s[28:29], s[28:29]
	s_cbranch_execz .LBB12_1163
; %bb.1162:                             ;   in Loop: Header=BB12_816 Depth=2
	s_waitcnt lgkmcnt(0)
	s_barrier
.LBB12_1163:                            ;   in Loop: Header=BB12_816 Depth=2
	s_or_b64 exec, exec, s[28:29]
.LBB12_1164:                            ;   in Loop: Header=BB12_816 Depth=2
	s_or_b64 exec, exec, s[26:27]
	v_and_b32_e32 v8, 16, v94
	s_and_saveexec_b64 s[26:27], s[20:21]
	s_xor_b64 s[26:27], exec, s[26:27]
	s_cbranch_execz .LBB12_1168
; %bb.1165:                             ;   in Loop: Header=BB12_816 Depth=2
	v_and_b32_e32 v2, 16, v94
	v_cmp_ne_u32_e32 vcc, 0, v2
	v_and_b32_e32 v8, 16, v94
	s_and_b64 s[28:29], vcc, s[24:25]
	s_and_saveexec_b64 s[24:25], s[28:29]
	s_cbranch_execz .LBB12_1167
; %bb.1166:                             ;   in Loop: Header=BB12_816 Depth=2
	v_mov_b32_e32 v8, 1
	buffer_wbl2 sc1
	s_waitcnt vmcnt(0) lgkmcnt(0)
	buffer_inv sc1
.LBB12_1167:                            ;   in Loop: Header=BB12_816 Depth=2
	s_or_b64 exec, exec, s[24:25]
.LBB12_1168:                            ;   in Loop: Header=BB12_816 Depth=2
	s_andn2_saveexec_b64 s[24:25], s[26:27]
	s_cbranch_execz .LBB12_1187
; %bb.1169:                             ;   in Loop: Header=BB12_816 Depth=2
	s_and_saveexec_b64 s[26:27], s[76:77]
	s_xor_b64 s[26:27], exec, s[26:27]
	s_cbranch_execz .LBB12_1184
; %bb.1170:                             ;   in Loop: Header=BB12_816 Depth=2
	s_and_saveexec_b64 s[28:29], s[12:13]
	s_cbranch_execz .LBB12_1183
; %bb.1171:                             ;   in Loop: Header=BB12_816 Depth=2
	s_mov_b64 s[42:43], exec
	v_mbcnt_lo_u32_b32 v2, s42, 0
	v_mbcnt_hi_u32_b32 v2, s43, v2
	v_cmp_eq_u32_e32 vcc, 0, v2
	;;#ASMSTART
	s_waitcnt lgkmcnt(0) vmcnt(0)
	;;#ASMEND
	s_and_saveexec_b64 s[40:41], vcc
	s_cbranch_execz .LBB12_1173
; %bb.1172:                             ;   in Loop: Header=BB12_816 Depth=2
	s_bcnt1_i32_b64 s42, s[42:43]
	v_mov_b32_e32 v2, s42
	s_waitcnt lgkmcnt(0)
	ds_add_u64 v0, v[2:3]
	s_trap 2
.LBB12_1173:                            ;   in Loop: Header=BB12_816 Depth=2
	s_or_b64 exec, exec, s[40:41]
	s_trap 2
	ds_read_b64 v[10:11], v0
	s_waitcnt lgkmcnt(0)
	v_lshl_add_u64 v[48:49], v[48:49], 0, v[52:53]
	v_cmp_lt_u64_e32 vcc, v[10:11], v[48:49]
	s_and_saveexec_b64 s[40:41], vcc
	s_cbranch_execz .LBB12_1182
; %bb.1174:                             ;   in Loop: Header=BB12_816 Depth=2
	s_mov_b32 s74, 0
	s_mov_b64 s[42:43], 0
                                        ; implicit-def: $sgpr44_sgpr45
                                        ; implicit-def: $sgpr46_sgpr47
	s_branch .LBB12_1176
.LBB12_1175:                            ;   in Loop: Header=BB12_1176 Depth=3
	s_or_b64 exec, exec, s[58:59]
	s_and_b64 s[56:57], exec, s[60:61]
	s_or_b64 s[42:43], s[56:57], s[42:43]
	s_andn2_b64 s[44:45], s[44:45], exec
	s_and_b64 s[56:57], s[46:47], exec
	s_or_b64 s[44:45], s[44:45], s[56:57]
	s_andn2_b64 exec, exec, s[42:43]
	s_cbranch_execz .LBB12_1180
.LBB12_1176:                            ;   Parent Loop BB12_47 Depth=1
                                        ;     Parent Loop BB12_816 Depth=2
                                        ; =>    This Inner Loop Header: Depth=3
	s_add_i32 s74, s74, 1
	s_cmpk_lg_i32 s74, 0x2710
	s_cselect_b64 s[56:57], -1, 0
	s_and_b64 vcc, exec, s[56:57]
	s_cbranch_vccz .LBB12_1178
; %bb.1177:                             ;   in Loop: Header=BB12_1176 Depth=3
	s_mov_b64 s[60:61], -1
	s_or_b64 s[46:47], s[46:47], exec
	s_and_saveexec_b64 s[58:59], s[56:57]
	s_cbranch_execz .LBB12_1175
	s_branch .LBB12_1179
.LBB12_1178:                            ;   in Loop: Header=BB12_1176 Depth=3
	s_trap 2
	ds_read_b64 v[10:11], v0
	s_andn2_b64 s[56:57], s[56:57], exec
	s_mov_b32 s74, 0
	s_waitcnt vmcnt(0) lgkmcnt(0)
	flat_load_dword v2, v[10:11] sc0 sc1
	s_waitcnt vmcnt(0) lgkmcnt(0)
	buffer_inv sc0 sc1
	v_cmp_eq_u32_e32 vcc, 0, v2
	s_and_b64 s[58:59], vcc, exec
	s_or_b64 s[56:57], s[56:57], s[58:59]
	s_mov_b64 s[60:61], -1
	s_or_b64 s[46:47], s[46:47], exec
	s_and_saveexec_b64 s[58:59], s[56:57]
	s_cbranch_execz .LBB12_1175
.LBB12_1179:                            ;   in Loop: Header=BB12_1176 Depth=3
	s_sleep 1
	s_trap 2
	ds_read_b64 v[10:11], v0
	s_waitcnt lgkmcnt(0)
	s_andn2_b64 s[46:47], s[46:47], exec
	v_cmp_ge_u64_e32 vcc, v[10:11], v[48:49]
	s_orn2_b64 s[60:61], vcc, exec
	s_branch .LBB12_1175
.LBB12_1180:                            ;   in Loop: Header=BB12_816 Depth=2
	s_or_b64 exec, exec, s[42:43]
	s_and_saveexec_b64 s[42:43], s[44:45]
	s_xor_b64 s[42:43], exec, s[42:43]
	s_cbranch_execz .LBB12_1182
; %bb.1181:                             ;   in Loop: Header=BB12_816 Depth=2
	ds_write_b32 v0, v106
	s_trap 2
.LBB12_1182:                            ;   in Loop: Header=BB12_816 Depth=2
	s_or_b64 exec, exec, s[40:41]
	;;#ASMSTART
	s_wakeup
	;;#ASMEND
.LBB12_1183:                            ;   in Loop: Header=BB12_816 Depth=2
	s_or_b64 exec, exec, s[28:29]
.LBB12_1184:                            ;   in Loop: Header=BB12_816 Depth=2
	s_andn2_saveexec_b64 s[26:27], s[26:27]
	s_cbranch_execz .LBB12_1186
; %bb.1185:                             ;   in Loop: Header=BB12_816 Depth=2
	;;#ASMSTART
	s_waitcnt lgkmcnt(0) vmcnt(0)
	;;#ASMEND
	s_barrier
.LBB12_1186:                            ;   in Loop: Header=BB12_816 Depth=2
	s_or_b64 exec, exec, s[26:27]
.LBB12_1187:                            ;   in Loop: Header=BB12_816 Depth=2
	s_or_b64 exec, exec, s[24:25]
	v_cmp_ne_u32_e32 vcc, 0, v8
	s_xor_b64 s[24:25], s[6:7], -1
	s_and_b64 s[26:27], vcc, s[24:25]
	s_and_saveexec_b64 s[24:25], s[26:27]
	s_cbranch_execz .LBB12_1189
; %bb.1188:                             ;   in Loop: Header=BB12_816 Depth=2
	flat_store_dword v[36:37], v106 sc0 sc1
.LBB12_1189:                            ;   in Loop: Header=BB12_816 Depth=2
	s_or_b64 exec, exec, s[24:25]
	v_and_b32_e32 v2, 48, v94
	v_cmp_ne_u32_e32 vcc, 0, v2
	s_and_saveexec_b64 s[24:25], vcc
	s_cbranch_execz .LBB12_815
; %bb.1190:                             ;   in Loop: Header=BB12_816 Depth=2
	v_lshl_add_u64 v[44:45], v[44:45], 0, 2
	flat_store_dwordx2 v[32:33], v[44:45] sc0 sc1
	s_branch .LBB12_815
.LBB12_1191:                            ;   in Loop: Header=BB12_47 Depth=1
	s_or_b64 exec, exec, s[50:51]
	v_cmp_gt_i32_e32 vcc, 2, v2
	s_and_saveexec_b64 s[26:27], vcc
	s_cbranch_execz .LBB12_1267
.LBB12_1192:                            ;   in Loop: Header=BB12_47 Depth=1
	v_cmp_eq_u32_e64 s[40:41], 0, v2
	s_mov_b64 s[28:29], 0
	s_branch .LBB12_1194
.LBB12_1193:                            ;   in Loop: Header=BB12_1194 Depth=2
	s_or_b64 exec, exec, s[24:25]
	v_add_u32_e32 v22, v20, v22
	s_mov_b64 s[40:41], 0
	s_andn2_b64 exec, exec, s[28:29]
	s_cbranch_execz .LBB12_1268
.LBB12_1194:                            ;   Parent Loop BB12_47 Depth=1
                                        ; =>  This Loop Header: Depth=2
                                        ;       Child Loop BB12_1200 Depth 3
                                        ;       Child Loop BB12_1228 Depth 3
	;; [unrolled: 1-line block ×3, first 2 shown]
	v_sub_u32_e32 v2, v111, v22
	v_min_i32_e32 v20, v20, v2
	v_and_b32_e32 v2, 12, v94
	v_cmp_ne_u32_e32 vcc, 0, v2
	s_and_saveexec_b64 s[42:43], vcc
	s_cbranch_execz .LBB12_1220
; %bb.1195:                             ;   in Loop: Header=BB12_1194 Depth=2
	v_and_b32_e32 v2, 8, v94
	s_waitcnt vmcnt(0) lgkmcnt(0)
	v_lshl_add_u64 v[10:11], v[38:39], 0, v[2:3]
	v_lshl_add_u64 v[8:9], v[44:45], 0, 2
	v_cmp_lt_u64_e32 vcc, v[10:11], v[8:9]
	s_and_saveexec_b64 s[44:45], vcc
	s_cbranch_execz .LBB12_1207
; %bb.1196:                             ;   in Loop: Header=BB12_1194 Depth=2
	v_and_b32_e32 v4, 64, v94
	s_mov_b32 s74, 0
	v_cmp_eq_u32_e32 vcc, 0, v4
	s_mov_b64 s[46:47], 0
                                        ; implicit-def: $sgpr56_sgpr57
                                        ; implicit-def: $sgpr58_sgpr59
                                        ; implicit-def: $sgpr60_sgpr61
	s_branch .LBB12_1200
.LBB12_1197:                            ;   in Loop: Header=BB12_1200 Depth=3
	s_waitcnt vmcnt(0) lgkmcnt(0)
	v_lshl_add_u64 v[12:13], v[38:39], 0, v[2:3]
	v_cmp_ge_u64_e64 s[24:25], v[12:13], v[8:9]
	s_or_b64 s[54:55], s[54:55], exec
	s_orn2_b64 s[52:53], s[24:25], exec
.LBB12_1198:                            ;   in Loop: Header=BB12_1200 Depth=3
	s_or_b64 exec, exec, s[66:67]
	s_andn2_b64 s[24:25], s[60:61], exec
	s_and_b64 s[60:61], s[54:55], exec
	s_or_b64 s[60:61], s[24:25], s[60:61]
	s_andn2_b64 s[24:25], s[58:59], exec
	s_and_b64 s[58:59], s[52:53], exec
	s_or_b64 s[58:59], s[24:25], s[58:59]
.LBB12_1199:                            ;   in Loop: Header=BB12_1200 Depth=3
	s_or_b64 exec, exec, s[50:51]
	s_and_b64 s[24:25], exec, s[58:59]
	s_or_b64 s[46:47], s[24:25], s[46:47]
	s_andn2_b64 s[24:25], s[56:57], exec
	s_and_b64 s[56:57], s[60:61], exec
	s_or_b64 s[56:57], s[24:25], s[56:57]
	s_andn2_b64 exec, exec, s[46:47]
	s_cbranch_execz .LBB12_1204
.LBB12_1200:                            ;   Parent Loop BB12_47 Depth=1
                                        ;     Parent Loop BB12_1194 Depth=2
                                        ; =>    This Inner Loop Header: Depth=3
	s_sleep 1
	s_waitcnt vmcnt(0) lgkmcnt(0)
	flat_load_dwordx2 v[38:39], v[32:33] sc0 sc1
	s_or_b64 s[60:61], s[60:61], exec
	s_or_b64 s[58:59], s[58:59], exec
                                        ; implicit-def: $vgpr10
	s_and_saveexec_b64 s[50:51], vcc
	s_cbranch_execz .LBB12_1199
; %bb.1201:                             ;   in Loop: Header=BB12_1200 Depth=3
	s_cmpk_lt_i32 s74, 0x270f
	s_cselect_b64 s[64:65], -1, 0
	s_cmpk_gt_i32 s74, 0x270e
	s_mov_b64 s[52:53], -1
	s_cbranch_scc0 .LBB12_1203
; %bb.1202:                             ;   in Loop: Header=BB12_1200 Depth=3
	s_trap 2
	ds_read_b64 v[10:11], v0
	s_andn2_b64 s[30:31], s[64:65], exec
	s_mov_b32 s74, 0
	s_mov_b64 s[54:55], 0
	s_waitcnt vmcnt(0) lgkmcnt(0)
	flat_load_dword v10, v[10:11] sc0 sc1
	s_waitcnt vmcnt(0) lgkmcnt(0)
	buffer_inv sc0 sc1
	v_cmp_eq_u32_e64 s[24:25], 0, v10
	s_and_b64 s[24:25], s[24:25], exec
	s_or_b64 s[64:65], s[30:31], s[24:25]
	s_and_saveexec_b64 s[66:67], s[64:65]
	s_cbranch_execz .LBB12_1198
	s_branch .LBB12_1197
.LBB12_1203:                            ;   in Loop: Header=BB12_1200 Depth=3
	s_add_i32 s74, s74, 1
	s_mov_b64 s[54:55], -1
                                        ; implicit-def: $vgpr10
	s_and_saveexec_b64 s[66:67], s[64:65]
	s_cbranch_execz .LBB12_1198
	s_branch .LBB12_1197
.LBB12_1204:                            ;   in Loop: Header=BB12_1194 Depth=2
	s_or_b64 exec, exec, s[46:47]
	s_xor_b64 s[24:25], s[56:57], -1
	s_and_saveexec_b64 s[46:47], s[24:25]
	s_xor_b64 s[24:25], exec, s[46:47]
	s_cbranch_execz .LBB12_1206
; %bb.1205:                             ;   in Loop: Header=BB12_1194 Depth=2
	v_or_b32_e32 v94, 64, v94
	s_waitcnt lgkmcnt(0)
	ds_write_b32 v0, v10
	s_trap 2
.LBB12_1206:                            ;   in Loop: Header=BB12_1194 Depth=2
	s_or_b64 exec, exec, s[24:25]
.LBB12_1207:                            ;   in Loop: Header=BB12_1194 Depth=2
	s_or_b64 exec, exec, s[44:45]
	v_and_b32_e32 v4, 0x108, v94
	v_cmp_ne_u32_e32 vcc, s72, v4
	;;#ASMSTART
	s_wakeup
	;;#ASMEND
                                        ; implicit-def: $vgpr10_vgpr11
	s_and_saveexec_b64 s[24:25], vcc
	s_xor_b64 s[24:25], exec, s[24:25]
; %bb.1208:                             ;   in Loop: Header=BB12_1194 Depth=2
	v_and_b32_e32 v10, 7, v44
	v_mov_b32_e32 v11, v3
                                        ; implicit-def: $vgpr44_vgpr45
; %bb.1209:                             ;   in Loop: Header=BB12_1194 Depth=2
	s_andn2_saveexec_b64 s[24:25], s[24:25]
	s_cbranch_execz .LBB12_1211
; %bb.1210:                             ;   in Loop: Header=BB12_1194 Depth=2
	v_and_b32_e32 v10, 7, v44
	v_ashrrev_i32_e32 v21, 31, v20
	v_mov_b32_e32 v11, v3
	v_mad_u64_u32 v[12:13], s[44:45], v10, 24, v[6:7]
	v_lshlrev_b64 v[14:15], 1, v[20:21]
	flat_store_dwordx2 v[12:13], v[14:15] offset:8
.LBB12_1211:                            ;   in Loop: Header=BB12_1194 Depth=2
	s_or_b64 exec, exec, s[24:25]
	v_and_b32_e32 v4, 0x100, v94
	v_cmp_ne_u32_e32 vcc, 0, v4
	s_mov_b64 s[24:25], -1
                                        ; implicit-def: $vgpr12_vgpr13
	s_and_saveexec_b64 s[44:45], vcc
	s_cbranch_execz .LBB12_1215
; %bb.1212:                             ;   in Loop: Header=BB12_1194 Depth=2
	v_mad_u64_u32 v[14:15], s[24:25], v10, 24, v[6:7]
	v_mov_b32_e32 v12, v15
	v_mad_u64_u32 v[12:13], s[24:25], v11, 24, v[12:13]
	v_mov_b32_e32 v15, v12
	flat_load_dword v4, v[14:15]
                                        ; implicit-def: $vgpr12_vgpr13
	s_waitcnt vmcnt(0) lgkmcnt(0)
	v_cmp_ne_u32_e32 vcc, 1, v4
	v_cmp_eq_u32_e64 s[24:25], 1, v4
	s_and_saveexec_b64 s[46:47], s[24:25]
	s_cbranch_execz .LBB12_1214
; %bb.1213:                             ;   in Loop: Header=BB12_1194 Depth=2
	flat_load_dword v12, v[14:15] offset:4 sc0 sc1
	s_waitcnt vmcnt(0) lgkmcnt(0)
	v_ashrrev_i32_e32 v13, 31, v12
	v_lshrrev_b64 v[12:13], 1, v[12:13]
.LBB12_1214:                            ;   in Loop: Header=BB12_1194 Depth=2
	s_or_b64 exec, exec, s[46:47]
	s_orn2_b64 s[24:25], vcc, exec
.LBB12_1215:                            ;   in Loop: Header=BB12_1194 Depth=2
	s_or_b64 exec, exec, s[44:45]
	s_and_saveexec_b64 s[44:45], s[24:25]
; %bb.1216:                             ;   in Loop: Header=BB12_1194 Depth=2
	v_mul_lo_u32 v4, v11, v30
	v_mul_lo_u32 v5, v10, v51
	v_mad_u64_u32 v[12:13], s[24:25], v10, v30, 0
	v_add3_u32 v13, v13, v5, v4
; %bb.1217:                             ;   in Loop: Header=BB12_1194 Depth=2
	s_or_b64 exec, exec, s[44:45]
	v_cmp_eq_u32_e32 vcc, 0, v2
	v_lshl_add_u64 v[10:11], v[12:13], 1, v[34:35]
	s_nop 0
	v_cndmask_b32_e32 v2, v109, v108, vcc
	v_add_u32_e32 v2, v0, v2
	ds_write_b64 v2, v[10:11] offset:584
	v_and_b32_e32 v2, 0x2000, v94
	v_cmp_ne_u32_e32 vcc, 0, v2
	s_and_saveexec_b64 s[24:25], vcc
	s_cbranch_execz .LBB12_1219
; %bb.1218:                             ;   in Loop: Header=BB12_1194 Depth=2
	ds_read_b64 v[10:11], v0 offset:872
	s_waitcnt lgkmcnt(0)
	v_lshl_add_u64 v[10:11], v[10:11], 0, 1
	ds_write_b64 v0, v[10:11] offset:872
.LBB12_1219:                            ;   in Loop: Header=BB12_1194 Depth=2
	s_or_b64 exec, exec, s[24:25]
	v_mov_b64_e32 v[44:45], v[8:9]
.LBB12_1220:                            ;   in Loop: Header=BB12_1194 Depth=2
	s_or_b64 exec, exec, s[42:43]
	s_xor_b64 s[24:25], s[40:41], -1
	s_and_b64 s[24:25], exec, s[24:25]
	s_or_b64 s[28:29], s[24:25], s[28:29]
	s_and_saveexec_b64 s[24:25], s[4:5]
	s_cbranch_execz .LBB12_1239
; %bb.1221:                             ;   in Loop: Header=BB12_1194 Depth=2
	s_and_saveexec_b64 s[40:41], s[76:77]
	s_xor_b64 s[40:41], exec, s[40:41]
	s_cbranch_execz .LBB12_1236
; %bb.1222:                             ;   in Loop: Header=BB12_1194 Depth=2
	s_and_saveexec_b64 s[42:43], s[12:13]
	s_cbranch_execz .LBB12_1235
; %bb.1223:                             ;   in Loop: Header=BB12_1194 Depth=2
	s_mov_b64 s[46:47], exec
	v_mbcnt_lo_u32_b32 v2, s46, 0
	v_mbcnt_hi_u32_b32 v2, s47, v2
	v_cmp_eq_u32_e32 vcc, 0, v2
	s_waitcnt lgkmcnt(0)
	s_and_saveexec_b64 s[44:45], vcc
	s_cbranch_execz .LBB12_1225
; %bb.1224:                             ;   in Loop: Header=BB12_1194 Depth=2
	s_bcnt1_i32_b64 s46, s[46:47]
	v_mov_b32_e32 v2, s46
	ds_add_u64 v0, v[2:3]
	s_trap 2
.LBB12_1225:                            ;   in Loop: Header=BB12_1194 Depth=2
	s_or_b64 exec, exec, s[44:45]
	s_trap 2
	ds_read_b64 v[8:9], v0
	s_waitcnt lgkmcnt(0)
	v_lshl_add_u64 v[48:49], v[48:49], 0, v[52:53]
	v_cmp_lt_u64_e32 vcc, v[8:9], v[48:49]
	s_and_saveexec_b64 s[44:45], vcc
	s_cbranch_execz .LBB12_1234
; %bb.1226:                             ;   in Loop: Header=BB12_1194 Depth=2
	s_mov_b32 s74, 0
	s_mov_b64 s[46:47], 0
                                        ; implicit-def: $sgpr56_sgpr57
                                        ; implicit-def: $sgpr58_sgpr59
	s_branch .LBB12_1228
.LBB12_1227:                            ;   in Loop: Header=BB12_1228 Depth=3
	s_or_b64 exec, exec, s[50:51]
	s_and_b64 s[60:61], exec, vcc
	s_or_b64 s[46:47], s[60:61], s[46:47]
	s_andn2_b64 s[56:57], s[56:57], exec
	s_and_b64 s[60:61], s[58:59], exec
	s_or_b64 s[56:57], s[56:57], s[60:61]
	s_andn2_b64 exec, exec, s[46:47]
	s_cbranch_execz .LBB12_1232
.LBB12_1228:                            ;   Parent Loop BB12_47 Depth=1
                                        ;     Parent Loop BB12_1194 Depth=2
                                        ; =>    This Inner Loop Header: Depth=3
	s_add_i32 s74, s74, 1
	s_cmpk_lg_i32 s74, 0x2710
	s_cselect_b64 s[60:61], -1, 0
	s_and_b64 vcc, exec, s[60:61]
	s_cbranch_vccz .LBB12_1230
; %bb.1229:                             ;   in Loop: Header=BB12_1228 Depth=3
	s_mov_b64 vcc, -1
	s_or_b64 s[58:59], s[58:59], exec
	s_and_saveexec_b64 s[50:51], s[60:61]
	s_cbranch_execz .LBB12_1227
	s_branch .LBB12_1231
.LBB12_1230:                            ;   in Loop: Header=BB12_1228 Depth=3
	s_trap 2
	ds_read_b64 v[8:9], v0
	s_andn2_b64 s[60:61], s[60:61], exec
	s_mov_b32 s74, 0
	s_waitcnt vmcnt(0) lgkmcnt(0)
	flat_load_dword v2, v[8:9] sc0 sc1
	s_waitcnt vmcnt(0) lgkmcnt(0)
	buffer_inv sc0 sc1
	v_cmp_eq_u32_e32 vcc, 0, v2
	s_and_b64 vcc, vcc, exec
	s_or_b64 s[60:61], s[60:61], vcc
	s_mov_b64 vcc, -1
	s_or_b64 s[58:59], s[58:59], exec
	s_and_saveexec_b64 s[50:51], s[60:61]
	s_cbranch_execz .LBB12_1227
.LBB12_1231:                            ;   in Loop: Header=BB12_1228 Depth=3
	s_sleep 1
	s_trap 2
	ds_read_b64 v[8:9], v0
	s_waitcnt lgkmcnt(0)
	s_andn2_b64 s[58:59], s[58:59], exec
	v_cmp_ge_u64_e32 vcc, v[8:9], v[48:49]
	s_orn2_b64 vcc, vcc, exec
	s_branch .LBB12_1227
.LBB12_1232:                            ;   in Loop: Header=BB12_1194 Depth=2
	s_or_b64 exec, exec, s[46:47]
	s_and_saveexec_b64 s[46:47], s[56:57]
	s_xor_b64 s[46:47], exec, s[46:47]
	s_cbranch_execz .LBB12_1234
; %bb.1233:                             ;   in Loop: Header=BB12_1194 Depth=2
	ds_write_b32 v0, v106
	s_trap 2
.LBB12_1234:                            ;   in Loop: Header=BB12_1194 Depth=2
	s_or_b64 exec, exec, s[44:45]
	;;#ASMSTART
	s_wakeup
	;;#ASMEND
.LBB12_1235:                            ;   in Loop: Header=BB12_1194 Depth=2
	s_or_b64 exec, exec, s[42:43]
.LBB12_1236:                            ;   in Loop: Header=BB12_1194 Depth=2
	s_andn2_saveexec_b64 s[40:41], s[40:41]
	s_cbranch_execz .LBB12_1238
; %bb.1237:                             ;   in Loop: Header=BB12_1194 Depth=2
	s_waitcnt lgkmcnt(0)
	s_barrier
.LBB12_1238:                            ;   in Loop: Header=BB12_1194 Depth=2
	s_or_b64 exec, exec, s[40:41]
.LBB12_1239:                            ;   in Loop: Header=BB12_1194 Depth=2
	s_or_b64 exec, exec, s[24:25]
	v_and_b32_e32 v8, 16, v94
	s_and_saveexec_b64 s[24:25], s[20:21]
	s_xor_b64 s[24:25], exec, s[24:25]
	s_cbranch_execz .LBB12_1243
; %bb.1240:                             ;   in Loop: Header=BB12_1194 Depth=2
	s_trap 2
	ds_read_b32 v2, v0
	v_cmp_lt_i32_e32 vcc, 0, v20
	v_and_b32_e32 v4, 16, v94
	v_and_b32_e32 v8, 16, v94
	s_waitcnt lgkmcnt(0)
	v_readfirstlane_b32 s40, v2
	s_cmp_eq_u32 s40, 0
	s_cselect_b64 s[40:41], -1, 0
	s_and_b64 s[40:41], vcc, s[40:41]
	v_cmp_ne_u32_e32 vcc, 0, v4
	s_and_b64 s[42:43], vcc, s[40:41]
	s_and_saveexec_b64 s[40:41], s[42:43]
	s_cbranch_execz .LBB12_1242
; %bb.1241:                             ;   in Loop: Header=BB12_1194 Depth=2
	v_mov_b32_e32 v8, 1
	buffer_wbl2 sc1
	s_waitcnt vmcnt(0)
	buffer_inv sc1
.LBB12_1242:                            ;   in Loop: Header=BB12_1194 Depth=2
	s_or_b64 exec, exec, s[40:41]
.LBB12_1243:                            ;   in Loop: Header=BB12_1194 Depth=2
	s_andn2_saveexec_b64 s[24:25], s[24:25]
	s_cbranch_execz .LBB12_1262
; %bb.1244:                             ;   in Loop: Header=BB12_1194 Depth=2
	s_and_saveexec_b64 s[40:41], s[76:77]
	s_xor_b64 s[40:41], exec, s[40:41]
	s_cbranch_execz .LBB12_1259
; %bb.1245:                             ;   in Loop: Header=BB12_1194 Depth=2
	s_and_saveexec_b64 s[42:43], s[12:13]
	s_cbranch_execz .LBB12_1258
; %bb.1246:                             ;   in Loop: Header=BB12_1194 Depth=2
	s_mov_b64 s[46:47], exec
	v_mbcnt_lo_u32_b32 v2, s46, 0
	v_mbcnt_hi_u32_b32 v2, s47, v2
	v_cmp_eq_u32_e32 vcc, 0, v2
	;;#ASMSTART
	s_waitcnt lgkmcnt(0) vmcnt(0)
	;;#ASMEND
	s_and_saveexec_b64 s[44:45], vcc
	s_cbranch_execz .LBB12_1248
; %bb.1247:                             ;   in Loop: Header=BB12_1194 Depth=2
	s_bcnt1_i32_b64 s46, s[46:47]
	v_mov_b32_e32 v2, s46
	s_waitcnt lgkmcnt(0)
	ds_add_u64 v0, v[2:3]
	s_trap 2
.LBB12_1248:                            ;   in Loop: Header=BB12_1194 Depth=2
	s_or_b64 exec, exec, s[44:45]
	s_trap 2
	ds_read_b64 v[10:11], v0
	s_waitcnt lgkmcnt(0)
	v_lshl_add_u64 v[48:49], v[48:49], 0, v[52:53]
	v_cmp_lt_u64_e32 vcc, v[10:11], v[48:49]
	s_and_saveexec_b64 s[44:45], vcc
	s_cbranch_execz .LBB12_1257
; %bb.1249:                             ;   in Loop: Header=BB12_1194 Depth=2
	s_mov_b32 s74, 0
	s_mov_b64 s[46:47], 0
                                        ; implicit-def: $sgpr56_sgpr57
                                        ; implicit-def: $sgpr58_sgpr59
	s_branch .LBB12_1251
.LBB12_1250:                            ;   in Loop: Header=BB12_1251 Depth=3
	s_or_b64 exec, exec, s[50:51]
	s_and_b64 s[60:61], exec, vcc
	s_or_b64 s[46:47], s[60:61], s[46:47]
	s_andn2_b64 s[56:57], s[56:57], exec
	s_and_b64 s[60:61], s[58:59], exec
	s_or_b64 s[56:57], s[56:57], s[60:61]
	s_andn2_b64 exec, exec, s[46:47]
	s_cbranch_execz .LBB12_1255
.LBB12_1251:                            ;   Parent Loop BB12_47 Depth=1
                                        ;     Parent Loop BB12_1194 Depth=2
                                        ; =>    This Inner Loop Header: Depth=3
	s_add_i32 s74, s74, 1
	s_cmpk_lg_i32 s74, 0x2710
	s_cselect_b64 s[60:61], -1, 0
	s_and_b64 vcc, exec, s[60:61]
	s_cbranch_vccz .LBB12_1253
; %bb.1252:                             ;   in Loop: Header=BB12_1251 Depth=3
	s_mov_b64 vcc, -1
	s_or_b64 s[58:59], s[58:59], exec
	s_and_saveexec_b64 s[50:51], s[60:61]
	s_cbranch_execz .LBB12_1250
	s_branch .LBB12_1254
.LBB12_1253:                            ;   in Loop: Header=BB12_1251 Depth=3
	s_trap 2
	ds_read_b64 v[10:11], v0
	s_andn2_b64 s[60:61], s[60:61], exec
	s_mov_b32 s74, 0
	s_waitcnt vmcnt(0) lgkmcnt(0)
	flat_load_dword v2, v[10:11] sc0 sc1
	s_waitcnt vmcnt(0) lgkmcnt(0)
	buffer_inv sc0 sc1
	v_cmp_eq_u32_e32 vcc, 0, v2
	s_and_b64 vcc, vcc, exec
	s_or_b64 s[60:61], s[60:61], vcc
	s_mov_b64 vcc, -1
	s_or_b64 s[58:59], s[58:59], exec
	s_and_saveexec_b64 s[50:51], s[60:61]
	s_cbranch_execz .LBB12_1250
.LBB12_1254:                            ;   in Loop: Header=BB12_1251 Depth=3
	s_sleep 1
	s_trap 2
	ds_read_b64 v[10:11], v0
	s_waitcnt lgkmcnt(0)
	s_andn2_b64 s[58:59], s[58:59], exec
	v_cmp_ge_u64_e32 vcc, v[10:11], v[48:49]
	s_orn2_b64 vcc, vcc, exec
	s_branch .LBB12_1250
.LBB12_1255:                            ;   in Loop: Header=BB12_1194 Depth=2
	s_or_b64 exec, exec, s[46:47]
	s_and_saveexec_b64 s[46:47], s[56:57]
	s_xor_b64 s[46:47], exec, s[46:47]
	s_cbranch_execz .LBB12_1257
; %bb.1256:                             ;   in Loop: Header=BB12_1194 Depth=2
	ds_write_b32 v0, v106
	s_trap 2
.LBB12_1257:                            ;   in Loop: Header=BB12_1194 Depth=2
	s_or_b64 exec, exec, s[44:45]
	;;#ASMSTART
	s_wakeup
	;;#ASMEND
.LBB12_1258:                            ;   in Loop: Header=BB12_1194 Depth=2
	s_or_b64 exec, exec, s[42:43]
.LBB12_1259:                            ;   in Loop: Header=BB12_1194 Depth=2
	s_andn2_saveexec_b64 s[40:41], s[40:41]
	s_cbranch_execz .LBB12_1261
; %bb.1260:                             ;   in Loop: Header=BB12_1194 Depth=2
	;;#ASMSTART
	s_waitcnt lgkmcnt(0) vmcnt(0)
	;;#ASMEND
	s_barrier
.LBB12_1261:                            ;   in Loop: Header=BB12_1194 Depth=2
	s_or_b64 exec, exec, s[40:41]
.LBB12_1262:                            ;   in Loop: Header=BB12_1194 Depth=2
	s_or_b64 exec, exec, s[24:25]
	v_cmp_ne_u32_e32 vcc, 0, v8
	s_xor_b64 s[24:25], s[6:7], -1
	s_and_b64 s[40:41], vcc, s[24:25]
	s_and_saveexec_b64 s[24:25], s[40:41]
	s_cbranch_execz .LBB12_1264
; %bb.1263:                             ;   in Loop: Header=BB12_1194 Depth=2
	flat_store_dword v[36:37], v106 sc0 sc1
.LBB12_1264:                            ;   in Loop: Header=BB12_1194 Depth=2
	s_or_b64 exec, exec, s[24:25]
	v_and_b32_e32 v2, 48, v94
	v_cmp_ne_u32_e32 vcc, 0, v2
	s_and_saveexec_b64 s[24:25], vcc
	s_cbranch_execz .LBB12_1193
; %bb.1265:                             ;   in Loop: Header=BB12_1194 Depth=2
	v_lshl_add_u64 v[44:45], v[44:45], 0, 2
	flat_store_dwordx2 v[32:33], v[44:45] sc0 sc1
	s_branch .LBB12_1193
.LBB12_1266:                            ;   in Loop: Header=BB12_47 Depth=1
	s_or_b64 exec, exec, s[52:53]
	s_or_b64 exec, exec, s[50:51]
	v_cmp_gt_i32_e32 vcc, 2, v2
	s_and_saveexec_b64 s[26:27], vcc
	s_cbranch_execnz .LBB12_1192
.LBB12_1267:                            ;   in Loop: Header=BB12_47 Depth=1
	s_or_b64 exec, exec, s[26:27]
	s_and_b64 vcc, exec, s[22:23]
	s_cbranch_vccz .LBB12_1269
	s_branch .LBB12_1623
.LBB12_1268:                            ;   in Loop: Header=BB12_47 Depth=1
	s_or_b64 exec, exec, s[28:29]
	s_or_b64 exec, exec, s[26:27]
	s_and_b64 vcc, exec, s[22:23]
	s_cbranch_vccnz .LBB12_1623
.LBB12_1269:                            ;   in Loop: Header=BB12_47 Depth=1
	s_mov_b32 s68, 1
.LBB12_1270:                            ;   Parent Loop BB12_47 Depth=1
                                        ; =>  This Loop Header: Depth=2
                                        ;       Child Loop BB12_1273 Depth 3
                                        ;         Child Loop BB12_1281 Depth 4
                                        ;         Child Loop BB12_1309 Depth 4
	;; [unrolled: 1-line block ×8, first 2 shown]
                                        ;           Child Loop BB12_1358 Depth 5
                                        ;         Child Loop BB12_1364 Depth 4
                                        ;           Child Loop BB12_1365 Depth 5
                                        ;         Child Loop BB12_1373 Depth 4
                                        ;         Child Loop BB12_1393 Depth 4
                                        ;           Child Loop BB12_1394 Depth 5
                                        ;         Child Loop BB12_1510 Depth 4
                                        ;         Child Loop BB12_1529 Depth 4
                                        ;       Child Loop BB12_1547 Depth 3
                                        ;         Child Loop BB12_1553 Depth 4
                                        ;         Child Loop BB12_1581 Depth 4
	;; [unrolled: 1-line block ×3, first 2 shown]
	s_sub_i32 s22, s81, s68
	s_cmp_ge_i32 s22, s70
	s_cselect_b32 s23, s70, 0
	s_sub_i32 s22, s22, s23
	s_ashr_i32 s23, s22, 31
	v_mul_lo_u32 v2, v42, s23
	v_mul_lo_u32 v4, v43, s22
	v_mad_u64_u32 v[8:9], s[22:23], v42, s22, 0
	v_add3_u32 v9, v9, v2, v4
	v_sub_co_u32_e32 v10, vcc, v46, v8
	s_waitcnt lgkmcnt(0)
	v_mov_b32_e32 v60, 0
	v_subb_co_u32_e32 v11, vcc, v47, v9, vcc
	v_cmp_lt_i64_e32 vcc, v[42:43], v[10:11]
	s_nop 1
	v_cndmask_b32_e32 v2, v10, v42, vcc
	v_max_i32_e32 v88, 0, v2
	v_add_u32_e32 v4, 31, v88
	v_ashrrev_i32_e32 v5, 31, v4
	v_lshrrev_b32_e32 v5, 27, v5
	v_add_u32_e32 v4, v4, v5
	v_ashrrev_i32_e32 v4, 5, v4
	v_lshlrev_b32_e32 v4, 4, v4
	v_cmp_lt_i32_e32 vcc, 0, v2
	v_max_i32_e32 v58, s84, v4
	s_and_b64 s[22:23], s[38:39], vcc
	v_mov_b32_e32 v2, 0
	s_and_saveexec_b64 s[60:61], s[22:23]
	s_cbranch_execz .LBB12_1544
; %bb.1271:                             ;   in Loop: Header=BB12_1270 Depth=2
	v_lshl_add_u64 v[8:9], v[8:9], 0, v[56:57]
	s_mov_b32 s69, 1
	s_mov_b64 s[52:53], -1
	v_mov_b32_e32 v60, 0
	s_mov_b64 s[50:51], 0
	v_lshlrev_b64 v[62:63], 1, v[8:9]
	s_branch .LBB12_1273
.LBB12_1272:                            ;   in Loop: Header=BB12_1273 Depth=3
	s_or_b64 exec, exec, s[22:23]
	v_add_u32_e32 v60, v58, v60
	v_cmp_ge_i32_e32 vcc, v60, v88
	s_xor_b64 s[22:23], s[52:53], -1
	s_or_b64 s[22:23], s[22:23], vcc
	s_and_b64 s[22:23], exec, s[22:23]
	s_or_b64 s[50:51], s[22:23], s[50:51]
	s_mov_b64 s[52:53], 0
	v_mov_b32_e32 v2, s69
	s_mov_b32 s69, 2
	s_andn2_b64 exec, exec, s[50:51]
	s_cbranch_execz .LBB12_1619
.LBB12_1273:                            ;   Parent Loop BB12_47 Depth=1
                                        ;     Parent Loop BB12_1270 Depth=2
                                        ; =>    This Loop Header: Depth=3
                                        ;         Child Loop BB12_1281 Depth 4
                                        ;         Child Loop BB12_1309 Depth 4
	;; [unrolled: 1-line block ×8, first 2 shown]
                                        ;           Child Loop BB12_1358 Depth 5
                                        ;         Child Loop BB12_1364 Depth 4
                                        ;           Child Loop BB12_1365 Depth 5
                                        ;         Child Loop BB12_1373 Depth 4
                                        ;         Child Loop BB12_1393 Depth 4
                                        ;           Child Loop BB12_1394 Depth 5
                                        ;         Child Loop BB12_1510 Depth 4
                                        ;         Child Loop BB12_1529 Depth 4
	s_and_saveexec_b64 s[22:23], s[0:1]
	s_cbranch_execz .LBB12_1275
; %bb.1274:                             ;   in Loop: Header=BB12_1273 Depth=3
	s_trap 2
	ds_read_b128 v[8:11], v0
	v_ashrrev_i32_e32 v61, 31, v60
	v_lshlrev_b64 v[12:13], 1, v[60:61]
	s_waitcnt lgkmcnt(0)
	v_lshl_add_u64 v[8:9], v[8:9], 0, v[62:63]
	v_lshl_add_u64 v[14:15], v[10:11], 0, v[62:63]
	;; [unrolled: 1-line block ×3, first 2 shown]
	ds_write_b64 v0, v[8:9]
	v_lshl_add_u64 v[8:9], v[14:15], 0, v[12:13]
	v_cmp_ne_u64_e32 vcc, 0, v[10:11]
	s_nop 1
	v_cndmask_b32_e32 v9, 0, v9, vcc
	v_cndmask_b32_e32 v8, 0, v8, vcc
	ds_write_b64 v0, v[8:9]
.LBB12_1275:                            ;   in Loop: Header=BB12_1273 Depth=3
	s_or_b64 exec, exec, s[22:23]
	v_sub_u32_e32 v2, v88, v60
	v_min_i32_e32 v58, v58, v2
	v_and_b32_e32 v2, 12, v94
	v_cmp_ne_u32_e32 vcc, 0, v2
	s_and_saveexec_b64 s[24:25], vcc
	s_cbranch_execz .LBB12_1301
; %bb.1276:                             ;   in Loop: Header=BB12_1273 Depth=3
	v_and_b32_e32 v2, 8, v94
	s_waitcnt vmcnt(0)
	v_lshl_add_u64 v[10:11], v[38:39], 0, v[2:3]
	v_lshl_add_u64 v[8:9], v[44:45], 0, 2
	v_cmp_lt_u64_e32 vcc, v[10:11], v[8:9]
	s_and_saveexec_b64 s[26:27], vcc
	s_cbranch_execz .LBB12_1288
; %bb.1277:                             ;   in Loop: Header=BB12_1273 Depth=3
	v_and_b32_e32 v4, 64, v94
	s_mov_b32 s74, 0
	v_cmp_eq_u32_e32 vcc, 0, v4
	s_mov_b64 s[28:29], 0
                                        ; implicit-def: $sgpr40_sgpr41
                                        ; implicit-def: $sgpr42_sgpr43
                                        ; implicit-def: $sgpr44_sgpr45
	s_branch .LBB12_1281
.LBB12_1278:                            ;   in Loop: Header=BB12_1281 Depth=4
	s_waitcnt vmcnt(0) lgkmcnt(0)
	v_lshl_add_u64 v[12:13], v[38:39], 0, v[2:3]
	v_cmp_ge_u64_e64 s[22:23], v[12:13], v[8:9]
	s_or_b64 s[58:59], s[58:59], exec
	s_orn2_b64 s[56:57], s[22:23], exec
.LBB12_1279:                            ;   in Loop: Header=BB12_1281 Depth=4
	s_or_b64 exec, exec, s[64:65]
	s_andn2_b64 s[22:23], s[44:45], exec
	s_and_b64 s[44:45], s[58:59], exec
	s_or_b64 s[44:45], s[22:23], s[44:45]
	s_andn2_b64 s[22:23], s[42:43], exec
	s_and_b64 s[42:43], s[56:57], exec
	s_or_b64 s[42:43], s[22:23], s[42:43]
.LBB12_1280:                            ;   in Loop: Header=BB12_1281 Depth=4
	s_or_b64 exec, exec, s[46:47]
	s_and_b64 s[22:23], exec, s[42:43]
	s_or_b64 s[28:29], s[22:23], s[28:29]
	s_andn2_b64 s[22:23], s[40:41], exec
	s_and_b64 s[40:41], s[44:45], exec
	s_or_b64 s[40:41], s[22:23], s[40:41]
	s_andn2_b64 exec, exec, s[28:29]
	s_cbranch_execz .LBB12_1285
.LBB12_1281:                            ;   Parent Loop BB12_47 Depth=1
                                        ;     Parent Loop BB12_1270 Depth=2
                                        ;       Parent Loop BB12_1273 Depth=3
                                        ; =>      This Inner Loop Header: Depth=4
	s_sleep 1
	s_waitcnt vmcnt(0) lgkmcnt(0)
	flat_load_dwordx2 v[38:39], v[32:33] sc0 sc1
	s_or_b64 s[44:45], s[44:45], exec
	s_or_b64 s[42:43], s[42:43], exec
                                        ; implicit-def: $vgpr10
	s_and_saveexec_b64 s[46:47], vcc
	s_cbranch_execz .LBB12_1280
; %bb.1282:                             ;   in Loop: Header=BB12_1281 Depth=4
	s_cmpk_lt_i32 s74, 0x270f
	s_cselect_b64 s[54:55], -1, 0
	s_cmpk_gt_i32 s74, 0x270e
	s_mov_b64 s[56:57], -1
	s_cbranch_scc0 .LBB12_1284
; %bb.1283:                             ;   in Loop: Header=BB12_1281 Depth=4
	s_trap 2
	ds_read_b64 v[10:11], v0
	s_andn2_b64 s[30:31], s[54:55], exec
	s_mov_b32 s74, 0
	s_mov_b64 s[58:59], 0
	s_waitcnt vmcnt(0) lgkmcnt(0)
	flat_load_dword v10, v[10:11] sc0 sc1
	s_waitcnt vmcnt(0) lgkmcnt(0)
	buffer_inv sc0 sc1
	v_cmp_eq_u32_e64 s[22:23], 0, v10
	s_and_b64 s[22:23], s[22:23], exec
	s_or_b64 s[54:55], s[30:31], s[22:23]
	s_and_saveexec_b64 s[64:65], s[54:55]
	s_cbranch_execz .LBB12_1279
	s_branch .LBB12_1278
.LBB12_1284:                            ;   in Loop: Header=BB12_1281 Depth=4
	s_add_i32 s74, s74, 1
	s_mov_b64 s[58:59], -1
                                        ; implicit-def: $vgpr10
	s_and_saveexec_b64 s[64:65], s[54:55]
	s_cbranch_execz .LBB12_1279
	s_branch .LBB12_1278
.LBB12_1285:                            ;   in Loop: Header=BB12_1273 Depth=3
	s_or_b64 exec, exec, s[28:29]
	s_xor_b64 s[22:23], s[40:41], -1
	s_and_saveexec_b64 s[28:29], s[22:23]
	s_xor_b64 s[22:23], exec, s[28:29]
	s_cbranch_execz .LBB12_1287
; %bb.1286:                             ;   in Loop: Header=BB12_1273 Depth=3
	v_or_b32_e32 v94, 64, v94
	s_waitcnt lgkmcnt(0)
	ds_write_b32 v0, v10
	s_trap 2
.LBB12_1287:                            ;   in Loop: Header=BB12_1273 Depth=3
	s_or_b64 exec, exec, s[22:23]
.LBB12_1288:                            ;   in Loop: Header=BB12_1273 Depth=3
	s_or_b64 exec, exec, s[26:27]
	v_and_b32_e32 v4, 0x108, v94
	v_cmp_ne_u32_e32 vcc, s72, v4
	;;#ASMSTART
	s_wakeup
	;;#ASMEND
                                        ; implicit-def: $vgpr10_vgpr11
	s_and_saveexec_b64 s[22:23], vcc
	s_xor_b64 s[22:23], exec, s[22:23]
; %bb.1289:                             ;   in Loop: Header=BB12_1273 Depth=3
	v_and_b32_e32 v10, 7, v44
	v_mov_b32_e32 v11, v3
                                        ; implicit-def: $vgpr44_vgpr45
; %bb.1290:                             ;   in Loop: Header=BB12_1273 Depth=3
	s_andn2_saveexec_b64 s[22:23], s[22:23]
	s_cbranch_execz .LBB12_1292
; %bb.1291:                             ;   in Loop: Header=BB12_1273 Depth=3
	v_and_b32_e32 v10, 7, v44
	v_ashrrev_i32_e32 v59, 31, v58
	v_mov_b32_e32 v11, v3
	v_mad_u64_u32 v[12:13], s[26:27], v10, 24, v[6:7]
	v_lshlrev_b64 v[14:15], 1, v[58:59]
	flat_store_dwordx2 v[12:13], v[14:15] offset:8
.LBB12_1292:                            ;   in Loop: Header=BB12_1273 Depth=3
	s_or_b64 exec, exec, s[22:23]
	v_and_b32_e32 v4, 0x100, v94
	v_cmp_ne_u32_e32 vcc, 0, v4
	s_mov_b64 s[22:23], -1
                                        ; implicit-def: $vgpr12_vgpr13
	s_and_saveexec_b64 s[26:27], vcc
	s_cbranch_execz .LBB12_1296
; %bb.1293:                             ;   in Loop: Header=BB12_1273 Depth=3
	v_mad_u64_u32 v[14:15], s[22:23], v10, 24, v[6:7]
	v_mov_b32_e32 v12, v15
	v_mad_u64_u32 v[12:13], s[22:23], v11, 24, v[12:13]
	v_mov_b32_e32 v15, v12
	flat_load_dword v4, v[14:15]
                                        ; implicit-def: $vgpr12_vgpr13
	s_waitcnt vmcnt(0) lgkmcnt(0)
	v_cmp_ne_u32_e32 vcc, 1, v4
	v_cmp_eq_u32_e64 s[22:23], 1, v4
	s_and_saveexec_b64 s[28:29], s[22:23]
	s_cbranch_execz .LBB12_1295
; %bb.1294:                             ;   in Loop: Header=BB12_1273 Depth=3
	flat_load_dword v12, v[14:15] offset:4 sc0 sc1
	s_waitcnt vmcnt(0) lgkmcnt(0)
	v_ashrrev_i32_e32 v13, 31, v12
	v_lshrrev_b64 v[12:13], 1, v[12:13]
.LBB12_1295:                            ;   in Loop: Header=BB12_1273 Depth=3
	s_or_b64 exec, exec, s[28:29]
	s_orn2_b64 s[22:23], vcc, exec
.LBB12_1296:                            ;   in Loop: Header=BB12_1273 Depth=3
	s_or_b64 exec, exec, s[26:27]
	s_and_saveexec_b64 s[26:27], s[22:23]
; %bb.1297:                             ;   in Loop: Header=BB12_1273 Depth=3
	v_mul_lo_u32 v4, v11, v30
	v_mul_lo_u32 v5, v10, v51
	v_mad_u64_u32 v[12:13], s[22:23], v10, v30, 0
	v_add3_u32 v13, v13, v5, v4
; %bb.1298:                             ;   in Loop: Header=BB12_1273 Depth=3
	s_or_b64 exec, exec, s[26:27]
	v_cmp_eq_u32_e32 vcc, 0, v2
	v_lshl_add_u64 v[10:11], v[12:13], 1, v[34:35]
	s_nop 0
	v_cndmask_b32_e32 v2, v109, v110, vcc
	v_add_u32_e32 v2, v0, v2
	ds_write_b64 v2, v[10:11] offset:584
	v_and_b32_e32 v2, 0x2000, v94
	v_cmp_ne_u32_e32 vcc, 0, v2
	s_and_saveexec_b64 s[22:23], vcc
	s_cbranch_execz .LBB12_1300
; %bb.1299:                             ;   in Loop: Header=BB12_1273 Depth=3
	ds_read_b64 v[10:11], v0 offset:872
	s_waitcnt lgkmcnt(0)
	v_lshl_add_u64 v[10:11], v[10:11], 0, 1
	ds_write_b64 v0, v[10:11] offset:872
.LBB12_1300:                            ;   in Loop: Header=BB12_1273 Depth=3
	s_or_b64 exec, exec, s[22:23]
	v_mov_b64_e32 v[44:45], v[8:9]
.LBB12_1301:                            ;   in Loop: Header=BB12_1273 Depth=3
	s_or_b64 exec, exec, s[24:25]
	s_and_saveexec_b64 s[22:23], s[4:5]
	s_cbranch_execz .LBB12_1320
; %bb.1302:                             ;   in Loop: Header=BB12_1273 Depth=3
	s_and_saveexec_b64 s[24:25], s[76:77]
	s_xor_b64 s[24:25], exec, s[24:25]
	s_cbranch_execz .LBB12_1317
; %bb.1303:                             ;   in Loop: Header=BB12_1273 Depth=3
	s_and_saveexec_b64 s[26:27], s[12:13]
	s_cbranch_execz .LBB12_1316
; %bb.1304:                             ;   in Loop: Header=BB12_1273 Depth=3
	s_mov_b64 s[40:41], exec
	v_mbcnt_lo_u32_b32 v2, s40, 0
	v_mbcnt_hi_u32_b32 v2, s41, v2
	v_cmp_eq_u32_e32 vcc, 0, v2
	s_waitcnt lgkmcnt(0)
	s_and_saveexec_b64 s[28:29], vcc
	s_cbranch_execz .LBB12_1306
; %bb.1305:                             ;   in Loop: Header=BB12_1273 Depth=3
	s_bcnt1_i32_b64 s40, s[40:41]
	v_mov_b32_e32 v2, s40
	ds_add_u64 v0, v[2:3]
	s_trap 2
.LBB12_1306:                            ;   in Loop: Header=BB12_1273 Depth=3
	s_or_b64 exec, exec, s[28:29]
	s_trap 2
	ds_read_b64 v[8:9], v0
	s_waitcnt lgkmcnt(0)
	v_lshl_add_u64 v[48:49], v[48:49], 0, v[52:53]
	v_cmp_lt_u64_e32 vcc, v[8:9], v[48:49]
	s_and_saveexec_b64 s[28:29], vcc
	s_cbranch_execz .LBB12_1315
; %bb.1307:                             ;   in Loop: Header=BB12_1273 Depth=3
	s_mov_b32 s74, 0
	s_mov_b64 s[40:41], 0
                                        ; implicit-def: $sgpr42_sgpr43
                                        ; implicit-def: $sgpr44_sgpr45
	s_branch .LBB12_1309
.LBB12_1308:                            ;   in Loop: Header=BB12_1309 Depth=4
	s_or_b64 exec, exec, s[56:57]
	s_and_b64 s[46:47], exec, s[58:59]
	s_or_b64 s[40:41], s[46:47], s[40:41]
	s_andn2_b64 s[42:43], s[42:43], exec
	s_and_b64 s[46:47], s[44:45], exec
	s_or_b64 s[42:43], s[42:43], s[46:47]
	s_andn2_b64 exec, exec, s[40:41]
	s_cbranch_execz .LBB12_1313
.LBB12_1309:                            ;   Parent Loop BB12_47 Depth=1
                                        ;     Parent Loop BB12_1270 Depth=2
                                        ;       Parent Loop BB12_1273 Depth=3
                                        ; =>      This Inner Loop Header: Depth=4
	s_add_i32 s74, s74, 1
	s_cmpk_lg_i32 s74, 0x2710
	s_cselect_b64 s[46:47], -1, 0
	s_and_b64 vcc, exec, s[46:47]
	s_cbranch_vccz .LBB12_1311
; %bb.1310:                             ;   in Loop: Header=BB12_1309 Depth=4
	s_mov_b64 s[58:59], -1
	s_or_b64 s[44:45], s[44:45], exec
	s_and_saveexec_b64 s[56:57], s[46:47]
	s_cbranch_execz .LBB12_1308
	s_branch .LBB12_1312
.LBB12_1311:                            ;   in Loop: Header=BB12_1309 Depth=4
	s_trap 2
	ds_read_b64 v[8:9], v0
	s_andn2_b64 s[46:47], s[46:47], exec
	s_mov_b32 s74, 0
	s_waitcnt vmcnt(0) lgkmcnt(0)
	flat_load_dword v2, v[8:9] sc0 sc1
	s_waitcnt vmcnt(0) lgkmcnt(0)
	buffer_inv sc0 sc1
	v_cmp_eq_u32_e32 vcc, 0, v2
	s_and_b64 s[56:57], vcc, exec
	s_or_b64 s[46:47], s[46:47], s[56:57]
	s_mov_b64 s[58:59], -1
	s_or_b64 s[44:45], s[44:45], exec
	s_and_saveexec_b64 s[56:57], s[46:47]
	s_cbranch_execz .LBB12_1308
.LBB12_1312:                            ;   in Loop: Header=BB12_1309 Depth=4
	s_sleep 1
	s_trap 2
	ds_read_b64 v[8:9], v0
	s_waitcnt lgkmcnt(0)
	s_andn2_b64 s[44:45], s[44:45], exec
	v_cmp_ge_u64_e32 vcc, v[8:9], v[48:49]
	s_orn2_b64 s[58:59], vcc, exec
	s_branch .LBB12_1308
.LBB12_1313:                            ;   in Loop: Header=BB12_1273 Depth=3
	s_or_b64 exec, exec, s[40:41]
	s_and_saveexec_b64 s[40:41], s[42:43]
	s_xor_b64 s[40:41], exec, s[40:41]
	s_cbranch_execz .LBB12_1315
; %bb.1314:                             ;   in Loop: Header=BB12_1273 Depth=3
	ds_write_b32 v0, v106
	s_trap 2
.LBB12_1315:                            ;   in Loop: Header=BB12_1273 Depth=3
	s_or_b64 exec, exec, s[28:29]
	;;#ASMSTART
	s_wakeup
	;;#ASMEND
.LBB12_1316:                            ;   in Loop: Header=BB12_1273 Depth=3
	s_or_b64 exec, exec, s[26:27]
.LBB12_1317:                            ;   in Loop: Header=BB12_1273 Depth=3
	s_andn2_saveexec_b64 s[24:25], s[24:25]
	s_cbranch_execz .LBB12_1319
; %bb.1318:                             ;   in Loop: Header=BB12_1273 Depth=3
	s_waitcnt lgkmcnt(0)
	s_barrier
.LBB12_1319:                            ;   in Loop: Header=BB12_1273 Depth=3
	s_or_b64 exec, exec, s[24:25]
.LBB12_1320:                            ;   in Loop: Header=BB12_1273 Depth=3
	s_or_b64 exec, exec, s[22:23]
	s_trap 2
	ds_read_b32 v8, v0
	v_and_b32_e32 v2, 0x4000, v94
	v_cmp_ne_u32_e32 vcc, 0, v2
	s_xor_b64 s[22:23], s[2:3], -1
	s_and_b64 s[24:25], s[22:23], vcc
	s_and_saveexec_b64 s[22:23], s[24:25]
	s_cbranch_execz .LBB12_1339
; %bb.1321:                             ;   in Loop: Header=BB12_1273 Depth=3
	s_and_saveexec_b64 s[24:25], s[76:77]
	s_xor_b64 s[24:25], exec, s[24:25]
	s_cbranch_execz .LBB12_1336
; %bb.1322:                             ;   in Loop: Header=BB12_1273 Depth=3
	s_and_saveexec_b64 s[26:27], s[12:13]
	s_cbranch_execz .LBB12_1335
; %bb.1323:                             ;   in Loop: Header=BB12_1273 Depth=3
	s_mov_b64 s[40:41], exec
	v_mbcnt_lo_u32_b32 v2, s40, 0
	v_mbcnt_hi_u32_b32 v2, s41, v2
	v_cmp_eq_u32_e32 vcc, 0, v2
	s_waitcnt lgkmcnt(0)
	s_and_saveexec_b64 s[28:29], vcc
	s_cbranch_execz .LBB12_1325
; %bb.1324:                             ;   in Loop: Header=BB12_1273 Depth=3
	s_bcnt1_i32_b64 s40, s[40:41]
	v_mov_b32_e32 v2, s40
	ds_add_u64 v0, v[2:3]
	s_trap 2
.LBB12_1325:                            ;   in Loop: Header=BB12_1273 Depth=3
	s_or_b64 exec, exec, s[28:29]
	s_trap 2
	ds_read_b64 v[10:11], v0
	s_waitcnt lgkmcnt(0)
	v_lshl_add_u64 v[48:49], v[48:49], 0, v[52:53]
	v_cmp_lt_u64_e32 vcc, v[10:11], v[48:49]
	s_and_saveexec_b64 s[28:29], vcc
	s_cbranch_execz .LBB12_1334
; %bb.1326:                             ;   in Loop: Header=BB12_1273 Depth=3
	s_mov_b32 s74, 0
	s_mov_b64 s[40:41], 0
                                        ; implicit-def: $sgpr42_sgpr43
                                        ; implicit-def: $sgpr44_sgpr45
	s_branch .LBB12_1328
.LBB12_1327:                            ;   in Loop: Header=BB12_1328 Depth=4
	s_or_b64 exec, exec, s[56:57]
	s_and_b64 s[46:47], exec, s[58:59]
	s_or_b64 s[40:41], s[46:47], s[40:41]
	s_andn2_b64 s[42:43], s[42:43], exec
	s_and_b64 s[46:47], s[44:45], exec
	s_or_b64 s[42:43], s[42:43], s[46:47]
	s_andn2_b64 exec, exec, s[40:41]
	s_cbranch_execz .LBB12_1332
.LBB12_1328:                            ;   Parent Loop BB12_47 Depth=1
                                        ;     Parent Loop BB12_1270 Depth=2
                                        ;       Parent Loop BB12_1273 Depth=3
                                        ; =>      This Inner Loop Header: Depth=4
	s_add_i32 s74, s74, 1
	s_cmpk_lg_i32 s74, 0x2710
	s_cselect_b64 s[46:47], -1, 0
	s_and_b64 vcc, exec, s[46:47]
	s_cbranch_vccz .LBB12_1330
; %bb.1329:                             ;   in Loop: Header=BB12_1328 Depth=4
	s_mov_b64 s[58:59], -1
	s_or_b64 s[44:45], s[44:45], exec
	s_and_saveexec_b64 s[56:57], s[46:47]
	s_cbranch_execz .LBB12_1327
	s_branch .LBB12_1331
.LBB12_1330:                            ;   in Loop: Header=BB12_1328 Depth=4
	s_trap 2
	ds_read_b64 v[10:11], v0
	s_andn2_b64 s[46:47], s[46:47], exec
	s_mov_b32 s74, 0
	s_waitcnt vmcnt(0) lgkmcnt(0)
	flat_load_dword v2, v[10:11] sc0 sc1
	s_waitcnt vmcnt(0) lgkmcnt(0)
	buffer_inv sc0 sc1
	v_cmp_eq_u32_e32 vcc, 0, v2
	s_and_b64 s[56:57], vcc, exec
	s_or_b64 s[46:47], s[46:47], s[56:57]
	s_mov_b64 s[58:59], -1
	s_or_b64 s[44:45], s[44:45], exec
	s_and_saveexec_b64 s[56:57], s[46:47]
	s_cbranch_execz .LBB12_1327
.LBB12_1331:                            ;   in Loop: Header=BB12_1328 Depth=4
	s_sleep 1
	s_trap 2
	ds_read_b64 v[10:11], v0
	s_waitcnt lgkmcnt(0)
	s_andn2_b64 s[44:45], s[44:45], exec
	v_cmp_ge_u64_e32 vcc, v[10:11], v[48:49]
	s_orn2_b64 s[58:59], vcc, exec
	s_branch .LBB12_1327
.LBB12_1332:                            ;   in Loop: Header=BB12_1273 Depth=3
	s_or_b64 exec, exec, s[40:41]
	s_and_saveexec_b64 s[40:41], s[42:43]
	s_xor_b64 s[40:41], exec, s[40:41]
	s_cbranch_execz .LBB12_1334
; %bb.1333:                             ;   in Loop: Header=BB12_1273 Depth=3
	ds_write_b32 v0, v106
	s_trap 2
.LBB12_1334:                            ;   in Loop: Header=BB12_1273 Depth=3
	s_or_b64 exec, exec, s[28:29]
	;;#ASMSTART
	s_wakeup
	;;#ASMEND
.LBB12_1335:                            ;   in Loop: Header=BB12_1273 Depth=3
	s_or_b64 exec, exec, s[26:27]
.LBB12_1336:                            ;   in Loop: Header=BB12_1273 Depth=3
	s_andn2_saveexec_b64 s[24:25], s[24:25]
	s_cbranch_execz .LBB12_1338
; %bb.1337:                             ;   in Loop: Header=BB12_1273 Depth=3
	s_waitcnt lgkmcnt(0)
	s_barrier
.LBB12_1338:                            ;   in Loop: Header=BB12_1273 Depth=3
	s_or_b64 exec, exec, s[24:25]
.LBB12_1339:                            ;   in Loop: Header=BB12_1273 Depth=3
	s_or_b64 exec, exec, s[22:23]
	s_trap 2
	ds_read_b64 v[72:73], v0
	s_waitcnt lgkmcnt(0)
	v_cmp_eq_u64_e32 vcc, 0, v[72:73]
	s_cbranch_vccnz .LBB12_1348
; %bb.1340:                             ;   in Loop: Header=BB12_1273 Depth=3
	s_trap 2
	ds_read_b64 v[74:75], v0
	s_waitcnt lgkmcnt(0)
	v_cmp_eq_u64_e32 vcc, 0, v[74:75]
	s_cbranch_vccnz .LBB12_1348
; %bb.1341:                             ;   in Loop: Header=BB12_1273 Depth=3
	s_trap 2
	ds_read_b64 v[16:17], v0
	v_cmp_eq_u32_e32 vcc, 0, v8
	s_waitcnt lgkmcnt(0)
	v_readfirstlane_b32 s30, v16
	v_cndmask_b32_e32 v59, 0, v58, vcc
	v_cmp_ne_u64_e32 vcc, 0, v[16:17]
	s_cbranch_vccz .LBB12_1353
; %bb.1342:                             ;   in Loop: Header=BB12_1273 Depth=3
	s_trap 2
	ds_read_b64 v[18:19], v0
	s_mov_b64 s[22:23], -1
	s_and_saveexec_b64 s[24:25], s[16:17]
	s_cbranch_execz .LBB12_1344
; %bb.1343:                             ;   in Loop: Header=BB12_1273 Depth=3
	ds_read_b32 v2, v0 offset:720
	s_waitcnt lgkmcnt(0)
	v_and_b32_e32 v2, 15, v2
	v_cmp_eq_u32_e32 vcc, 0, v2
	s_orn2_b64 s[22:23], vcc, exec
.LBB12_1344:                            ;   in Loop: Header=BB12_1273 Depth=3
	s_or_b64 exec, exec, s[24:25]
	s_and_saveexec_b64 s[24:25], s[18:19]
	s_cbranch_execz .LBB12_1346
; %bb.1345:                             ;   in Loop: Header=BB12_1273 Depth=3
	ds_read_b32 v2, v0 offset:784
	s_waitcnt lgkmcnt(0)
	v_and_b32_e32 v2, 15, v2
	v_cmp_eq_u32_e32 vcc, 0, v2
	s_and_b64 s[26:27], s[22:23], vcc
	s_andn2_b64 s[22:23], s[22:23], exec
	s_and_b64 s[26:27], s[26:27], exec
	s_or_b64 s[22:23], s[22:23], s[26:27]
.LBB12_1346:                            ;   in Loop: Header=BB12_1273 Depth=3
	s_or_b64 exec, exec, s[24:25]
	s_xor_b64 s[22:23], s[22:23], -1
	v_cndmask_b32_e64 v4, 0, 1, s[22:23]
	v_lshlrev_b32_e32 v61, 1, v59
	s_mov_b64 s[24:25], -1
	v_mov_b32_e32 v2, 0
	v_cmp_ne_u32_e32 vcc, 0, v4
	s_cbranch_vccz .LBB12_1355
; %bb.1347:                             ;   in Loop: Header=BB12_1273 Depth=3
	v_mov_b32_e32 v22, v0
	s_and_saveexec_b64 s[40:41], s[24:25]
	s_cbranch_execnz .LBB12_1370
	s_branch .LBB12_1396
.LBB12_1348:                            ;   in Loop: Header=BB12_1273 Depth=3
	s_mov_b64 s[22:23], 0
	s_and_saveexec_b64 s[24:25], s[4:5]
	s_cbranch_execnz .LBB12_1503
.LBB12_1349:                            ;   in Loop: Header=BB12_1273 Depth=3
	s_or_b64 exec, exec, s[24:25]
                                        ; implicit-def: $vgpr2
	s_and_saveexec_b64 s[24:25], s[20:21]
	s_xor_b64 s[24:25], exec, s[24:25]
	s_cbranch_execz .LBB12_1521
.LBB12_1350:                            ;   in Loop: Header=BB12_1273 Depth=3
	v_and_b32_e32 v4, 16, v94
	v_cmp_ne_u32_e32 vcc, 0, v4
	v_and_b32_e32 v2, 16, v94
	s_and_b64 s[26:27], vcc, s[22:23]
	s_and_saveexec_b64 s[22:23], s[26:27]
	s_cbranch_execz .LBB12_1352
; %bb.1351:                             ;   in Loop: Header=BB12_1273 Depth=3
	v_mov_b32_e32 v2, 1
	buffer_wbl2 sc1
	s_waitcnt vmcnt(0) lgkmcnt(0)
	buffer_inv sc1
.LBB12_1352:                            ;   in Loop: Header=BB12_1273 Depth=3
	s_or_b64 exec, exec, s[22:23]
	s_andn2_saveexec_b64 s[22:23], s[24:25]
	s_cbranch_execz .LBB12_1540
	s_branch .LBB12_1522
.LBB12_1353:                            ;   in Loop: Header=BB12_1273 Depth=3
	s_cbranch_execnz .LBB12_1397
.LBB12_1354:                            ;   in Loop: Header=BB12_1273 Depth=3
	v_cmp_lt_i32_e64 s[22:23], 0, v59
	s_and_saveexec_b64 s[24:25], s[4:5]
	s_cbranch_execnz .LBB12_1503
	s_branch .LBB12_1349
.LBB12_1355:                            ;   in Loop: Header=BB12_1273 Depth=3
	v_ashrrev_i32_e32 v2, 31, v61
	v_lshrrev_b32_e32 v2, 22, v2
	v_add_u32_e32 v2, v61, v2
	v_and_b32_e32 v90, 0xfffffc00, v2
	v_ashrrev_i32_e32 v4, 10, v2
	v_sub_u32_e32 v92, v61, v90
	v_sub_u32_e32 v2, v4, v104
	v_cmp_lt_i32_e64 s[22:23], 15, v92
	v_sub_u32_e32 v89, v61, v54
	s_nop 0
	v_addc_co_u32_e64 v91, vcc, 0, v2, s[22:23]
	v_cmp_lt_i32_e32 vcc, 15, v89
	s_and_saveexec_b64 s[54:55], vcc
	s_cbranch_execz .LBB12_1361
; %bb.1356:                             ;   in Loop: Header=BB12_1273 Depth=3
	s_and_b32 s74, s30, 1
	s_cmp_eq_u64 s[74:75], 0
	v_lshl_add_u64 v[20:21], v[72:73], 0, v[54:55]
	s_waitcnt lgkmcnt(0)
	v_lshl_add_u64 v[22:23], v[18:19], 0, v[54:55]
	v_lshl_add_u64 v[76:77], v[74:75], 0, v[54:55]
	v_lshl_add_u64 v[78:79], v[16:17], 0, v[54:55]
	s_mov_b64 s[64:65], 0
	s_cselect_b64 s[24:25], -1, 0
.LBB12_1357:                            ;   Parent Loop BB12_47 Depth=1
                                        ;     Parent Loop BB12_1270 Depth=2
                                        ;       Parent Loop BB12_1273 Depth=3
                                        ; =>      This Loop Header: Depth=4
                                        ;           Child Loop BB12_1358 Depth 5
	global_load_dwordx4 v[8:11], v[20:21], off nt
	global_load_dwordx4 v[12:15], v[22:23], off nt
	s_waitcnt vmcnt(0)
	v_lshlrev_b32_e32 v2, 16, v8
	v_and_b32_e32 v5, 0xffff0000, v12
	v_lshlrev_b32_e32 v12, 16, v12
	v_max_f32_e32 v12, v12, v12
	v_max_f32_e32 v2, v2, v2
	v_min_f32_e32 v24, v2, v12
	v_max_f32_e32 v2, v2, v12
	v_cndmask_b32_e64 v12, v2, v24, s[24:25]
	v_and_b32_e32 v4, 0xffff0000, v8
	v_and_b32_e32 v2, 0x7f800000, v12
	v_cmp_eq_u32_e32 vcc, s73, v2
	v_bfe_u32 v2, v12, 16, 1
	v_cmp_eq_u32_sdwa s[26:27], v12, v3 src0_sel:WORD_0 src1_sel:DWORD
	v_or_b32_e32 v24, 0x10000, v12
	v_max_f32_e32 v5, v5, v5
	v_max_f32_e32 v4, v4, v4
	v_add3_u32 v2, v12, v2, s62
	v_cndmask_b32_e64 v12, v24, v12, s[26:27]
	v_min_f32_e32 v24, v4, v5
	v_max_f32_e32 v4, v4, v5
	v_cndmask_b32_e64 v4, v4, v24, s[24:25]
	v_and_b32_e32 v5, 0x7f800000, v4
	v_cmp_eq_u32_e64 s[26:27], s73, v5
	v_bfe_u32 v5, v4, 16, 1
	v_add3_u32 v93, v4, v5, s62
	v_cmp_eq_u32_sdwa s[28:29], v4, v3 src0_sel:WORD_0 src1_sel:DWORD
	v_or_b32_e32 v5, 0x10000, v4
	v_lshlrev_b32_e32 v24, 16, v9
	v_cndmask_b32_e64 v111, v5, v4, s[28:29]
	v_and_b32_e32 v5, 0xffff0000, v13
	v_lshlrev_b32_e32 v13, 16, v13
	v_max_f32_e32 v13, v13, v13
	v_max_f32_e32 v24, v24, v24
	v_min_f32_e32 v25, v24, v13
	v_max_f32_e32 v13, v24, v13
	v_cndmask_b32_e64 v24, v13, v25, s[24:25]
	v_and_b32_e32 v4, 0xffff0000, v9
	v_and_b32_e32 v13, 0x7f800000, v24
	v_cmp_eq_u32_e64 s[28:29], s73, v13
	v_bfe_u32 v13, v24, 16, 1
	v_cmp_eq_u32_sdwa s[40:41], v24, v3 src0_sel:WORD_0 src1_sel:DWORD
	v_or_b32_e32 v25, 0x10000, v24
	v_max_f32_e32 v5, v5, v5
	v_max_f32_e32 v4, v4, v4
	v_add3_u32 v13, v24, v13, s62
	v_cndmask_b32_e64 v120, v25, v24, s[40:41]
	v_min_f32_e32 v24, v4, v5
	v_max_f32_e32 v4, v4, v5
	v_cndmask_b32_e64 v4, v4, v24, s[24:25]
	v_and_b32_e32 v5, 0x7f800000, v4
	v_cmp_eq_u32_e64 s[40:41], s73, v5
	v_bfe_u32 v5, v4, 16, 1
	v_add3_u32 v121, v4, v5, s62
	v_cmp_eq_u32_sdwa s[42:43], v4, v3 src0_sel:WORD_0 src1_sel:DWORD
	v_or_b32_e32 v5, 0x10000, v4
	v_lshlrev_b32_e32 v24, 16, v10
	v_cndmask_b32_e64 v122, v5, v4, s[42:43]
	v_and_b32_e32 v5, 0xffff0000, v14
	v_lshlrev_b32_e32 v14, 16, v14
	v_max_f32_e32 v14, v14, v14
	v_max_f32_e32 v24, v24, v24
	v_min_f32_e32 v25, v24, v14
	v_max_f32_e32 v14, v24, v14
	v_cndmask_b32_e64 v24, v14, v25, s[24:25]
	v_and_b32_e32 v4, 0xffff0000, v10
	v_and_b32_e32 v14, 0x7f800000, v24
	v_cmp_eq_u32_e64 s[42:43], s73, v14
	;; [unrolled: 28-line block ×3, first 2 shown]
	v_bfe_u32 v24, v15, 16, 1
	v_cmp_eq_u32_sdwa s[56:57], v15, v3 src0_sel:WORD_0 src1_sel:DWORD
	v_or_b32_e32 v25, 0x10000, v15
	v_max_f32_e32 v5, v5, v5
	v_max_f32_e32 v4, v4, v4
	v_add3_u32 v24, v15, v24, s62
	v_cndmask_b32_e64 v15, v25, v15, s[56:57]
	v_min_f32_e32 v25, v4, v5
	v_max_f32_e32 v4, v4, v5
	v_cndmask_b32_e64 v4, v4, v25, s[24:25]
	v_and_b32_e32 v5, 0x7f800000, v4
	v_cmp_eq_u32_e64 s[56:57], s73, v5
	v_bfe_u32 v5, v4, 16, 1
	v_cmp_eq_u32_sdwa s[58:59], v4, v3 src0_sel:WORD_0 src1_sel:DWORD
	v_or_b32_e32 v25, 0x10000, v4
	v_add3_u32 v5, v4, v5, s62
	v_cndmask_b32_e64 v4, v25, v4, s[58:59]
	v_cndmask_b32_e64 v13, v13, v120, s[28:29]
	v_cndmask_b32_e32 v2, v2, v12, vcc
	v_cndmask_b32_e64 v25, v121, v122, s[40:41]
	v_cndmask_b32_e64 v14, v14, v123, s[42:43]
	v_cndmask_b32_e64 v4, v5, v4, s[56:57]
	v_lshrrev_b32_e32 v5, 16, v13
	v_cndmask_b32_e64 v12, v93, v111, s[26:27]
	v_cndmask_b32_e64 v26, v124, v26, s[44:45]
	;; [unrolled: 1-line block ×3, first 2 shown]
	v_and_or_b32 v13, v25, s63, v5
	v_lshrrev_b32_e32 v2, 16, v2
	v_lshrrev_b32_e32 v5, 16, v14
	v_and_or_b32 v2, v12, s63, v2
	v_and_or_b32 v12, v26, s63, v5
	v_lshrrev_b32_e32 v5, 16, v15
	v_and_or_b32 v15, v4, s63, v5
	s_mov_b64 s[26:27], -1
	s_mov_b64 s[28:29], 0
.LBB12_1358:                            ;   Parent Loop BB12_47 Depth=1
                                        ;     Parent Loop BB12_1270 Depth=2
                                        ;       Parent Loop BB12_1273 Depth=3
                                        ;         Parent Loop BB12_1357 Depth=4
                                        ; =>        This Inner Loop Header: Depth=5
	v_cndmask_b32_e64 v4, 0, 1, s[26:27]
	v_cmp_ne_u32_e32 vcc, 1, v4
	s_cmp_eq_u32 s28, 1
	v_cndmask_b32_e64 v121, v9, v13, s[26:27]
	v_cndmask_b32_e64 v120, v8, v2, s[26:27]
	;; [unrolled: 1-line block ×4, first 2 shown]
	v_cndmask_b32_e32 v27, v77, v79, vcc
	v_cndmask_b32_e32 v26, v76, v78, vcc
	s_cselect_b64 vcc, -1, 0
	global_store_dwordx4 v[26:27], v[120:123], off
	v_cndmask_b32_e32 v27, v77, v79, vcc
	v_cndmask_b32_e32 v26, v76, v78, vcc
	v_lshl_add_u64 v[26:27], v[26:27], 0, s[88:89]
	s_cmp_eq_u32 s28, 0
	v_cndmask_b32_e32 v79, v79, v27, vcc
	v_cndmask_b32_e32 v78, v78, v26, vcc
	s_cselect_b64 vcc, -1, 0
	v_cndmask_b32_e32 v77, v77, v27, vcc
	v_cndmask_b32_e32 v76, v76, v26, vcc
	s_mov_b64 s[28:29], 1
	s_and_b64 vcc, exec, s[26:27]
	s_mov_b64 s[26:27], 0
	s_cbranch_vccnz .LBB12_1358
; %bb.1359:                             ;   in Loop: Header=BB12_1357 Depth=4
	v_sub_u32_e32 v89, v89, v70
	v_cmp_gt_i32_e32 vcc, 16, v89
	v_lshl_add_u64 v[76:77], v[76:77], 0, v[86:87]
	v_lshl_add_u64 v[78:79], v[78:79], 0, v[86:87]
	;; [unrolled: 1-line block ×4, first 2 shown]
	s_or_b64 s[64:65], vcc, s[64:65]
	v_sub_u32_e32 v91, v91, v52
	s_andn2_b64 exec, exec, s[64:65]
	s_cbranch_execnz .LBB12_1357
; %bb.1360:                             ;   in Loop: Header=BB12_1273 Depth=3
	s_or_b64 exec, exec, s[64:65]
.LBB12_1361:                            ;   in Loop: Header=BB12_1273 Depth=3
	s_or_b64 exec, exec, s[54:55]
	v_and_b32_e32 v8, 14, v61
	v_cndmask_b32_e64 v89, v92, v8, s[22:23]
	v_mov_b32_e32 v2, 0
	v_cmp_ne_u32_e32 vcc, 0, v89
	s_mov_b64 s[24:25], 0
                                        ; implicit-def: $vgpr61
                                        ; implicit-def: $vgpr22
	s_and_saveexec_b64 s[54:55], vcc
	s_cbranch_execz .LBB12_1369
; %bb.1362:                             ;   in Loop: Header=BB12_1273 Depth=3
	v_sub_u32_e32 v2, v92, v8
	v_cndmask_b32_e64 v2, 0, v2, s[22:23]
	v_cmp_lt_i32_e32 vcc, 0, v91
	v_add_u32_e32 v61, v2, v90
	s_nop 0
	v_cndmask_b32_e32 v2, 0, v52, vcc
	v_sub_u32_e32 v2, v2, v91
	v_lshl_or_b32 v2, v2, 6, v95
	v_ashrrev_i32_e32 v4, 31, v2
	v_lshrrev_b32_e32 v4, 26, v4
	v_add_u32_e32 v4, v2, v4
	v_ashrrev_i32_e32 v5, 6, v4
	v_and_b32_e32 v4, 0xffffffc0, v4
	v_sub_u32_e32 v90, v2, v4
	v_ashrrev_i32_e32 v4, 31, v89
	v_lshrrev_b32_e32 v4, 22, v4
	v_add_u32_e32 v4, v89, v4
	v_and_b32_e32 v91, 0xfffffc00, v4
	v_lshlrev_b32_e32 v2, 4, v90
	v_sub_u32_e32 v92, v89, v91
	v_lshl_add_u32 v2, v5, 10, v2
	v_ashrrev_i32_e32 v8, 10, v4
	v_cmp_lt_i32_e64 s[22:23], 15, v92
	v_sub_u32_e32 v111, v89, v2
	s_nop 0
	v_addc_co_u32_e64 v4, vcc, 0, v8, s[22:23]
	v_sub_u32_e32 v93, v4, v5
	v_cmp_lt_i32_e32 vcc, 15, v111
	s_and_saveexec_b64 s[64:65], vcc
	s_cbranch_execz .LBB12_1368
; %bb.1363:                             ;   in Loop: Header=BB12_1273 Depth=3
	v_add_u32_e32 v8, v2, v61
	s_and_b32 s74, s30, 1
	v_ashrrev_i32_e32 v9, 31, v8
	s_cmp_eq_u64 s[74:75], 0
	v_lshl_add_u64 v[20:21], v[8:9], 0, v[72:73]
	s_waitcnt lgkmcnt(0)
	v_lshl_add_u64 v[22:23], v[8:9], 0, v[18:19]
	v_lshl_add_u64 v[76:77], v[8:9], 0, v[74:75]
	;; [unrolled: 1-line block ×3, first 2 shown]
	s_mov_b64 s[66:67], 0
	s_cselect_b64 s[24:25], -1, 0
.LBB12_1364:                            ;   Parent Loop BB12_47 Depth=1
                                        ;     Parent Loop BB12_1270 Depth=2
                                        ;       Parent Loop BB12_1273 Depth=3
                                        ; =>      This Loop Header: Depth=4
                                        ;           Child Loop BB12_1365 Depth 5
	global_load_dwordx4 v[8:11], v[20:21], off nt
	global_load_dwordx4 v[12:15], v[22:23], off nt
	s_waitcnt vmcnt(0)
	v_lshlrev_b32_e32 v2, 16, v8
	v_and_b32_e32 v5, 0xffff0000, v12
	v_lshlrev_b32_e32 v12, 16, v12
	v_max_f32_e32 v12, v12, v12
	v_max_f32_e32 v2, v2, v2
	v_min_f32_e32 v24, v2, v12
	v_max_f32_e32 v2, v2, v12
	v_cndmask_b32_e64 v12, v2, v24, s[24:25]
	v_and_b32_e32 v4, 0xffff0000, v8
	v_and_b32_e32 v2, 0x7f800000, v12
	v_cmp_eq_u32_e32 vcc, s73, v2
	v_bfe_u32 v2, v12, 16, 1
	v_cmp_eq_u32_sdwa s[26:27], v12, v3 src0_sel:WORD_0 src1_sel:DWORD
	v_or_b32_e32 v24, 0x10000, v12
	v_max_f32_e32 v5, v5, v5
	v_max_f32_e32 v4, v4, v4
	v_add3_u32 v2, v12, v2, s62
	v_cndmask_b32_e64 v12, v24, v12, s[26:27]
	v_min_f32_e32 v24, v4, v5
	v_max_f32_e32 v4, v4, v5
	v_cndmask_b32_e64 v4, v4, v24, s[24:25]
	v_and_b32_e32 v5, 0x7f800000, v4
	v_cmp_eq_u32_e64 s[26:27], s73, v5
	v_bfe_u32 v5, v4, 16, 1
	v_add3_u32 v120, v4, v5, s62
	v_cmp_eq_u32_sdwa s[28:29], v4, v3 src0_sel:WORD_0 src1_sel:DWORD
	v_or_b32_e32 v5, 0x10000, v4
	v_lshlrev_b32_e32 v24, 16, v9
	v_cndmask_b32_e64 v121, v5, v4, s[28:29]
	v_and_b32_e32 v5, 0xffff0000, v13
	v_lshlrev_b32_e32 v13, 16, v13
	v_max_f32_e32 v13, v13, v13
	v_max_f32_e32 v24, v24, v24
	v_min_f32_e32 v25, v24, v13
	v_max_f32_e32 v13, v24, v13
	v_cndmask_b32_e64 v24, v13, v25, s[24:25]
	v_and_b32_e32 v4, 0xffff0000, v9
	v_and_b32_e32 v13, 0x7f800000, v24
	v_cmp_eq_u32_e64 s[28:29], s73, v13
	v_bfe_u32 v13, v24, 16, 1
	v_cmp_eq_u32_sdwa s[40:41], v24, v3 src0_sel:WORD_0 src1_sel:DWORD
	v_or_b32_e32 v25, 0x10000, v24
	v_max_f32_e32 v5, v5, v5
	v_max_f32_e32 v4, v4, v4
	v_add3_u32 v13, v24, v13, s62
	v_cndmask_b32_e64 v122, v25, v24, s[40:41]
	v_min_f32_e32 v24, v4, v5
	v_max_f32_e32 v4, v4, v5
	v_cndmask_b32_e64 v4, v4, v24, s[24:25]
	v_and_b32_e32 v5, 0x7f800000, v4
	v_cmp_eq_u32_e64 s[40:41], s73, v5
	v_bfe_u32 v5, v4, 16, 1
	v_add3_u32 v123, v4, v5, s62
	v_cmp_eq_u32_sdwa s[42:43], v4, v3 src0_sel:WORD_0 src1_sel:DWORD
	v_or_b32_e32 v5, 0x10000, v4
	v_lshlrev_b32_e32 v24, 16, v10
	v_cndmask_b32_e64 v124, v5, v4, s[42:43]
	v_and_b32_e32 v5, 0xffff0000, v14
	v_lshlrev_b32_e32 v14, 16, v14
	v_max_f32_e32 v14, v14, v14
	v_max_f32_e32 v24, v24, v24
	v_min_f32_e32 v25, v24, v14
	v_max_f32_e32 v14, v24, v14
	v_cndmask_b32_e64 v24, v14, v25, s[24:25]
	v_and_b32_e32 v4, 0xffff0000, v10
	v_and_b32_e32 v14, 0x7f800000, v24
	v_cmp_eq_u32_e64 s[42:43], s73, v14
	;; [unrolled: 28-line block ×3, first 2 shown]
	v_bfe_u32 v24, v15, 16, 1
	v_cmp_eq_u32_sdwa s[56:57], v15, v3 src0_sel:WORD_0 src1_sel:DWORD
	v_or_b32_e32 v25, 0x10000, v15
	v_max_f32_e32 v5, v5, v5
	v_max_f32_e32 v4, v4, v4
	v_add3_u32 v24, v15, v24, s62
	v_cndmask_b32_e64 v15, v25, v15, s[56:57]
	v_min_f32_e32 v25, v4, v5
	v_max_f32_e32 v4, v4, v5
	v_cndmask_b32_e64 v4, v4, v25, s[24:25]
	v_and_b32_e32 v5, 0x7f800000, v4
	v_cmp_eq_u32_e64 s[56:57], s73, v5
	v_bfe_u32 v5, v4, 16, 1
	v_cmp_eq_u32_sdwa s[58:59], v4, v3 src0_sel:WORD_0 src1_sel:DWORD
	v_or_b32_e32 v25, 0x10000, v4
	v_add3_u32 v5, v4, v5, s62
	v_cndmask_b32_e64 v4, v25, v4, s[58:59]
	v_cndmask_b32_e64 v13, v13, v122, s[28:29]
	v_cndmask_b32_e32 v2, v2, v12, vcc
	v_cndmask_b32_e64 v25, v123, v124, s[40:41]
	v_cndmask_b32_e64 v14, v14, v125, s[42:43]
	;; [unrolled: 1-line block ×3, first 2 shown]
	v_lshrrev_b32_e32 v5, 16, v13
	v_cndmask_b32_e64 v12, v120, v121, s[26:27]
	v_cndmask_b32_e64 v26, v26, v27, s[44:45]
	;; [unrolled: 1-line block ×3, first 2 shown]
	v_and_or_b32 v13, v25, s63, v5
	v_lshrrev_b32_e32 v2, 16, v2
	v_lshrrev_b32_e32 v5, 16, v14
	v_and_or_b32 v2, v12, s63, v2
	v_and_or_b32 v12, v26, s63, v5
	v_lshrrev_b32_e32 v5, 16, v15
	v_and_or_b32 v15, v4, s63, v5
	s_mov_b64 s[26:27], -1
	s_mov_b64 s[28:29], 0
.LBB12_1365:                            ;   Parent Loop BB12_47 Depth=1
                                        ;     Parent Loop BB12_1270 Depth=2
                                        ;       Parent Loop BB12_1273 Depth=3
                                        ;         Parent Loop BB12_1364 Depth=4
                                        ; =>        This Inner Loop Header: Depth=5
	v_cndmask_b32_e64 v4, 0, 1, s[26:27]
	v_cmp_ne_u32_e32 vcc, 1, v4
	s_cmp_eq_u32 s28, 1
	v_cndmask_b32_e64 v121, v9, v13, s[26:27]
	v_cndmask_b32_e64 v120, v8, v2, s[26:27]
	;; [unrolled: 1-line block ×4, first 2 shown]
	v_cndmask_b32_e32 v27, v77, v79, vcc
	v_cndmask_b32_e32 v26, v76, v78, vcc
	s_cselect_b64 vcc, -1, 0
	global_store_dwordx4 v[26:27], v[120:123], off
	v_cndmask_b32_e32 v27, v77, v79, vcc
	v_cndmask_b32_e32 v26, v76, v78, vcc
	v_lshl_add_u64 v[26:27], v[26:27], 0, s[88:89]
	s_cmp_eq_u32 s28, 0
	v_cndmask_b32_e32 v79, v79, v27, vcc
	v_cndmask_b32_e32 v78, v78, v26, vcc
	s_cselect_b64 vcc, -1, 0
	v_cndmask_b32_e32 v77, v77, v27, vcc
	v_cndmask_b32_e32 v76, v76, v26, vcc
	s_mov_b64 s[28:29], 1
	s_and_b64 vcc, exec, s[26:27]
	s_mov_b64 s[26:27], 0
	s_cbranch_vccnz .LBB12_1365
; %bb.1366:                             ;   in Loop: Header=BB12_1364 Depth=4
	v_sub_u32_e32 v111, v111, v70
	v_cmp_gt_i32_e32 vcc, 16, v111
	v_lshl_add_u64 v[76:77], v[76:77], 0, v[86:87]
	v_lshl_add_u64 v[78:79], v[78:79], 0, v[86:87]
	;; [unrolled: 1-line block ×4, first 2 shown]
	s_or_b64 s[66:67], vcc, s[66:67]
	v_sub_u32_e32 v93, v93, v52
	s_andn2_b64 exec, exec, s[66:67]
	s_cbranch_execnz .LBB12_1364
; %bb.1367:                             ;   in Loop: Header=BB12_1273 Depth=3
	s_or_b64 exec, exec, s[66:67]
.LBB12_1368:                            ;   in Loop: Header=BB12_1273 Depth=3
	s_or_b64 exec, exec, s[64:65]
	v_and_b32_e32 v4, 14, v89
	v_sub_u32_e32 v2, v92, v4
	v_cndmask_b32_e64 v2, 0, v2, s[22:23]
	v_cmp_lt_i32_e32 vcc, 0, v93
	v_add3_u32 v2, v91, v61, v2
	v_cndmask_b32_e64 v61, v92, v4, s[22:23]
	v_cndmask_b32_e32 v4, 0, v52, vcc
	v_sub_u32_e32 v4, v4, v93
	v_cmp_ne_u32_e32 vcc, 0, v61
	v_lshl_add_u32 v22, v4, 6, v90
	s_and_b64 s[24:25], vcc, exec
.LBB12_1369:                            ;   in Loop: Header=BB12_1273 Depth=3
	s_or_b64 exec, exec, s[54:55]
	s_and_saveexec_b64 s[40:41], s[24:25]
	s_cbranch_execz .LBB12_1396
.LBB12_1370:                            ;   in Loop: Header=BB12_1273 Depth=3
	v_ashrrev_i32_e32 v4, 31, v22
	v_lshrrev_b32_e32 v4, 26, v4
	v_add_u32_e32 v8, v22, v4
	v_ashrrev_i32_e32 v4, 31, v61
	v_lshrrev_b32_e32 v4, 23, v4
	v_add_u32_e32 v4, v61, v4
	v_ashrrev_i32_e32 v23, 6, v8
	v_ashrrev_i32_e32 v27, 9, v4
	v_sub_u32_e32 v26, v27, v23
	v_cmp_lt_i32_e32 vcc, 0, v26
	s_and_saveexec_b64 s[24:25], vcc
	s_cbranch_execz .LBB12_1390
; %bb.1371:                             ;   in Loop: Header=BB12_1273 Depth=3
	v_and_b32_e32 v4, 0x7fffffc0, v8
	v_sub_u32_e32 v4, v22, v4
	v_lshlrev_b32_e32 v4, 1, v4
	v_lshlrev_b32_e32 v5, 9, v23
	v_add3_u32 v8, v4, v2, v5
	s_and_b32 s74, s30, 1
	v_ashrrev_i32_e32 v9, 31, v8
	s_cmp_eq_u64 s[74:75], 0
	v_lshl_add_u64 v[10:11], v[8:9], 0, v[74:75]
	v_lshl_add_u64 v[12:13], v[8:9], 0, v[16:17]
	s_mov_b64 s[26:27], 0
	s_cselect_b64 vcc, -1, 0
	v_mov_b64_e32 v[14:15], v[72:73]
	s_waitcnt lgkmcnt(0)
	v_mov_b64_e32 v[20:21], v[18:19]
	s_branch .LBB12_1373
.LBB12_1372:                            ;   in Loop: Header=BB12_1373 Depth=4
	s_or_b64 exec, exec, s[28:29]
	v_sub_u32_e32 v26, v26, v52
	v_cmp_gt_i32_e64 s[22:23], 1, v26
	flat_store_short_d16_hi v[10:11], v90 offset:384 nt
	flat_store_short v[12:13], v76 nt
	flat_store_short v[12:13], v77 offset:128 nt
	flat_store_short v[12:13], v78 offset:256 nt
	;; [unrolled: 1-line block ×3, first 2 shown]
	v_lshl_add_u64 v[10:11], v[10:11], 0, v[80:81]
	v_lshl_add_u64 v[12:13], v[12:13], 0, v[80:81]
	;; [unrolled: 1-line block ×3, first 2 shown]
	s_or_b64 s[26:27], s[22:23], s[26:27]
	v_lshl_add_u64 v[14:15], v[14:15], 0, v[112:113]
	s_andn2_b64 exec, exec, s[26:27]
	s_cbranch_execz .LBB12_1389
.LBB12_1373:                            ;   Parent Loop BB12_47 Depth=1
                                        ;     Parent Loop BB12_1270 Depth=2
                                        ;       Parent Loop BB12_1273 Depth=3
                                        ; =>      This Inner Loop Header: Depth=4
	v_lshl_add_u64 v[78:79], v[8:9], 0, v[20:21]
	v_lshl_add_u64 v[92:93], v[8:9], 0, v[14:15]
	flat_load_ushort v76, v[92:93] nt
	flat_load_ushort v4, v[78:79] nt
	flat_load_ushort v90, v[78:79] offset:256 nt
	flat_load_ushort v89, v[78:79] offset:384 nt
	;; [unrolled: 1-line block ×4, first 2 shown]
	s_nop 0
	flat_load_ushort v78, v[92:93] offset:256 nt
	flat_load_ushort v79, v[92:93] offset:384 nt
                                        ; implicit-def: $vgpr93
	s_waitcnt vmcnt(0) lgkmcnt(0)
	v_lshlrev_b32_e32 v5, 16, v76
	v_lshlrev_b32_e32 v4, 16, v4
	v_max_f32_e32 v4, v4, v4
	v_max_f32_e32 v5, v5, v5
	v_min_f32_e32 v24, v5, v4
	v_max_f32_e32 v4, v5, v4
	v_cndmask_b32_e32 v92, v4, v24, vcc
	v_and_b32_e32 v4, 0x7f800000, v92
	v_cmp_ne_u32_e64 s[22:23], s73, v4
	s_and_saveexec_b64 s[28:29], s[22:23]
	s_xor_b64 s[22:23], exec, s[28:29]
; %bb.1374:                             ;   in Loop: Header=BB12_1373 Depth=4
	v_bfe_u32 v4, v92, 16, 1
	v_add3_u32 v93, v92, v4, s62
                                        ; implicit-def: $vgpr92
; %bb.1375:                             ;   in Loop: Header=BB12_1373 Depth=4
	s_andn2_saveexec_b64 s[28:29], s[22:23]
; %bb.1376:                             ;   in Loop: Header=BB12_1373 Depth=4
	v_or_b32_e32 v4, 0x10000, v92
	v_cmp_eq_u32_sdwa s[22:23], v92, v3 src0_sel:WORD_0 src1_sel:DWORD
	s_nop 1
	v_cndmask_b32_e64 v93, v4, v92, s[22:23]
; %bb.1377:                             ;   in Loop: Header=BB12_1373 Depth=4
	s_or_b64 exec, exec, s[28:29]
	v_lshlrev_b32_e32 v4, 16, v77
	v_lshlrev_b32_e32 v5, 16, v91
	v_max_f32_e32 v5, v5, v5
	v_max_f32_e32 v4, v4, v4
	v_min_f32_e32 v24, v4, v5
	v_max_f32_e32 v4, v4, v5
	v_cndmask_b32_e32 v91, v4, v24, vcc
	v_and_b32_e32 v4, 0x7f800000, v91
	v_cmp_ne_u32_e64 s[22:23], s73, v4
	flat_store_short_d16_hi v[10:11], v93 nt
                                        ; implicit-def: $vgpr92
	s_and_saveexec_b64 s[28:29], s[22:23]
	s_xor_b64 s[22:23], exec, s[28:29]
; %bb.1378:                             ;   in Loop: Header=BB12_1373 Depth=4
	v_bfe_u32 v4, v91, 16, 1
	v_add3_u32 v92, v91, v4, s62
                                        ; implicit-def: $vgpr91
; %bb.1379:                             ;   in Loop: Header=BB12_1373 Depth=4
	s_andn2_saveexec_b64 s[28:29], s[22:23]
; %bb.1380:                             ;   in Loop: Header=BB12_1373 Depth=4
	v_or_b32_e32 v4, 0x10000, v91
	v_cmp_eq_u32_sdwa s[22:23], v91, v3 src0_sel:WORD_0 src1_sel:DWORD
	s_nop 1
	v_cndmask_b32_e64 v92, v4, v91, s[22:23]
; %bb.1381:                             ;   in Loop: Header=BB12_1373 Depth=4
	s_or_b64 exec, exec, s[28:29]
	v_lshlrev_b32_e32 v4, 16, v78
	v_lshlrev_b32_e32 v5, 16, v90
	v_max_f32_e32 v5, v5, v5
	v_max_f32_e32 v4, v4, v4
	v_min_f32_e32 v24, v4, v5
	v_max_f32_e32 v4, v4, v5
	v_cndmask_b32_e32 v90, v4, v24, vcc
	v_and_b32_e32 v4, 0x7f800000, v90
	v_cmp_ne_u32_e64 s[22:23], s73, v4
	flat_store_short_d16_hi v[10:11], v92 offset:128 nt
                                        ; implicit-def: $vgpr91
	s_and_saveexec_b64 s[28:29], s[22:23]
	s_xor_b64 s[22:23], exec, s[28:29]
; %bb.1382:                             ;   in Loop: Header=BB12_1373 Depth=4
	v_bfe_u32 v4, v90, 16, 1
	v_add3_u32 v91, v90, v4, s62
                                        ; implicit-def: $vgpr90
; %bb.1383:                             ;   in Loop: Header=BB12_1373 Depth=4
	s_andn2_saveexec_b64 s[28:29], s[22:23]
; %bb.1384:                             ;   in Loop: Header=BB12_1373 Depth=4
	v_or_b32_e32 v4, 0x10000, v90
	v_cmp_eq_u32_sdwa s[22:23], v90, v3 src0_sel:WORD_0 src1_sel:DWORD
	s_nop 1
	v_cndmask_b32_e64 v91, v4, v90, s[22:23]
; %bb.1385:                             ;   in Loop: Header=BB12_1373 Depth=4
	s_or_b64 exec, exec, s[28:29]
	v_lshlrev_b32_e32 v4, 16, v79
	v_lshlrev_b32_e32 v5, 16, v89
	v_max_f32_e32 v5, v5, v5
	v_max_f32_e32 v4, v4, v4
	v_min_f32_e32 v24, v4, v5
	v_max_f32_e32 v4, v4, v5
	v_cndmask_b32_e32 v89, v4, v24, vcc
	v_and_b32_e32 v4, 0x7f800000, v89
	v_cmp_ne_u32_e64 s[22:23], s73, v4
	flat_store_short_d16_hi v[10:11], v91 offset:256 nt
                                        ; implicit-def: $vgpr90
	s_and_saveexec_b64 s[28:29], s[22:23]
	s_xor_b64 s[22:23], exec, s[28:29]
; %bb.1386:                             ;   in Loop: Header=BB12_1373 Depth=4
	v_bfe_u32 v4, v89, 16, 1
	v_add3_u32 v90, v89, v4, s62
                                        ; implicit-def: $vgpr89
; %bb.1387:                             ;   in Loop: Header=BB12_1373 Depth=4
	s_andn2_saveexec_b64 s[28:29], s[22:23]
	s_cbranch_execz .LBB12_1372
; %bb.1388:                             ;   in Loop: Header=BB12_1373 Depth=4
	v_or_b32_e32 v4, 0x10000, v89
	v_cmp_eq_u32_sdwa s[22:23], v89, v3 src0_sel:WORD_0 src1_sel:DWORD
	s_nop 1
	v_cndmask_b32_e64 v90, v4, v89, s[22:23]
	s_branch .LBB12_1372
.LBB12_1389:                            ;   in Loop: Header=BB12_1273 Depth=3
	s_or_b64 exec, exec, s[26:27]
.LBB12_1390:                            ;   in Loop: Header=BB12_1273 Depth=3
	s_or_b64 exec, exec, s[24:25]
	v_lshlrev_b32_e32 v8, 9, v27
	v_cmp_ne_u32_e32 vcc, v61, v8
	s_and_b64 exec, exec, vcc
	s_cbranch_execz .LBB12_1396
; %bb.1391:                             ;   in Loop: Header=BB12_1273 Depth=3
	v_lshlrev_b32_e32 v4, 6, v23
	v_sub_u32_e32 v4, v22, v4
	v_lshlrev_b32_e32 v5, 6, v26
	v_sub_u32_e32 v4, v4, v5
	v_ashrrev_i32_e32 v5, 31, v4
	v_lshrrev_b32_e32 v5, 26, v5
	v_add_u32_e32 v5, v4, v5
	v_and_b32_e32 v9, 0x7fffffc0, v5
	v_sub_u32_e32 v4, v4, v9
	v_lshlrev_b32_e32 v5, 1, v5
	v_and_b32_e32 v5, 0xffffff80, v5
	v_lshlrev_b32_e32 v4, 1, v4
	v_add3_u32 v8, v5, v4, v8
	v_sub_u32_e32 v20, v61, v8
	v_cmp_lt_i32_e32 vcc, 1, v20
	s_and_b64 exec, exec, vcc
	s_cbranch_execz .LBB12_1396
; %bb.1392:                             ;   in Loop: Header=BB12_1273 Depth=3
	v_add_u32_e32 v14, v8, v2
	s_and_b32 s74, s30, 1
	v_ashrrev_i32_e32 v15, 31, v14
	s_cmp_eq_u64 s[74:75], 0
	v_lshl_add_u64 v[8:9], v[14:15], 0, v[72:73]
	s_waitcnt lgkmcnt(0)
	v_lshl_add_u64 v[10:11], v[14:15], 0, v[18:19]
	v_lshl_add_u64 v[12:13], v[14:15], 0, v[74:75]
	;; [unrolled: 1-line block ×3, first 2 shown]
	s_mov_b64 s[42:43], 0
	s_cselect_b64 s[22:23], -1, 0
.LBB12_1393:                            ;   Parent Loop BB12_47 Depth=1
                                        ;     Parent Loop BB12_1270 Depth=2
                                        ;       Parent Loop BB12_1273 Depth=3
                                        ; =>      This Loop Header: Depth=4
                                        ;           Child Loop BB12_1394 Depth 5
	flat_load_ushort v2, v[8:9] nt
	flat_load_ushort v4, v[10:11] nt
	s_mov_b64 s[24:25], -1
	s_mov_b64 s[44:45], 0
	s_waitcnt vmcnt(0) lgkmcnt(0)
	v_lshlrev_b32_e32 v5, 16, v2
	v_lshlrev_b32_e32 v4, 16, v4
	v_max_f32_e32 v4, v4, v4
	v_max_f32_e32 v5, v5, v5
	v_min_f32_e32 v16, v5, v4
	v_max_f32_e32 v4, v5, v4
	v_cndmask_b32_e64 v4, v4, v16, s[22:23]
	v_and_b32_e32 v5, 0x7f800000, v4
	v_bfe_u32 v16, v4, 16, 1
	v_or_b32_e32 v17, 0x10000, v4
	v_cmp_eq_u32_sdwa vcc, v4, v3 src0_sel:WORD_0 src1_sel:DWORD
	v_add3_u32 v16, v4, v16, s62
	s_nop 0
	v_cndmask_b32_e32 v4, v17, v4, vcc
	v_cmp_eq_u32_e32 vcc, s73, v5
	s_nop 1
	v_cndmask_b32_e32 v16, v16, v4, vcc
.LBB12_1394:                            ;   Parent Loop BB12_47 Depth=1
                                        ;     Parent Loop BB12_1270 Depth=2
                                        ;       Parent Loop BB12_1273 Depth=3
                                        ;         Parent Loop BB12_1393 Depth=4
                                        ; =>        This Inner Loop Header: Depth=5
	s_mov_b64 vcc, s[24:25]
	v_cndmask_b32_e64 v4, 0, 1, s[24:25]
	s_cmp_eq_u32 s44, 1
	v_cndmask_b32_sdwa v5, v2, v16, vcc dst_sel:DWORD dst_unused:UNUSED_PAD src0_sel:DWORD src1_sel:WORD_1
	v_cmp_ne_u32_e32 vcc, 1, v4
	s_cselect_b64 s[26:27], -1, 0
	v_cndmask_b32_e64 v23, v13, v15, s[26:27]
	v_cndmask_b32_e32 v19, v13, v15, vcc
	s_cmp_eq_u32 s44, 0
	v_cndmask_b32_e32 v18, v12, v14, vcc
	v_cndmask_b32_e64 v22, v12, v14, s[26:27]
	flat_store_short v[18:19], v5 nt
	v_lshl_add_u64 v[18:19], v[22:23], 0, s[92:93]
	s_cselect_b64 vcc, -1, 0
	s_and_b64 s[28:29], exec, s[24:25]
	s_mov_b64 s[44:45], 1
	s_mov_b64 s[24:25], 0
	v_cndmask_b32_e64 v15, v15, v19, s[26:27]
	v_cndmask_b32_e64 v14, v14, v18, s[26:27]
	v_cndmask_b32_e32 v13, v13, v19, vcc
	v_cndmask_b32_e32 v12, v12, v18, vcc
	s_mov_b64 vcc, s[28:29]
	s_cbranch_vccnz .LBB12_1394
; %bb.1395:                             ;   in Loop: Header=BB12_1393 Depth=4
	v_sub_u32_e32 v20, v20, v82
	v_cmp_gt_i32_e32 vcc, 2, v20
	v_lshl_add_u64 v[12:13], v[12:13], 0, v[116:117]
	v_lshl_add_u64 v[14:15], v[14:15], 0, v[116:117]
	;; [unrolled: 1-line block ×3, first 2 shown]
	s_or_b64 s[42:43], vcc, s[42:43]
	v_lshl_add_u64 v[10:11], v[10:11], 0, v[118:119]
	s_andn2_b64 exec, exec, s[42:43]
	s_cbranch_execnz .LBB12_1393
.LBB12_1396:                            ;   in Loop: Header=BB12_1273 Depth=3
	s_or_b64 exec, exec, s[40:41]
	s_branch .LBB12_1354
.LBB12_1397:                            ;   in Loop: Header=BB12_1273 Depth=3
	s_mov_b64 s[24:25], -1
	s_and_saveexec_b64 s[22:23], s[16:17]
	s_cbranch_execz .LBB12_1399
; %bb.1398:                             ;   in Loop: Header=BB12_1273 Depth=3
	ds_read_b32 v2, v0 offset:720
	s_waitcnt lgkmcnt(0)
	v_and_b32_e32 v2, 15, v2
	v_cmp_eq_u32_e32 vcc, 0, v2
	s_orn2_b64 s[24:25], vcc, exec
.LBB12_1399:                            ;   in Loop: Header=BB12_1273 Depth=3
	s_or_b64 exec, exec, s[22:23]
	s_and_saveexec_b64 s[22:23], s[14:15]
	s_cbranch_execz .LBB12_1401
; %bb.1400:                             ;   in Loop: Header=BB12_1273 Depth=3
	ds_read_b32 v2, v0 offset:784
	s_waitcnt lgkmcnt(0)
	v_and_b32_e32 v2, 15, v2
	v_cmp_eq_u32_e32 vcc, 0, v2
	s_and_b64 s[26:27], s[24:25], vcc
	s_andn2_b64 s[24:25], s[24:25], exec
	s_and_b64 s[26:27], s[26:27], exec
	s_or_b64 s[24:25], s[24:25], s[26:27]
.LBB12_1401:                            ;   in Loop: Header=BB12_1273 Depth=3
	s_or_b64 exec, exec, s[22:23]
	s_xor_b64 s[24:25], s[24:25], -1
	v_cndmask_b32_e64 v4, 0, 1, s[24:25]
	v_lshlrev_b32_e32 v2, 1, v59
	s_mov_b64 s[22:23], -1
	v_mov_b32_e32 v14, 0
	v_cmp_ne_u32_e32 vcc, 0, v4
	s_cbranch_vccz .LBB12_1403
; %bb.1402:                             ;   in Loop: Header=BB12_1273 Depth=3
	v_mov_b32_e32 v13, v0
	s_and_saveexec_b64 s[28:29], s[22:23]
	s_cbranch_execnz .LBB12_1478
	s_branch .LBB12_1502
.LBB12_1403:                            ;   in Loop: Header=BB12_1273 Depth=3
	v_ashrrev_i32_e32 v4, 31, v2
	v_lshrrev_b32_e32 v4, 21, v4
	v_add_u32_e32 v4, v2, v4
	v_ashrrev_i32_e32 v78, 11, v4
	v_sub_u32_e32 v61, v78, v104
	v_cmp_lt_i32_e32 vcc, 0, v61
	s_and_saveexec_b64 s[24:25], vcc
	s_cbranch_execz .LBB12_1471
; %bb.1404:                             ;   in Loop: Header=BB12_1273 Depth=3
	s_and_b32 s74, s30, 1
	s_cmp_eq_u64 s[74:75], 0
	s_mov_b64 s[26:27], 0
	s_cselect_b64 vcc, -1, 0
	v_mov_b64_e32 v[76:77], v[66:67]
	s_branch .LBB12_1406
.LBB12_1405:                            ;   in Loop: Header=BB12_1406 Depth=4
	s_or_b64 exec, exec, s[28:29]
	v_lshrrev_b32_e32 v4, 16, v12
	v_and_or_b32 v9, v9, s63, v4
	v_lshrrev_b32_e32 v4, 16, v18
	v_and_or_b32 v8, v8, s63, v4
	v_lshrrev_b32_e32 v4, 16, v13
	v_sub_u32_e32 v61, v61, v52
	v_and_or_b32 v10, v10, s63, v4
	v_lshrrev_b32_e32 v4, 16, v14
	v_cmp_gt_i32_e64 s[22:23], 1, v61
	v_and_or_b32 v11, v11, s63, v4
	s_or_b64 s[26:27], s[22:23], s[26:27]
	v_lshl_add_u64 v[76:77], v[76:77], 0, v[68:69]
	global_store_dwordx4 v[16:17], v[8:11], off offset:1024
	s_andn2_b64 exec, exec, s[26:27]
	s_cbranch_execz .LBB12_1470
.LBB12_1406:                            ;   Parent Loop BB12_47 Depth=1
                                        ;     Parent Loop BB12_1270 Depth=2
                                        ;       Parent Loop BB12_1273 Depth=3
                                        ; =>      This Inner Loop Header: Depth=4
	v_lshl_add_u64 v[12:13], v[72:73], 0, v[76:77]
	s_waitcnt lgkmcnt(0)
	global_load_dwordx4 v[16:19], v[76:77], off nt
	global_load_dwordx4 v[20:23], v[12:13], off nt
	global_load_dwordx4 v[8:11], v[76:77], off offset:1024 nt
	s_nop 0
	global_load_dwordx4 v[12:15], v[12:13], off offset:1024 nt
                                        ; implicit-def: $vgpr26
	s_waitcnt vmcnt(0)
	v_lshlrev_b32_e32 v4, 16, v16
	v_lshlrev_b32_e32 v5, 16, v20
	v_max_f32_e32 v4, v4, v4
	v_max_f32_e32 v5, v5, v5
	v_min_f32_e32 v24, v5, v4
	v_max_f32_e32 v4, v5, v4
	v_cndmask_b32_e32 v27, v4, v24, vcc
	v_and_b32_e32 v4, 0x7f800000, v27
	v_cmp_ne_u32_e64 s[22:23], s73, v4
	s_and_saveexec_b64 s[28:29], s[22:23]
	s_xor_b64 s[22:23], exec, s[28:29]
; %bb.1407:                             ;   in Loop: Header=BB12_1406 Depth=4
	v_bfe_u32 v4, v27, 16, 1
	v_add3_u32 v26, v27, v4, s62
                                        ; implicit-def: $vgpr27
; %bb.1408:                             ;   in Loop: Header=BB12_1406 Depth=4
	s_andn2_saveexec_b64 s[28:29], s[22:23]
; %bb.1409:                             ;   in Loop: Header=BB12_1406 Depth=4
	v_or_b32_e32 v4, 0x10000, v27
	v_cmp_eq_u32_sdwa s[22:23], v27, v3 src0_sel:WORD_0 src1_sel:DWORD
	s_nop 1
	v_cndmask_b32_e64 v26, v4, v27, s[22:23]
; %bb.1410:                             ;   in Loop: Header=BB12_1406 Depth=4
	s_or_b64 exec, exec, s[28:29]
	v_and_b32_e32 v4, 0xffff0000, v20
	v_and_b32_e32 v5, 0xffff0000, v16
	v_max_f32_e32 v5, v5, v5
	v_max_f32_e32 v4, v4, v4
	v_min_f32_e32 v16, v4, v5
	v_max_f32_e32 v4, v4, v5
	v_cndmask_b32_e32 v16, v4, v16, vcc
	v_and_b32_e32 v4, 0x7f800000, v16
	v_cmp_ne_u32_e64 s[22:23], s73, v4
                                        ; implicit-def: $vgpr20
	s_and_saveexec_b64 s[28:29], s[22:23]
	s_xor_b64 s[22:23], exec, s[28:29]
; %bb.1411:                             ;   in Loop: Header=BB12_1406 Depth=4
	v_bfe_u32 v4, v16, 16, 1
	v_add3_u32 v20, v16, v4, s62
                                        ; implicit-def: $vgpr16
; %bb.1412:                             ;   in Loop: Header=BB12_1406 Depth=4
	s_andn2_saveexec_b64 s[28:29], s[22:23]
; %bb.1413:                             ;   in Loop: Header=BB12_1406 Depth=4
	v_or_b32_e32 v4, 0x10000, v16
	v_cmp_eq_u32_sdwa s[22:23], v16, v3 src0_sel:WORD_0 src1_sel:DWORD
	s_nop 1
	v_cndmask_b32_e64 v20, v4, v16, s[22:23]
; %bb.1414:                             ;   in Loop: Header=BB12_1406 Depth=4
	s_or_b64 exec, exec, s[28:29]
	v_lshlrev_b32_e32 v4, 16, v21
	v_lshlrev_b32_e32 v5, 16, v17
	v_max_f32_e32 v5, v5, v5
	v_max_f32_e32 v4, v4, v4
	v_min_f32_e32 v16, v4, v5
	v_max_f32_e32 v4, v4, v5
	v_cndmask_b32_e32 v16, v4, v16, vcc
	v_and_b32_e32 v4, 0x7f800000, v16
	v_cmp_ne_u32_e64 s[22:23], s73, v4
                                        ; implicit-def: $vgpr27
	s_and_saveexec_b64 s[28:29], s[22:23]
	s_xor_b64 s[22:23], exec, s[28:29]
; %bb.1415:                             ;   in Loop: Header=BB12_1406 Depth=4
	v_bfe_u32 v4, v16, 16, 1
	v_add3_u32 v27, v16, v4, s62
                                        ; implicit-def: $vgpr16
; %bb.1416:                             ;   in Loop: Header=BB12_1406 Depth=4
	s_andn2_saveexec_b64 s[28:29], s[22:23]
; %bb.1417:                             ;   in Loop: Header=BB12_1406 Depth=4
	v_or_b32_e32 v4, 0x10000, v16
	v_cmp_eq_u32_sdwa s[22:23], v16, v3 src0_sel:WORD_0 src1_sel:DWORD
	s_nop 1
	v_cndmask_b32_e64 v27, v4, v16, s[22:23]
; %bb.1418:                             ;   in Loop: Header=BB12_1406 Depth=4
	s_or_b64 exec, exec, s[28:29]
	v_and_b32_e32 v4, 0xffff0000, v21
	v_and_b32_e32 v5, 0xffff0000, v17
	v_max_f32_e32 v5, v5, v5
	v_max_f32_e32 v4, v4, v4
	v_min_f32_e32 v16, v4, v5
	v_max_f32_e32 v4, v4, v5
	v_cndmask_b32_e32 v16, v4, v16, vcc
	v_and_b32_e32 v4, 0x7f800000, v16
	v_cmp_ne_u32_e64 s[22:23], s73, v4
                                        ; implicit-def: $vgpr21
	s_and_saveexec_b64 s[28:29], s[22:23]
	s_xor_b64 s[22:23], exec, s[28:29]
; %bb.1419:                             ;   in Loop: Header=BB12_1406 Depth=4
	v_bfe_u32 v4, v16, 16, 1
	v_add3_u32 v21, v16, v4, s62
                                        ; implicit-def: $vgpr16
; %bb.1420:                             ;   in Loop: Header=BB12_1406 Depth=4
	s_andn2_saveexec_b64 s[28:29], s[22:23]
; %bb.1421:                             ;   in Loop: Header=BB12_1406 Depth=4
	v_or_b32_e32 v4, 0x10000, v16
	v_cmp_eq_u32_sdwa s[22:23], v16, v3 src0_sel:WORD_0 src1_sel:DWORD
	s_nop 1
	v_cndmask_b32_e64 v21, v4, v16, s[22:23]
; %bb.1422:                             ;   in Loop: Header=BB12_1406 Depth=4
	s_or_b64 exec, exec, s[28:29]
	v_lshlrev_b32_e32 v4, 16, v22
	v_lshlrev_b32_e32 v5, 16, v18
	v_max_f32_e32 v5, v5, v5
	v_max_f32_e32 v4, v4, v4
	v_min_f32_e32 v16, v4, v5
	v_max_f32_e32 v4, v4, v5
	v_cndmask_b32_e32 v16, v4, v16, vcc
	v_and_b32_e32 v4, 0x7f800000, v16
	v_cmp_ne_u32_e64 s[22:23], s73, v4
                                        ; implicit-def: $vgpr79
	s_and_saveexec_b64 s[28:29], s[22:23]
	s_xor_b64 s[22:23], exec, s[28:29]
; %bb.1423:                             ;   in Loop: Header=BB12_1406 Depth=4
	v_bfe_u32 v4, v16, 16, 1
	v_add3_u32 v79, v16, v4, s62
                                        ; implicit-def: $vgpr16
; %bb.1424:                             ;   in Loop: Header=BB12_1406 Depth=4
	s_andn2_saveexec_b64 s[28:29], s[22:23]
; %bb.1425:                             ;   in Loop: Header=BB12_1406 Depth=4
	v_or_b32_e32 v4, 0x10000, v16
	v_cmp_eq_u32_sdwa s[22:23], v16, v3 src0_sel:WORD_0 src1_sel:DWORD
	s_nop 1
	v_cndmask_b32_e64 v79, v4, v16, s[22:23]
; %bb.1426:                             ;   in Loop: Header=BB12_1406 Depth=4
	s_or_b64 exec, exec, s[28:29]
	v_and_b32_e32 v4, 0xffff0000, v22
	v_and_b32_e32 v5, 0xffff0000, v18
	v_max_f32_e32 v5, v5, v5
	v_max_f32_e32 v4, v4, v4
	v_min_f32_e32 v16, v4, v5
	v_max_f32_e32 v4, v4, v5
	v_cndmask_b32_e32 v16, v4, v16, vcc
	v_and_b32_e32 v4, 0x7f800000, v16
	v_cmp_ne_u32_e64 s[22:23], s73, v4
                                        ; implicit-def: $vgpr18
	s_and_saveexec_b64 s[28:29], s[22:23]
	s_xor_b64 s[22:23], exec, s[28:29]
; %bb.1427:                             ;   in Loop: Header=BB12_1406 Depth=4
	v_bfe_u32 v4, v16, 16, 1
	v_add3_u32 v18, v16, v4, s62
                                        ; implicit-def: $vgpr16
; %bb.1428:                             ;   in Loop: Header=BB12_1406 Depth=4
	s_andn2_saveexec_b64 s[28:29], s[22:23]
; %bb.1429:                             ;   in Loop: Header=BB12_1406 Depth=4
	v_or_b32_e32 v4, 0x10000, v16
	v_cmp_eq_u32_sdwa s[22:23], v16, v3 src0_sel:WORD_0 src1_sel:DWORD
	s_nop 1
	v_cndmask_b32_e64 v18, v4, v16, s[22:23]
; %bb.1430:                             ;   in Loop: Header=BB12_1406 Depth=4
	s_or_b64 exec, exec, s[28:29]
	v_lshlrev_b32_e32 v4, 16, v23
	v_lshlrev_b32_e32 v5, 16, v19
	v_max_f32_e32 v5, v5, v5
	v_max_f32_e32 v4, v4, v4
	v_min_f32_e32 v16, v4, v5
	v_max_f32_e32 v4, v4, v5
	v_cndmask_b32_e32 v16, v4, v16, vcc
	v_and_b32_e32 v4, 0x7f800000, v16
	v_cmp_ne_u32_e64 s[22:23], s73, v4
                                        ; implicit-def: $vgpr22
	s_and_saveexec_b64 s[28:29], s[22:23]
	s_xor_b64 s[22:23], exec, s[28:29]
; %bb.1431:                             ;   in Loop: Header=BB12_1406 Depth=4
	v_bfe_u32 v4, v16, 16, 1
	v_add3_u32 v22, v16, v4, s62
                                        ; implicit-def: $vgpr16
; %bb.1432:                             ;   in Loop: Header=BB12_1406 Depth=4
	s_andn2_saveexec_b64 s[28:29], s[22:23]
; %bb.1433:                             ;   in Loop: Header=BB12_1406 Depth=4
	v_or_b32_e32 v4, 0x10000, v16
	v_cmp_eq_u32_sdwa s[22:23], v16, v3 src0_sel:WORD_0 src1_sel:DWORD
	s_nop 1
	v_cndmask_b32_e64 v22, v4, v16, s[22:23]
; %bb.1434:                             ;   in Loop: Header=BB12_1406 Depth=4
	s_or_b64 exec, exec, s[28:29]
	v_and_b32_e32 v4, 0xffff0000, v23
	v_and_b32_e32 v5, 0xffff0000, v19
	v_max_f32_e32 v5, v5, v5
	v_max_f32_e32 v4, v4, v4
	v_min_f32_e32 v16, v4, v5
	v_max_f32_e32 v4, v4, v5
	v_cndmask_b32_e32 v16, v4, v16, vcc
	v_and_b32_e32 v4, 0x7f800000, v16
	v_cmp_ne_u32_e64 s[22:23], s73, v4
                                        ; implicit-def: $vgpr19
	s_and_saveexec_b64 s[28:29], s[22:23]
	s_xor_b64 s[22:23], exec, s[28:29]
; %bb.1435:                             ;   in Loop: Header=BB12_1406 Depth=4
	v_bfe_u32 v4, v16, 16, 1
	v_add3_u32 v19, v16, v4, s62
                                        ; implicit-def: $vgpr16
; %bb.1436:                             ;   in Loop: Header=BB12_1406 Depth=4
	s_andn2_saveexec_b64 s[28:29], s[22:23]
; %bb.1437:                             ;   in Loop: Header=BB12_1406 Depth=4
	v_or_b32_e32 v4, 0x10000, v16
	v_cmp_eq_u32_sdwa s[22:23], v16, v3 src0_sel:WORD_0 src1_sel:DWORD
	s_nop 1
	v_cndmask_b32_e64 v19, v4, v16, s[22:23]
; %bb.1438:                             ;   in Loop: Header=BB12_1406 Depth=4
	s_or_b64 exec, exec, s[28:29]
	v_lshrrev_b32_e32 v4, 16, v27
	v_and_or_b32 v91, v21, s63, v4
	v_lshrrev_b32_e32 v4, 16, v26
	v_and_or_b32 v90, v20, s63, v4
	;; [unrolled: 2-line block ×4, first 2 shown]
	v_lshlrev_b32_e32 v4, 16, v12
	v_lshlrev_b32_e32 v5, 16, v8
	v_max_f32_e32 v5, v5, v5
	v_max_f32_e32 v4, v4, v4
	v_min_f32_e32 v18, v4, v5
	v_max_f32_e32 v4, v4, v5
	v_cndmask_b32_e32 v19, v4, v18, vcc
	v_and_b32_e32 v4, 0x7f800000, v19
	v_lshl_add_u64 v[16:17], v[74:75], 0, v[76:77]
	v_cmp_ne_u32_e64 s[22:23], s73, v4
	global_store_dwordx4 v[16:17], v[90:93], off
                                        ; implicit-def: $vgpr18
	s_and_saveexec_b64 s[28:29], s[22:23]
	s_xor_b64 s[22:23], exec, s[28:29]
; %bb.1439:                             ;   in Loop: Header=BB12_1406 Depth=4
	v_bfe_u32 v4, v19, 16, 1
	v_add3_u32 v18, v19, v4, s62
                                        ; implicit-def: $vgpr19
; %bb.1440:                             ;   in Loop: Header=BB12_1406 Depth=4
	s_andn2_saveexec_b64 s[28:29], s[22:23]
; %bb.1441:                             ;   in Loop: Header=BB12_1406 Depth=4
	v_or_b32_e32 v4, 0x10000, v19
	v_cmp_eq_u32_sdwa s[22:23], v19, v3 src0_sel:WORD_0 src1_sel:DWORD
	s_nop 1
	v_cndmask_b32_e64 v18, v4, v19, s[22:23]
; %bb.1442:                             ;   in Loop: Header=BB12_1406 Depth=4
	s_or_b64 exec, exec, s[28:29]
	v_and_b32_e32 v4, 0xffff0000, v12
	v_and_b32_e32 v5, 0xffff0000, v8
	v_max_f32_e32 v5, v5, v5
	v_max_f32_e32 v4, v4, v4
	v_min_f32_e32 v8, v4, v5
	v_max_f32_e32 v4, v4, v5
	v_cndmask_b32_e32 v12, v4, v8, vcc
	v_and_b32_e32 v4, 0x7f800000, v12
	v_cmp_ne_u32_e64 s[22:23], s73, v4
                                        ; implicit-def: $vgpr8
	s_and_saveexec_b64 s[28:29], s[22:23]
	s_xor_b64 s[22:23], exec, s[28:29]
; %bb.1443:                             ;   in Loop: Header=BB12_1406 Depth=4
	v_bfe_u32 v4, v12, 16, 1
	v_add3_u32 v8, v12, v4, s62
                                        ; implicit-def: $vgpr12
; %bb.1444:                             ;   in Loop: Header=BB12_1406 Depth=4
	s_andn2_saveexec_b64 s[28:29], s[22:23]
; %bb.1445:                             ;   in Loop: Header=BB12_1406 Depth=4
	v_or_b32_e32 v4, 0x10000, v12
	v_cmp_eq_u32_sdwa s[22:23], v12, v3 src0_sel:WORD_0 src1_sel:DWORD
	s_nop 1
	v_cndmask_b32_e64 v8, v4, v12, s[22:23]
; %bb.1446:                             ;   in Loop: Header=BB12_1406 Depth=4
	s_or_b64 exec, exec, s[28:29]
	v_lshlrev_b32_e32 v4, 16, v13
	v_lshlrev_b32_e32 v5, 16, v9
	v_max_f32_e32 v5, v5, v5
	v_max_f32_e32 v4, v4, v4
	v_min_f32_e32 v12, v4, v5
	v_max_f32_e32 v4, v4, v5
	v_cndmask_b32_e32 v19, v4, v12, vcc
	v_and_b32_e32 v4, 0x7f800000, v19
	v_cmp_ne_u32_e64 s[22:23], s73, v4
                                        ; implicit-def: $vgpr12
	s_and_saveexec_b64 s[28:29], s[22:23]
	s_xor_b64 s[22:23], exec, s[28:29]
; %bb.1447:                             ;   in Loop: Header=BB12_1406 Depth=4
	v_bfe_u32 v4, v19, 16, 1
	v_add3_u32 v12, v19, v4, s62
                                        ; implicit-def: $vgpr19
; %bb.1448:                             ;   in Loop: Header=BB12_1406 Depth=4
	s_andn2_saveexec_b64 s[28:29], s[22:23]
; %bb.1449:                             ;   in Loop: Header=BB12_1406 Depth=4
	v_or_b32_e32 v4, 0x10000, v19
	v_cmp_eq_u32_sdwa s[22:23], v19, v3 src0_sel:WORD_0 src1_sel:DWORD
	s_nop 1
	v_cndmask_b32_e64 v12, v4, v19, s[22:23]
; %bb.1450:                             ;   in Loop: Header=BB12_1406 Depth=4
	s_or_b64 exec, exec, s[28:29]
	v_and_b32_e32 v4, 0xffff0000, v13
	v_and_b32_e32 v5, 0xffff0000, v9
	v_max_f32_e32 v5, v5, v5
	v_max_f32_e32 v4, v4, v4
	v_min_f32_e32 v9, v4, v5
	v_max_f32_e32 v4, v4, v5
	v_cndmask_b32_e32 v13, v4, v9, vcc
	v_and_b32_e32 v4, 0x7f800000, v13
	v_cmp_ne_u32_e64 s[22:23], s73, v4
                                        ; implicit-def: $vgpr9
	s_and_saveexec_b64 s[28:29], s[22:23]
	s_xor_b64 s[22:23], exec, s[28:29]
; %bb.1451:                             ;   in Loop: Header=BB12_1406 Depth=4
	v_bfe_u32 v4, v13, 16, 1
	v_add3_u32 v9, v13, v4, s62
                                        ; implicit-def: $vgpr13
; %bb.1452:                             ;   in Loop: Header=BB12_1406 Depth=4
	s_andn2_saveexec_b64 s[28:29], s[22:23]
; %bb.1453:                             ;   in Loop: Header=BB12_1406 Depth=4
	v_or_b32_e32 v4, 0x10000, v13
	v_cmp_eq_u32_sdwa s[22:23], v13, v3 src0_sel:WORD_0 src1_sel:DWORD
	s_nop 1
	v_cndmask_b32_e64 v9, v4, v13, s[22:23]
; %bb.1454:                             ;   in Loop: Header=BB12_1406 Depth=4
	s_or_b64 exec, exec, s[28:29]
	v_lshlrev_b32_e32 v4, 16, v14
	v_lshlrev_b32_e32 v5, 16, v10
	v_max_f32_e32 v5, v5, v5
	v_max_f32_e32 v4, v4, v4
	v_min_f32_e32 v13, v4, v5
	v_max_f32_e32 v4, v4, v5
	v_cndmask_b32_e32 v19, v4, v13, vcc
	v_and_b32_e32 v4, 0x7f800000, v19
	v_cmp_ne_u32_e64 s[22:23], s73, v4
                                        ; implicit-def: $vgpr13
	s_and_saveexec_b64 s[28:29], s[22:23]
	s_xor_b64 s[22:23], exec, s[28:29]
; %bb.1455:                             ;   in Loop: Header=BB12_1406 Depth=4
	v_bfe_u32 v4, v19, 16, 1
	v_add3_u32 v13, v19, v4, s62
                                        ; implicit-def: $vgpr19
; %bb.1456:                             ;   in Loop: Header=BB12_1406 Depth=4
	s_andn2_saveexec_b64 s[28:29], s[22:23]
; %bb.1457:                             ;   in Loop: Header=BB12_1406 Depth=4
	v_or_b32_e32 v4, 0x10000, v19
	v_cmp_eq_u32_sdwa s[22:23], v19, v3 src0_sel:WORD_0 src1_sel:DWORD
	s_nop 1
	v_cndmask_b32_e64 v13, v4, v19, s[22:23]
; %bb.1458:                             ;   in Loop: Header=BB12_1406 Depth=4
	s_or_b64 exec, exec, s[28:29]
	v_and_b32_e32 v4, 0xffff0000, v14
	v_and_b32_e32 v5, 0xffff0000, v10
	v_max_f32_e32 v5, v5, v5
	v_max_f32_e32 v4, v4, v4
	v_min_f32_e32 v10, v4, v5
	v_max_f32_e32 v4, v4, v5
	v_cndmask_b32_e32 v14, v4, v10, vcc
	v_and_b32_e32 v4, 0x7f800000, v14
	v_cmp_ne_u32_e64 s[22:23], s73, v4
                                        ; implicit-def: $vgpr10
	s_and_saveexec_b64 s[28:29], s[22:23]
	s_xor_b64 s[22:23], exec, s[28:29]
; %bb.1459:                             ;   in Loop: Header=BB12_1406 Depth=4
	v_bfe_u32 v4, v14, 16, 1
	v_add3_u32 v10, v14, v4, s62
                                        ; implicit-def: $vgpr14
; %bb.1460:                             ;   in Loop: Header=BB12_1406 Depth=4
	s_andn2_saveexec_b64 s[28:29], s[22:23]
; %bb.1461:                             ;   in Loop: Header=BB12_1406 Depth=4
	v_or_b32_e32 v4, 0x10000, v14
	v_cmp_eq_u32_sdwa s[22:23], v14, v3 src0_sel:WORD_0 src1_sel:DWORD
	s_nop 1
	v_cndmask_b32_e64 v10, v4, v14, s[22:23]
; %bb.1462:                             ;   in Loop: Header=BB12_1406 Depth=4
	s_or_b64 exec, exec, s[28:29]
	v_lshlrev_b32_e32 v4, 16, v15
	v_lshlrev_b32_e32 v5, 16, v11
	v_max_f32_e32 v5, v5, v5
	v_max_f32_e32 v4, v4, v4
	v_min_f32_e32 v14, v4, v5
	v_max_f32_e32 v4, v4, v5
	v_cndmask_b32_e32 v19, v4, v14, vcc
	v_and_b32_e32 v4, 0x7f800000, v19
	v_cmp_ne_u32_e64 s[22:23], s73, v4
                                        ; implicit-def: $vgpr14
	s_and_saveexec_b64 s[28:29], s[22:23]
	s_xor_b64 s[22:23], exec, s[28:29]
; %bb.1463:                             ;   in Loop: Header=BB12_1406 Depth=4
	v_bfe_u32 v4, v19, 16, 1
	v_add3_u32 v14, v19, v4, s62
                                        ; implicit-def: $vgpr19
; %bb.1464:                             ;   in Loop: Header=BB12_1406 Depth=4
	s_andn2_saveexec_b64 s[28:29], s[22:23]
; %bb.1465:                             ;   in Loop: Header=BB12_1406 Depth=4
	v_or_b32_e32 v4, 0x10000, v19
	v_cmp_eq_u32_sdwa s[22:23], v19, v3 src0_sel:WORD_0 src1_sel:DWORD
	s_nop 1
	v_cndmask_b32_e64 v14, v4, v19, s[22:23]
; %bb.1466:                             ;   in Loop: Header=BB12_1406 Depth=4
	s_or_b64 exec, exec, s[28:29]
	v_and_b32_e32 v4, 0xffff0000, v15
	v_and_b32_e32 v5, 0xffff0000, v11
	v_max_f32_e32 v5, v5, v5
	v_max_f32_e32 v4, v4, v4
	v_min_f32_e32 v11, v4, v5
	v_max_f32_e32 v4, v4, v5
	v_cndmask_b32_e32 v15, v4, v11, vcc
	v_and_b32_e32 v4, 0x7f800000, v15
	v_cmp_ne_u32_e64 s[22:23], s73, v4
                                        ; implicit-def: $vgpr11
	s_and_saveexec_b64 s[28:29], s[22:23]
	s_xor_b64 s[22:23], exec, s[28:29]
; %bb.1467:                             ;   in Loop: Header=BB12_1406 Depth=4
	v_bfe_u32 v4, v15, 16, 1
	v_add3_u32 v11, v15, v4, s62
                                        ; implicit-def: $vgpr15
; %bb.1468:                             ;   in Loop: Header=BB12_1406 Depth=4
	s_andn2_saveexec_b64 s[28:29], s[22:23]
	s_cbranch_execz .LBB12_1405
; %bb.1469:                             ;   in Loop: Header=BB12_1406 Depth=4
	v_or_b32_e32 v4, 0x10000, v15
	v_cmp_eq_u32_sdwa s[22:23], v15, v3 src0_sel:WORD_0 src1_sel:DWORD
	s_nop 1
	v_cndmask_b32_e64 v11, v4, v15, s[22:23]
	s_branch .LBB12_1405
.LBB12_1470:                            ;   in Loop: Header=BB12_1273 Depth=3
	s_or_b64 exec, exec, s[26:27]
.LBB12_1471:                            ;   in Loop: Header=BB12_1273 Depth=3
	s_or_b64 exec, exec, s[24:25]
	v_lshlrev_b32_e32 v12, 11, v78
	v_cmp_ne_u32_e32 vcc, v2, v12
	s_mov_b64 s[22:23], 0
	v_mov_b32_e32 v14, 0
                                        ; implicit-def: $vgpr13
	s_and_saveexec_b64 s[54:55], vcc
	s_cbranch_execz .LBB12_1477
; %bb.1472:                             ;   in Loop: Header=BB12_1273 Depth=3
	v_lshlrev_b32_e32 v5, 6, v61
	v_sub_u32_e32 v5, v95, v5
	v_ashrrev_i32_e32 v8, 31, v5
	v_lshrrev_b32_e32 v8, 26, v8
	v_add_u32_e32 v8, v5, v8
	v_ashrrev_i32_e32 v9, 6, v8
	v_and_b32_e32 v8, 0xffffffc0, v8
	v_sub_u32_e32 v13, v5, v8
	v_sub_u32_e32 v4, v2, v12
	v_lshlrev_b32_e32 v5, 4, v13
	v_lshl_add_u32 v8, v9, 10, v5
	v_ashrrev_i32_e32 v5, 31, v4
	v_lshrrev_b32_e32 v5, 22, v5
	v_add_u32_e32 v5, v4, v5
	v_and_b32_e32 v14, 0xfffffc00, v5
	v_sub_u32_e32 v15, v4, v14
	v_ashrrev_i32_e32 v10, 10, v5
	v_cmp_lt_i32_e32 vcc, 15, v15
	v_sub_u32_e32 v17, v4, v8
	s_nop 0
	v_addc_co_u32_e64 v4, s[22:23], 0, v10, vcc
	v_sub_u32_e32 v16, v4, v9
	v_cmp_lt_i32_e64 s[22:23], 15, v17
	s_and_saveexec_b64 s[64:65], s[22:23]
	s_cbranch_execz .LBB12_1476
; %bb.1473:                             ;   in Loop: Header=BB12_1273 Depth=3
	s_and_b32 s74, s30, 1
	v_add_u32_e32 v8, v8, v12
	s_cmp_eq_u64 s[74:75], 0
	v_ashrrev_i32_e32 v9, 31, v8
	s_mov_b64 s[66:67], 0
	s_cselect_b64 s[22:23], -1, 0
.LBB12_1474:                            ;   Parent Loop BB12_47 Depth=1
                                        ;     Parent Loop BB12_1270 Depth=2
                                        ;       Parent Loop BB12_1273 Depth=3
                                        ; =>      This Inner Loop Header: Depth=4
	s_waitcnt lgkmcnt(0)
	v_lshl_add_u64 v[18:19], v[72:73], 0, v[8:9]
	global_load_dwordx4 v[18:21], v[18:19], off nt
	s_nop 0
	global_load_dwordx4 v[76:79], v[8:9], off nt
	v_sub_u32_e32 v17, v17, v70
	v_lshl_add_u64 v[10:11], v[74:75], 0, v[8:9]
	v_lshl_add_u64 v[8:9], v[8:9], 0, v[70:71]
	v_sub_u32_e32 v16, v16, v52
	s_waitcnt vmcnt(0)
	v_and_b32_e32 v4, 0xffff0000, v18
	v_lshlrev_b32_e32 v18, 16, v18
	v_lshlrev_b32_e32 v22, 16, v76
	v_max_f32_e32 v22, v22, v22
	v_max_f32_e32 v18, v18, v18
	v_min_f32_e32 v23, v18, v22
	v_max_f32_e32 v18, v18, v22
	v_cndmask_b32_e64 v18, v18, v23, s[22:23]
	v_and_b32_e32 v5, 0xffff0000, v76
	v_and_b32_e32 v22, 0x7f800000, v18
	v_cmp_eq_u32_e64 s[24:25], s73, v22
	v_bfe_u32 v22, v18, 16, 1
	v_cmp_eq_u32_sdwa s[26:27], v18, v3 src0_sel:WORD_0 src1_sel:DWORD
	v_or_b32_e32 v23, 0x10000, v18
	v_max_f32_e32 v5, v5, v5
	v_max_f32_e32 v4, v4, v4
	v_add3_u32 v22, v18, v22, s62
	v_cndmask_b32_e64 v18, v23, v18, s[26:27]
	v_min_f32_e32 v23, v4, v5
	v_max_f32_e32 v4, v4, v5
	v_cndmask_b32_e64 v4, v4, v23, s[22:23]
	v_and_b32_e32 v5, 0x7f800000, v4
	v_cmp_eq_u32_e64 s[26:27], s73, v5
	v_bfe_u32 v5, v4, 16, 1
	v_cmp_eq_u32_sdwa s[28:29], v4, v3 src0_sel:WORD_0 src1_sel:DWORD
	v_or_b32_e32 v23, 0x10000, v4
	v_add3_u32 v5, v4, v5, s62
	v_cndmask_b32_e64 v4, v23, v4, s[28:29]
	v_and_b32_e32 v23, 0xffff0000, v19
	v_lshlrev_b32_e32 v19, 16, v19
	v_lshlrev_b32_e32 v25, 16, v77
	v_max_f32_e32 v25, v25, v25
	v_max_f32_e32 v19, v19, v19
	v_min_f32_e32 v26, v19, v25
	v_max_f32_e32 v19, v19, v25
	v_cndmask_b32_e64 v19, v19, v26, s[22:23]
	v_and_b32_e32 v24, 0xffff0000, v77
	v_and_b32_e32 v25, 0x7f800000, v19
	v_cmp_eq_u32_e64 s[28:29], s73, v25
	v_bfe_u32 v25, v19, 16, 1
	v_cmp_eq_u32_sdwa s[40:41], v19, v3 src0_sel:WORD_0 src1_sel:DWORD
	v_or_b32_e32 v26, 0x10000, v19
	v_max_f32_e32 v24, v24, v24
	v_max_f32_e32 v23, v23, v23
	v_add3_u32 v25, v19, v25, s62
	v_cndmask_b32_e64 v19, v26, v19, s[40:41]
	v_min_f32_e32 v26, v23, v24
	v_max_f32_e32 v23, v23, v24
	v_cndmask_b32_e64 v23, v23, v26, s[22:23]
	v_and_b32_e32 v24, 0x7f800000, v23
	v_cmp_eq_u32_e64 s[40:41], s73, v24
	v_bfe_u32 v24, v23, 16, 1
	v_cmp_eq_u32_sdwa s[42:43], v23, v3 src0_sel:WORD_0 src1_sel:DWORD
	v_or_b32_e32 v26, 0x10000, v23
	v_add3_u32 v24, v23, v24, s62
	v_cndmask_b32_e64 v23, v26, v23, s[42:43]
	v_and_b32_e32 v26, 0xffff0000, v20
	v_lshlrev_b32_e32 v20, 16, v20
	v_lshlrev_b32_e32 v50, 16, v78
	v_max_f32_e32 v50, v50, v50
	v_max_f32_e32 v20, v20, v20
	v_min_f32_e32 v64, v20, v50
	v_max_f32_e32 v20, v20, v50
	v_cndmask_b32_e64 v20, v20, v64, s[22:23]
	v_and_b32_e32 v27, 0xffff0000, v78
	v_and_b32_e32 v50, 0x7f800000, v20
	v_cmp_eq_u32_e64 s[42:43], s73, v50
	v_bfe_u32 v50, v20, 16, 1
	v_cmp_eq_u32_sdwa s[44:45], v20, v3 src0_sel:WORD_0 src1_sel:DWORD
	v_or_b32_e32 v64, 0x10000, v20
	v_max_f32_e32 v27, v27, v27
	v_max_f32_e32 v26, v26, v26
	v_add3_u32 v50, v20, v50, s62
	v_cndmask_b32_e64 v20, v64, v20, s[44:45]
	v_min_f32_e32 v64, v26, v27
	v_max_f32_e32 v26, v26, v27
	v_cndmask_b32_e64 v26, v26, v64, s[22:23]
	v_and_b32_e32 v27, 0x7f800000, v26
	v_cmp_eq_u32_e64 s[44:45], s73, v27
	v_bfe_u32 v27, v26, 16, 1
	v_cmp_eq_u32_sdwa s[46:47], v26, v3 src0_sel:WORD_0 src1_sel:DWORD
	v_or_b32_e32 v64, 0x10000, v26
	v_add3_u32 v27, v26, v27, s62
	v_cndmask_b32_e64 v26, v64, v26, s[46:47]
	v_and_b32_e32 v64, 0xffff0000, v21
	v_lshlrev_b32_e32 v21, 16, v21
	v_lshlrev_b32_e32 v61, 16, v79
	v_max_f32_e32 v61, v61, v61
	v_max_f32_e32 v21, v21, v21
	v_min_f32_e32 v76, v21, v61
	v_max_f32_e32 v21, v21, v61
	v_cndmask_b32_e64 v21, v21, v76, s[22:23]
	v_and_b32_e32 v65, 0xffff0000, v79
	v_and_b32_e32 v61, 0x7f800000, v21
	v_cmp_eq_u32_e64 s[46:47], s73, v61
	v_bfe_u32 v61, v21, 16, 1
	v_cmp_eq_u32_sdwa s[56:57], v21, v3 src0_sel:WORD_0 src1_sel:DWORD
	v_or_b32_e32 v76, 0x10000, v21
	v_max_f32_e32 v65, v65, v65
	v_max_f32_e32 v64, v64, v64
	v_add3_u32 v61, v21, v61, s62
	v_cndmask_b32_e64 v21, v76, v21, s[56:57]
	v_min_f32_e32 v76, v64, v65
	v_max_f32_e32 v64, v64, v65
	v_cndmask_b32_e64 v64, v64, v76, s[22:23]
	v_cndmask_b32_e64 v4, v5, v4, s[26:27]
	;; [unrolled: 1-line block ×3, first 2 shown]
	v_and_b32_e32 v65, 0x7f800000, v64
	v_cndmask_b32_e64 v18, v22, v18, s[24:25]
	v_cndmask_b32_e64 v19, v24, v23, s[40:41]
	v_lshrrev_b32_e32 v5, 16, v5
	v_cmp_eq_u32_e64 s[56:57], s73, v65
	v_bfe_u32 v65, v64, 16, 1
	v_cmp_eq_u32_sdwa s[58:59], v64, v3 src0_sel:WORD_0 src1_sel:DWORD
	v_or_b32_e32 v76, 0x10000, v64
	v_cndmask_b32_e64 v20, v50, v20, s[42:43]
	v_and_or_b32 v19, v19, s63, v5
	v_lshrrev_b32_e32 v5, 16, v18
	v_add3_u32 v65, v64, v65, s62
	v_cndmask_b32_e64 v64, v76, v64, s[58:59]
	v_cndmask_b32_e64 v22, v27, v26, s[44:45]
	v_cndmask_b32_e64 v21, v61, v21, s[46:47]
	v_and_or_b32 v18, v4, s63, v5
	v_lshrrev_b32_e32 v4, 16, v20
	v_cndmask_b32_e64 v23, v65, v64, s[56:57]
	v_and_or_b32 v20, v22, s63, v4
	v_lshrrev_b32_e32 v4, 16, v21
	v_cmp_gt_i32_e64 s[24:25], 16, v17
	v_and_or_b32 v21, v23, s63, v4
	s_or_b64 s[66:67], s[24:25], s[66:67]
	global_store_dwordx4 v[10:11], v[18:21], off
	s_andn2_b64 exec, exec, s[66:67]
	s_cbranch_execnz .LBB12_1474
; %bb.1475:                             ;   in Loop: Header=BB12_1273 Depth=3
	s_or_b64 exec, exec, s[66:67]
.LBB12_1476:                            ;   in Loop: Header=BB12_1273 Depth=3
	s_or_b64 exec, exec, s[64:65]
	v_and_b32_e32 v2, 14, v2
	v_sub_u32_e32 v4, v15, v2
	v_cndmask_b32_e32 v4, 0, v4, vcc
	v_cndmask_b32_e32 v2, v15, v2, vcc
	v_cmp_lt_i32_e32 vcc, 0, v16
	v_add3_u32 v14, v14, v12, v4
	s_nop 0
	v_cndmask_b32_e32 v4, 0, v52, vcc
	v_sub_u32_e32 v4, v4, v16
	v_cmp_ne_u32_e32 vcc, 0, v2
	v_lshl_add_u32 v13, v4, 6, v13
	s_and_b64 s[22:23], vcc, exec
.LBB12_1477:                            ;   in Loop: Header=BB12_1273 Depth=3
	s_or_b64 exec, exec, s[54:55]
	s_and_saveexec_b64 s[28:29], s[22:23]
	s_cbranch_execz .LBB12_1502
.LBB12_1478:                            ;   in Loop: Header=BB12_1273 Depth=3
	v_ashrrev_i32_e32 v4, 31, v13
	v_lshrrev_b32_e32 v4, 26, v4
	v_add_u32_e32 v8, v13, v4
	v_ashrrev_i32_e32 v4, 31, v2
	v_lshrrev_b32_e32 v4, 23, v4
	v_add_u32_e32 v4, v2, v4
	v_ashrrev_i32_e32 v12, 6, v8
	v_ashrrev_i32_e32 v16, 9, v4
	v_sub_u32_e32 v15, v16, v12
	v_cmp_lt_i32_e32 vcc, 0, v15
	s_and_saveexec_b64 s[40:41], vcc
	s_cbranch_execz .LBB12_1498
; %bb.1479:                             ;   in Loop: Header=BB12_1273 Depth=3
	v_and_b32_e32 v4, 0x7fffffc0, v8
	v_sub_u32_e32 v4, v13, v4
	v_lshlrev_b32_e32 v4, 1, v4
	v_lshlrev_b32_e32 v5, 9, v12
	v_add3_u32 v8, v4, v14, v5
	s_and_b32 s74, s30, 1
	v_ashrrev_i32_e32 v9, 31, v8
	s_cmp_eq_u64 s[74:75], 0
	s_mov_b64 s[42:43], 0
	s_cselect_b64 s[22:23], -1, 0
	v_lshl_add_u64 v[8:9], v[8:9], 0, s[48:49]
	s_branch .LBB12_1481
.LBB12_1480:                            ;   in Loop: Header=BB12_1481 Depth=4
	s_or_b64 exec, exec, s[24:25]
	v_sub_u32_e32 v15, v15, v52
	v_cmp_gt_i32_e32 vcc, 1, v15
	s_or_b64 s[42:43], vcc, s[42:43]
	v_lshl_add_u64 v[8:9], v[8:9], 0, v[112:113]
	flat_store_short_d16_hi v[10:11], v18 nt
	s_andn2_b64 exec, exec, s[42:43]
	s_cbranch_execz .LBB12_1497
.LBB12_1481:                            ;   Parent Loop BB12_47 Depth=1
                                        ;     Parent Loop BB12_1270 Depth=2
                                        ;       Parent Loop BB12_1273 Depth=3
                                        ; =>      This Inner Loop Header: Depth=4
	v_lshl_add_u64 v[10:11], v[72:73], 0, v[8:9]
	s_waitcnt lgkmcnt(0)
	v_add_co_u32_e32 v18, vcc, 0xffffff00, v10
	s_movk_i32 s26, 0xfe80
	s_nop 0
	v_addc_co_u32_e32 v19, vcc, -1, v11, vcc
	v_add_co_u32_e32 v22, vcc, 0xffffff00, v8
	s_mov_b64 s[24:25], vcc
	v_add_co_u32_e32 v26, vcc, s26, v10
	flat_load_ushort v21, v[18:19] nt
	s_nop 0
	v_addc_co_u32_e32 v27, vcc, -1, v11, vcc
	v_add_co_u32_e32 v76, vcc, s80, v8
	s_mov_b64 s[26:27], vcc
	flat_load_ushort v19, v[26:27] offset:256 nt
	flat_load_ushort v4, v[26:27] nt
	v_add_co_u32_e32 v26, vcc, 0xfffffe80, v8
	s_waitcnt vmcnt(0) lgkmcnt(0)
	v_lshlrev_b32_e32 v4, 16, v4
	v_addc_co_u32_e32 v27, vcc, -1, v9, vcc
	flat_load_ushort v5, v[26:27] nt
	v_addc_co_u32_e64 v23, vcc, -1, v9, s[24:25]
	flat_load_ushort v22, v[22:23] nt
	v_addc_co_u32_e64 v77, vcc, -1, v9, s[26:27]
	flat_load_ushort v17, v[10:11] nt
	flat_load_ushort v18, v[8:9] nt
	;; [unrolled: 1-line block ×3, first 2 shown]
	v_max_f32_e32 v4, v4, v4
                                        ; implicit-def: $vgpr23
	s_waitcnt vmcnt(0) lgkmcnt(0)
	v_lshlrev_b32_e32 v5, 16, v5
	v_max_f32_e32 v5, v5, v5
	v_min_f32_e32 v10, v4, v5
	v_max_f32_e32 v4, v4, v5
	v_cndmask_b32_e64 v10, v4, v10, s[22:23]
	v_and_b32_e32 v4, 0x7f800000, v10
	v_cmp_ne_u32_e32 vcc, s73, v4
	s_and_saveexec_b64 s[24:25], vcc
	s_xor_b64 s[24:25], exec, s[24:25]
; %bb.1482:                             ;   in Loop: Header=BB12_1481 Depth=4
	v_bfe_u32 v4, v10, 16, 1
	v_add3_u32 v23, v10, v4, s62
                                        ; implicit-def: $vgpr10
; %bb.1483:                             ;   in Loop: Header=BB12_1481 Depth=4
	s_andn2_saveexec_b64 s[24:25], s[24:25]
; %bb.1484:                             ;   in Loop: Header=BB12_1481 Depth=4
	v_or_b32_e32 v4, 0x10000, v10
	v_cmp_eq_u32_sdwa vcc, v10, v3 src0_sel:WORD_0 src1_sel:DWORD
	s_nop 1
	v_cndmask_b32_e32 v23, v4, v10, vcc
; %bb.1485:                             ;   in Loop: Header=BB12_1481 Depth=4
	s_or_b64 exec, exec, s[24:25]
	v_lshlrev_b32_e32 v4, 16, v21
	v_lshlrev_b32_e32 v5, 16, v22
	v_max_f32_e32 v5, v5, v5
	v_max_f32_e32 v4, v4, v4
	v_lshl_add_u64 v[10:11], v[74:75], 0, v[8:9]
	v_min_f32_e32 v21, v4, v5
	v_max_f32_e32 v4, v4, v5
	v_add_co_u32_e32 v26, vcc, 0xfffffe80, v10
	v_cndmask_b32_e64 v22, v4, v21, s[22:23]
	s_nop 0
	v_addc_co_u32_e32 v27, vcc, -1, v11, vcc
	v_and_b32_e32 v4, 0x7f800000, v22
	v_cmp_ne_u32_e32 vcc, s73, v4
	flat_store_short_d16_hi v[26:27], v23 nt
                                        ; implicit-def: $vgpr21
	s_and_saveexec_b64 s[24:25], vcc
	s_xor_b64 s[24:25], exec, s[24:25]
; %bb.1486:                             ;   in Loop: Header=BB12_1481 Depth=4
	v_bfe_u32 v4, v22, 16, 1
	v_add3_u32 v21, v22, v4, s62
                                        ; implicit-def: $vgpr22
; %bb.1487:                             ;   in Loop: Header=BB12_1481 Depth=4
	s_andn2_saveexec_b64 s[24:25], s[24:25]
; %bb.1488:                             ;   in Loop: Header=BB12_1481 Depth=4
	v_or_b32_e32 v4, 0x10000, v22
	v_cmp_eq_u32_sdwa vcc, v22, v3 src0_sel:WORD_0 src1_sel:DWORD
	s_nop 1
	v_cndmask_b32_e32 v21, v4, v22, vcc
; %bb.1489:                             ;   in Loop: Header=BB12_1481 Depth=4
	s_or_b64 exec, exec, s[24:25]
	v_lshlrev_b32_e32 v4, 16, v19
	v_lshlrev_b32_e32 v5, 16, v20
	v_max_f32_e32 v5, v5, v5
	v_max_f32_e32 v4, v4, v4
	v_min_f32_e32 v19, v4, v5
	v_max_f32_e32 v4, v4, v5
	v_add_co_u32_e32 v22, vcc, 0xffffff00, v10
	v_cndmask_b32_e64 v20, v4, v19, s[22:23]
	s_nop 0
	v_addc_co_u32_e32 v23, vcc, -1, v11, vcc
	v_and_b32_e32 v4, 0x7f800000, v20
	v_cmp_ne_u32_e32 vcc, s73, v4
	flat_store_short_d16_hi v[22:23], v21 nt
                                        ; implicit-def: $vgpr19
	s_and_saveexec_b64 s[24:25], vcc
	s_xor_b64 s[24:25], exec, s[24:25]
; %bb.1490:                             ;   in Loop: Header=BB12_1481 Depth=4
	v_bfe_u32 v4, v20, 16, 1
	v_add3_u32 v19, v20, v4, s62
                                        ; implicit-def: $vgpr20
; %bb.1491:                             ;   in Loop: Header=BB12_1481 Depth=4
	s_andn2_saveexec_b64 s[24:25], s[24:25]
; %bb.1492:                             ;   in Loop: Header=BB12_1481 Depth=4
	v_or_b32_e32 v4, 0x10000, v20
	v_cmp_eq_u32_sdwa vcc, v20, v3 src0_sel:WORD_0 src1_sel:DWORD
	s_nop 1
	v_cndmask_b32_e32 v19, v4, v20, vcc
; %bb.1493:                             ;   in Loop: Header=BB12_1481 Depth=4
	s_or_b64 exec, exec, s[24:25]
	v_lshlrev_b32_e32 v4, 16, v17
	v_lshlrev_b32_e32 v5, 16, v18
	v_max_f32_e32 v5, v5, v5
	v_max_f32_e32 v4, v4, v4
	v_min_f32_e32 v17, v4, v5
	v_max_f32_e32 v4, v4, v5
	v_add_co_u32_e32 v20, vcc, 0xffffff80, v10
	v_cndmask_b32_e64 v17, v4, v17, s[22:23]
	s_nop 0
	v_addc_co_u32_e32 v21, vcc, -1, v11, vcc
	v_and_b32_e32 v4, 0x7f800000, v17
	v_cmp_ne_u32_e32 vcc, s73, v4
	flat_store_short_d16_hi v[20:21], v19 nt
                                        ; implicit-def: $vgpr18
	s_and_saveexec_b64 s[24:25], vcc
	s_xor_b64 s[24:25], exec, s[24:25]
; %bb.1494:                             ;   in Loop: Header=BB12_1481 Depth=4
	v_bfe_u32 v4, v17, 16, 1
	v_add3_u32 v18, v17, v4, s62
                                        ; implicit-def: $vgpr17
; %bb.1495:                             ;   in Loop: Header=BB12_1481 Depth=4
	s_andn2_saveexec_b64 s[24:25], s[24:25]
	s_cbranch_execz .LBB12_1480
; %bb.1496:                             ;   in Loop: Header=BB12_1481 Depth=4
	v_or_b32_e32 v4, 0x10000, v17
	v_cmp_eq_u32_sdwa vcc, v17, v3 src0_sel:WORD_0 src1_sel:DWORD
	s_nop 1
	v_cndmask_b32_e32 v18, v4, v17, vcc
	s_branch .LBB12_1480
.LBB12_1497:                            ;   in Loop: Header=BB12_1273 Depth=3
	s_or_b64 exec, exec, s[42:43]
.LBB12_1498:                            ;   in Loop: Header=BB12_1273 Depth=3
	s_or_b64 exec, exec, s[40:41]
	v_lshlrev_b32_e32 v8, 9, v16
	v_cmp_ne_u32_e32 vcc, v2, v8
	s_and_b64 exec, exec, vcc
	s_cbranch_execz .LBB12_1502
; %bb.1499:                             ;   in Loop: Header=BB12_1273 Depth=3
	v_lshlrev_b32_e32 v4, 6, v12
	v_sub_u32_e32 v4, v13, v4
	v_lshlrev_b32_e32 v5, 6, v15
	v_sub_u32_e32 v4, v4, v5
	v_ashrrev_i32_e32 v5, 31, v4
	v_lshrrev_b32_e32 v5, 26, v5
	v_add_u32_e32 v5, v4, v5
	v_and_b32_e32 v9, 0x7fffffc0, v5
	v_sub_u32_e32 v4, v4, v9
	v_lshlrev_b32_e32 v5, 1, v5
	v_and_b32_e32 v5, 0xffffff80, v5
	v_lshlrev_b32_e32 v4, 1, v4
	v_add3_u32 v8, v5, v4, v8
	v_sub_u32_e32 v2, v2, v8
	v_cmp_lt_i32_e32 vcc, 1, v2
	s_and_b64 exec, exec, vcc
	s_cbranch_execz .LBB12_1502
; %bb.1500:                             ;   in Loop: Header=BB12_1273 Depth=3
	s_and_b32 s74, s30, 1
	v_add_u32_e32 v8, v8, v14
	s_cmp_eq_u64 s[74:75], 0
	v_ashrrev_i32_e32 v9, 31, v8
	s_mov_b64 s[24:25], 0
	s_cselect_b64 vcc, -1, 0
.LBB12_1501:                            ;   Parent Loop BB12_47 Depth=1
                                        ;     Parent Loop BB12_1270 Depth=2
                                        ;       Parent Loop BB12_1273 Depth=3
                                        ; =>      This Inner Loop Header: Depth=4
	v_lshl_add_u64 v[10:11], v[72:73], 0, v[8:9]
	flat_load_ushort v4, v[8:9] nt
	flat_load_ushort v5, v[10:11] nt
	v_sub_u32_e32 v2, v2, v82
	v_cmp_gt_i32_e64 s[22:23], 2, v2
	s_or_b64 s[24:25], s[22:23], s[24:25]
	v_lshl_add_u64 v[10:11], v[74:75], 0, v[8:9]
	v_lshl_add_u64 v[8:9], v[8:9], 0, v[82:83]
	s_waitcnt vmcnt(0) lgkmcnt(0)
	v_lshlrev_b32_e32 v4, 16, v4
	v_lshlrev_b32_e32 v5, 16, v5
	v_max_f32_e32 v4, v4, v4
	v_max_f32_e32 v5, v5, v5
	v_min_f32_e32 v12, v5, v4
	v_max_f32_e32 v4, v5, v4
	v_cndmask_b32_e32 v4, v4, v12, vcc
	v_and_b32_e32 v5, 0x7f800000, v4
	v_bfe_u32 v12, v4, 16, 1
	v_or_b32_e32 v13, 0x10000, v4
	v_cmp_eq_u32_sdwa s[22:23], v4, v3 src0_sel:WORD_0 src1_sel:DWORD
	v_add3_u32 v12, v4, v12, s62
	s_nop 0
	v_cndmask_b32_e64 v4, v13, v4, s[22:23]
	v_cmp_eq_u32_e64 s[22:23], s73, v5
	s_nop 1
	v_cndmask_b32_e64 v4, v12, v4, s[22:23]
	flat_store_short_d16_hi v[10:11], v4 nt
	s_andn2_b64 exec, exec, s[24:25]
	s_cbranch_execnz .LBB12_1501
.LBB12_1502:                            ;   in Loop: Header=BB12_1273 Depth=3
	s_or_b64 exec, exec, s[28:29]
	v_cmp_lt_i32_e64 s[22:23], 0, v59
	s_and_saveexec_b64 s[24:25], s[4:5]
	s_cbranch_execz .LBB12_1349
.LBB12_1503:                            ;   in Loop: Header=BB12_1273 Depth=3
	s_and_saveexec_b64 s[26:27], s[76:77]
	s_xor_b64 s[26:27], exec, s[26:27]
	s_cbranch_execz .LBB12_1518
; %bb.1504:                             ;   in Loop: Header=BB12_1273 Depth=3
	s_and_saveexec_b64 s[28:29], s[12:13]
	s_cbranch_execz .LBB12_1517
; %bb.1505:                             ;   in Loop: Header=BB12_1273 Depth=3
	s_mov_b64 s[42:43], exec
	v_mbcnt_lo_u32_b32 v2, s42, 0
	v_mbcnt_hi_u32_b32 v2, s43, v2
	v_cmp_eq_u32_e32 vcc, 0, v2
	s_waitcnt lgkmcnt(0)
	s_and_saveexec_b64 s[40:41], vcc
	s_cbranch_execz .LBB12_1507
; %bb.1506:                             ;   in Loop: Header=BB12_1273 Depth=3
	s_bcnt1_i32_b64 s42, s[42:43]
	v_mov_b32_e32 v2, s42
	ds_add_u64 v0, v[2:3]
	s_trap 2
.LBB12_1507:                            ;   in Loop: Header=BB12_1273 Depth=3
	s_or_b64 exec, exec, s[40:41]
	s_trap 2
	ds_read_b64 v[8:9], v0
	s_waitcnt lgkmcnt(0)
	v_lshl_add_u64 v[48:49], v[48:49], 0, v[52:53]
	v_cmp_lt_u64_e32 vcc, v[8:9], v[48:49]
	s_and_saveexec_b64 s[40:41], vcc
	s_cbranch_execz .LBB12_1516
; %bb.1508:                             ;   in Loop: Header=BB12_1273 Depth=3
	s_mov_b32 s74, 0
	s_mov_b64 s[42:43], 0
                                        ; implicit-def: $sgpr44_sgpr45
                                        ; implicit-def: $sgpr46_sgpr47
	s_branch .LBB12_1510
.LBB12_1509:                            ;   in Loop: Header=BB12_1510 Depth=4
	s_or_b64 exec, exec, s[58:59]
	s_and_b64 s[56:57], exec, vcc
	s_or_b64 s[42:43], s[56:57], s[42:43]
	s_andn2_b64 s[44:45], s[44:45], exec
	s_and_b64 s[56:57], s[46:47], exec
	s_or_b64 s[44:45], s[44:45], s[56:57]
	s_andn2_b64 exec, exec, s[42:43]
	s_cbranch_execz .LBB12_1514
.LBB12_1510:                            ;   Parent Loop BB12_47 Depth=1
                                        ;     Parent Loop BB12_1270 Depth=2
                                        ;       Parent Loop BB12_1273 Depth=3
                                        ; =>      This Inner Loop Header: Depth=4
	s_add_i32 s74, s74, 1
	s_cmpk_lg_i32 s74, 0x2710
	s_cselect_b64 s[56:57], -1, 0
	s_and_b64 vcc, exec, s[56:57]
	s_cbranch_vccz .LBB12_1512
; %bb.1511:                             ;   in Loop: Header=BB12_1510 Depth=4
	s_mov_b64 vcc, -1
	s_or_b64 s[46:47], s[46:47], exec
	s_and_saveexec_b64 s[58:59], s[56:57]
	s_cbranch_execz .LBB12_1509
	s_branch .LBB12_1513
.LBB12_1512:                            ;   in Loop: Header=BB12_1510 Depth=4
	s_trap 2
	ds_read_b64 v[8:9], v0
	s_andn2_b64 s[56:57], s[56:57], exec
	s_mov_b32 s74, 0
	s_waitcnt vmcnt(0) lgkmcnt(0)
	flat_load_dword v2, v[8:9] sc0 sc1
	s_waitcnt vmcnt(0) lgkmcnt(0)
	buffer_inv sc0 sc1
	v_cmp_eq_u32_e32 vcc, 0, v2
	s_and_b64 s[58:59], vcc, exec
	s_or_b64 s[56:57], s[56:57], s[58:59]
	s_mov_b64 vcc, -1
	s_or_b64 s[46:47], s[46:47], exec
	s_and_saveexec_b64 s[58:59], s[56:57]
	s_cbranch_execz .LBB12_1509
.LBB12_1513:                            ;   in Loop: Header=BB12_1510 Depth=4
	s_sleep 1
	s_trap 2
	ds_read_b64 v[8:9], v0
	s_waitcnt lgkmcnt(0)
	s_andn2_b64 s[46:47], s[46:47], exec
	v_cmp_ge_u64_e32 vcc, v[8:9], v[48:49]
	s_orn2_b64 vcc, vcc, exec
	s_branch .LBB12_1509
.LBB12_1514:                            ;   in Loop: Header=BB12_1273 Depth=3
	s_or_b64 exec, exec, s[42:43]
	s_and_saveexec_b64 s[42:43], s[44:45]
	s_xor_b64 s[42:43], exec, s[42:43]
	s_cbranch_execz .LBB12_1516
; %bb.1515:                             ;   in Loop: Header=BB12_1273 Depth=3
	ds_write_b32 v0, v106
	s_trap 2
.LBB12_1516:                            ;   in Loop: Header=BB12_1273 Depth=3
	s_or_b64 exec, exec, s[40:41]
	;;#ASMSTART
	s_wakeup
	;;#ASMEND
.LBB12_1517:                            ;   in Loop: Header=BB12_1273 Depth=3
	s_or_b64 exec, exec, s[28:29]
.LBB12_1518:                            ;   in Loop: Header=BB12_1273 Depth=3
	s_andn2_saveexec_b64 s[26:27], s[26:27]
	s_cbranch_execz .LBB12_1520
; %bb.1519:                             ;   in Loop: Header=BB12_1273 Depth=3
	s_waitcnt lgkmcnt(0)
	s_barrier
.LBB12_1520:                            ;   in Loop: Header=BB12_1273 Depth=3
	s_or_b64 exec, exec, s[26:27]
	s_or_b64 exec, exec, s[24:25]
                                        ; implicit-def: $vgpr2
	s_and_saveexec_b64 s[24:25], s[20:21]
	s_xor_b64 s[24:25], exec, s[24:25]
	s_cbranch_execnz .LBB12_1350
.LBB12_1521:                            ;   in Loop: Header=BB12_1273 Depth=3
	s_andn2_saveexec_b64 s[22:23], s[24:25]
	s_cbranch_execz .LBB12_1540
.LBB12_1522:                            ;   in Loop: Header=BB12_1273 Depth=3
	s_and_saveexec_b64 s[24:25], s[76:77]
	s_xor_b64 s[24:25], exec, s[24:25]
	s_cbranch_execz .LBB12_1537
; %bb.1523:                             ;   in Loop: Header=BB12_1273 Depth=3
	s_and_saveexec_b64 s[26:27], s[12:13]
	s_cbranch_execz .LBB12_1536
; %bb.1524:                             ;   in Loop: Header=BB12_1273 Depth=3
	s_mov_b64 s[40:41], exec
	v_mbcnt_lo_u32_b32 v2, s40, 0
	v_mbcnt_hi_u32_b32 v2, s41, v2
	v_cmp_eq_u32_e32 vcc, 0, v2
	;;#ASMSTART
	s_waitcnt lgkmcnt(0) vmcnt(0)
	;;#ASMEND
	s_and_saveexec_b64 s[28:29], vcc
	s_cbranch_execz .LBB12_1526
; %bb.1525:                             ;   in Loop: Header=BB12_1273 Depth=3
	s_bcnt1_i32_b64 s40, s[40:41]
	v_mov_b32_e32 v2, s40
	s_waitcnt lgkmcnt(0)
	ds_add_u64 v0, v[2:3]
	s_trap 2
.LBB12_1526:                            ;   in Loop: Header=BB12_1273 Depth=3
	s_or_b64 exec, exec, s[28:29]
	s_trap 2
	ds_read_b64 v[8:9], v0
	s_waitcnt lgkmcnt(0)
	v_lshl_add_u64 v[48:49], v[48:49], 0, v[52:53]
	v_cmp_lt_u64_e32 vcc, v[8:9], v[48:49]
	s_and_saveexec_b64 s[28:29], vcc
	s_cbranch_execz .LBB12_1535
; %bb.1527:                             ;   in Loop: Header=BB12_1273 Depth=3
	s_mov_b32 s74, 0
	s_mov_b64 s[40:41], 0
                                        ; implicit-def: $sgpr42_sgpr43
                                        ; implicit-def: $sgpr44_sgpr45
	s_branch .LBB12_1529
.LBB12_1528:                            ;   in Loop: Header=BB12_1529 Depth=4
	s_or_b64 exec, exec, s[56:57]
	s_and_b64 s[46:47], exec, s[58:59]
	s_or_b64 s[40:41], s[46:47], s[40:41]
	s_andn2_b64 s[42:43], s[42:43], exec
	s_and_b64 s[46:47], s[44:45], exec
	s_or_b64 s[42:43], s[42:43], s[46:47]
	s_andn2_b64 exec, exec, s[40:41]
	s_cbranch_execz .LBB12_1533
.LBB12_1529:                            ;   Parent Loop BB12_47 Depth=1
                                        ;     Parent Loop BB12_1270 Depth=2
                                        ;       Parent Loop BB12_1273 Depth=3
                                        ; =>      This Inner Loop Header: Depth=4
	s_add_i32 s74, s74, 1
	s_cmpk_lg_i32 s74, 0x2710
	s_cselect_b64 s[46:47], -1, 0
	s_and_b64 vcc, exec, s[46:47]
	s_cbranch_vccz .LBB12_1531
; %bb.1530:                             ;   in Loop: Header=BB12_1529 Depth=4
	s_mov_b64 s[58:59], -1
	s_or_b64 s[44:45], s[44:45], exec
	s_and_saveexec_b64 s[56:57], s[46:47]
	s_cbranch_execz .LBB12_1528
	s_branch .LBB12_1532
.LBB12_1531:                            ;   in Loop: Header=BB12_1529 Depth=4
	s_trap 2
	ds_read_b64 v[8:9], v0
	s_andn2_b64 s[46:47], s[46:47], exec
	s_mov_b32 s74, 0
	s_waitcnt vmcnt(0) lgkmcnt(0)
	flat_load_dword v2, v[8:9] sc0 sc1
	s_waitcnt vmcnt(0) lgkmcnt(0)
	buffer_inv sc0 sc1
	v_cmp_eq_u32_e32 vcc, 0, v2
	s_and_b64 s[56:57], vcc, exec
	s_or_b64 s[46:47], s[46:47], s[56:57]
	s_mov_b64 s[58:59], -1
	s_or_b64 s[44:45], s[44:45], exec
	s_and_saveexec_b64 s[56:57], s[46:47]
	s_cbranch_execz .LBB12_1528
.LBB12_1532:                            ;   in Loop: Header=BB12_1529 Depth=4
	s_sleep 1
	s_trap 2
	ds_read_b64 v[8:9], v0
	s_waitcnt lgkmcnt(0)
	s_andn2_b64 s[44:45], s[44:45], exec
	v_cmp_ge_u64_e32 vcc, v[8:9], v[48:49]
	s_orn2_b64 s[58:59], vcc, exec
	s_branch .LBB12_1528
.LBB12_1533:                            ;   in Loop: Header=BB12_1273 Depth=3
	s_or_b64 exec, exec, s[40:41]
	s_and_saveexec_b64 s[40:41], s[42:43]
	s_xor_b64 s[40:41], exec, s[40:41]
	s_cbranch_execz .LBB12_1535
; %bb.1534:                             ;   in Loop: Header=BB12_1273 Depth=3
	ds_write_b32 v0, v106
	s_trap 2
.LBB12_1535:                            ;   in Loop: Header=BB12_1273 Depth=3
	s_or_b64 exec, exec, s[28:29]
	;;#ASMSTART
	s_wakeup
	;;#ASMEND
.LBB12_1536:                            ;   in Loop: Header=BB12_1273 Depth=3
	s_or_b64 exec, exec, s[26:27]
.LBB12_1537:                            ;   in Loop: Header=BB12_1273 Depth=3
	s_andn2_saveexec_b64 s[24:25], s[24:25]
	s_cbranch_execz .LBB12_1539
; %bb.1538:                             ;   in Loop: Header=BB12_1273 Depth=3
	;;#ASMSTART
	s_waitcnt lgkmcnt(0) vmcnt(0)
	;;#ASMEND
	s_barrier
.LBB12_1539:                            ;   in Loop: Header=BB12_1273 Depth=3
	s_or_b64 exec, exec, s[24:25]
	v_and_b32_e32 v2, 16, v94
.LBB12_1540:                            ;   in Loop: Header=BB12_1273 Depth=3
	s_or_b64 exec, exec, s[22:23]
	v_cmp_ne_u32_e32 vcc, 0, v2
	s_xor_b64 s[22:23], s[6:7], -1
	s_and_b64 s[24:25], vcc, s[22:23]
	s_and_saveexec_b64 s[22:23], s[24:25]
	s_cbranch_execz .LBB12_1542
; %bb.1541:                             ;   in Loop: Header=BB12_1273 Depth=3
	flat_store_dword v[36:37], v106 sc0 sc1
.LBB12_1542:                            ;   in Loop: Header=BB12_1273 Depth=3
	s_or_b64 exec, exec, s[22:23]
	v_and_b32_e32 v2, 48, v94
	v_cmp_ne_u32_e32 vcc, 0, v2
	s_and_saveexec_b64 s[22:23], vcc
	s_cbranch_execz .LBB12_1272
; %bb.1543:                             ;   in Loop: Header=BB12_1273 Depth=3
	v_lshl_add_u64 v[44:45], v[44:45], 0, 2
	flat_store_dwordx2 v[32:33], v[44:45] sc0 sc1
	s_branch .LBB12_1272
.LBB12_1544:                            ;   in Loop: Header=BB12_1270 Depth=2
	s_or_b64 exec, exec, s[60:61]
	v_cmp_gt_i32_e32 vcc, 2, v2
	s_and_saveexec_b64 s[24:25], vcc
	s_cbranch_execz .LBB12_1620
.LBB12_1545:                            ;   in Loop: Header=BB12_1270 Depth=2
	v_cmp_eq_u32_e64 s[28:29], 0, v2
	s_mov_b64 s[26:27], 0
	s_branch .LBB12_1547
.LBB12_1546:                            ;   in Loop: Header=BB12_1547 Depth=3
	s_or_b64 exec, exec, s[22:23]
	v_add_u32_e32 v60, v58, v60
	s_mov_b64 s[28:29], 0
	s_andn2_b64 exec, exec, s[26:27]
	s_cbranch_execz .LBB12_1621
.LBB12_1547:                            ;   Parent Loop BB12_47 Depth=1
                                        ;     Parent Loop BB12_1270 Depth=2
                                        ; =>    This Loop Header: Depth=3
                                        ;         Child Loop BB12_1553 Depth 4
                                        ;         Child Loop BB12_1581 Depth 4
	;; [unrolled: 1-line block ×3, first 2 shown]
	v_sub_u32_e32 v2, v88, v60
	v_min_i32_e32 v58, v58, v2
	v_and_b32_e32 v2, 12, v94
	v_cmp_ne_u32_e32 vcc, 0, v2
	s_and_saveexec_b64 s[40:41], vcc
	s_cbranch_execz .LBB12_1573
; %bb.1548:                             ;   in Loop: Header=BB12_1547 Depth=3
	v_and_b32_e32 v2, 8, v94
	s_waitcnt vmcnt(0) lgkmcnt(0)
	v_lshl_add_u64 v[10:11], v[38:39], 0, v[2:3]
	v_lshl_add_u64 v[8:9], v[44:45], 0, 2
	v_cmp_lt_u64_e32 vcc, v[10:11], v[8:9]
	s_and_saveexec_b64 s[42:43], vcc
	s_cbranch_execz .LBB12_1560
; %bb.1549:                             ;   in Loop: Header=BB12_1547 Depth=3
	v_and_b32_e32 v4, 64, v94
	s_mov_b32 s74, 0
	v_cmp_eq_u32_e32 vcc, 0, v4
	s_mov_b64 s[44:45], 0
                                        ; implicit-def: $sgpr46_sgpr47
                                        ; implicit-def: $sgpr56_sgpr57
                                        ; implicit-def: $sgpr58_sgpr59
	s_branch .LBB12_1553
.LBB12_1550:                            ;   in Loop: Header=BB12_1553 Depth=4
	s_waitcnt vmcnt(0) lgkmcnt(0)
	v_lshl_add_u64 v[12:13], v[38:39], 0, v[2:3]
	v_cmp_ge_u64_e64 s[22:23], v[12:13], v[8:9]
	s_or_b64 s[52:53], s[52:53], exec
	s_orn2_b64 s[50:51], s[22:23], exec
.LBB12_1551:                            ;   in Loop: Header=BB12_1553 Depth=4
	s_or_b64 exec, exec, s[64:65]
	s_andn2_b64 s[22:23], s[58:59], exec
	s_and_b64 s[58:59], s[52:53], exec
	s_or_b64 s[58:59], s[22:23], s[58:59]
	s_andn2_b64 s[22:23], s[56:57], exec
	s_and_b64 s[56:57], s[50:51], exec
	s_or_b64 s[56:57], s[22:23], s[56:57]
.LBB12_1552:                            ;   in Loop: Header=BB12_1553 Depth=4
	s_or_b64 exec, exec, s[60:61]
	s_and_b64 s[22:23], exec, s[56:57]
	s_or_b64 s[44:45], s[22:23], s[44:45]
	s_andn2_b64 s[22:23], s[46:47], exec
	s_and_b64 s[46:47], s[58:59], exec
	s_or_b64 s[46:47], s[22:23], s[46:47]
	s_andn2_b64 exec, exec, s[44:45]
	s_cbranch_execz .LBB12_1557
.LBB12_1553:                            ;   Parent Loop BB12_47 Depth=1
                                        ;     Parent Loop BB12_1270 Depth=2
                                        ;       Parent Loop BB12_1547 Depth=3
                                        ; =>      This Inner Loop Header: Depth=4
	s_sleep 1
	s_waitcnt vmcnt(0) lgkmcnt(0)
	flat_load_dwordx2 v[38:39], v[32:33] sc0 sc1
	s_or_b64 s[58:59], s[58:59], exec
	s_or_b64 s[56:57], s[56:57], exec
                                        ; implicit-def: $vgpr10
	s_and_saveexec_b64 s[60:61], vcc
	s_cbranch_execz .LBB12_1552
; %bb.1554:                             ;   in Loop: Header=BB12_1553 Depth=4
	s_cmpk_lt_i32 s74, 0x270f
	s_cselect_b64 s[54:55], -1, 0
	s_cmpk_gt_i32 s74, 0x270e
	s_mov_b64 s[50:51], -1
	s_cbranch_scc0 .LBB12_1556
; %bb.1555:                             ;   in Loop: Header=BB12_1553 Depth=4
	s_trap 2
	ds_read_b64 v[10:11], v0
	s_andn2_b64 s[30:31], s[54:55], exec
	s_mov_b32 s74, 0
	s_mov_b64 s[52:53], 0
	s_waitcnt vmcnt(0) lgkmcnt(0)
	flat_load_dword v10, v[10:11] sc0 sc1
	s_waitcnt vmcnt(0) lgkmcnt(0)
	buffer_inv sc0 sc1
	v_cmp_eq_u32_e64 s[22:23], 0, v10
	s_and_b64 s[22:23], s[22:23], exec
	s_or_b64 s[54:55], s[30:31], s[22:23]
	s_and_saveexec_b64 s[64:65], s[54:55]
	s_cbranch_execz .LBB12_1551
	s_branch .LBB12_1550
.LBB12_1556:                            ;   in Loop: Header=BB12_1553 Depth=4
	s_add_i32 s74, s74, 1
	s_mov_b64 s[52:53], -1
                                        ; implicit-def: $vgpr10
	s_and_saveexec_b64 s[64:65], s[54:55]
	s_cbranch_execz .LBB12_1551
	s_branch .LBB12_1550
.LBB12_1557:                            ;   in Loop: Header=BB12_1547 Depth=3
	s_or_b64 exec, exec, s[44:45]
	s_xor_b64 s[22:23], s[46:47], -1
	s_and_saveexec_b64 s[44:45], s[22:23]
	s_xor_b64 s[22:23], exec, s[44:45]
	s_cbranch_execz .LBB12_1559
; %bb.1558:                             ;   in Loop: Header=BB12_1547 Depth=3
	v_or_b32_e32 v94, 64, v94
	s_waitcnt lgkmcnt(0)
	ds_write_b32 v0, v10
	s_trap 2
.LBB12_1559:                            ;   in Loop: Header=BB12_1547 Depth=3
	s_or_b64 exec, exec, s[22:23]
.LBB12_1560:                            ;   in Loop: Header=BB12_1547 Depth=3
	s_or_b64 exec, exec, s[42:43]
	v_and_b32_e32 v4, 0x108, v94
	v_cmp_ne_u32_e32 vcc, s72, v4
	;;#ASMSTART
	s_wakeup
	;;#ASMEND
                                        ; implicit-def: $vgpr10_vgpr11
	s_and_saveexec_b64 s[22:23], vcc
	s_xor_b64 s[22:23], exec, s[22:23]
; %bb.1561:                             ;   in Loop: Header=BB12_1547 Depth=3
	v_and_b32_e32 v10, 7, v44
	v_mov_b32_e32 v11, v3
                                        ; implicit-def: $vgpr44_vgpr45
; %bb.1562:                             ;   in Loop: Header=BB12_1547 Depth=3
	s_andn2_saveexec_b64 s[22:23], s[22:23]
	s_cbranch_execz .LBB12_1564
; %bb.1563:                             ;   in Loop: Header=BB12_1547 Depth=3
	v_and_b32_e32 v10, 7, v44
	v_ashrrev_i32_e32 v59, 31, v58
	v_mov_b32_e32 v11, v3
	v_mad_u64_u32 v[12:13], s[42:43], v10, 24, v[6:7]
	v_lshlrev_b64 v[14:15], 1, v[58:59]
	flat_store_dwordx2 v[12:13], v[14:15] offset:8
.LBB12_1564:                            ;   in Loop: Header=BB12_1547 Depth=3
	s_or_b64 exec, exec, s[22:23]
	v_and_b32_e32 v4, 0x100, v94
	v_cmp_ne_u32_e32 vcc, 0, v4
	s_mov_b64 s[22:23], -1
                                        ; implicit-def: $vgpr12_vgpr13
	s_and_saveexec_b64 s[42:43], vcc
	s_cbranch_execz .LBB12_1568
; %bb.1565:                             ;   in Loop: Header=BB12_1547 Depth=3
	v_mad_u64_u32 v[14:15], s[22:23], v10, 24, v[6:7]
	v_mov_b32_e32 v12, v15
	v_mad_u64_u32 v[12:13], s[22:23], v11, 24, v[12:13]
	v_mov_b32_e32 v15, v12
	flat_load_dword v4, v[14:15]
                                        ; implicit-def: $vgpr12_vgpr13
	s_waitcnt vmcnt(0) lgkmcnt(0)
	v_cmp_ne_u32_e32 vcc, 1, v4
	v_cmp_eq_u32_e64 s[22:23], 1, v4
	s_and_saveexec_b64 s[44:45], s[22:23]
	s_cbranch_execz .LBB12_1567
; %bb.1566:                             ;   in Loop: Header=BB12_1547 Depth=3
	flat_load_dword v12, v[14:15] offset:4 sc0 sc1
	s_waitcnt vmcnt(0) lgkmcnt(0)
	v_ashrrev_i32_e32 v13, 31, v12
	v_lshrrev_b64 v[12:13], 1, v[12:13]
.LBB12_1567:                            ;   in Loop: Header=BB12_1547 Depth=3
	s_or_b64 exec, exec, s[44:45]
	s_orn2_b64 s[22:23], vcc, exec
.LBB12_1568:                            ;   in Loop: Header=BB12_1547 Depth=3
	s_or_b64 exec, exec, s[42:43]
	s_and_saveexec_b64 s[42:43], s[22:23]
; %bb.1569:                             ;   in Loop: Header=BB12_1547 Depth=3
	v_mul_lo_u32 v4, v11, v30
	v_mul_lo_u32 v5, v10, v51
	v_mad_u64_u32 v[12:13], s[22:23], v10, v30, 0
	v_add3_u32 v13, v13, v5, v4
; %bb.1570:                             ;   in Loop: Header=BB12_1547 Depth=3
	s_or_b64 exec, exec, s[42:43]
	v_cmp_eq_u32_e32 vcc, 0, v2
	v_lshl_add_u64 v[10:11], v[12:13], 1, v[34:35]
	s_nop 0
	v_cndmask_b32_e32 v2, v109, v110, vcc
	v_add_u32_e32 v2, v0, v2
	ds_write_b64 v2, v[10:11] offset:584
	v_and_b32_e32 v2, 0x2000, v94
	v_cmp_ne_u32_e32 vcc, 0, v2
	s_and_saveexec_b64 s[22:23], vcc
	s_cbranch_execz .LBB12_1572
; %bb.1571:                             ;   in Loop: Header=BB12_1547 Depth=3
	ds_read_b64 v[10:11], v0 offset:872
	s_waitcnt lgkmcnt(0)
	v_lshl_add_u64 v[10:11], v[10:11], 0, 1
	ds_write_b64 v0, v[10:11] offset:872
.LBB12_1572:                            ;   in Loop: Header=BB12_1547 Depth=3
	s_or_b64 exec, exec, s[22:23]
	v_mov_b64_e32 v[44:45], v[8:9]
.LBB12_1573:                            ;   in Loop: Header=BB12_1547 Depth=3
	s_or_b64 exec, exec, s[40:41]
	s_xor_b64 s[22:23], s[28:29], -1
	s_and_b64 s[22:23], exec, s[22:23]
	s_or_b64 s[26:27], s[22:23], s[26:27]
	s_and_saveexec_b64 s[22:23], s[4:5]
	s_cbranch_execz .LBB12_1592
; %bb.1574:                             ;   in Loop: Header=BB12_1547 Depth=3
	s_and_saveexec_b64 s[28:29], s[76:77]
	s_xor_b64 s[28:29], exec, s[28:29]
	s_cbranch_execz .LBB12_1589
; %bb.1575:                             ;   in Loop: Header=BB12_1547 Depth=3
	s_and_saveexec_b64 s[40:41], s[12:13]
	s_cbranch_execz .LBB12_1588
; %bb.1576:                             ;   in Loop: Header=BB12_1547 Depth=3
	s_mov_b64 s[44:45], exec
	v_mbcnt_lo_u32_b32 v2, s44, 0
	v_mbcnt_hi_u32_b32 v2, s45, v2
	v_cmp_eq_u32_e32 vcc, 0, v2
	s_waitcnt lgkmcnt(0)
	s_and_saveexec_b64 s[42:43], vcc
	s_cbranch_execz .LBB12_1578
; %bb.1577:                             ;   in Loop: Header=BB12_1547 Depth=3
	s_bcnt1_i32_b64 s44, s[44:45]
	v_mov_b32_e32 v2, s44
	ds_add_u64 v0, v[2:3]
	s_trap 2
.LBB12_1578:                            ;   in Loop: Header=BB12_1547 Depth=3
	s_or_b64 exec, exec, s[42:43]
	s_trap 2
	ds_read_b64 v[8:9], v0
	s_waitcnt lgkmcnt(0)
	v_lshl_add_u64 v[48:49], v[48:49], 0, v[52:53]
	v_cmp_lt_u64_e32 vcc, v[8:9], v[48:49]
	s_and_saveexec_b64 s[42:43], vcc
	s_cbranch_execz .LBB12_1587
; %bb.1579:                             ;   in Loop: Header=BB12_1547 Depth=3
	s_mov_b32 s74, 0
	s_mov_b64 s[44:45], 0
                                        ; implicit-def: $sgpr46_sgpr47
                                        ; implicit-def: $sgpr56_sgpr57
	s_branch .LBB12_1581
.LBB12_1580:                            ;   in Loop: Header=BB12_1581 Depth=4
	s_or_b64 exec, exec, s[60:61]
	s_and_b64 s[58:59], exec, vcc
	s_or_b64 s[44:45], s[58:59], s[44:45]
	s_andn2_b64 s[46:47], s[46:47], exec
	s_and_b64 s[58:59], s[56:57], exec
	s_or_b64 s[46:47], s[46:47], s[58:59]
	s_andn2_b64 exec, exec, s[44:45]
	s_cbranch_execz .LBB12_1585
.LBB12_1581:                            ;   Parent Loop BB12_47 Depth=1
                                        ;     Parent Loop BB12_1270 Depth=2
                                        ;       Parent Loop BB12_1547 Depth=3
                                        ; =>      This Inner Loop Header: Depth=4
	s_add_i32 s74, s74, 1
	s_cmpk_lg_i32 s74, 0x2710
	s_cselect_b64 s[58:59], -1, 0
	s_and_b64 vcc, exec, s[58:59]
	s_cbranch_vccz .LBB12_1583
; %bb.1582:                             ;   in Loop: Header=BB12_1581 Depth=4
	s_mov_b64 vcc, -1
	s_or_b64 s[56:57], s[56:57], exec
	s_and_saveexec_b64 s[60:61], s[58:59]
	s_cbranch_execz .LBB12_1580
	s_branch .LBB12_1584
.LBB12_1583:                            ;   in Loop: Header=BB12_1581 Depth=4
	s_trap 2
	ds_read_b64 v[8:9], v0
	s_andn2_b64 s[58:59], s[58:59], exec
	s_mov_b32 s74, 0
	s_waitcnt vmcnt(0) lgkmcnt(0)
	flat_load_dword v2, v[8:9] sc0 sc1
	s_waitcnt vmcnt(0) lgkmcnt(0)
	buffer_inv sc0 sc1
	v_cmp_eq_u32_e32 vcc, 0, v2
	s_and_b64 s[60:61], vcc, exec
	s_or_b64 s[58:59], s[58:59], s[60:61]
	s_mov_b64 vcc, -1
	s_or_b64 s[56:57], s[56:57], exec
	s_and_saveexec_b64 s[60:61], s[58:59]
	s_cbranch_execz .LBB12_1580
.LBB12_1584:                            ;   in Loop: Header=BB12_1581 Depth=4
	s_sleep 1
	s_trap 2
	ds_read_b64 v[8:9], v0
	s_waitcnt lgkmcnt(0)
	s_andn2_b64 s[56:57], s[56:57], exec
	v_cmp_ge_u64_e32 vcc, v[8:9], v[48:49]
	s_orn2_b64 vcc, vcc, exec
	s_branch .LBB12_1580
.LBB12_1585:                            ;   in Loop: Header=BB12_1547 Depth=3
	s_or_b64 exec, exec, s[44:45]
	s_and_saveexec_b64 s[44:45], s[46:47]
	s_xor_b64 s[44:45], exec, s[44:45]
	s_cbranch_execz .LBB12_1587
; %bb.1586:                             ;   in Loop: Header=BB12_1547 Depth=3
	ds_write_b32 v0, v106
	s_trap 2
.LBB12_1587:                            ;   in Loop: Header=BB12_1547 Depth=3
	s_or_b64 exec, exec, s[42:43]
	;;#ASMSTART
	s_wakeup
	;;#ASMEND
.LBB12_1588:                            ;   in Loop: Header=BB12_1547 Depth=3
	s_or_b64 exec, exec, s[40:41]
.LBB12_1589:                            ;   in Loop: Header=BB12_1547 Depth=3
	s_andn2_saveexec_b64 s[28:29], s[28:29]
	s_cbranch_execz .LBB12_1591
; %bb.1590:                             ;   in Loop: Header=BB12_1547 Depth=3
	s_waitcnt lgkmcnt(0)
	s_barrier
.LBB12_1591:                            ;   in Loop: Header=BB12_1547 Depth=3
	s_or_b64 exec, exec, s[28:29]
.LBB12_1592:                            ;   in Loop: Header=BB12_1547 Depth=3
	s_or_b64 exec, exec, s[22:23]
                                        ; implicit-def: $vgpr2
	s_and_saveexec_b64 s[22:23], s[20:21]
	s_xor_b64 s[22:23], exec, s[22:23]
	s_cbranch_execz .LBB12_1596
; %bb.1593:                             ;   in Loop: Header=BB12_1547 Depth=3
	s_trap 2
	ds_read_b32 v4, v0
	v_cmp_lt_i32_e32 vcc, 0, v58
	v_and_b32_e32 v5, 16, v94
	v_and_b32_e32 v2, 16, v94
	s_waitcnt lgkmcnt(0)
	v_readfirstlane_b32 s28, v4
	s_cmp_eq_u32 s28, 0
	s_cselect_b64 s[28:29], -1, 0
	s_and_b64 s[28:29], vcc, s[28:29]
	v_cmp_ne_u32_e32 vcc, 0, v5
	s_and_b64 s[40:41], vcc, s[28:29]
	s_and_saveexec_b64 s[28:29], s[40:41]
	s_cbranch_execz .LBB12_1595
; %bb.1594:                             ;   in Loop: Header=BB12_1547 Depth=3
	v_mov_b32_e32 v2, 1
	buffer_wbl2 sc1
	s_waitcnt vmcnt(0)
	buffer_inv sc1
.LBB12_1595:                            ;   in Loop: Header=BB12_1547 Depth=3
	s_or_b64 exec, exec, s[28:29]
	s_andn2_saveexec_b64 s[22:23], s[22:23]
	s_cbranch_execz .LBB12_1615
	s_branch .LBB12_1597
.LBB12_1596:                            ;   in Loop: Header=BB12_1547 Depth=3
	s_andn2_saveexec_b64 s[22:23], s[22:23]
	s_cbranch_execz .LBB12_1615
.LBB12_1597:                            ;   in Loop: Header=BB12_1547 Depth=3
	s_and_saveexec_b64 s[28:29], s[76:77]
	s_xor_b64 s[28:29], exec, s[28:29]
	s_cbranch_execz .LBB12_1612
; %bb.1598:                             ;   in Loop: Header=BB12_1547 Depth=3
	s_and_saveexec_b64 s[40:41], s[12:13]
	s_cbranch_execz .LBB12_1611
; %bb.1599:                             ;   in Loop: Header=BB12_1547 Depth=3
	s_mov_b64 s[44:45], exec
	v_mbcnt_lo_u32_b32 v2, s44, 0
	v_mbcnt_hi_u32_b32 v2, s45, v2
	v_cmp_eq_u32_e32 vcc, 0, v2
	;;#ASMSTART
	s_waitcnt lgkmcnt(0) vmcnt(0)
	;;#ASMEND
	s_and_saveexec_b64 s[42:43], vcc
	s_cbranch_execz .LBB12_1601
; %bb.1600:                             ;   in Loop: Header=BB12_1547 Depth=3
	s_bcnt1_i32_b64 s44, s[44:45]
	v_mov_b32_e32 v2, s44
	s_waitcnt lgkmcnt(0)
	ds_add_u64 v0, v[2:3]
	s_trap 2
.LBB12_1601:                            ;   in Loop: Header=BB12_1547 Depth=3
	s_or_b64 exec, exec, s[42:43]
	s_trap 2
	ds_read_b64 v[8:9], v0
	s_waitcnt lgkmcnt(0)
	v_lshl_add_u64 v[48:49], v[48:49], 0, v[52:53]
	v_cmp_lt_u64_e32 vcc, v[8:9], v[48:49]
	s_and_saveexec_b64 s[42:43], vcc
	s_cbranch_execz .LBB12_1610
; %bb.1602:                             ;   in Loop: Header=BB12_1547 Depth=3
	s_mov_b32 s74, 0
	s_mov_b64 s[44:45], 0
                                        ; implicit-def: $sgpr46_sgpr47
                                        ; implicit-def: $sgpr56_sgpr57
	s_branch .LBB12_1604
.LBB12_1603:                            ;   in Loop: Header=BB12_1604 Depth=4
	s_or_b64 exec, exec, s[60:61]
	s_and_b64 s[58:59], exec, vcc
	s_or_b64 s[44:45], s[58:59], s[44:45]
	s_andn2_b64 s[46:47], s[46:47], exec
	s_and_b64 s[58:59], s[56:57], exec
	s_or_b64 s[46:47], s[46:47], s[58:59]
	s_andn2_b64 exec, exec, s[44:45]
	s_cbranch_execz .LBB12_1608
.LBB12_1604:                            ;   Parent Loop BB12_47 Depth=1
                                        ;     Parent Loop BB12_1270 Depth=2
                                        ;       Parent Loop BB12_1547 Depth=3
                                        ; =>      This Inner Loop Header: Depth=4
	s_add_i32 s74, s74, 1
	s_cmpk_lg_i32 s74, 0x2710
	s_cselect_b64 s[58:59], -1, 0
	s_and_b64 vcc, exec, s[58:59]
	s_cbranch_vccz .LBB12_1606
; %bb.1605:                             ;   in Loop: Header=BB12_1604 Depth=4
	s_mov_b64 vcc, -1
	s_or_b64 s[56:57], s[56:57], exec
	s_and_saveexec_b64 s[60:61], s[58:59]
	s_cbranch_execz .LBB12_1603
	s_branch .LBB12_1607
.LBB12_1606:                            ;   in Loop: Header=BB12_1604 Depth=4
	s_trap 2
	ds_read_b64 v[8:9], v0
	s_andn2_b64 s[58:59], s[58:59], exec
	s_mov_b32 s74, 0
	s_waitcnt vmcnt(0) lgkmcnt(0)
	flat_load_dword v2, v[8:9] sc0 sc1
	s_waitcnt vmcnt(0) lgkmcnt(0)
	buffer_inv sc0 sc1
	v_cmp_eq_u32_e32 vcc, 0, v2
	s_and_b64 s[60:61], vcc, exec
	s_or_b64 s[58:59], s[58:59], s[60:61]
	s_mov_b64 vcc, -1
	s_or_b64 s[56:57], s[56:57], exec
	s_and_saveexec_b64 s[60:61], s[58:59]
	s_cbranch_execz .LBB12_1603
.LBB12_1607:                            ;   in Loop: Header=BB12_1604 Depth=4
	s_sleep 1
	s_trap 2
	ds_read_b64 v[8:9], v0
	s_waitcnt lgkmcnt(0)
	s_andn2_b64 s[56:57], s[56:57], exec
	v_cmp_ge_u64_e32 vcc, v[8:9], v[48:49]
	s_orn2_b64 vcc, vcc, exec
	s_branch .LBB12_1603
.LBB12_1608:                            ;   in Loop: Header=BB12_1547 Depth=3
	s_or_b64 exec, exec, s[44:45]
	s_and_saveexec_b64 s[44:45], s[46:47]
	s_xor_b64 s[44:45], exec, s[44:45]
	s_cbranch_execz .LBB12_1610
; %bb.1609:                             ;   in Loop: Header=BB12_1547 Depth=3
	ds_write_b32 v0, v106
	s_trap 2
.LBB12_1610:                            ;   in Loop: Header=BB12_1547 Depth=3
	s_or_b64 exec, exec, s[42:43]
	;;#ASMSTART
	s_wakeup
	;;#ASMEND
.LBB12_1611:                            ;   in Loop: Header=BB12_1547 Depth=3
	s_or_b64 exec, exec, s[40:41]
.LBB12_1612:                            ;   in Loop: Header=BB12_1547 Depth=3
	s_andn2_saveexec_b64 s[28:29], s[28:29]
	s_cbranch_execz .LBB12_1614
; %bb.1613:                             ;   in Loop: Header=BB12_1547 Depth=3
	;;#ASMSTART
	s_waitcnt lgkmcnt(0) vmcnt(0)
	;;#ASMEND
	s_barrier
.LBB12_1614:                            ;   in Loop: Header=BB12_1547 Depth=3
	s_or_b64 exec, exec, s[28:29]
	v_and_b32_e32 v2, 16, v94
.LBB12_1615:                            ;   in Loop: Header=BB12_1547 Depth=3
	s_or_b64 exec, exec, s[22:23]
	v_cmp_ne_u32_e32 vcc, 0, v2
	s_xor_b64 s[22:23], s[6:7], -1
	s_and_b64 s[28:29], vcc, s[22:23]
	s_and_saveexec_b64 s[22:23], s[28:29]
	s_cbranch_execz .LBB12_1617
; %bb.1616:                             ;   in Loop: Header=BB12_1547 Depth=3
	flat_store_dword v[36:37], v106 sc0 sc1
.LBB12_1617:                            ;   in Loop: Header=BB12_1547 Depth=3
	s_or_b64 exec, exec, s[22:23]
	v_and_b32_e32 v2, 48, v94
	v_cmp_ne_u32_e32 vcc, 0, v2
	s_and_saveexec_b64 s[22:23], vcc
	s_cbranch_execz .LBB12_1546
; %bb.1618:                             ;   in Loop: Header=BB12_1547 Depth=3
	v_lshl_add_u64 v[44:45], v[44:45], 0, 2
	flat_store_dwordx2 v[32:33], v[44:45] sc0 sc1
	s_branch .LBB12_1546
.LBB12_1619:                            ;   in Loop: Header=BB12_1270 Depth=2
	s_or_b64 exec, exec, s[50:51]
	s_or_b64 exec, exec, s[60:61]
	v_cmp_gt_i32_e32 vcc, 2, v2
	s_and_saveexec_b64 s[24:25], vcc
	s_cbranch_execnz .LBB12_1545
.LBB12_1620:                            ;   in Loop: Header=BB12_1270 Depth=2
	s_or_b64 exec, exec, s[24:25]
	s_add_i32 s22, s68, 1
	s_cmp_eq_u32 s68, s99
	s_cbranch_scc0 .LBB12_1622
	s_branch .LBB12_1623
.LBB12_1621:                            ;   in Loop: Header=BB12_1270 Depth=2
	s_or_b64 exec, exec, s[26:27]
	s_or_b64 exec, exec, s[24:25]
	s_add_i32 s22, s68, 1
	s_cmp_eq_u32 s68, s99
	s_cbranch_scc1 .LBB12_1623
.LBB12_1622:                            ;   in Loop: Header=BB12_1270 Depth=2
	s_mov_b32 s68, s22
	s_branch .LBB12_1270
.LBB12_1623:                            ;   in Loop: Header=BB12_47 Depth=1
	v_mul_lo_u32 v2, v43, s97
	v_mul_lo_u32 v4, v42, s98
	v_mad_u64_u32 v[8:9], s[22:23], v42, s97, 0
	v_add3_u32 v9, v9, v4, v2
	v_sub_co_u32_e32 v10, vcc, v46, v8
	v_mov_b32_e32 v2, 0
	s_nop 0
	v_subb_co_u32_e32 v11, vcc, v47, v9, vcc
	v_cmp_lt_i64_e32 vcc, v[42:43], v[10:11]
	v_mov_b32_e32 v46, 0
	s_nop 0
	v_cndmask_b32_e32 v4, v10, v42, vcc
	s_waitcnt lgkmcnt(0)
	v_max_i32_e32 v74, 0, v4
	v_add_u32_e32 v5, 31, v74
	v_ashrrev_i32_e32 v10, 31, v5
	v_lshrrev_b32_e32 v10, 27, v10
	v_add_u32_e32 v5, v5, v10
	v_ashrrev_i32_e32 v5, 5, v5
	v_lshlrev_b32_e32 v5, 4, v5
	v_cmp_lt_i32_e32 vcc, 0, v4
	v_max_i32_e32 v75, s84, v5
	s_and_b64 s[22:23], s[38:39], vcc
	s_and_saveexec_b64 s[60:61], s[22:23]
	s_cbranch_execz .LBB12_1841
; %bb.1624:                             ;   in Loop: Header=BB12_47 Depth=1
	v_lshl_add_u64 v[8:9], v[8:9], 0, v[56:57]
	s_mov_b32 s30, 1
	s_mov_b64 s[52:53], -1
	v_mov_b32_e32 v46, 0
	s_mov_b64 s[50:51], 0
	v_lshlrev_b64 v[56:57], 1, v[8:9]
	s_branch .LBB12_1626
.LBB12_1625:                            ;   in Loop: Header=BB12_1626 Depth=2
	s_or_b64 exec, exec, s[22:23]
	v_add_u32_e32 v46, v75, v46
	v_cmp_ge_i32_e32 vcc, v46, v74
	s_xor_b64 s[22:23], s[52:53], -1
	s_or_b64 s[22:23], s[22:23], vcc
	s_and_b64 s[22:23], exec, s[22:23]
	s_or_b64 s[50:51], s[22:23], s[50:51]
	s_mov_b64 s[52:53], 0
	v_mov_b32_e32 v2, s30
	s_mov_b32 s30, 2
	s_andn2_b64 exec, exec, s[50:51]
	s_cbranch_execz .LBB12_1840
.LBB12_1626:                            ;   Parent Loop BB12_47 Depth=1
                                        ; =>  This Loop Header: Depth=2
                                        ;       Child Loop BB12_1634 Depth 3
                                        ;       Child Loop BB12_1658 Depth 3
	;; [unrolled: 1-line block ×9, first 2 shown]
	s_and_saveexec_b64 s[22:23], s[0:1]
	s_cbranch_execz .LBB12_1628
; %bb.1627:                             ;   in Loop: Header=BB12_1626 Depth=2
	s_trap 2
	ds_read_b128 v[8:11], v0
	v_ashrrev_i32_e32 v47, 31, v46
	v_lshlrev_b64 v[12:13], 1, v[46:47]
	s_waitcnt lgkmcnt(0)
	v_lshl_add_u64 v[8:9], v[8:9], 0, v[56:57]
	v_lshl_add_u64 v[14:15], v[10:11], 0, v[56:57]
	;; [unrolled: 1-line block ×3, first 2 shown]
	ds_write_b64 v0, v[8:9]
	v_lshl_add_u64 v[8:9], v[14:15], 0, v[12:13]
	v_cmp_ne_u64_e32 vcc, 0, v[10:11]
	s_nop 1
	v_cndmask_b32_e32 v9, 0, v9, vcc
	v_cndmask_b32_e32 v8, 0, v8, vcc
	ds_write_b64 v0, v[8:9]
.LBB12_1628:                            ;   in Loop: Header=BB12_1626 Depth=2
	s_or_b64 exec, exec, s[22:23]
	v_and_b32_e32 v2, 4, v94
	v_cmp_ne_u32_e32 vcc, 0, v2
	s_and_saveexec_b64 s[24:25], vcc
	s_cbranch_execz .LBB12_1650
; %bb.1629:                             ;   in Loop: Header=BB12_1626 Depth=2
	v_lshl_add_u64 v[8:9], v[44:45], 0, 2
	s_waitcnt vmcnt(0)
	v_cmp_lt_u64_e32 vcc, v[38:39], v[8:9]
	s_and_saveexec_b64 s[26:27], vcc
	s_cbranch_execz .LBB12_1641
; %bb.1630:                             ;   in Loop: Header=BB12_1626 Depth=2
	v_and_b32_e32 v2, 64, v94
	s_mov_b32 s74, 0
	v_cmp_eq_u32_e32 vcc, 0, v2
	s_mov_b64 s[28:29], 0
                                        ; implicit-def: $sgpr40_sgpr41
                                        ; implicit-def: $sgpr42_sgpr43
                                        ; implicit-def: $sgpr44_sgpr45
	s_branch .LBB12_1634
.LBB12_1631:                            ;   in Loop: Header=BB12_1634 Depth=3
	s_waitcnt vmcnt(0) lgkmcnt(0)
	v_cmp_ge_u64_e64 s[22:23], v[38:39], v[8:9]
	s_or_b64 s[58:59], s[58:59], exec
	s_orn2_b64 s[56:57], s[22:23], exec
.LBB12_1632:                            ;   in Loop: Header=BB12_1634 Depth=3
	s_or_b64 exec, exec, s[64:65]
	s_andn2_b64 s[22:23], s[44:45], exec
	s_and_b64 s[44:45], s[58:59], exec
	s_or_b64 s[44:45], s[22:23], s[44:45]
	s_andn2_b64 s[22:23], s[42:43], exec
	s_and_b64 s[42:43], s[56:57], exec
	s_or_b64 s[42:43], s[22:23], s[42:43]
.LBB12_1633:                            ;   in Loop: Header=BB12_1634 Depth=3
	s_or_b64 exec, exec, s[46:47]
	s_and_b64 s[22:23], exec, s[42:43]
	s_or_b64 s[28:29], s[22:23], s[28:29]
	s_andn2_b64 s[22:23], s[40:41], exec
	s_and_b64 s[40:41], s[44:45], exec
	s_or_b64 s[40:41], s[22:23], s[40:41]
	s_andn2_b64 exec, exec, s[28:29]
	s_cbranch_execz .LBB12_1638
.LBB12_1634:                            ;   Parent Loop BB12_47 Depth=1
                                        ;     Parent Loop BB12_1626 Depth=2
                                        ; =>    This Inner Loop Header: Depth=3
	s_sleep 1
	s_waitcnt vmcnt(0) lgkmcnt(0)
	flat_load_dwordx2 v[38:39], v[32:33] sc0 sc1
	s_or_b64 s[44:45], s[44:45], exec
	s_or_b64 s[42:43], s[42:43], exec
                                        ; implicit-def: $vgpr2
	s_and_saveexec_b64 s[46:47], vcc
	s_cbranch_execz .LBB12_1633
; %bb.1635:                             ;   in Loop: Header=BB12_1634 Depth=3
	s_cmpk_lt_i32 s74, 0x270f
	s_cselect_b64 s[54:55], -1, 0
	s_cmpk_gt_i32 s74, 0x270e
	s_mov_b64 s[56:57], -1
	s_cbranch_scc0 .LBB12_1637
; %bb.1636:                             ;   in Loop: Header=BB12_1634 Depth=3
	s_trap 2
	ds_read_b64 v[10:11], v0
	s_andn2_b64 s[54:55], s[54:55], exec
	s_mov_b32 s74, 0
	s_mov_b64 s[58:59], 0
	s_waitcnt vmcnt(0) lgkmcnt(0)
	flat_load_dword v2, v[10:11] sc0 sc1
	s_waitcnt vmcnt(0) lgkmcnt(0)
	buffer_inv sc0 sc1
	v_cmp_eq_u32_e64 s[22:23], 0, v2
	s_and_b64 s[22:23], s[22:23], exec
	s_or_b64 s[54:55], s[54:55], s[22:23]
	s_and_saveexec_b64 s[64:65], s[54:55]
	s_cbranch_execz .LBB12_1632
	s_branch .LBB12_1631
.LBB12_1637:                            ;   in Loop: Header=BB12_1634 Depth=3
	s_add_i32 s74, s74, 1
	s_mov_b64 s[58:59], -1
                                        ; implicit-def: $vgpr2
	s_and_saveexec_b64 s[64:65], s[54:55]
	s_cbranch_execz .LBB12_1632
	s_branch .LBB12_1631
.LBB12_1638:                            ;   in Loop: Header=BB12_1626 Depth=2
	s_or_b64 exec, exec, s[28:29]
	s_xor_b64 s[22:23], s[40:41], -1
	s_and_saveexec_b64 s[28:29], s[22:23]
	s_xor_b64 s[22:23], exec, s[28:29]
	s_cbranch_execz .LBB12_1640
; %bb.1639:                             ;   in Loop: Header=BB12_1626 Depth=2
	v_or_b32_e32 v94, 64, v94
	s_waitcnt lgkmcnt(0)
	ds_write_b32 v0, v2
	s_trap 2
.LBB12_1640:                            ;   in Loop: Header=BB12_1626 Depth=2
	s_or_b64 exec, exec, s[22:23]
.LBB12_1641:                            ;   in Loop: Header=BB12_1626 Depth=2
	s_or_b64 exec, exec, s[26:27]
	v_and_b32_e32 v2, 0x100, v94
	v_cmp_ne_u32_e32 vcc, 0, v2
	v_and_b32_e32 v2, 7, v44
	s_mov_b64 s[22:23], -1
	;;#ASMSTART
	s_wakeup
	;;#ASMEND
                                        ; implicit-def: $vgpr10_vgpr11
	s_and_saveexec_b64 s[26:27], vcc
	s_cbranch_execz .LBB12_1645
; %bb.1642:                             ;   in Loop: Header=BB12_1626 Depth=2
	v_mad_u64_u32 v[12:13], s[22:23], v2, 24, v[6:7]
	flat_load_dword v4, v[12:13]
                                        ; implicit-def: $vgpr10_vgpr11
	s_waitcnt vmcnt(0) lgkmcnt(0)
	v_cmp_ne_u32_e32 vcc, 1, v4
	v_cmp_eq_u32_e64 s[22:23], 1, v4
	s_and_saveexec_b64 s[28:29], s[22:23]
	s_cbranch_execz .LBB12_1644
; %bb.1643:                             ;   in Loop: Header=BB12_1626 Depth=2
	flat_load_dword v10, v[12:13] offset:4 sc0 sc1
	s_waitcnt vmcnt(0) lgkmcnt(0)
	v_ashrrev_i32_e32 v11, 31, v10
	v_lshrrev_b64 v[10:11], 1, v[10:11]
.LBB12_1644:                            ;   in Loop: Header=BB12_1626 Depth=2
	s_or_b64 exec, exec, s[28:29]
	s_orn2_b64 s[22:23], vcc, exec
.LBB12_1645:                            ;   in Loop: Header=BB12_1626 Depth=2
	s_or_b64 exec, exec, s[26:27]
	s_and_saveexec_b64 s[26:27], s[22:23]
; %bb.1646:                             ;   in Loop: Header=BB12_1626 Depth=2
	v_mad_i64_i32 v[10:11], s[22:23], v2, v30, 0
; %bb.1647:                             ;   in Loop: Header=BB12_1626 Depth=2
	s_or_b64 exec, exec, s[26:27]
	v_and_b32_e32 v2, 0x2000, v94
	v_lshl_add_u64 v[10:11], v[10:11], 1, v[34:35]
	v_cmp_ne_u32_e32 vcc, 0, v2
	ds_write_b64 v0, v[10:11] offset:720
	s_and_saveexec_b64 s[22:23], vcc
	s_cbranch_execz .LBB12_1649
; %bb.1648:                             ;   in Loop: Header=BB12_1626 Depth=2
	ds_read_b64 v[10:11], v0 offset:872
	s_waitcnt lgkmcnt(0)
	v_lshl_add_u64 v[10:11], v[10:11], 0, 1
	ds_write_b64 v0, v[10:11] offset:872
.LBB12_1649:                            ;   in Loop: Header=BB12_1626 Depth=2
	s_or_b64 exec, exec, s[22:23]
	v_mov_b64_e32 v[44:45], v[8:9]
.LBB12_1650:                            ;   in Loop: Header=BB12_1626 Depth=2
	s_or_b64 exec, exec, s[24:25]
	s_and_saveexec_b64 s[22:23], s[4:5]
	s_cbranch_execz .LBB12_1669
; %bb.1651:                             ;   in Loop: Header=BB12_1626 Depth=2
	s_and_saveexec_b64 s[24:25], s[76:77]
	s_xor_b64 s[24:25], exec, s[24:25]
	s_cbranch_execz .LBB12_1666
; %bb.1652:                             ;   in Loop: Header=BB12_1626 Depth=2
	s_and_saveexec_b64 s[26:27], s[12:13]
	s_cbranch_execz .LBB12_1665
; %bb.1653:                             ;   in Loop: Header=BB12_1626 Depth=2
	s_mov_b64 s[40:41], exec
	v_mbcnt_lo_u32_b32 v2, s40, 0
	v_mbcnt_hi_u32_b32 v2, s41, v2
	v_cmp_eq_u32_e32 vcc, 0, v2
	s_waitcnt lgkmcnt(0)
	s_and_saveexec_b64 s[28:29], vcc
	s_cbranch_execz .LBB12_1655
; %bb.1654:                             ;   in Loop: Header=BB12_1626 Depth=2
	s_bcnt1_i32_b64 s40, s[40:41]
	v_mov_b32_e32 v2, s40
	ds_add_u64 v0, v[2:3]
	s_trap 2
.LBB12_1655:                            ;   in Loop: Header=BB12_1626 Depth=2
	s_or_b64 exec, exec, s[28:29]
	s_trap 2
	ds_read_b64 v[8:9], v0
	s_waitcnt lgkmcnt(0)
	v_lshl_add_u64 v[48:49], v[48:49], 0, v[52:53]
	v_cmp_lt_u64_e32 vcc, v[8:9], v[48:49]
	s_and_saveexec_b64 s[28:29], vcc
	s_cbranch_execz .LBB12_1664
; %bb.1656:                             ;   in Loop: Header=BB12_1626 Depth=2
	s_mov_b32 s74, 0
	s_mov_b64 s[40:41], 0
                                        ; implicit-def: $sgpr42_sgpr43
                                        ; implicit-def: $sgpr44_sgpr45
	s_branch .LBB12_1658
.LBB12_1657:                            ;   in Loop: Header=BB12_1658 Depth=3
	s_or_b64 exec, exec, s[56:57]
	s_and_b64 s[46:47], exec, s[58:59]
	s_or_b64 s[40:41], s[46:47], s[40:41]
	s_andn2_b64 s[42:43], s[42:43], exec
	s_and_b64 s[46:47], s[44:45], exec
	s_or_b64 s[42:43], s[42:43], s[46:47]
	s_andn2_b64 exec, exec, s[40:41]
	s_cbranch_execz .LBB12_1662
.LBB12_1658:                            ;   Parent Loop BB12_47 Depth=1
                                        ;     Parent Loop BB12_1626 Depth=2
                                        ; =>    This Inner Loop Header: Depth=3
	s_add_i32 s74, s74, 1
	s_cmpk_lg_i32 s74, 0x2710
	s_cselect_b64 s[46:47], -1, 0
	s_and_b64 vcc, exec, s[46:47]
	s_cbranch_vccz .LBB12_1660
; %bb.1659:                             ;   in Loop: Header=BB12_1658 Depth=3
	s_mov_b64 s[58:59], -1
	s_or_b64 s[44:45], s[44:45], exec
	s_and_saveexec_b64 s[56:57], s[46:47]
	s_cbranch_execz .LBB12_1657
	s_branch .LBB12_1661
.LBB12_1660:                            ;   in Loop: Header=BB12_1658 Depth=3
	s_trap 2
	ds_read_b64 v[8:9], v0
	s_andn2_b64 s[46:47], s[46:47], exec
	s_mov_b32 s74, 0
	s_waitcnt vmcnt(0) lgkmcnt(0)
	flat_load_dword v2, v[8:9] sc0 sc1
	s_waitcnt vmcnt(0) lgkmcnt(0)
	buffer_inv sc0 sc1
	v_cmp_eq_u32_e32 vcc, 0, v2
	s_and_b64 s[56:57], vcc, exec
	s_or_b64 s[46:47], s[46:47], s[56:57]
	s_mov_b64 s[58:59], -1
	s_or_b64 s[44:45], s[44:45], exec
	s_and_saveexec_b64 s[56:57], s[46:47]
	s_cbranch_execz .LBB12_1657
.LBB12_1661:                            ;   in Loop: Header=BB12_1658 Depth=3
	s_sleep 1
	s_trap 2
	ds_read_b64 v[8:9], v0
	s_waitcnt lgkmcnt(0)
	s_andn2_b64 s[44:45], s[44:45], exec
	v_cmp_ge_u64_e32 vcc, v[8:9], v[48:49]
	s_orn2_b64 s[58:59], vcc, exec
	s_branch .LBB12_1657
.LBB12_1662:                            ;   in Loop: Header=BB12_1626 Depth=2
	s_or_b64 exec, exec, s[40:41]
	s_and_saveexec_b64 s[40:41], s[42:43]
	s_xor_b64 s[40:41], exec, s[40:41]
	s_cbranch_execz .LBB12_1664
; %bb.1663:                             ;   in Loop: Header=BB12_1626 Depth=2
	ds_write_b32 v0, v106
	s_trap 2
.LBB12_1664:                            ;   in Loop: Header=BB12_1626 Depth=2
	s_or_b64 exec, exec, s[28:29]
	;;#ASMSTART
	s_wakeup
	;;#ASMEND
.LBB12_1665:                            ;   in Loop: Header=BB12_1626 Depth=2
	s_or_b64 exec, exec, s[26:27]
.LBB12_1666:                            ;   in Loop: Header=BB12_1626 Depth=2
	s_andn2_saveexec_b64 s[24:25], s[24:25]
	s_cbranch_execz .LBB12_1668
; %bb.1667:                             ;   in Loop: Header=BB12_1626 Depth=2
	s_waitcnt lgkmcnt(0)
	s_barrier
.LBB12_1668:                            ;   in Loop: Header=BB12_1626 Depth=2
	s_or_b64 exec, exec, s[24:25]
.LBB12_1669:                            ;   in Loop: Header=BB12_1626 Depth=2
	s_or_b64 exec, exec, s[22:23]
	s_trap 2
	ds_read_b32 v8, v0
	v_and_b32_e32 v2, 0x4000, v94
	v_cmp_ne_u32_e32 vcc, 0, v2
	s_xor_b64 s[22:23], s[2:3], -1
	s_and_b64 s[24:25], s[22:23], vcc
	s_and_saveexec_b64 s[22:23], s[24:25]
	s_cbranch_execz .LBB12_1688
; %bb.1670:                             ;   in Loop: Header=BB12_1626 Depth=2
	s_and_saveexec_b64 s[24:25], s[76:77]
	s_xor_b64 s[24:25], exec, s[24:25]
	s_cbranch_execz .LBB12_1685
; %bb.1671:                             ;   in Loop: Header=BB12_1626 Depth=2
	s_and_saveexec_b64 s[26:27], s[12:13]
	s_cbranch_execz .LBB12_1684
; %bb.1672:                             ;   in Loop: Header=BB12_1626 Depth=2
	s_mov_b64 s[40:41], exec
	v_mbcnt_lo_u32_b32 v2, s40, 0
	v_mbcnt_hi_u32_b32 v2, s41, v2
	v_cmp_eq_u32_e32 vcc, 0, v2
	s_waitcnt lgkmcnt(0)
	s_and_saveexec_b64 s[28:29], vcc
	s_cbranch_execz .LBB12_1674
; %bb.1673:                             ;   in Loop: Header=BB12_1626 Depth=2
	s_bcnt1_i32_b64 s40, s[40:41]
	v_mov_b32_e32 v2, s40
	ds_add_u64 v0, v[2:3]
	s_trap 2
.LBB12_1674:                            ;   in Loop: Header=BB12_1626 Depth=2
	s_or_b64 exec, exec, s[28:29]
	s_trap 2
	ds_read_b64 v[10:11], v0
	s_waitcnt lgkmcnt(0)
	v_lshl_add_u64 v[48:49], v[48:49], 0, v[52:53]
	v_cmp_lt_u64_e32 vcc, v[10:11], v[48:49]
	s_and_saveexec_b64 s[28:29], vcc
	s_cbranch_execz .LBB12_1683
; %bb.1675:                             ;   in Loop: Header=BB12_1626 Depth=2
	s_mov_b32 s74, 0
	s_mov_b64 s[40:41], 0
                                        ; implicit-def: $sgpr42_sgpr43
                                        ; implicit-def: $sgpr44_sgpr45
	s_branch .LBB12_1677
.LBB12_1676:                            ;   in Loop: Header=BB12_1677 Depth=3
	s_or_b64 exec, exec, s[56:57]
	s_and_b64 s[46:47], exec, s[58:59]
	s_or_b64 s[40:41], s[46:47], s[40:41]
	s_andn2_b64 s[42:43], s[42:43], exec
	s_and_b64 s[46:47], s[44:45], exec
	s_or_b64 s[42:43], s[42:43], s[46:47]
	s_andn2_b64 exec, exec, s[40:41]
	s_cbranch_execz .LBB12_1681
.LBB12_1677:                            ;   Parent Loop BB12_47 Depth=1
                                        ;     Parent Loop BB12_1626 Depth=2
                                        ; =>    This Inner Loop Header: Depth=3
	s_add_i32 s74, s74, 1
	s_cmpk_lg_i32 s74, 0x2710
	s_cselect_b64 s[46:47], -1, 0
	s_and_b64 vcc, exec, s[46:47]
	s_cbranch_vccz .LBB12_1679
; %bb.1678:                             ;   in Loop: Header=BB12_1677 Depth=3
	s_mov_b64 s[58:59], -1
	s_or_b64 s[44:45], s[44:45], exec
	s_and_saveexec_b64 s[56:57], s[46:47]
	s_cbranch_execz .LBB12_1676
	s_branch .LBB12_1680
.LBB12_1679:                            ;   in Loop: Header=BB12_1677 Depth=3
	s_trap 2
	ds_read_b64 v[10:11], v0
	s_andn2_b64 s[46:47], s[46:47], exec
	s_mov_b32 s74, 0
	s_waitcnt vmcnt(0) lgkmcnt(0)
	flat_load_dword v2, v[10:11] sc0 sc1
	s_waitcnt vmcnt(0) lgkmcnt(0)
	buffer_inv sc0 sc1
	v_cmp_eq_u32_e32 vcc, 0, v2
	s_and_b64 s[56:57], vcc, exec
	s_or_b64 s[46:47], s[46:47], s[56:57]
	s_mov_b64 s[58:59], -1
	s_or_b64 s[44:45], s[44:45], exec
	s_and_saveexec_b64 s[56:57], s[46:47]
	s_cbranch_execz .LBB12_1676
.LBB12_1680:                            ;   in Loop: Header=BB12_1677 Depth=3
	s_sleep 1
	s_trap 2
	ds_read_b64 v[10:11], v0
	s_waitcnt lgkmcnt(0)
	s_andn2_b64 s[44:45], s[44:45], exec
	v_cmp_ge_u64_e32 vcc, v[10:11], v[48:49]
	s_orn2_b64 s[58:59], vcc, exec
	s_branch .LBB12_1676
.LBB12_1681:                            ;   in Loop: Header=BB12_1626 Depth=2
	s_or_b64 exec, exec, s[40:41]
	s_and_saveexec_b64 s[40:41], s[42:43]
	s_xor_b64 s[40:41], exec, s[40:41]
	s_cbranch_execz .LBB12_1683
; %bb.1682:                             ;   in Loop: Header=BB12_1626 Depth=2
	ds_write_b32 v0, v106
	s_trap 2
.LBB12_1683:                            ;   in Loop: Header=BB12_1626 Depth=2
	s_or_b64 exec, exec, s[28:29]
	;;#ASMSTART
	s_wakeup
	;;#ASMEND
.LBB12_1684:                            ;   in Loop: Header=BB12_1626 Depth=2
	s_or_b64 exec, exec, s[26:27]
.LBB12_1685:                            ;   in Loop: Header=BB12_1626 Depth=2
	s_andn2_saveexec_b64 s[24:25], s[24:25]
	s_cbranch_execz .LBB12_1687
; %bb.1686:                             ;   in Loop: Header=BB12_1626 Depth=2
	s_waitcnt lgkmcnt(0)
	s_barrier
.LBB12_1687:                            ;   in Loop: Header=BB12_1626 Depth=2
	s_or_b64 exec, exec, s[24:25]
.LBB12_1688:                            ;   in Loop: Header=BB12_1626 Depth=2
	s_or_b64 exec, exec, s[22:23]
	s_trap 2
	ds_read_b64 v[58:59], v0
	v_sub_u32_e32 v2, v74, v46
	v_min_i32_e32 v75, v75, v2
	s_waitcnt lgkmcnt(0)
	v_cmp_eq_u64_e32 vcc, 0, v[58:59]
	s_cbranch_vccnz .LBB12_1696
; %bb.1689:                             ;   in Loop: Header=BB12_1626 Depth=2
	s_trap 2
	ds_read_b64 v[60:61], v0
	s_waitcnt lgkmcnt(0)
	v_cmp_eq_u64_e32 vcc, 0, v[60:61]
	s_cbranch_vccnz .LBB12_1696
; %bb.1690:                             ;   in Loop: Header=BB12_1626 Depth=2
	s_trap 2
	ds_read_b64 v[62:63], v0
	s_mov_b64 s[24:25], -1
	s_waitcnt lgkmcnt(0)
	v_readfirstlane_b32 s31, v62
	s_and_saveexec_b64 s[22:23], s[16:17]
	s_cbranch_execz .LBB12_1692
; %bb.1691:                             ;   in Loop: Header=BB12_1626 Depth=2
	ds_read_b32 v2, v0 offset:720
	s_waitcnt lgkmcnt(0)
	v_and_b32_e32 v2, 15, v2
	v_cmp_eq_u32_e32 vcc, 0, v2
	s_orn2_b64 s[24:25], vcc, exec
.LBB12_1692:                            ;   in Loop: Header=BB12_1626 Depth=2
	s_or_b64 exec, exec, s[22:23]
	s_and_saveexec_b64 s[22:23], s[14:15]
	s_cbranch_execz .LBB12_1694
; %bb.1693:                             ;   in Loop: Header=BB12_1626 Depth=2
	ds_read_b32 v2, v0 offset:784
	s_waitcnt lgkmcnt(0)
	v_and_b32_e32 v2, 15, v2
	v_cmp_eq_u32_e32 vcc, 0, v2
	s_and_b64 s[26:27], s[24:25], vcc
	s_andn2_b64 s[24:25], s[24:25], exec
	s_and_b64 s[26:27], s[26:27], exec
	s_or_b64 s[24:25], s[24:25], s[26:27]
.LBB12_1694:                            ;   in Loop: Header=BB12_1626 Depth=2
	s_or_b64 exec, exec, s[22:23]
	v_cmp_eq_u32_e32 vcc, 0, v8
	s_xor_b64 s[24:25], s[24:25], -1
	v_cndmask_b32_e64 v4, 0, 1, s[24:25]
	v_cndmask_b32_e32 v2, 0, v75, vcc
	v_lshlrev_b32_e32 v47, 1, v2
	s_mov_b64 s[22:23], -1
	v_cmp_ne_u32_e32 vcc, 0, v4
	v_mov_b32_e32 v18, 0
	s_cbranch_vccz .LBB12_1701
; %bb.1695:                             ;   in Loop: Header=BB12_1626 Depth=2
	v_mov_b32_e32 v19, v0
	s_and_saveexec_b64 s[24:25], s[22:23]
	s_cbranch_execnz .LBB12_1776
	s_branch .LBB12_1800
.LBB12_1696:                            ;   in Loop: Header=BB12_1626 Depth=2
	s_mov_b64 s[22:23], 0
	s_and_saveexec_b64 s[24:25], s[4:5]
	s_cbranch_execnz .LBB12_1801
.LBB12_1697:                            ;   in Loop: Header=BB12_1626 Depth=2
	s_or_b64 exec, exec, s[24:25]
	s_and_saveexec_b64 s[24:25], s[20:21]
	s_xor_b64 s[24:25], exec, s[24:25]
	s_cbranch_execz .LBB12_1819
.LBB12_1698:                            ;   in Loop: Header=BB12_1626 Depth=2
	v_and_b32_e32 v2, 16, v94
	v_cmp_ne_u32_e32 vcc, 0, v2
	s_and_b64 s[26:27], vcc, s[22:23]
	s_and_saveexec_b64 s[22:23], s[26:27]
	s_cbranch_execz .LBB12_1700
; %bb.1699:                             ;   in Loop: Header=BB12_1626 Depth=2
	buffer_wbl2 sc1
	s_waitcnt vmcnt(0) lgkmcnt(0)
	buffer_inv sc1
.LBB12_1700:                            ;   in Loop: Header=BB12_1626 Depth=2
	s_or_b64 exec, exec, s[22:23]
	s_andn2_saveexec_b64 s[22:23], s[24:25]
	s_cbranch_execz .LBB12_1838
	s_branch .LBB12_1820
.LBB12_1701:                            ;   in Loop: Header=BB12_1626 Depth=2
	v_ashrrev_i32_e32 v4, 31, v47
	v_lshrrev_b32_e32 v4, 21, v4
	v_add_u32_e32 v4, v47, v4
	v_ashrrev_i32_e32 v77, 11, v4
	v_sub_u32_e32 v76, v77, v104
	v_cmp_lt_i32_e32 vcc, 0, v76
	s_and_saveexec_b64 s[24:25], vcc
	s_cbranch_execz .LBB12_1769
; %bb.1702:                             ;   in Loop: Header=BB12_1626 Depth=2
	s_and_b32 s74, s31, 1
	s_cmp_eq_u64 s[74:75], 0
	s_mov_b64 s[26:27], 0
	s_cselect_b64 vcc, -1, 0
	v_mov_b64_e32 v[72:73], v[66:67]
	s_branch .LBB12_1704
.LBB12_1703:                            ;   in Loop: Header=BB12_1704 Depth=3
	s_or_b64 exec, exec, s[28:29]
	v_lshrrev_b32_e32 v4, 16, v12
	v_and_or_b32 v9, v9, s63, v4
	v_lshrrev_b32_e32 v4, 16, v18
	v_and_or_b32 v8, v8, s63, v4
	v_lshrrev_b32_e32 v4, 16, v13
	v_sub_u32_e32 v76, v76, v52
	v_and_or_b32 v10, v10, s63, v4
	v_lshrrev_b32_e32 v4, 16, v14
	v_cmp_gt_i32_e64 s[22:23], 1, v76
	v_and_or_b32 v11, v11, s63, v4
	s_or_b64 s[26:27], s[22:23], s[26:27]
	v_lshl_add_u64 v[72:73], v[72:73], 0, v[100:101]
	global_store_dwordx4 v[16:17], v[8:11], off offset:1024
	s_andn2_b64 exec, exec, s[26:27]
	s_cbranch_execz .LBB12_1768
.LBB12_1704:                            ;   Parent Loop BB12_47 Depth=1
                                        ;     Parent Loop BB12_1626 Depth=2
                                        ; =>    This Inner Loop Header: Depth=3
	v_lshl_add_u64 v[12:13], v[62:63], 0, v[72:73]
	v_lshl_add_u64 v[8:9], v[58:59], 0, v[72:73]
	global_load_dwordx4 v[16:19], v[8:9], off nt
	global_load_dwordx4 v[20:23], v[12:13], off nt
	s_nop 0
	global_load_dwordx4 v[8:11], v[8:9], off offset:1024 nt
	s_nop 0
	global_load_dwordx4 v[12:15], v[12:13], off offset:1024 nt
                                        ; implicit-def: $vgpr26
	s_waitcnt vmcnt(0)
	v_lshlrev_b32_e32 v4, 16, v16
	v_lshlrev_b32_e32 v5, 16, v20
	v_max_f32_e32 v5, v5, v5
	v_max_f32_e32 v4, v4, v4
	v_min_f32_e32 v24, v4, v5
	v_max_f32_e32 v4, v4, v5
	v_cndmask_b32_e32 v27, v4, v24, vcc
	v_and_b32_e32 v4, 0x7f800000, v27
	v_cmp_ne_u32_e64 s[22:23], s73, v4
	s_and_saveexec_b64 s[28:29], s[22:23]
	s_xor_b64 s[22:23], exec, s[28:29]
; %bb.1705:                             ;   in Loop: Header=BB12_1704 Depth=3
	v_bfe_u32 v4, v27, 16, 1
	v_add3_u32 v26, v27, v4, s62
                                        ; implicit-def: $vgpr27
; %bb.1706:                             ;   in Loop: Header=BB12_1704 Depth=3
	s_andn2_saveexec_b64 s[28:29], s[22:23]
; %bb.1707:                             ;   in Loop: Header=BB12_1704 Depth=3
	v_or_b32_e32 v4, 0x10000, v27
	v_cmp_eq_u32_sdwa s[22:23], v27, v3 src0_sel:WORD_0 src1_sel:DWORD
	s_nop 1
	v_cndmask_b32_e64 v26, v4, v27, s[22:23]
; %bb.1708:                             ;   in Loop: Header=BB12_1704 Depth=3
	s_or_b64 exec, exec, s[28:29]
	v_and_b32_e32 v4, 0xffff0000, v16
	v_and_b32_e32 v5, 0xffff0000, v20
	v_max_f32_e32 v5, v5, v5
	v_max_f32_e32 v4, v4, v4
	v_min_f32_e32 v16, v4, v5
	v_max_f32_e32 v4, v4, v5
	v_cndmask_b32_e32 v16, v4, v16, vcc
	v_and_b32_e32 v4, 0x7f800000, v16
	v_cmp_ne_u32_e64 s[22:23], s73, v4
                                        ; implicit-def: $vgpr20
	s_and_saveexec_b64 s[28:29], s[22:23]
	s_xor_b64 s[22:23], exec, s[28:29]
; %bb.1709:                             ;   in Loop: Header=BB12_1704 Depth=3
	v_bfe_u32 v4, v16, 16, 1
	v_add3_u32 v20, v16, v4, s62
                                        ; implicit-def: $vgpr16
; %bb.1710:                             ;   in Loop: Header=BB12_1704 Depth=3
	s_andn2_saveexec_b64 s[28:29], s[22:23]
; %bb.1711:                             ;   in Loop: Header=BB12_1704 Depth=3
	v_or_b32_e32 v4, 0x10000, v16
	v_cmp_eq_u32_sdwa s[22:23], v16, v3 src0_sel:WORD_0 src1_sel:DWORD
	s_nop 1
	v_cndmask_b32_e64 v20, v4, v16, s[22:23]
; %bb.1712:                             ;   in Loop: Header=BB12_1704 Depth=3
	s_or_b64 exec, exec, s[28:29]
	v_lshlrev_b32_e32 v4, 16, v17
	v_lshlrev_b32_e32 v5, 16, v21
	v_max_f32_e32 v5, v5, v5
	v_max_f32_e32 v4, v4, v4
	v_min_f32_e32 v16, v4, v5
	v_max_f32_e32 v4, v4, v5
	v_cndmask_b32_e32 v16, v4, v16, vcc
	v_and_b32_e32 v4, 0x7f800000, v16
	v_cmp_ne_u32_e64 s[22:23], s73, v4
                                        ; implicit-def: $vgpr27
	s_and_saveexec_b64 s[28:29], s[22:23]
	s_xor_b64 s[22:23], exec, s[28:29]
; %bb.1713:                             ;   in Loop: Header=BB12_1704 Depth=3
	v_bfe_u32 v4, v16, 16, 1
	v_add3_u32 v27, v16, v4, s62
                                        ; implicit-def: $vgpr16
; %bb.1714:                             ;   in Loop: Header=BB12_1704 Depth=3
	s_andn2_saveexec_b64 s[28:29], s[22:23]
; %bb.1715:                             ;   in Loop: Header=BB12_1704 Depth=3
	v_or_b32_e32 v4, 0x10000, v16
	v_cmp_eq_u32_sdwa s[22:23], v16, v3 src0_sel:WORD_0 src1_sel:DWORD
	s_nop 1
	v_cndmask_b32_e64 v27, v4, v16, s[22:23]
; %bb.1716:                             ;   in Loop: Header=BB12_1704 Depth=3
	s_or_b64 exec, exec, s[28:29]
	v_and_b32_e32 v4, 0xffff0000, v17
	v_and_b32_e32 v5, 0xffff0000, v21
	v_max_f32_e32 v5, v5, v5
	v_max_f32_e32 v4, v4, v4
	v_min_f32_e32 v16, v4, v5
	v_max_f32_e32 v4, v4, v5
	v_cndmask_b32_e32 v16, v4, v16, vcc
	v_and_b32_e32 v4, 0x7f800000, v16
	v_cmp_ne_u32_e64 s[22:23], s73, v4
                                        ; implicit-def: $vgpr21
	s_and_saveexec_b64 s[28:29], s[22:23]
	s_xor_b64 s[22:23], exec, s[28:29]
; %bb.1717:                             ;   in Loop: Header=BB12_1704 Depth=3
	v_bfe_u32 v4, v16, 16, 1
	v_add3_u32 v21, v16, v4, s62
                                        ; implicit-def: $vgpr16
; %bb.1718:                             ;   in Loop: Header=BB12_1704 Depth=3
	s_andn2_saveexec_b64 s[28:29], s[22:23]
; %bb.1719:                             ;   in Loop: Header=BB12_1704 Depth=3
	v_or_b32_e32 v4, 0x10000, v16
	v_cmp_eq_u32_sdwa s[22:23], v16, v3 src0_sel:WORD_0 src1_sel:DWORD
	s_nop 1
	v_cndmask_b32_e64 v21, v4, v16, s[22:23]
; %bb.1720:                             ;   in Loop: Header=BB12_1704 Depth=3
	s_or_b64 exec, exec, s[28:29]
	v_lshlrev_b32_e32 v4, 16, v18
	v_lshlrev_b32_e32 v5, 16, v22
	v_max_f32_e32 v5, v5, v5
	v_max_f32_e32 v4, v4, v4
	v_min_f32_e32 v16, v4, v5
	v_max_f32_e32 v4, v4, v5
	v_cndmask_b32_e32 v16, v4, v16, vcc
	v_and_b32_e32 v4, 0x7f800000, v16
	v_cmp_ne_u32_e64 s[22:23], s73, v4
                                        ; implicit-def: $vgpr78
	s_and_saveexec_b64 s[28:29], s[22:23]
	s_xor_b64 s[22:23], exec, s[28:29]
; %bb.1721:                             ;   in Loop: Header=BB12_1704 Depth=3
	v_bfe_u32 v4, v16, 16, 1
	v_add3_u32 v78, v16, v4, s62
                                        ; implicit-def: $vgpr16
; %bb.1722:                             ;   in Loop: Header=BB12_1704 Depth=3
	s_andn2_saveexec_b64 s[28:29], s[22:23]
; %bb.1723:                             ;   in Loop: Header=BB12_1704 Depth=3
	v_or_b32_e32 v4, 0x10000, v16
	v_cmp_eq_u32_sdwa s[22:23], v16, v3 src0_sel:WORD_0 src1_sel:DWORD
	s_nop 1
	v_cndmask_b32_e64 v78, v4, v16, s[22:23]
; %bb.1724:                             ;   in Loop: Header=BB12_1704 Depth=3
	s_or_b64 exec, exec, s[28:29]
	v_and_b32_e32 v4, 0xffff0000, v18
	v_and_b32_e32 v5, 0xffff0000, v22
	v_max_f32_e32 v5, v5, v5
	v_max_f32_e32 v4, v4, v4
	v_min_f32_e32 v16, v4, v5
	v_max_f32_e32 v4, v4, v5
	v_cndmask_b32_e32 v16, v4, v16, vcc
	v_and_b32_e32 v4, 0x7f800000, v16
	v_cmp_ne_u32_e64 s[22:23], s73, v4
                                        ; implicit-def: $vgpr18
	s_and_saveexec_b64 s[28:29], s[22:23]
	s_xor_b64 s[22:23], exec, s[28:29]
; %bb.1725:                             ;   in Loop: Header=BB12_1704 Depth=3
	v_bfe_u32 v4, v16, 16, 1
	v_add3_u32 v18, v16, v4, s62
                                        ; implicit-def: $vgpr16
; %bb.1726:                             ;   in Loop: Header=BB12_1704 Depth=3
	s_andn2_saveexec_b64 s[28:29], s[22:23]
; %bb.1727:                             ;   in Loop: Header=BB12_1704 Depth=3
	v_or_b32_e32 v4, 0x10000, v16
	v_cmp_eq_u32_sdwa s[22:23], v16, v3 src0_sel:WORD_0 src1_sel:DWORD
	s_nop 1
	v_cndmask_b32_e64 v18, v4, v16, s[22:23]
; %bb.1728:                             ;   in Loop: Header=BB12_1704 Depth=3
	s_or_b64 exec, exec, s[28:29]
	v_lshlrev_b32_e32 v4, 16, v19
	v_lshlrev_b32_e32 v5, 16, v23
	v_max_f32_e32 v5, v5, v5
	v_max_f32_e32 v4, v4, v4
	v_min_f32_e32 v16, v4, v5
	v_max_f32_e32 v4, v4, v5
	v_cndmask_b32_e32 v16, v4, v16, vcc
	v_and_b32_e32 v4, 0x7f800000, v16
	v_cmp_ne_u32_e64 s[22:23], s73, v4
                                        ; implicit-def: $vgpr22
	s_and_saveexec_b64 s[28:29], s[22:23]
	s_xor_b64 s[22:23], exec, s[28:29]
; %bb.1729:                             ;   in Loop: Header=BB12_1704 Depth=3
	v_bfe_u32 v4, v16, 16, 1
	v_add3_u32 v22, v16, v4, s62
                                        ; implicit-def: $vgpr16
; %bb.1730:                             ;   in Loop: Header=BB12_1704 Depth=3
	s_andn2_saveexec_b64 s[28:29], s[22:23]
; %bb.1731:                             ;   in Loop: Header=BB12_1704 Depth=3
	v_or_b32_e32 v4, 0x10000, v16
	v_cmp_eq_u32_sdwa s[22:23], v16, v3 src0_sel:WORD_0 src1_sel:DWORD
	s_nop 1
	v_cndmask_b32_e64 v22, v4, v16, s[22:23]
; %bb.1732:                             ;   in Loop: Header=BB12_1704 Depth=3
	s_or_b64 exec, exec, s[28:29]
	v_and_b32_e32 v4, 0xffff0000, v19
	v_and_b32_e32 v5, 0xffff0000, v23
	v_max_f32_e32 v5, v5, v5
	v_max_f32_e32 v4, v4, v4
	v_min_f32_e32 v16, v4, v5
	v_max_f32_e32 v4, v4, v5
	v_cndmask_b32_e32 v16, v4, v16, vcc
	v_and_b32_e32 v4, 0x7f800000, v16
	v_cmp_ne_u32_e64 s[22:23], s73, v4
                                        ; implicit-def: $vgpr19
	s_and_saveexec_b64 s[28:29], s[22:23]
	s_xor_b64 s[22:23], exec, s[28:29]
; %bb.1733:                             ;   in Loop: Header=BB12_1704 Depth=3
	v_bfe_u32 v4, v16, 16, 1
	v_add3_u32 v19, v16, v4, s62
                                        ; implicit-def: $vgpr16
; %bb.1734:                             ;   in Loop: Header=BB12_1704 Depth=3
	s_andn2_saveexec_b64 s[28:29], s[22:23]
; %bb.1735:                             ;   in Loop: Header=BB12_1704 Depth=3
	v_or_b32_e32 v4, 0x10000, v16
	v_cmp_eq_u32_sdwa s[22:23], v16, v3 src0_sel:WORD_0 src1_sel:DWORD
	s_nop 1
	v_cndmask_b32_e64 v19, v4, v16, s[22:23]
; %bb.1736:                             ;   in Loop: Header=BB12_1704 Depth=3
	s_or_b64 exec, exec, s[28:29]
	v_lshrrev_b32_e32 v4, 16, v27
	v_and_or_b32 v89, v21, s63, v4
	v_lshrrev_b32_e32 v4, 16, v26
	v_and_or_b32 v88, v20, s63, v4
	;; [unrolled: 2-line block ×4, first 2 shown]
	v_lshlrev_b32_e32 v4, 16, v8
	v_lshlrev_b32_e32 v5, 16, v12
	v_max_f32_e32 v5, v5, v5
	v_max_f32_e32 v4, v4, v4
	v_min_f32_e32 v18, v4, v5
	v_max_f32_e32 v4, v4, v5
	v_cndmask_b32_e32 v19, v4, v18, vcc
	v_and_b32_e32 v4, 0x7f800000, v19
	v_lshl_add_u64 v[16:17], v[60:61], 0, v[72:73]
	v_cmp_ne_u32_e64 s[22:23], s73, v4
	global_store_dwordx4 v[16:17], v[88:91], off
                                        ; implicit-def: $vgpr18
	s_and_saveexec_b64 s[28:29], s[22:23]
	s_xor_b64 s[22:23], exec, s[28:29]
; %bb.1737:                             ;   in Loop: Header=BB12_1704 Depth=3
	v_bfe_u32 v4, v19, 16, 1
	v_add3_u32 v18, v19, v4, s62
                                        ; implicit-def: $vgpr19
; %bb.1738:                             ;   in Loop: Header=BB12_1704 Depth=3
	s_andn2_saveexec_b64 s[28:29], s[22:23]
; %bb.1739:                             ;   in Loop: Header=BB12_1704 Depth=3
	v_or_b32_e32 v4, 0x10000, v19
	v_cmp_eq_u32_sdwa s[22:23], v19, v3 src0_sel:WORD_0 src1_sel:DWORD
	s_nop 1
	v_cndmask_b32_e64 v18, v4, v19, s[22:23]
; %bb.1740:                             ;   in Loop: Header=BB12_1704 Depth=3
	s_or_b64 exec, exec, s[28:29]
	v_and_b32_e32 v4, 0xffff0000, v8
	v_and_b32_e32 v5, 0xffff0000, v12
	v_max_f32_e32 v5, v5, v5
	v_max_f32_e32 v4, v4, v4
	v_min_f32_e32 v8, v4, v5
	v_max_f32_e32 v4, v4, v5
	v_cndmask_b32_e32 v12, v4, v8, vcc
	v_and_b32_e32 v4, 0x7f800000, v12
	v_cmp_ne_u32_e64 s[22:23], s73, v4
                                        ; implicit-def: $vgpr8
	s_and_saveexec_b64 s[28:29], s[22:23]
	s_xor_b64 s[22:23], exec, s[28:29]
; %bb.1741:                             ;   in Loop: Header=BB12_1704 Depth=3
	v_bfe_u32 v4, v12, 16, 1
	v_add3_u32 v8, v12, v4, s62
                                        ; implicit-def: $vgpr12
; %bb.1742:                             ;   in Loop: Header=BB12_1704 Depth=3
	s_andn2_saveexec_b64 s[28:29], s[22:23]
; %bb.1743:                             ;   in Loop: Header=BB12_1704 Depth=3
	v_or_b32_e32 v4, 0x10000, v12
	v_cmp_eq_u32_sdwa s[22:23], v12, v3 src0_sel:WORD_0 src1_sel:DWORD
	s_nop 1
	v_cndmask_b32_e64 v8, v4, v12, s[22:23]
; %bb.1744:                             ;   in Loop: Header=BB12_1704 Depth=3
	s_or_b64 exec, exec, s[28:29]
	v_lshlrev_b32_e32 v4, 16, v9
	v_lshlrev_b32_e32 v5, 16, v13
	v_max_f32_e32 v5, v5, v5
	v_max_f32_e32 v4, v4, v4
	v_min_f32_e32 v12, v4, v5
	v_max_f32_e32 v4, v4, v5
	v_cndmask_b32_e32 v19, v4, v12, vcc
	v_and_b32_e32 v4, 0x7f800000, v19
	v_cmp_ne_u32_e64 s[22:23], s73, v4
                                        ; implicit-def: $vgpr12
	s_and_saveexec_b64 s[28:29], s[22:23]
	s_xor_b64 s[22:23], exec, s[28:29]
; %bb.1745:                             ;   in Loop: Header=BB12_1704 Depth=3
	v_bfe_u32 v4, v19, 16, 1
	v_add3_u32 v12, v19, v4, s62
                                        ; implicit-def: $vgpr19
; %bb.1746:                             ;   in Loop: Header=BB12_1704 Depth=3
	s_andn2_saveexec_b64 s[28:29], s[22:23]
; %bb.1747:                             ;   in Loop: Header=BB12_1704 Depth=3
	v_or_b32_e32 v4, 0x10000, v19
	v_cmp_eq_u32_sdwa s[22:23], v19, v3 src0_sel:WORD_0 src1_sel:DWORD
	s_nop 1
	v_cndmask_b32_e64 v12, v4, v19, s[22:23]
; %bb.1748:                             ;   in Loop: Header=BB12_1704 Depth=3
	s_or_b64 exec, exec, s[28:29]
	v_and_b32_e32 v4, 0xffff0000, v9
	v_and_b32_e32 v5, 0xffff0000, v13
	v_max_f32_e32 v5, v5, v5
	v_max_f32_e32 v4, v4, v4
	v_min_f32_e32 v9, v4, v5
	v_max_f32_e32 v4, v4, v5
	v_cndmask_b32_e32 v13, v4, v9, vcc
	v_and_b32_e32 v4, 0x7f800000, v13
	v_cmp_ne_u32_e64 s[22:23], s73, v4
                                        ; implicit-def: $vgpr9
	s_and_saveexec_b64 s[28:29], s[22:23]
	s_xor_b64 s[22:23], exec, s[28:29]
; %bb.1749:                             ;   in Loop: Header=BB12_1704 Depth=3
	v_bfe_u32 v4, v13, 16, 1
	v_add3_u32 v9, v13, v4, s62
                                        ; implicit-def: $vgpr13
; %bb.1750:                             ;   in Loop: Header=BB12_1704 Depth=3
	s_andn2_saveexec_b64 s[28:29], s[22:23]
; %bb.1751:                             ;   in Loop: Header=BB12_1704 Depth=3
	v_or_b32_e32 v4, 0x10000, v13
	v_cmp_eq_u32_sdwa s[22:23], v13, v3 src0_sel:WORD_0 src1_sel:DWORD
	s_nop 1
	v_cndmask_b32_e64 v9, v4, v13, s[22:23]
; %bb.1752:                             ;   in Loop: Header=BB12_1704 Depth=3
	s_or_b64 exec, exec, s[28:29]
	v_lshlrev_b32_e32 v4, 16, v10
	v_lshlrev_b32_e32 v5, 16, v14
	v_max_f32_e32 v5, v5, v5
	v_max_f32_e32 v4, v4, v4
	v_min_f32_e32 v13, v4, v5
	v_max_f32_e32 v4, v4, v5
	v_cndmask_b32_e32 v19, v4, v13, vcc
	v_and_b32_e32 v4, 0x7f800000, v19
	v_cmp_ne_u32_e64 s[22:23], s73, v4
                                        ; implicit-def: $vgpr13
	s_and_saveexec_b64 s[28:29], s[22:23]
	s_xor_b64 s[22:23], exec, s[28:29]
; %bb.1753:                             ;   in Loop: Header=BB12_1704 Depth=3
	v_bfe_u32 v4, v19, 16, 1
	v_add3_u32 v13, v19, v4, s62
                                        ; implicit-def: $vgpr19
; %bb.1754:                             ;   in Loop: Header=BB12_1704 Depth=3
	s_andn2_saveexec_b64 s[28:29], s[22:23]
; %bb.1755:                             ;   in Loop: Header=BB12_1704 Depth=3
	v_or_b32_e32 v4, 0x10000, v19
	v_cmp_eq_u32_sdwa s[22:23], v19, v3 src0_sel:WORD_0 src1_sel:DWORD
	s_nop 1
	v_cndmask_b32_e64 v13, v4, v19, s[22:23]
; %bb.1756:                             ;   in Loop: Header=BB12_1704 Depth=3
	s_or_b64 exec, exec, s[28:29]
	v_and_b32_e32 v4, 0xffff0000, v10
	v_and_b32_e32 v5, 0xffff0000, v14
	v_max_f32_e32 v5, v5, v5
	v_max_f32_e32 v4, v4, v4
	v_min_f32_e32 v10, v4, v5
	v_max_f32_e32 v4, v4, v5
	v_cndmask_b32_e32 v14, v4, v10, vcc
	v_and_b32_e32 v4, 0x7f800000, v14
	v_cmp_ne_u32_e64 s[22:23], s73, v4
                                        ; implicit-def: $vgpr10
	s_and_saveexec_b64 s[28:29], s[22:23]
	s_xor_b64 s[22:23], exec, s[28:29]
; %bb.1757:                             ;   in Loop: Header=BB12_1704 Depth=3
	v_bfe_u32 v4, v14, 16, 1
	v_add3_u32 v10, v14, v4, s62
                                        ; implicit-def: $vgpr14
; %bb.1758:                             ;   in Loop: Header=BB12_1704 Depth=3
	s_andn2_saveexec_b64 s[28:29], s[22:23]
; %bb.1759:                             ;   in Loop: Header=BB12_1704 Depth=3
	v_or_b32_e32 v4, 0x10000, v14
	v_cmp_eq_u32_sdwa s[22:23], v14, v3 src0_sel:WORD_0 src1_sel:DWORD
	s_nop 1
	v_cndmask_b32_e64 v10, v4, v14, s[22:23]
; %bb.1760:                             ;   in Loop: Header=BB12_1704 Depth=3
	s_or_b64 exec, exec, s[28:29]
	v_lshlrev_b32_e32 v4, 16, v11
	v_lshlrev_b32_e32 v5, 16, v15
	v_max_f32_e32 v5, v5, v5
	v_max_f32_e32 v4, v4, v4
	v_min_f32_e32 v14, v4, v5
	v_max_f32_e32 v4, v4, v5
	v_cndmask_b32_e32 v19, v4, v14, vcc
	v_and_b32_e32 v4, 0x7f800000, v19
	v_cmp_ne_u32_e64 s[22:23], s73, v4
                                        ; implicit-def: $vgpr14
	s_and_saveexec_b64 s[28:29], s[22:23]
	s_xor_b64 s[22:23], exec, s[28:29]
; %bb.1761:                             ;   in Loop: Header=BB12_1704 Depth=3
	v_bfe_u32 v4, v19, 16, 1
	v_add3_u32 v14, v19, v4, s62
                                        ; implicit-def: $vgpr19
; %bb.1762:                             ;   in Loop: Header=BB12_1704 Depth=3
	s_andn2_saveexec_b64 s[28:29], s[22:23]
; %bb.1763:                             ;   in Loop: Header=BB12_1704 Depth=3
	v_or_b32_e32 v4, 0x10000, v19
	v_cmp_eq_u32_sdwa s[22:23], v19, v3 src0_sel:WORD_0 src1_sel:DWORD
	s_nop 1
	v_cndmask_b32_e64 v14, v4, v19, s[22:23]
; %bb.1764:                             ;   in Loop: Header=BB12_1704 Depth=3
	s_or_b64 exec, exec, s[28:29]
	v_and_b32_e32 v4, 0xffff0000, v11
	v_and_b32_e32 v5, 0xffff0000, v15
	v_max_f32_e32 v5, v5, v5
	v_max_f32_e32 v4, v4, v4
	v_min_f32_e32 v11, v4, v5
	v_max_f32_e32 v4, v4, v5
	v_cndmask_b32_e32 v15, v4, v11, vcc
	v_and_b32_e32 v4, 0x7f800000, v15
	v_cmp_ne_u32_e64 s[22:23], s73, v4
                                        ; implicit-def: $vgpr11
	s_and_saveexec_b64 s[28:29], s[22:23]
	s_xor_b64 s[22:23], exec, s[28:29]
; %bb.1765:                             ;   in Loop: Header=BB12_1704 Depth=3
	v_bfe_u32 v4, v15, 16, 1
	v_add3_u32 v11, v15, v4, s62
                                        ; implicit-def: $vgpr15
; %bb.1766:                             ;   in Loop: Header=BB12_1704 Depth=3
	s_andn2_saveexec_b64 s[28:29], s[22:23]
	s_cbranch_execz .LBB12_1703
; %bb.1767:                             ;   in Loop: Header=BB12_1704 Depth=3
	v_or_b32_e32 v4, 0x10000, v15
	v_cmp_eq_u32_sdwa s[22:23], v15, v3 src0_sel:WORD_0 src1_sel:DWORD
	s_nop 1
	v_cndmask_b32_e64 v11, v4, v15, s[22:23]
	s_branch .LBB12_1703
.LBB12_1768:                            ;   in Loop: Header=BB12_1626 Depth=2
	s_or_b64 exec, exec, s[26:27]
.LBB12_1769:                            ;   in Loop: Header=BB12_1626 Depth=2
	s_or_b64 exec, exec, s[24:25]
	v_lshlrev_b32_e32 v12, 11, v77
	v_cmp_ne_u32_e32 vcc, v47, v12
	s_mov_b64 s[22:23], 0
	v_mov_b32_e32 v18, 0
                                        ; implicit-def: $vgpr19
	s_and_saveexec_b64 s[54:55], vcc
	s_cbranch_execz .LBB12_1775
; %bb.1770:                             ;   in Loop: Header=BB12_1626 Depth=2
	v_lshlrev_b32_e32 v5, 6, v76
	v_sub_u32_e32 v5, v95, v5
	v_ashrrev_i32_e32 v8, 31, v5
	v_lshrrev_b32_e32 v8, 26, v8
	v_add_u32_e32 v8, v5, v8
	v_ashrrev_i32_e32 v9, 6, v8
	v_and_b32_e32 v8, 0xffffffc0, v8
	v_sub_u32_e32 v13, v5, v8
	v_sub_u32_e32 v4, v47, v12
	v_lshlrev_b32_e32 v5, 4, v13
	v_lshl_add_u32 v8, v9, 10, v5
	v_ashrrev_i32_e32 v5, 31, v4
	v_lshrrev_b32_e32 v5, 22, v5
	v_add_u32_e32 v5, v4, v5
	v_and_b32_e32 v14, 0xfffffc00, v5
	v_sub_u32_e32 v15, v4, v14
	v_ashrrev_i32_e32 v10, 10, v5
	v_cmp_lt_i32_e32 vcc, 15, v15
	v_sub_u32_e32 v17, v4, v8
	s_nop 0
	v_addc_co_u32_e64 v4, s[22:23], 0, v10, vcc
	v_sub_u32_e32 v16, v4, v9
	v_cmp_lt_i32_e64 s[22:23], 15, v17
	s_and_saveexec_b64 s[64:65], s[22:23]
	s_cbranch_execz .LBB12_1774
; %bb.1771:                             ;   in Loop: Header=BB12_1626 Depth=2
	s_and_b32 s74, s31, 1
	v_add_u32_e32 v8, v8, v12
	s_cmp_eq_u64 s[74:75], 0
	v_ashrrev_i32_e32 v9, 31, v8
	s_mov_b64 s[66:67], 0
	s_cselect_b64 s[22:23], -1, 0
.LBB12_1772:                            ;   Parent Loop BB12_47 Depth=1
                                        ;     Parent Loop BB12_1626 Depth=2
                                        ; =>    This Inner Loop Header: Depth=3
	v_lshl_add_u64 v[18:19], v[58:59], 0, v[8:9]
	v_lshl_add_u64 v[22:23], v[62:63], 0, v[8:9]
	global_load_dwordx4 v[18:21], v[18:19], off nt
	s_nop 0
	global_load_dwordx4 v[76:79], v[22:23], off nt
	v_sub_u32_e32 v17, v17, v70
	v_lshl_add_u64 v[10:11], v[60:61], 0, v[8:9]
	v_sub_u32_e32 v16, v16, v52
	v_lshl_add_u64 v[8:9], v[8:9], 0, v[102:103]
	s_waitcnt vmcnt(0)
	v_and_b32_e32 v4, 0xffff0000, v18
	v_lshlrev_b32_e32 v18, 16, v18
	v_lshlrev_b32_e32 v22, 16, v76
	v_max_f32_e32 v22, v22, v22
	v_max_f32_e32 v18, v18, v18
	v_min_f32_e32 v23, v18, v22
	v_max_f32_e32 v18, v18, v22
	v_cndmask_b32_e64 v18, v18, v23, s[22:23]
	v_and_b32_e32 v5, 0xffff0000, v76
	v_and_b32_e32 v22, 0x7f800000, v18
	v_cmp_eq_u32_e64 s[24:25], s73, v22
	v_bfe_u32 v22, v18, 16, 1
	v_cmp_eq_u32_sdwa s[26:27], v18, v3 src0_sel:WORD_0 src1_sel:DWORD
	v_or_b32_e32 v23, 0x10000, v18
	v_max_f32_e32 v5, v5, v5
	v_max_f32_e32 v4, v4, v4
	v_add3_u32 v22, v18, v22, s62
	v_cndmask_b32_e64 v18, v23, v18, s[26:27]
	v_min_f32_e32 v23, v4, v5
	v_max_f32_e32 v4, v4, v5
	v_cndmask_b32_e64 v4, v4, v23, s[22:23]
	v_and_b32_e32 v5, 0x7f800000, v4
	v_cmp_eq_u32_e64 s[26:27], s73, v5
	v_bfe_u32 v5, v4, 16, 1
	v_cmp_eq_u32_sdwa s[28:29], v4, v3 src0_sel:WORD_0 src1_sel:DWORD
	v_or_b32_e32 v23, 0x10000, v4
	v_add3_u32 v5, v4, v5, s62
	v_cndmask_b32_e64 v4, v23, v4, s[28:29]
	v_and_b32_e32 v23, 0xffff0000, v19
	v_lshlrev_b32_e32 v19, 16, v19
	v_lshlrev_b32_e32 v25, 16, v77
	v_max_f32_e32 v25, v25, v25
	v_max_f32_e32 v19, v19, v19
	v_min_f32_e32 v26, v19, v25
	v_max_f32_e32 v19, v19, v25
	v_cndmask_b32_e64 v19, v19, v26, s[22:23]
	v_and_b32_e32 v24, 0xffff0000, v77
	v_and_b32_e32 v25, 0x7f800000, v19
	v_cmp_eq_u32_e64 s[28:29], s73, v25
	v_bfe_u32 v25, v19, 16, 1
	v_cmp_eq_u32_sdwa s[40:41], v19, v3 src0_sel:WORD_0 src1_sel:DWORD
	v_or_b32_e32 v26, 0x10000, v19
	v_max_f32_e32 v24, v24, v24
	v_max_f32_e32 v23, v23, v23
	v_add3_u32 v25, v19, v25, s62
	v_cndmask_b32_e64 v19, v26, v19, s[40:41]
	v_min_f32_e32 v26, v23, v24
	v_max_f32_e32 v23, v23, v24
	v_cndmask_b32_e64 v23, v23, v26, s[22:23]
	v_and_b32_e32 v24, 0x7f800000, v23
	v_cmp_eq_u32_e64 s[40:41], s73, v24
	v_bfe_u32 v24, v23, 16, 1
	v_cmp_eq_u32_sdwa s[42:43], v23, v3 src0_sel:WORD_0 src1_sel:DWORD
	v_or_b32_e32 v26, 0x10000, v23
	v_add3_u32 v24, v23, v24, s62
	v_cndmask_b32_e64 v23, v26, v23, s[42:43]
	;; [unrolled: 28-line block ×3, first 2 shown]
	v_and_b32_e32 v64, 0xffff0000, v21
	v_lshlrev_b32_e32 v21, 16, v21
	v_lshlrev_b32_e32 v72, 16, v79
	v_max_f32_e32 v72, v72, v72
	v_max_f32_e32 v21, v21, v21
	v_min_f32_e32 v73, v21, v72
	v_max_f32_e32 v21, v21, v72
	v_cndmask_b32_e64 v21, v21, v73, s[22:23]
	v_and_b32_e32 v65, 0xffff0000, v79
	v_and_b32_e32 v72, 0x7f800000, v21
	v_cmp_eq_u32_e64 s[46:47], s73, v72
	v_bfe_u32 v72, v21, 16, 1
	v_cmp_eq_u32_sdwa s[56:57], v21, v3 src0_sel:WORD_0 src1_sel:DWORD
	v_or_b32_e32 v73, 0x10000, v21
	v_max_f32_e32 v65, v65, v65
	v_max_f32_e32 v64, v64, v64
	v_add3_u32 v72, v21, v72, s62
	v_cndmask_b32_e64 v21, v73, v21, s[56:57]
	v_min_f32_e32 v73, v64, v65
	v_max_f32_e32 v64, v64, v65
	v_cndmask_b32_e64 v64, v64, v73, s[22:23]
	v_cndmask_b32_e64 v4, v5, v4, s[26:27]
	;; [unrolled: 1-line block ×3, first 2 shown]
	v_and_b32_e32 v65, 0x7f800000, v64
	v_cndmask_b32_e64 v18, v22, v18, s[24:25]
	v_cndmask_b32_e64 v19, v24, v23, s[40:41]
	v_lshrrev_b32_e32 v5, 16, v5
	v_cmp_eq_u32_e64 s[56:57], s73, v65
	v_bfe_u32 v65, v64, 16, 1
	v_cmp_eq_u32_sdwa s[58:59], v64, v3 src0_sel:WORD_0 src1_sel:DWORD
	v_or_b32_e32 v73, 0x10000, v64
	v_cndmask_b32_e64 v20, v50, v20, s[42:43]
	v_and_or_b32 v19, v19, s63, v5
	v_lshrrev_b32_e32 v5, 16, v18
	v_add3_u32 v65, v64, v65, s62
	v_cndmask_b32_e64 v64, v73, v64, s[58:59]
	v_cndmask_b32_e64 v22, v27, v26, s[44:45]
	;; [unrolled: 1-line block ×3, first 2 shown]
	v_and_or_b32 v18, v4, s63, v5
	v_lshrrev_b32_e32 v4, 16, v20
	v_cndmask_b32_e64 v23, v65, v64, s[56:57]
	v_and_or_b32 v20, v22, s63, v4
	v_lshrrev_b32_e32 v4, 16, v21
	v_cmp_gt_i32_e64 s[24:25], 16, v17
	v_and_or_b32 v21, v23, s63, v4
	s_or_b64 s[66:67], s[24:25], s[66:67]
	global_store_dwordx4 v[10:11], v[18:21], off
	s_andn2_b64 exec, exec, s[66:67]
	s_cbranch_execnz .LBB12_1772
; %bb.1773:                             ;   in Loop: Header=BB12_1626 Depth=2
	s_or_b64 exec, exec, s[66:67]
.LBB12_1774:                            ;   in Loop: Header=BB12_1626 Depth=2
	s_or_b64 exec, exec, s[64:65]
	v_and_b32_e32 v4, 14, v47
	v_sub_u32_e32 v5, v15, v4
	v_cndmask_b32_e32 v5, 0, v5, vcc
	v_cndmask_b32_e32 v47, v15, v4, vcc
	v_cmp_lt_i32_e32 vcc, 0, v16
	v_add3_u32 v18, v14, v12, v5
	s_nop 0
	v_cndmask_b32_e32 v4, 0, v52, vcc
	v_sub_u32_e32 v4, v4, v16
	v_cmp_ne_u32_e32 vcc, 0, v47
	v_lshl_add_u32 v19, v4, 6, v13
	s_and_b64 s[22:23], vcc, exec
.LBB12_1775:                            ;   in Loop: Header=BB12_1626 Depth=2
	s_or_b64 exec, exec, s[54:55]
	s_and_saveexec_b64 s[24:25], s[22:23]
	s_cbranch_execz .LBB12_1800
.LBB12_1776:                            ;   in Loop: Header=BB12_1626 Depth=2
	v_ashrrev_i32_e32 v4, 31, v19
	v_lshrrev_b32_e32 v4, 26, v4
	v_add_u32_e32 v8, v19, v4
	v_ashrrev_i32_e32 v4, 31, v47
	v_lshrrev_b32_e32 v4, 23, v4
	v_add_u32_e32 v4, v47, v4
	v_ashrrev_i32_e32 v20, 6, v8
	v_ashrrev_i32_e32 v22, 9, v4
	v_sub_u32_e32 v21, v22, v20
	v_cmp_lt_i32_e32 vcc, 0, v21
	s_and_saveexec_b64 s[26:27], vcc
	s_cbranch_execz .LBB12_1796
; %bb.1777:                             ;   in Loop: Header=BB12_1626 Depth=2
	v_and_b32_e32 v4, 0x7fffffc0, v8
	v_sub_u32_e32 v4, v19, v4
	v_lshlrev_b32_e32 v4, 1, v4
	v_lshlrev_b32_e32 v5, 9, v20
	s_and_b32 s74, s31, 1
	v_add3_u32 v8, v4, v18, v5
	s_cmp_eq_u64 s[74:75], 0
	v_ashrrev_i32_e32 v9, 31, v8
	s_mov_b64 s[28:29], 0
	s_cselect_b64 vcc, -1, 0
	v_mov_b64_e32 v[10:11], v[60:61]
	v_mov_b64_e32 v[12:13], v[58:59]
	;; [unrolled: 1-line block ×3, first 2 shown]
	s_branch .LBB12_1779
.LBB12_1778:                            ;   in Loop: Header=BB12_1779 Depth=3
	s_or_b64 exec, exec, s[40:41]
	v_sub_u32_e32 v21, v21, v52
	v_cmp_gt_i32_e64 s[22:23], 1, v21
	v_lshl_add_u64 v[14:15], v[14:15], 0, v[112:113]
	v_lshl_add_u64 v[12:13], v[12:13], 0, v[112:113]
	s_or_b64 s[28:29], s[22:23], s[28:29]
	v_lshl_add_u64 v[10:11], v[10:11], 0, v[112:113]
	flat_store_short_d16_hi v[16:17], v26 offset:384 nt
	s_andn2_b64 exec, exec, s[28:29]
	s_cbranch_execz .LBB12_1795
.LBB12_1779:                            ;   Parent Loop BB12_47 Depth=1
                                        ;     Parent Loop BB12_1626 Depth=2
                                        ; =>    This Inner Loop Header: Depth=3
	v_lshl_add_u64 v[72:73], v[8:9], 0, v[12:13]
	v_lshl_add_u64 v[16:17], v[8:9], 0, v[14:15]
	flat_load_ushort v4, v[72:73] nt
	flat_load_ushort v5, v[16:17] nt
	flat_load_ushort v27, v[72:73] offset:256 nt
	flat_load_ushort v23, v[72:73] offset:384 nt
	s_nop 0
	flat_load_ushort v73, v[72:73] offset:128 nt
	s_nop 0
	flat_load_ushort v72, v[16:17] offset:256 nt
	flat_load_ushort v26, v[16:17] offset:384 nt
	;; [unrolled: 1-line block ×3, first 2 shown]
                                        ; implicit-def: $vgpr77
	s_waitcnt vmcnt(0) lgkmcnt(0)
	v_lshlrev_b32_e32 v4, 16, v4
	v_lshlrev_b32_e32 v5, 16, v5
	v_max_f32_e32 v5, v5, v5
	v_max_f32_e32 v4, v4, v4
	v_min_f32_e32 v16, v4, v5
	v_max_f32_e32 v4, v4, v5
	v_cndmask_b32_e32 v16, v4, v16, vcc
	v_and_b32_e32 v4, 0x7f800000, v16
	v_cmp_ne_u32_e64 s[22:23], s73, v4
	s_and_saveexec_b64 s[40:41], s[22:23]
	s_xor_b64 s[22:23], exec, s[40:41]
; %bb.1780:                             ;   in Loop: Header=BB12_1779 Depth=3
	v_bfe_u32 v4, v16, 16, 1
	v_add3_u32 v77, v16, v4, s62
                                        ; implicit-def: $vgpr16
; %bb.1781:                             ;   in Loop: Header=BB12_1779 Depth=3
	s_andn2_saveexec_b64 s[40:41], s[22:23]
; %bb.1782:                             ;   in Loop: Header=BB12_1779 Depth=3
	v_or_b32_e32 v4, 0x10000, v16
	v_cmp_eq_u32_sdwa s[22:23], v16, v3 src0_sel:WORD_0 src1_sel:DWORD
	s_nop 1
	v_cndmask_b32_e64 v77, v4, v16, s[22:23]
; %bb.1783:                             ;   in Loop: Header=BB12_1779 Depth=3
	s_or_b64 exec, exec, s[40:41]
	v_lshlrev_b32_e32 v4, 16, v73
	v_lshlrev_b32_e32 v5, 16, v76
	v_max_f32_e32 v5, v5, v5
	v_max_f32_e32 v4, v4, v4
	v_min_f32_e32 v24, v4, v5
	v_max_f32_e32 v4, v4, v5
	v_cndmask_b32_e32 v73, v4, v24, vcc
	v_and_b32_e32 v4, 0x7f800000, v73
	v_lshl_add_u64 v[16:17], v[8:9], 0, v[10:11]
	v_cmp_ne_u32_e64 s[22:23], s73, v4
	flat_store_short_d16_hi v[16:17], v77 nt
                                        ; implicit-def: $vgpr76
	s_and_saveexec_b64 s[40:41], s[22:23]
	s_xor_b64 s[22:23], exec, s[40:41]
; %bb.1784:                             ;   in Loop: Header=BB12_1779 Depth=3
	v_bfe_u32 v4, v73, 16, 1
	v_add3_u32 v76, v73, v4, s62
                                        ; implicit-def: $vgpr73
; %bb.1785:                             ;   in Loop: Header=BB12_1779 Depth=3
	s_andn2_saveexec_b64 s[40:41], s[22:23]
; %bb.1786:                             ;   in Loop: Header=BB12_1779 Depth=3
	v_or_b32_e32 v4, 0x10000, v73
	v_cmp_eq_u32_sdwa s[22:23], v73, v3 src0_sel:WORD_0 src1_sel:DWORD
	s_nop 1
	v_cndmask_b32_e64 v76, v4, v73, s[22:23]
; %bb.1787:                             ;   in Loop: Header=BB12_1779 Depth=3
	s_or_b64 exec, exec, s[40:41]
	v_lshlrev_b32_e32 v4, 16, v27
	v_lshlrev_b32_e32 v5, 16, v72
	v_max_f32_e32 v5, v5, v5
	v_max_f32_e32 v4, v4, v4
	v_min_f32_e32 v24, v4, v5
	v_max_f32_e32 v4, v4, v5
	v_cndmask_b32_e32 v27, v4, v24, vcc
	v_and_b32_e32 v4, 0x7f800000, v27
	v_cmp_ne_u32_e64 s[22:23], s73, v4
	flat_store_short_d16_hi v[16:17], v76 offset:128 nt
                                        ; implicit-def: $vgpr72
	s_and_saveexec_b64 s[40:41], s[22:23]
	s_xor_b64 s[22:23], exec, s[40:41]
; %bb.1788:                             ;   in Loop: Header=BB12_1779 Depth=3
	v_bfe_u32 v4, v27, 16, 1
	v_add3_u32 v72, v27, v4, s62
                                        ; implicit-def: $vgpr27
; %bb.1789:                             ;   in Loop: Header=BB12_1779 Depth=3
	s_andn2_saveexec_b64 s[40:41], s[22:23]
; %bb.1790:                             ;   in Loop: Header=BB12_1779 Depth=3
	v_or_b32_e32 v4, 0x10000, v27
	v_cmp_eq_u32_sdwa s[22:23], v27, v3 src0_sel:WORD_0 src1_sel:DWORD
	s_nop 1
	v_cndmask_b32_e64 v72, v4, v27, s[22:23]
; %bb.1791:                             ;   in Loop: Header=BB12_1779 Depth=3
	s_or_b64 exec, exec, s[40:41]
	v_lshlrev_b32_e32 v4, 16, v23
	v_lshlrev_b32_e32 v5, 16, v26
	v_max_f32_e32 v5, v5, v5
	v_max_f32_e32 v4, v4, v4
	v_min_f32_e32 v23, v4, v5
	v_max_f32_e32 v4, v4, v5
	v_cndmask_b32_e32 v23, v4, v23, vcc
	v_and_b32_e32 v4, 0x7f800000, v23
	v_cmp_ne_u32_e64 s[22:23], s73, v4
	flat_store_short_d16_hi v[16:17], v72 offset:256 nt
                                        ; implicit-def: $vgpr26
	s_and_saveexec_b64 s[40:41], s[22:23]
	s_xor_b64 s[22:23], exec, s[40:41]
; %bb.1792:                             ;   in Loop: Header=BB12_1779 Depth=3
	v_bfe_u32 v4, v23, 16, 1
	v_add3_u32 v26, v23, v4, s62
                                        ; implicit-def: $vgpr23
; %bb.1793:                             ;   in Loop: Header=BB12_1779 Depth=3
	s_andn2_saveexec_b64 s[40:41], s[22:23]
	s_cbranch_execz .LBB12_1778
; %bb.1794:                             ;   in Loop: Header=BB12_1779 Depth=3
	v_or_b32_e32 v4, 0x10000, v23
	v_cmp_eq_u32_sdwa s[22:23], v23, v3 src0_sel:WORD_0 src1_sel:DWORD
	s_nop 1
	v_cndmask_b32_e64 v26, v4, v23, s[22:23]
	s_branch .LBB12_1778
.LBB12_1795:                            ;   in Loop: Header=BB12_1626 Depth=2
	s_or_b64 exec, exec, s[28:29]
.LBB12_1796:                            ;   in Loop: Header=BB12_1626 Depth=2
	s_or_b64 exec, exec, s[26:27]
	v_lshlrev_b32_e32 v8, 9, v22
	v_cmp_ne_u32_e32 vcc, v47, v8
	s_and_b64 exec, exec, vcc
	s_cbranch_execz .LBB12_1800
; %bb.1797:                             ;   in Loop: Header=BB12_1626 Depth=2
	v_lshlrev_b32_e32 v4, 6, v20
	v_sub_u32_e32 v4, v19, v4
	v_lshlrev_b32_e32 v5, 6, v21
	v_sub_u32_e32 v4, v4, v5
	v_ashrrev_i32_e32 v5, 31, v4
	v_lshrrev_b32_e32 v5, 26, v5
	v_add_u32_e32 v5, v4, v5
	v_and_b32_e32 v9, 0x7fffffc0, v5
	v_sub_u32_e32 v4, v4, v9
	v_lshlrev_b32_e32 v5, 1, v5
	v_and_b32_e32 v5, 0xffffff80, v5
	v_lshlrev_b32_e32 v4, 1, v4
	v_add3_u32 v8, v5, v4, v8
	v_sub_u32_e32 v10, v47, v8
	v_cmp_lt_i32_e32 vcc, 1, v10
	s_and_b64 exec, exec, vcc
	s_cbranch_execz .LBB12_1800
; %bb.1798:                             ;   in Loop: Header=BB12_1626 Depth=2
	s_and_b32 s74, s31, 1
	v_add_u32_e32 v8, v8, v18
	s_cmp_eq_u64 s[74:75], 0
	v_ashrrev_i32_e32 v9, 31, v8
	s_mov_b64 s[26:27], 0
	s_cselect_b64 vcc, -1, 0
.LBB12_1799:                            ;   Parent Loop BB12_47 Depth=1
                                        ;     Parent Loop BB12_1626 Depth=2
                                        ; =>    This Inner Loop Header: Depth=3
	v_lshl_add_u64 v[14:15], v[58:59], 0, v[8:9]
	v_lshl_add_u64 v[12:13], v[62:63], 0, v[8:9]
	flat_load_ushort v4, v[14:15] nt
	flat_load_ushort v5, v[12:13] nt
	v_sub_u32_e32 v10, v10, v82
	v_cmp_gt_i32_e64 s[22:23], 2, v10
	s_or_b64 s[26:27], s[22:23], s[26:27]
	v_lshl_add_u64 v[12:13], v[60:61], 0, v[8:9]
	v_lshl_add_u64 v[8:9], v[8:9], 0, v[114:115]
	s_waitcnt vmcnt(0) lgkmcnt(0)
	v_lshlrev_b32_e32 v4, 16, v4
	v_lshlrev_b32_e32 v5, 16, v5
	v_max_f32_e32 v5, v5, v5
	v_max_f32_e32 v4, v4, v4
	v_min_f32_e32 v11, v4, v5
	v_max_f32_e32 v4, v4, v5
	v_cndmask_b32_e32 v4, v4, v11, vcc
	v_and_b32_e32 v5, 0x7f800000, v4
	v_bfe_u32 v11, v4, 16, 1
	v_or_b32_e32 v14, 0x10000, v4
	v_cmp_eq_u32_sdwa s[22:23], v4, v3 src0_sel:WORD_0 src1_sel:DWORD
	v_add3_u32 v11, v4, v11, s62
	s_nop 0
	v_cndmask_b32_e64 v4, v14, v4, s[22:23]
	v_cmp_eq_u32_e64 s[22:23], s73, v5
	s_nop 1
	v_cndmask_b32_e64 v4, v11, v4, s[22:23]
	flat_store_short_d16_hi v[12:13], v4 nt
	s_andn2_b64 exec, exec, s[26:27]
	s_cbranch_execnz .LBB12_1799
.LBB12_1800:                            ;   in Loop: Header=BB12_1626 Depth=2
	s_or_b64 exec, exec, s[24:25]
	v_cmp_lt_i32_e64 s[22:23], 0, v2
	s_and_saveexec_b64 s[24:25], s[4:5]
	s_cbranch_execz .LBB12_1697
.LBB12_1801:                            ;   in Loop: Header=BB12_1626 Depth=2
	s_and_saveexec_b64 s[26:27], s[76:77]
	s_xor_b64 s[26:27], exec, s[26:27]
	s_cbranch_execz .LBB12_1816
; %bb.1802:                             ;   in Loop: Header=BB12_1626 Depth=2
	s_and_saveexec_b64 s[28:29], s[12:13]
	s_cbranch_execz .LBB12_1815
; %bb.1803:                             ;   in Loop: Header=BB12_1626 Depth=2
	s_mov_b64 s[42:43], exec
	v_mbcnt_lo_u32_b32 v2, s42, 0
	v_mbcnt_hi_u32_b32 v2, s43, v2
	v_cmp_eq_u32_e32 vcc, 0, v2
	s_waitcnt lgkmcnt(0)
	s_and_saveexec_b64 s[40:41], vcc
	s_cbranch_execz .LBB12_1805
; %bb.1804:                             ;   in Loop: Header=BB12_1626 Depth=2
	s_bcnt1_i32_b64 s42, s[42:43]
	v_mov_b32_e32 v2, s42
	ds_add_u64 v0, v[2:3]
	s_trap 2
.LBB12_1805:                            ;   in Loop: Header=BB12_1626 Depth=2
	s_or_b64 exec, exec, s[40:41]
	s_trap 2
	ds_read_b64 v[8:9], v0
	s_waitcnt lgkmcnt(0)
	v_lshl_add_u64 v[48:49], v[48:49], 0, v[52:53]
	v_cmp_lt_u64_e32 vcc, v[8:9], v[48:49]
	s_and_saveexec_b64 s[40:41], vcc
	s_cbranch_execz .LBB12_1814
; %bb.1806:                             ;   in Loop: Header=BB12_1626 Depth=2
	s_mov_b32 s74, 0
	s_mov_b64 s[42:43], 0
                                        ; implicit-def: $sgpr44_sgpr45
                                        ; implicit-def: $sgpr46_sgpr47
	s_branch .LBB12_1808
.LBB12_1807:                            ;   in Loop: Header=BB12_1808 Depth=3
	s_or_b64 exec, exec, s[58:59]
	s_and_b64 s[56:57], exec, vcc
	s_or_b64 s[42:43], s[56:57], s[42:43]
	s_andn2_b64 s[44:45], s[44:45], exec
	s_and_b64 s[56:57], s[46:47], exec
	s_or_b64 s[44:45], s[44:45], s[56:57]
	s_andn2_b64 exec, exec, s[42:43]
	s_cbranch_execz .LBB12_1812
.LBB12_1808:                            ;   Parent Loop BB12_47 Depth=1
                                        ;     Parent Loop BB12_1626 Depth=2
                                        ; =>    This Inner Loop Header: Depth=3
	s_add_i32 s74, s74, 1
	s_cmpk_lg_i32 s74, 0x2710
	s_cselect_b64 s[56:57], -1, 0
	s_and_b64 vcc, exec, s[56:57]
	s_cbranch_vccz .LBB12_1810
; %bb.1809:                             ;   in Loop: Header=BB12_1808 Depth=3
	s_mov_b64 vcc, -1
	s_or_b64 s[46:47], s[46:47], exec
	s_and_saveexec_b64 s[58:59], s[56:57]
	s_cbranch_execz .LBB12_1807
	s_branch .LBB12_1811
.LBB12_1810:                            ;   in Loop: Header=BB12_1808 Depth=3
	s_trap 2
	ds_read_b64 v[8:9], v0
	s_andn2_b64 s[56:57], s[56:57], exec
	s_mov_b32 s74, 0
	s_waitcnt vmcnt(0) lgkmcnt(0)
	flat_load_dword v2, v[8:9] sc0 sc1
	s_waitcnt vmcnt(0) lgkmcnt(0)
	buffer_inv sc0 sc1
	v_cmp_eq_u32_e32 vcc, 0, v2
	s_and_b64 s[58:59], vcc, exec
	s_or_b64 s[56:57], s[56:57], s[58:59]
	s_mov_b64 vcc, -1
	s_or_b64 s[46:47], s[46:47], exec
	s_and_saveexec_b64 s[58:59], s[56:57]
	s_cbranch_execz .LBB12_1807
.LBB12_1811:                            ;   in Loop: Header=BB12_1808 Depth=3
	s_sleep 1
	s_trap 2
	ds_read_b64 v[8:9], v0
	s_waitcnt lgkmcnt(0)
	s_andn2_b64 s[46:47], s[46:47], exec
	v_cmp_ge_u64_e32 vcc, v[8:9], v[48:49]
	s_orn2_b64 vcc, vcc, exec
	s_branch .LBB12_1807
.LBB12_1812:                            ;   in Loop: Header=BB12_1626 Depth=2
	s_or_b64 exec, exec, s[42:43]
	s_and_saveexec_b64 s[42:43], s[44:45]
	s_xor_b64 s[42:43], exec, s[42:43]
	s_cbranch_execz .LBB12_1814
; %bb.1813:                             ;   in Loop: Header=BB12_1626 Depth=2
	ds_write_b32 v0, v106
	s_trap 2
.LBB12_1814:                            ;   in Loop: Header=BB12_1626 Depth=2
	s_or_b64 exec, exec, s[40:41]
	;;#ASMSTART
	s_wakeup
	;;#ASMEND
.LBB12_1815:                            ;   in Loop: Header=BB12_1626 Depth=2
	s_or_b64 exec, exec, s[28:29]
.LBB12_1816:                            ;   in Loop: Header=BB12_1626 Depth=2
	s_andn2_saveexec_b64 s[26:27], s[26:27]
	s_cbranch_execz .LBB12_1818
; %bb.1817:                             ;   in Loop: Header=BB12_1626 Depth=2
	s_waitcnt lgkmcnt(0)
	s_barrier
.LBB12_1818:                            ;   in Loop: Header=BB12_1626 Depth=2
	s_or_b64 exec, exec, s[26:27]
	s_or_b64 exec, exec, s[24:25]
	s_and_saveexec_b64 s[24:25], s[20:21]
	s_xor_b64 s[24:25], exec, s[24:25]
	s_cbranch_execnz .LBB12_1698
.LBB12_1819:                            ;   in Loop: Header=BB12_1626 Depth=2
	s_andn2_saveexec_b64 s[22:23], s[24:25]
	s_cbranch_execz .LBB12_1838
.LBB12_1820:                            ;   in Loop: Header=BB12_1626 Depth=2
	s_and_saveexec_b64 s[24:25], s[76:77]
	s_xor_b64 s[24:25], exec, s[24:25]
	s_cbranch_execz .LBB12_1835
; %bb.1821:                             ;   in Loop: Header=BB12_1626 Depth=2
	s_and_saveexec_b64 s[26:27], s[12:13]
	s_cbranch_execz .LBB12_1834
; %bb.1822:                             ;   in Loop: Header=BB12_1626 Depth=2
	s_mov_b64 s[40:41], exec
	v_mbcnt_lo_u32_b32 v2, s40, 0
	v_mbcnt_hi_u32_b32 v2, s41, v2
	v_cmp_eq_u32_e32 vcc, 0, v2
	;;#ASMSTART
	s_waitcnt lgkmcnt(0) vmcnt(0)
	;;#ASMEND
	s_and_saveexec_b64 s[28:29], vcc
	s_cbranch_execz .LBB12_1824
; %bb.1823:                             ;   in Loop: Header=BB12_1626 Depth=2
	s_bcnt1_i32_b64 s40, s[40:41]
	v_mov_b32_e32 v2, s40
	s_waitcnt lgkmcnt(0)
	ds_add_u64 v0, v[2:3]
	s_trap 2
.LBB12_1824:                            ;   in Loop: Header=BB12_1626 Depth=2
	s_or_b64 exec, exec, s[28:29]
	s_trap 2
	ds_read_b64 v[8:9], v0
	s_waitcnt lgkmcnt(0)
	v_lshl_add_u64 v[48:49], v[48:49], 0, v[52:53]
	v_cmp_lt_u64_e32 vcc, v[8:9], v[48:49]
	s_and_saveexec_b64 s[28:29], vcc
	s_cbranch_execz .LBB12_1833
; %bb.1825:                             ;   in Loop: Header=BB12_1626 Depth=2
	s_mov_b32 s74, 0
	s_mov_b64 s[40:41], 0
                                        ; implicit-def: $sgpr42_sgpr43
                                        ; implicit-def: $sgpr44_sgpr45
	s_branch .LBB12_1827
.LBB12_1826:                            ;   in Loop: Header=BB12_1827 Depth=3
	s_or_b64 exec, exec, s[56:57]
	s_and_b64 s[46:47], exec, s[58:59]
	s_or_b64 s[40:41], s[46:47], s[40:41]
	s_andn2_b64 s[42:43], s[42:43], exec
	s_and_b64 s[46:47], s[44:45], exec
	s_or_b64 s[42:43], s[42:43], s[46:47]
	s_andn2_b64 exec, exec, s[40:41]
	s_cbranch_execz .LBB12_1831
.LBB12_1827:                            ;   Parent Loop BB12_47 Depth=1
                                        ;     Parent Loop BB12_1626 Depth=2
                                        ; =>    This Inner Loop Header: Depth=3
	s_add_i32 s74, s74, 1
	s_cmpk_lg_i32 s74, 0x2710
	s_cselect_b64 s[46:47], -1, 0
	s_and_b64 vcc, exec, s[46:47]
	s_cbranch_vccz .LBB12_1829
; %bb.1828:                             ;   in Loop: Header=BB12_1827 Depth=3
	s_mov_b64 s[58:59], -1
	s_or_b64 s[44:45], s[44:45], exec
	s_and_saveexec_b64 s[56:57], s[46:47]
	s_cbranch_execz .LBB12_1826
	s_branch .LBB12_1830
.LBB12_1829:                            ;   in Loop: Header=BB12_1827 Depth=3
	s_trap 2
	ds_read_b64 v[8:9], v0
	s_andn2_b64 s[46:47], s[46:47], exec
	s_mov_b32 s74, 0
	s_waitcnt vmcnt(0) lgkmcnt(0)
	flat_load_dword v2, v[8:9] sc0 sc1
	s_waitcnt vmcnt(0) lgkmcnt(0)
	buffer_inv sc0 sc1
	v_cmp_eq_u32_e32 vcc, 0, v2
	s_and_b64 s[56:57], vcc, exec
	s_or_b64 s[46:47], s[46:47], s[56:57]
	s_mov_b64 s[58:59], -1
	s_or_b64 s[44:45], s[44:45], exec
	s_and_saveexec_b64 s[56:57], s[46:47]
	s_cbranch_execz .LBB12_1826
.LBB12_1830:                            ;   in Loop: Header=BB12_1827 Depth=3
	s_sleep 1
	s_trap 2
	ds_read_b64 v[8:9], v0
	s_waitcnt lgkmcnt(0)
	s_andn2_b64 s[44:45], s[44:45], exec
	v_cmp_ge_u64_e32 vcc, v[8:9], v[48:49]
	s_orn2_b64 s[58:59], vcc, exec
	s_branch .LBB12_1826
.LBB12_1831:                            ;   in Loop: Header=BB12_1626 Depth=2
	s_or_b64 exec, exec, s[40:41]
	s_and_saveexec_b64 s[40:41], s[42:43]
	s_xor_b64 s[40:41], exec, s[40:41]
	s_cbranch_execz .LBB12_1833
; %bb.1832:                             ;   in Loop: Header=BB12_1626 Depth=2
	ds_write_b32 v0, v106
	s_trap 2
.LBB12_1833:                            ;   in Loop: Header=BB12_1626 Depth=2
	s_or_b64 exec, exec, s[28:29]
	;;#ASMSTART
	s_wakeup
	;;#ASMEND
.LBB12_1834:                            ;   in Loop: Header=BB12_1626 Depth=2
	s_or_b64 exec, exec, s[26:27]
.LBB12_1835:                            ;   in Loop: Header=BB12_1626 Depth=2
	s_andn2_saveexec_b64 s[24:25], s[24:25]
	s_cbranch_execz .LBB12_1837
; %bb.1836:                             ;   in Loop: Header=BB12_1626 Depth=2
	;;#ASMSTART
	s_waitcnt lgkmcnt(0) vmcnt(0)
	;;#ASMEND
	s_barrier
.LBB12_1837:                            ;   in Loop: Header=BB12_1626 Depth=2
	s_or_b64 exec, exec, s[24:25]
.LBB12_1838:                            ;   in Loop: Header=BB12_1626 Depth=2
	s_or_b64 exec, exec, s[22:23]
	v_and_b32_e32 v2, 32, v94
	v_cmp_ne_u32_e32 vcc, 0, v2
	s_and_saveexec_b64 s[22:23], vcc
	s_cbranch_execz .LBB12_1625
; %bb.1839:                             ;   in Loop: Header=BB12_1626 Depth=2
	v_lshl_add_u64 v[44:45], v[44:45], 0, 2
	flat_store_dwordx2 v[32:33], v[44:45] sc0 sc1
	s_branch .LBB12_1625
.LBB12_1840:                            ;   in Loop: Header=BB12_47 Depth=1
	s_or_b64 exec, exec, s[50:51]
.LBB12_1841:                            ;   in Loop: Header=BB12_47 Depth=1
	s_or_b64 exec, exec, s[60:61]
	v_cmp_gt_i32_e32 vcc, 2, v2
	s_mov_b64 s[24:25], exec
	scratch_load_dwordx4 v[22:25], off, s33 offset:264 ; 16-byte Folded Reload
	scratch_load_dwordx2 v[18:19], off, s33 offset:280 ; 8-byte Folded Reload
	s_and_b64 s[22:23], s[24:25], vcc
	s_mov_b64 exec, s[22:23]
	s_cbranch_execz .LBB12_46
; %bb.1842:                             ;   in Loop: Header=BB12_47 Depth=1
	v_cmp_eq_u32_e64 s[28:29], 0, v2
	s_mov_b64 s[26:27], 0
	s_branch .LBB12_1844
.LBB12_1843:                            ;   in Loop: Header=BB12_1844 Depth=2
	s_or_b64 exec, exec, s[22:23]
	v_add_u32_e32 v46, v75, v46
	s_mov_b64 s[28:29], 0
	s_andn2_b64 exec, exec, s[26:27]
	s_cbranch_execz .LBB12_45
.LBB12_1844:                            ;   Parent Loop BB12_47 Depth=1
                                        ; =>  This Loop Header: Depth=2
                                        ;       Child Loop BB12_1850 Depth 3
                                        ;       Child Loop BB12_1874 Depth 3
	;; [unrolled: 1-line block ×3, first 2 shown]
	v_and_b32_e32 v2, 4, v94
	v_cmp_ne_u32_e32 vcc, 0, v2
	s_and_saveexec_b64 s[40:41], vcc
	s_cbranch_execz .LBB12_1866
; %bb.1845:                             ;   in Loop: Header=BB12_1844 Depth=2
	v_lshl_add_u64 v[8:9], v[44:45], 0, 2
	s_waitcnt vmcnt(0) lgkmcnt(0)
	v_cmp_lt_u64_e32 vcc, v[38:39], v[8:9]
	s_and_saveexec_b64 s[42:43], vcc
	s_cbranch_execz .LBB12_1857
; %bb.1846:                             ;   in Loop: Header=BB12_1844 Depth=2
	v_and_b32_e32 v2, 64, v94
	s_mov_b32 s74, 0
	v_cmp_eq_u32_e32 vcc, 0, v2
	s_mov_b64 s[44:45], 0
                                        ; implicit-def: $sgpr46_sgpr47
                                        ; implicit-def: $sgpr56_sgpr57
                                        ; implicit-def: $sgpr58_sgpr59
	s_branch .LBB12_1850
.LBB12_1847:                            ;   in Loop: Header=BB12_1850 Depth=3
	s_waitcnt vmcnt(0) lgkmcnt(0)
	v_cmp_ge_u64_e64 s[22:23], v[38:39], v[8:9]
	s_or_b64 s[52:53], s[52:53], exec
	s_orn2_b64 s[50:51], s[22:23], exec
.LBB12_1848:                            ;   in Loop: Header=BB12_1850 Depth=3
	s_or_b64 exec, exec, s[64:65]
	s_andn2_b64 s[22:23], s[58:59], exec
	s_and_b64 s[58:59], s[52:53], exec
	s_or_b64 s[58:59], s[22:23], s[58:59]
	s_andn2_b64 s[22:23], s[56:57], exec
	s_and_b64 s[56:57], s[50:51], exec
	s_or_b64 s[56:57], s[22:23], s[56:57]
.LBB12_1849:                            ;   in Loop: Header=BB12_1850 Depth=3
	s_or_b64 exec, exec, s[60:61]
	s_and_b64 s[22:23], exec, s[56:57]
	s_or_b64 s[44:45], s[22:23], s[44:45]
	s_andn2_b64 s[22:23], s[46:47], exec
	s_and_b64 s[46:47], s[58:59], exec
	s_or_b64 s[46:47], s[22:23], s[46:47]
	s_andn2_b64 exec, exec, s[44:45]
	s_cbranch_execz .LBB12_1854
.LBB12_1850:                            ;   Parent Loop BB12_47 Depth=1
                                        ;     Parent Loop BB12_1844 Depth=2
                                        ; =>    This Inner Loop Header: Depth=3
	s_sleep 1
	s_waitcnt vmcnt(0) lgkmcnt(0)
	flat_load_dwordx2 v[38:39], v[32:33] sc0 sc1
	s_or_b64 s[58:59], s[58:59], exec
	s_or_b64 s[56:57], s[56:57], exec
                                        ; implicit-def: $vgpr2
	s_and_saveexec_b64 s[60:61], vcc
	s_cbranch_execz .LBB12_1849
; %bb.1851:                             ;   in Loop: Header=BB12_1850 Depth=3
	s_cmpk_lt_i32 s74, 0x270f
	s_cselect_b64 s[54:55], -1, 0
	s_cmpk_gt_i32 s74, 0x270e
	s_mov_b64 s[50:51], -1
	s_cbranch_scc0 .LBB12_1853
; %bb.1852:                             ;   in Loop: Header=BB12_1850 Depth=3
	s_trap 2
	ds_read_b64 v[10:11], v0
	s_andn2_b64 s[30:31], s[54:55], exec
	s_mov_b32 s74, 0
	s_mov_b64 s[52:53], 0
	s_waitcnt vmcnt(0) lgkmcnt(0)
	flat_load_dword v2, v[10:11] sc0 sc1
	s_waitcnt vmcnt(0) lgkmcnt(0)
	buffer_inv sc0 sc1
	v_cmp_eq_u32_e64 s[22:23], 0, v2
	s_and_b64 s[22:23], s[22:23], exec
	s_or_b64 s[54:55], s[30:31], s[22:23]
	s_and_saveexec_b64 s[64:65], s[54:55]
	s_cbranch_execz .LBB12_1848
	s_branch .LBB12_1847
.LBB12_1853:                            ;   in Loop: Header=BB12_1850 Depth=3
	s_add_i32 s74, s74, 1
	s_mov_b64 s[52:53], -1
                                        ; implicit-def: $vgpr2
	s_and_saveexec_b64 s[64:65], s[54:55]
	s_cbranch_execz .LBB12_1848
	s_branch .LBB12_1847
.LBB12_1854:                            ;   in Loop: Header=BB12_1844 Depth=2
	s_or_b64 exec, exec, s[44:45]
	s_xor_b64 s[22:23], s[46:47], -1
	s_and_saveexec_b64 s[44:45], s[22:23]
	s_xor_b64 s[22:23], exec, s[44:45]
	s_cbranch_execz .LBB12_1856
; %bb.1855:                             ;   in Loop: Header=BB12_1844 Depth=2
	v_or_b32_e32 v94, 64, v94
	s_waitcnt lgkmcnt(0)
	ds_write_b32 v0, v2
	s_trap 2
.LBB12_1856:                            ;   in Loop: Header=BB12_1844 Depth=2
	s_or_b64 exec, exec, s[22:23]
.LBB12_1857:                            ;   in Loop: Header=BB12_1844 Depth=2
	s_or_b64 exec, exec, s[42:43]
	v_and_b32_e32 v2, 0x100, v94
	v_cmp_ne_u32_e32 vcc, 0, v2
	v_and_b32_e32 v2, 7, v44
	s_mov_b64 s[22:23], -1
	;;#ASMSTART
	s_wakeup
	;;#ASMEND
                                        ; implicit-def: $vgpr10_vgpr11
	s_and_saveexec_b64 s[42:43], vcc
	s_cbranch_execz .LBB12_1861
; %bb.1858:                             ;   in Loop: Header=BB12_1844 Depth=2
	v_mad_u64_u32 v[12:13], s[22:23], v2, 24, v[6:7]
	flat_load_dword v4, v[12:13]
                                        ; implicit-def: $vgpr10_vgpr11
	s_waitcnt vmcnt(0) lgkmcnt(0)
	v_cmp_ne_u32_e32 vcc, 1, v4
	v_cmp_eq_u32_e64 s[22:23], 1, v4
	s_and_saveexec_b64 s[44:45], s[22:23]
	s_cbranch_execz .LBB12_1860
; %bb.1859:                             ;   in Loop: Header=BB12_1844 Depth=2
	flat_load_dword v10, v[12:13] offset:4 sc0 sc1
	s_waitcnt vmcnt(0) lgkmcnt(0)
	v_ashrrev_i32_e32 v11, 31, v10
	v_lshrrev_b64 v[10:11], 1, v[10:11]
.LBB12_1860:                            ;   in Loop: Header=BB12_1844 Depth=2
	s_or_b64 exec, exec, s[44:45]
	s_orn2_b64 s[22:23], vcc, exec
.LBB12_1861:                            ;   in Loop: Header=BB12_1844 Depth=2
	s_or_b64 exec, exec, s[42:43]
	s_and_saveexec_b64 s[42:43], s[22:23]
; %bb.1862:                             ;   in Loop: Header=BB12_1844 Depth=2
	v_mad_i64_i32 v[10:11], s[22:23], v2, v30, 0
; %bb.1863:                             ;   in Loop: Header=BB12_1844 Depth=2
	s_or_b64 exec, exec, s[42:43]
	v_and_b32_e32 v2, 0x2000, v94
	v_lshl_add_u64 v[10:11], v[10:11], 1, v[34:35]
	v_cmp_ne_u32_e32 vcc, 0, v2
	ds_write_b64 v0, v[10:11] offset:720
	s_and_saveexec_b64 s[22:23], vcc
	s_cbranch_execz .LBB12_1865
; %bb.1864:                             ;   in Loop: Header=BB12_1844 Depth=2
	ds_read_b64 v[10:11], v0 offset:872
	s_waitcnt lgkmcnt(0)
	v_lshl_add_u64 v[10:11], v[10:11], 0, 1
	ds_write_b64 v0, v[10:11] offset:872
.LBB12_1865:                            ;   in Loop: Header=BB12_1844 Depth=2
	s_or_b64 exec, exec, s[22:23]
	v_mov_b64_e32 v[44:45], v[8:9]
.LBB12_1866:                            ;   in Loop: Header=BB12_1844 Depth=2
	s_or_b64 exec, exec, s[40:41]
	s_xor_b64 s[22:23], s[28:29], -1
	s_and_b64 s[22:23], exec, s[22:23]
	s_or_b64 s[26:27], s[22:23], s[26:27]
	s_and_saveexec_b64 s[22:23], s[4:5]
	s_cbranch_execz .LBB12_1885
; %bb.1867:                             ;   in Loop: Header=BB12_1844 Depth=2
	s_and_saveexec_b64 s[28:29], s[76:77]
	s_xor_b64 s[28:29], exec, s[28:29]
	s_cbranch_execz .LBB12_1882
; %bb.1868:                             ;   in Loop: Header=BB12_1844 Depth=2
	s_and_saveexec_b64 s[40:41], s[12:13]
	s_cbranch_execz .LBB12_1881
; %bb.1869:                             ;   in Loop: Header=BB12_1844 Depth=2
	s_mov_b64 s[44:45], exec
	v_mbcnt_lo_u32_b32 v2, s44, 0
	v_mbcnt_hi_u32_b32 v2, s45, v2
	v_cmp_eq_u32_e32 vcc, 0, v2
	s_waitcnt lgkmcnt(0)
	s_and_saveexec_b64 s[42:43], vcc
	s_cbranch_execz .LBB12_1871
; %bb.1870:                             ;   in Loop: Header=BB12_1844 Depth=2
	s_bcnt1_i32_b64 s44, s[44:45]
	v_mov_b32_e32 v2, s44
	ds_add_u64 v0, v[2:3]
	s_trap 2
.LBB12_1871:                            ;   in Loop: Header=BB12_1844 Depth=2
	s_or_b64 exec, exec, s[42:43]
	s_trap 2
	ds_read_b64 v[8:9], v0
	s_waitcnt lgkmcnt(0)
	v_lshl_add_u64 v[48:49], v[48:49], 0, v[52:53]
	v_cmp_lt_u64_e32 vcc, v[8:9], v[48:49]
	s_and_saveexec_b64 s[42:43], vcc
	s_cbranch_execz .LBB12_1880
; %bb.1872:                             ;   in Loop: Header=BB12_1844 Depth=2
	s_mov_b32 s74, 0
	s_mov_b64 s[44:45], 0
                                        ; implicit-def: $sgpr46_sgpr47
                                        ; implicit-def: $sgpr56_sgpr57
	s_branch .LBB12_1874
.LBB12_1873:                            ;   in Loop: Header=BB12_1874 Depth=3
	s_or_b64 exec, exec, s[60:61]
	s_and_b64 s[58:59], exec, vcc
	s_or_b64 s[44:45], s[58:59], s[44:45]
	s_andn2_b64 s[46:47], s[46:47], exec
	s_and_b64 s[58:59], s[56:57], exec
	s_or_b64 s[46:47], s[46:47], s[58:59]
	s_andn2_b64 exec, exec, s[44:45]
	s_cbranch_execz .LBB12_1878
.LBB12_1874:                            ;   Parent Loop BB12_47 Depth=1
                                        ;     Parent Loop BB12_1844 Depth=2
                                        ; =>    This Inner Loop Header: Depth=3
	s_add_i32 s74, s74, 1
	s_cmpk_lg_i32 s74, 0x2710
	s_cselect_b64 s[58:59], -1, 0
	s_and_b64 vcc, exec, s[58:59]
	s_cbranch_vccz .LBB12_1876
; %bb.1875:                             ;   in Loop: Header=BB12_1874 Depth=3
	s_mov_b64 vcc, -1
	s_or_b64 s[56:57], s[56:57], exec
	s_and_saveexec_b64 s[60:61], s[58:59]
	s_cbranch_execz .LBB12_1873
	s_branch .LBB12_1877
.LBB12_1876:                            ;   in Loop: Header=BB12_1874 Depth=3
	s_trap 2
	ds_read_b64 v[8:9], v0
	s_andn2_b64 s[58:59], s[58:59], exec
	s_mov_b32 s74, 0
	s_waitcnt vmcnt(0) lgkmcnt(0)
	flat_load_dword v2, v[8:9] sc0 sc1
	s_waitcnt vmcnt(0) lgkmcnt(0)
	buffer_inv sc0 sc1
	v_cmp_eq_u32_e32 vcc, 0, v2
	s_and_b64 s[60:61], vcc, exec
	s_or_b64 s[58:59], s[58:59], s[60:61]
	s_mov_b64 vcc, -1
	s_or_b64 s[56:57], s[56:57], exec
	s_and_saveexec_b64 s[60:61], s[58:59]
	s_cbranch_execz .LBB12_1873
.LBB12_1877:                            ;   in Loop: Header=BB12_1874 Depth=3
	s_sleep 1
	s_trap 2
	ds_read_b64 v[8:9], v0
	s_waitcnt lgkmcnt(0)
	s_andn2_b64 s[56:57], s[56:57], exec
	v_cmp_ge_u64_e32 vcc, v[8:9], v[48:49]
	s_orn2_b64 vcc, vcc, exec
	s_branch .LBB12_1873
.LBB12_1878:                            ;   in Loop: Header=BB12_1844 Depth=2
	s_or_b64 exec, exec, s[44:45]
	s_and_saveexec_b64 s[44:45], s[46:47]
	s_xor_b64 s[44:45], exec, s[44:45]
	s_cbranch_execz .LBB12_1880
; %bb.1879:                             ;   in Loop: Header=BB12_1844 Depth=2
	ds_write_b32 v0, v106
	s_trap 2
.LBB12_1880:                            ;   in Loop: Header=BB12_1844 Depth=2
	s_or_b64 exec, exec, s[42:43]
	;;#ASMSTART
	s_wakeup
	;;#ASMEND
.LBB12_1881:                            ;   in Loop: Header=BB12_1844 Depth=2
	s_or_b64 exec, exec, s[40:41]
.LBB12_1882:                            ;   in Loop: Header=BB12_1844 Depth=2
	s_andn2_saveexec_b64 s[28:29], s[28:29]
	s_cbranch_execz .LBB12_1884
; %bb.1883:                             ;   in Loop: Header=BB12_1844 Depth=2
	s_waitcnt lgkmcnt(0)
	s_barrier
.LBB12_1884:                            ;   in Loop: Header=BB12_1844 Depth=2
	s_or_b64 exec, exec, s[28:29]
.LBB12_1885:                            ;   in Loop: Header=BB12_1844 Depth=2
	s_or_b64 exec, exec, s[22:23]
	v_sub_u32_e32 v2, v74, v46
	v_min_i32_e32 v75, v75, v2
	s_and_saveexec_b64 s[22:23], s[20:21]
	s_xor_b64 s[22:23], exec, s[22:23]
	s_cbranch_execz .LBB12_1889
; %bb.1886:                             ;   in Loop: Header=BB12_1844 Depth=2
	s_trap 2
	ds_read_b32 v2, v0
	v_cmp_lt_i32_e32 vcc, 0, v75
	v_and_b32_e32 v4, 16, v94
	s_waitcnt lgkmcnt(0)
	v_readfirstlane_b32 s28, v2
	s_cmp_eq_u32 s28, 0
	s_cselect_b64 s[28:29], -1, 0
	s_and_b64 s[28:29], vcc, s[28:29]
	v_cmp_ne_u32_e32 vcc, 0, v4
	s_and_b64 s[40:41], vcc, s[28:29]
	s_and_saveexec_b64 s[28:29], s[40:41]
	s_cbranch_execz .LBB12_1888
; %bb.1887:                             ;   in Loop: Header=BB12_1844 Depth=2
	buffer_wbl2 sc1
	s_waitcnt vmcnt(0)
	buffer_inv sc1
.LBB12_1888:                            ;   in Loop: Header=BB12_1844 Depth=2
	s_or_b64 exec, exec, s[28:29]
.LBB12_1889:                            ;   in Loop: Header=BB12_1844 Depth=2
	s_andn2_saveexec_b64 s[22:23], s[22:23]
	s_cbranch_execz .LBB12_1908
; %bb.1890:                             ;   in Loop: Header=BB12_1844 Depth=2
	s_and_saveexec_b64 s[28:29], s[76:77]
	s_xor_b64 s[28:29], exec, s[28:29]
	s_cbranch_execz .LBB12_1905
; %bb.1891:                             ;   in Loop: Header=BB12_1844 Depth=2
	s_and_saveexec_b64 s[40:41], s[12:13]
	s_cbranch_execz .LBB12_1904
; %bb.1892:                             ;   in Loop: Header=BB12_1844 Depth=2
	s_mov_b64 s[44:45], exec
	v_mbcnt_lo_u32_b32 v2, s44, 0
	v_mbcnt_hi_u32_b32 v2, s45, v2
	v_cmp_eq_u32_e32 vcc, 0, v2
	;;#ASMSTART
	s_waitcnt lgkmcnt(0) vmcnt(0)
	;;#ASMEND
	s_and_saveexec_b64 s[42:43], vcc
	s_cbranch_execz .LBB12_1894
; %bb.1893:                             ;   in Loop: Header=BB12_1844 Depth=2
	s_bcnt1_i32_b64 s44, s[44:45]
	v_mov_b32_e32 v2, s44
	s_waitcnt lgkmcnt(0)
	ds_add_u64 v0, v[2:3]
	s_trap 2
.LBB12_1894:                            ;   in Loop: Header=BB12_1844 Depth=2
	s_or_b64 exec, exec, s[42:43]
	s_trap 2
	ds_read_b64 v[8:9], v0
	s_waitcnt lgkmcnt(0)
	v_lshl_add_u64 v[48:49], v[48:49], 0, v[52:53]
	v_cmp_lt_u64_e32 vcc, v[8:9], v[48:49]
	s_and_saveexec_b64 s[42:43], vcc
	s_cbranch_execz .LBB12_1903
; %bb.1895:                             ;   in Loop: Header=BB12_1844 Depth=2
	s_mov_b32 s74, 0
	s_mov_b64 s[44:45], 0
                                        ; implicit-def: $sgpr46_sgpr47
                                        ; implicit-def: $sgpr56_sgpr57
	s_branch .LBB12_1897
.LBB12_1896:                            ;   in Loop: Header=BB12_1897 Depth=3
	s_or_b64 exec, exec, s[60:61]
	s_and_b64 s[58:59], exec, vcc
	s_or_b64 s[44:45], s[58:59], s[44:45]
	s_andn2_b64 s[46:47], s[46:47], exec
	s_and_b64 s[58:59], s[56:57], exec
	s_or_b64 s[46:47], s[46:47], s[58:59]
	s_andn2_b64 exec, exec, s[44:45]
	s_cbranch_execz .LBB12_1901
.LBB12_1897:                            ;   Parent Loop BB12_47 Depth=1
                                        ;     Parent Loop BB12_1844 Depth=2
                                        ; =>    This Inner Loop Header: Depth=3
	s_add_i32 s74, s74, 1
	s_cmpk_lg_i32 s74, 0x2710
	s_cselect_b64 s[58:59], -1, 0
	s_and_b64 vcc, exec, s[58:59]
	s_cbranch_vccz .LBB12_1899
; %bb.1898:                             ;   in Loop: Header=BB12_1897 Depth=3
	s_mov_b64 vcc, -1
	s_or_b64 s[56:57], s[56:57], exec
	s_and_saveexec_b64 s[60:61], s[58:59]
	s_cbranch_execz .LBB12_1896
	s_branch .LBB12_1900
.LBB12_1899:                            ;   in Loop: Header=BB12_1897 Depth=3
	s_trap 2
	ds_read_b64 v[8:9], v0
	s_andn2_b64 s[58:59], s[58:59], exec
	s_mov_b32 s74, 0
	s_waitcnt vmcnt(0) lgkmcnt(0)
	flat_load_dword v2, v[8:9] sc0 sc1
	s_waitcnt vmcnt(0) lgkmcnt(0)
	buffer_inv sc0 sc1
	v_cmp_eq_u32_e32 vcc, 0, v2
	s_and_b64 s[60:61], vcc, exec
	s_or_b64 s[58:59], s[58:59], s[60:61]
	s_mov_b64 vcc, -1
	s_or_b64 s[56:57], s[56:57], exec
	s_and_saveexec_b64 s[60:61], s[58:59]
	s_cbranch_execz .LBB12_1896
.LBB12_1900:                            ;   in Loop: Header=BB12_1897 Depth=3
	s_sleep 1
	s_trap 2
	ds_read_b64 v[8:9], v0
	s_waitcnt lgkmcnt(0)
	s_andn2_b64 s[56:57], s[56:57], exec
	v_cmp_ge_u64_e32 vcc, v[8:9], v[48:49]
	s_orn2_b64 vcc, vcc, exec
	s_branch .LBB12_1896
.LBB12_1901:                            ;   in Loop: Header=BB12_1844 Depth=2
	s_or_b64 exec, exec, s[44:45]
	s_and_saveexec_b64 s[44:45], s[46:47]
	s_xor_b64 s[44:45], exec, s[44:45]
	s_cbranch_execz .LBB12_1903
; %bb.1902:                             ;   in Loop: Header=BB12_1844 Depth=2
	ds_write_b32 v0, v106
	s_trap 2
.LBB12_1903:                            ;   in Loop: Header=BB12_1844 Depth=2
	s_or_b64 exec, exec, s[42:43]
	;;#ASMSTART
	s_wakeup
	;;#ASMEND
.LBB12_1904:                            ;   in Loop: Header=BB12_1844 Depth=2
	s_or_b64 exec, exec, s[40:41]
.LBB12_1905:                            ;   in Loop: Header=BB12_1844 Depth=2
	s_andn2_saveexec_b64 s[28:29], s[28:29]
	s_cbranch_execz .LBB12_1907
; %bb.1906:                             ;   in Loop: Header=BB12_1844 Depth=2
	;;#ASMSTART
	s_waitcnt lgkmcnt(0) vmcnt(0)
	;;#ASMEND
	s_barrier
.LBB12_1907:                            ;   in Loop: Header=BB12_1844 Depth=2
	s_or_b64 exec, exec, s[28:29]
.LBB12_1908:                            ;   in Loop: Header=BB12_1844 Depth=2
	s_or_b64 exec, exec, s[22:23]
	v_and_b32_e32 v2, 32, v94
	v_cmp_ne_u32_e32 vcc, 0, v2
	s_and_saveexec_b64 s[22:23], vcc
	s_cbranch_execz .LBB12_1843
; %bb.1909:                             ;   in Loop: Header=BB12_1844 Depth=2
	v_lshl_add_u64 v[44:45], v[44:45], 0, 2
	flat_store_dwordx2 v[32:33], v[44:45] sc0 sc1
	s_branch .LBB12_1843
.LBB12_1910:
	s_or_b64 exec, exec, s[94:95]
	scratch_load_dword v21, off, s33 offset:288 ; 4-byte Folded Reload
	scratch_load_dwordx2 v[24:25], off, s33 offset:292 ; 8-byte Folded Reload
	v_readlane_b32 s8, v126, 4
	v_readlane_b32 s9, v126, 5
.LBB12_1911:
	v_readlane_b32 s0, v126, 2
	v_readlane_b32 s1, v126, 3
	s_or_b64 exec, exec, s[0:1]
	v_and_b32_e32 v0, 0x800, v94
	v_cmp_eq_u32_e32 vcc, 0, v0
	s_and_saveexec_b64 s[2:3], vcc
	s_cbranch_execz .LBB12_1944
; %bb.1912:
	v_and_b32_e32 v0, 48, v94
	v_cmp_ne_u32_e32 vcc, 0, v0
	s_and_saveexec_b64 s[0:1], vcc
	s_cbranch_execz .LBB12_1914
; %bb.1913:
	s_waitcnt vmcnt(0)
	flat_store_dwordx2 v[24:25], v[44:45] offset:104
.LBB12_1914:
	s_or_b64 exec, exec, s[0:1]
	s_movk_i32 s0, 0x88
	v_and_b32_e32 v0, 0x88, v94
	v_cmp_eq_u32_e32 vcc, s0, v0
	s_and_saveexec_b64 s[4:5], vcc
	s_cbranch_execz .LBB12_1924
; %bb.1915:
	v_add_u32_e32 v0, 6, v44
	v_and_b32_e32 v0, 7, v0
	v_mad_u64_u32 v[2:3], s[0:1], v0, 24, v[6:7]
	flat_load_dwordx2 v[4:5], v[2:3] offset:8 sc0 sc1
	s_waitcnt vmcnt(0)
	v_and_b32_e32 v0, 64, v94
	v_cmp_eq_u32_e64 s[0:1], 0, v0
	s_mov_b32 s18, 0
	s_waitcnt lgkmcnt(0)
	v_cmp_ne_u64_e32 vcc, -1, v[4:5]
	s_and_b64 s[0:1], vcc, s[0:1]
	s_and_b64 exec, exec, s[0:1]
	s_cbranch_execz .LBB12_1924
; %bb.1916:
	s_mov_b64 s[0:1], 0
                                        ; implicit-def: $sgpr6_sgpr7
                                        ; implicit-def: $sgpr10_sgpr11
	s_branch .LBB12_1919
.LBB12_1917:                            ;   in Loop: Header=BB12_1919 Depth=1
	flat_load_dwordx2 v[4:5], v[2:3] offset:8 sc0 sc1
	s_waitcnt vmcnt(0)
	s_andn2_b64 s[10:11], s[10:11], exec
	s_waitcnt lgkmcnt(0)
	v_cmp_eq_u64_e32 vcc, -1, v[4:5]
	s_orn2_b64 s[14:15], vcc, exec
.LBB12_1918:                            ;   in Loop: Header=BB12_1919 Depth=1
	s_or_b64 exec, exec, s[16:17]
	s_and_b64 s[12:13], exec, s[14:15]
	s_or_b64 s[0:1], s[12:13], s[0:1]
	s_andn2_b64 s[6:7], s[6:7], exec
	s_and_b64 s[12:13], s[10:11], exec
	s_or_b64 s[6:7], s[6:7], s[12:13]
	s_andn2_b64 exec, exec, s[0:1]
	s_cbranch_execz .LBB12_1922
.LBB12_1919:                            ; =>This Inner Loop Header: Depth=1
	s_cmpk_lt_i32 s18, 0x270f
	s_cselect_b64 s[12:13], -1, 0
	s_and_b64 vcc, exec, s[12:13]
	s_cbranch_vccnz .LBB12_1921
; %bb.1920:                             ;   in Loop: Header=BB12_1919 Depth=1
	s_trap 2
	ds_read_b64 v[4:5], v0
	s_andn2_b64 s[12:13], s[12:13], exec
	s_mov_b32 s18, 0
	s_waitcnt lgkmcnt(0)
	flat_load_dword v0, v[4:5] sc0 sc1
	s_waitcnt vmcnt(0) lgkmcnt(0)
	buffer_inv sc0 sc1
	v_cmp_eq_u32_e32 vcc, 0, v0
	s_and_b64 s[14:15], vcc, exec
	s_or_b64 s[12:13], s[12:13], s[14:15]
	s_mov_b64 s[14:15], -1
	s_or_b64 s[10:11], s[10:11], exec
	s_and_saveexec_b64 s[16:17], s[12:13]
	s_cbranch_execz .LBB12_1918
	s_branch .LBB12_1917
.LBB12_1921:                            ;   in Loop: Header=BB12_1919 Depth=1
	s_add_i32 s18, s18, 1
                                        ; implicit-def: $vgpr0
	s_mov_b64 s[14:15], -1
	s_or_b64 s[10:11], s[10:11], exec
	s_and_saveexec_b64 s[16:17], s[12:13]
	s_cbranch_execz .LBB12_1918
	s_branch .LBB12_1917
.LBB12_1922:
	s_or_b64 exec, exec, s[0:1]
	s_and_saveexec_b64 s[0:1], s[6:7]
	s_xor_b64 s[0:1], exec, s[0:1]
	s_cbranch_execz .LBB12_1924
; %bb.1923:
	ds_write_b32 v0, v0
	s_trap 2
.LBB12_1924:
	s_or_b64 exec, exec, s[4:5]
	v_and_b32_e32 v0, 0x2000, v94
	v_cmp_ne_u32_e32 vcc, 0, v0
	s_and_saveexec_b64 s[0:1], vcc
	s_cbranch_execz .LBB12_1926
; %bb.1925:
	s_trap 2
	scratch_load_dwordx2 v[4:5], off, s33 offset:300 ; 8-byte Folded Reload
	ds_read_b64 v[2:3], v0
	s_waitcnt vmcnt(0) lgkmcnt(0)
	flat_store_dwordx2 v[4:5], v[2:3] offset:16
.LBB12_1926:
	s_or_b64 exec, exec, s[0:1]
	v_cmp_ne_u32_e32 vcc, 64, v1
	s_and_b64 exec, exec, vcc
	s_cbranch_execz .LBB12_1944
; %bb.1927:
	s_waitcnt vmcnt(0)
	v_cmp_ne_u32_sdwa s[0:1], v1, v21 src0_sel:DWORD src1_sel:WORD_0
	s_and_saveexec_b64 s[4:5], s[0:1]
	s_xor_b64 s[0:1], exec, s[4:5]
	s_cbranch_execz .LBB12_1942
; %bb.1928:
	v_and_b32_e32 v0, 63, v31
	v_cmp_eq_u32_e32 vcc, 0, v0
	s_and_saveexec_b64 s[4:5], vcc
	s_cbranch_execz .LBB12_1941
; %bb.1929:
	s_mov_b64 s[10:11], exec
	v_mbcnt_lo_u32_b32 v0, s10, 0
	v_mbcnt_hi_u32_b32 v0, s11, v0
	v_cmp_eq_u32_e32 vcc, 0, v0
	s_waitcnt lgkmcnt(0)
	s_and_saveexec_b64 s[6:7], vcc
	s_cbranch_execz .LBB12_1931
; %bb.1930:
	s_bcnt1_i32_b64 s10, s[10:11]
	v_mov_b32_e32 v2, s10
	v_mov_b32_e32 v3, 0
	ds_add_u64 v0, v[2:3]
	s_trap 2
.LBB12_1931:
	s_or_b64 exec, exec, s[6:7]
	s_trap 2
	ds_read_b64 v[2:3], v0
	s_waitcnt lgkmcnt(0)
	v_lshrrev_b32_e32 v0, 6, v1
	v_mov_b32_e32 v1, 0
	v_lshl_add_u64 v[0:1], v[48:49], 0, v[0:1]
	v_cmp_lt_u64_e32 vcc, v[2:3], v[0:1]
	s_and_saveexec_b64 s[6:7], vcc
	s_cbranch_execz .LBB12_1940
; %bb.1932:
	s_mov_b32 s22, 0
	s_mov_b64 s[10:11], 0
                                        ; implicit-def: $sgpr12_sgpr13
                                        ; implicit-def: $sgpr14_sgpr15
	s_branch .LBB12_1934
.LBB12_1933:                            ;   in Loop: Header=BB12_1934 Depth=1
	s_or_b64 exec, exec, s[18:19]
	s_and_b64 s[16:17], exec, s[20:21]
	s_or_b64 s[10:11], s[16:17], s[10:11]
	s_andn2_b64 s[12:13], s[12:13], exec
	s_and_b64 s[16:17], s[14:15], exec
	s_or_b64 s[12:13], s[12:13], s[16:17]
	s_andn2_b64 exec, exec, s[10:11]
	s_cbranch_execz .LBB12_1938
.LBB12_1934:                            ; =>This Inner Loop Header: Depth=1
	s_add_i32 s22, s22, 1
	s_cmpk_lg_i32 s22, 0x2710
	s_cselect_b64 s[16:17], -1, 0
	s_and_b64 vcc, exec, s[16:17]
	s_cbranch_vccz .LBB12_1936
; %bb.1935:                             ;   in Loop: Header=BB12_1934 Depth=1
	s_mov_b64 s[20:21], -1
	s_or_b64 s[14:15], s[14:15], exec
	s_and_saveexec_b64 s[18:19], s[16:17]
	s_cbranch_execz .LBB12_1933
	s_branch .LBB12_1937
.LBB12_1936:                            ;   in Loop: Header=BB12_1934 Depth=1
	s_trap 2
	ds_read_b64 v[2:3], v0
	s_andn2_b64 s[16:17], s[16:17], exec
	s_mov_b32 s22, 0
	s_waitcnt lgkmcnt(0)
	flat_load_dword v2, v[2:3] sc0 sc1
	s_waitcnt vmcnt(0) lgkmcnt(0)
	buffer_inv sc0 sc1
	v_cmp_eq_u32_e32 vcc, 0, v2
	s_and_b64 s[18:19], vcc, exec
	s_or_b64 s[16:17], s[16:17], s[18:19]
	s_mov_b64 s[20:21], -1
	s_or_b64 s[14:15], s[14:15], exec
	s_and_saveexec_b64 s[18:19], s[16:17]
	s_cbranch_execz .LBB12_1933
.LBB12_1937:                            ;   in Loop: Header=BB12_1934 Depth=1
	s_sleep 1
	s_trap 2
	ds_read_b64 v[2:3], v0
	s_waitcnt lgkmcnt(0)
	s_andn2_b64 s[14:15], s[14:15], exec
	v_cmp_ge_u64_e32 vcc, v[2:3], v[0:1]
	s_orn2_b64 s[20:21], vcc, exec
	s_branch .LBB12_1933
.LBB12_1938:
	s_or_b64 exec, exec, s[10:11]
	s_and_saveexec_b64 s[14:15], s[12:13]
	s_xor_b64 s[12:13], exec, s[14:15]
	s_cbranch_execz .LBB12_1940
; %bb.1939:
	v_mov_b32_e32 v0, 1
	ds_write_b32 v0, v0
	s_trap 2
.LBB12_1940:
	s_or_b64 exec, exec, s[6:7]
	;;#ASMSTART
	s_wakeup
	;;#ASMEND
.LBB12_1941:
	s_or_b64 exec, exec, s[4:5]
.LBB12_1942:
	s_andn2_saveexec_b64 s[0:1], s[0:1]
	s_cbranch_execz .LBB12_1944
; %bb.1943:
	s_waitcnt lgkmcnt(0)
	s_barrier
.LBB12_1944:
	s_or_b64 exec, exec, s[2:3]
.LBB12_1945:
	v_readlane_b32 s0, v126, 0
	v_readlane_b32 s1, v126, 1
	s_andn2_saveexec_b64 s[22:23], s[0:1]
	s_cbranch_execz .LBB12_1947
; %bb.1946:
	s_getpc_b64 s[0:1]
	s_add_u32 s0, s0, __PRETTY_FUNCTION__._ZN10PrimitivesI12hip_bfloat1610FuncMinMaxIS0_E12FanSymmetricILi1EELi0E11ProtoSimpleILi2ELi2ELi1ELi1ELi0ELi0EELi0ELb0ELi0ELi1ELi1EEC2EiiPKiS9_PKvPvmhhhP15ncclDevWorkCollP14ncclDevWorkP2pii@rel32@lo+4
	s_addc_u32 s1, s1, __PRETTY_FUNCTION__._ZN10PrimitivesI12hip_bfloat1610FuncMinMaxIS0_E12FanSymmetricILi1EELi0E11ProtoSimpleILi2ELi2ELi1ELi1ELi0ELi0EELi0ELb0ELi0ELi1ELi1EEC2EiiPKiS9_PKvPvmhhhP15ncclDevWorkCollP14ncclDevWorkP2pii@rel32@hi+12
	s_getpc_b64 s[2:3]
	s_add_u32 s2, s2, __assert_fail@rel32@lo+4
	s_addc_u32 s3, s3, __assert_fail@rel32@hi+12
	v_mov_b32_e32 v0, s0
	v_mov_b32_e32 v1, s1
	s_swappc_b64 s[30:31], s[2:3]
	; divergent unreachable
.LBB12_1947:
	s_or_b64 exec, exec, s[22:23]
	scratch_load_dword v125, off, s33       ; 4-byte Folded Reload
	scratch_load_dword v124, off, s33 offset:4 ; 4-byte Folded Reload
	scratch_load_dword v123, off, s33 offset:8 ; 4-byte Folded Reload
	scratch_load_dword v122, off, s33 offset:12 ; 4-byte Folded Reload
	scratch_load_dword v121, off, s33 offset:16 ; 4-byte Folded Reload
	scratch_load_dword v120, off, s33 offset:20 ; 4-byte Folded Reload
	scratch_load_dword v111, off, s33 offset:24 ; 4-byte Folded Reload
	scratch_load_dword v110, off, s33 offset:28 ; 4-byte Folded Reload
	scratch_load_dword v109, off, s33 offset:32 ; 4-byte Folded Reload
	scratch_load_dword v108, off, s33 offset:36 ; 4-byte Folded Reload
	scratch_load_dword v107, off, s33 offset:40 ; 4-byte Folded Reload
	scratch_load_dword v106, off, s33 offset:44 ; 4-byte Folded Reload
	scratch_load_dword v105, off, s33 offset:48 ; 4-byte Folded Reload
	scratch_load_dword v104, off, s33 offset:52 ; 4-byte Folded Reload
	scratch_load_dword v95, off, s33 offset:56 ; 4-byte Folded Reload
	scratch_load_dword v94, off, s33 offset:60 ; 4-byte Folded Reload
	scratch_load_dword v93, off, s33 offset:64 ; 4-byte Folded Reload
	scratch_load_dword v92, off, s33 offset:68 ; 4-byte Folded Reload
	scratch_load_dword v91, off, s33 offset:72 ; 4-byte Folded Reload
	scratch_load_dword v90, off, s33 offset:76 ; 4-byte Folded Reload
	scratch_load_dword v89, off, s33 offset:80 ; 4-byte Folded Reload
	scratch_load_dword v88, off, s33 offset:84 ; 4-byte Folded Reload
	scratch_load_dword v79, off, s33 offset:88 ; 4-byte Folded Reload
	scratch_load_dword v78, off, s33 offset:92 ; 4-byte Folded Reload
	scratch_load_dword v77, off, s33 offset:96 ; 4-byte Folded Reload
	scratch_load_dword v76, off, s33 offset:100 ; 4-byte Folded Reload
	scratch_load_dword v75, off, s33 offset:104 ; 4-byte Folded Reload
	scratch_load_dword v74, off, s33 offset:108 ; 4-byte Folded Reload
	scratch_load_dword v73, off, s33 offset:112 ; 4-byte Folded Reload
	scratch_load_dword v72, off, s33 offset:116 ; 4-byte Folded Reload
	scratch_load_dword v63, off, s33 offset:120 ; 4-byte Folded Reload
	scratch_load_dword v62, off, s33 offset:124 ; 4-byte Folded Reload
	scratch_load_dword v61, off, s33 offset:128 ; 4-byte Folded Reload
	scratch_load_dword v60, off, s33 offset:132 ; 4-byte Folded Reload
	scratch_load_dword v59, off, s33 offset:136 ; 4-byte Folded Reload
	scratch_load_dword v58, off, s33 offset:140 ; 4-byte Folded Reload
	scratch_load_dword v57, off, s33 offset:144 ; 4-byte Folded Reload
	scratch_load_dword v56, off, s33 offset:148 ; 4-byte Folded Reload
	scratch_load_dword v47, off, s33 offset:152 ; 4-byte Folded Reload
	scratch_load_dword v46, off, s33 offset:156 ; 4-byte Folded Reload
	scratch_load_dword v45, off, s33 offset:160 ; 4-byte Folded Reload
	scratch_load_dword v44, off, s33 offset:164 ; 4-byte Folded Reload
	scratch_load_dword v43, off, s33 offset:168 ; 4-byte Folded Reload
	scratch_load_dword v42, off, s33 offset:172 ; 4-byte Folded Reload
	scratch_load_dword v41, off, s33 offset:176 ; 4-byte Folded Reload
	scratch_load_dword v40, off, s33 offset:180 ; 4-byte Folded Reload
	v_readlane_b32 s30, v127, 34
	v_readlane_b32 s31, v127, 35
	;; [unrolled: 1-line block ×36, first 2 shown]
	s_mov_b32 s32, s33
	v_readlane_b32 s0, v127, 36
	s_or_saveexec_b64 s[2:3], -1
	scratch_load_dword v127, off, s33 offset:308 ; 4-byte Folded Reload
	scratch_load_dword v126, off, s33 offset:312 ; 4-byte Folded Reload
	s_mov_b64 exec, s[2:3]
	s_mov_b32 s33, s0
	s_waitcnt vmcnt(0) lgkmcnt(0)
	s_setpc_b64 s[30:31]
.Lfunc_end12:
	.size	_ZN12_GLOBAL__N_17runRingI12hip_bfloat1610FuncMinMaxIS1_E11ProtoSimpleILi2ELi2ELi1ELi1ELi0ELi0EELi0ELi1ELi1ELi1EEEviiP15ncclDevWorkColl, .Lfunc_end12-_ZN12_GLOBAL__N_17runRingI12hip_bfloat1610FuncMinMaxIS1_E11ProtoSimpleILi2ELi2ELi1ELi1ELi0ELi0EELi0ELi1ELi1ELi1EEEviiP15ncclDevWorkColl
                                        ; -- End function
	.set .L_ZN12_GLOBAL__N_17runRingI12hip_bfloat1610FuncMinMaxIS1_E11ProtoSimpleILi2ELi2ELi1ELi1ELi0ELi0EELi0ELi1ELi1ELi1EEEviiP15ncclDevWorkColl.num_vgpr, max(128, .L__assert_fail.num_vgpr)
	.set .L_ZN12_GLOBAL__N_17runRingI12hip_bfloat1610FuncMinMaxIS1_E11ProtoSimpleILi2ELi2ELi1ELi1ELi0ELi0EELi0ELi1ELi1ELi1EEEviiP15ncclDevWorkColl.num_agpr, max(0, .L__assert_fail.num_agpr)
	.set .L_ZN12_GLOBAL__N_17runRingI12hip_bfloat1610FuncMinMaxIS1_E11ProtoSimpleILi2ELi2ELi1ELi1ELi0ELi0EELi0ELi1ELi1ELi1EEEviiP15ncclDevWorkColl.numbered_sgpr, max(100, .L__assert_fail.numbered_sgpr)
	.set .L_ZN12_GLOBAL__N_17runRingI12hip_bfloat1610FuncMinMaxIS1_E11ProtoSimpleILi2ELi2ELi1ELi1ELi0ELi0EELi0ELi1ELi1ELi1EEEviiP15ncclDevWorkColl.num_named_barrier, max(0, .L__assert_fail.num_named_barrier)
	.set .L_ZN12_GLOBAL__N_17runRingI12hip_bfloat1610FuncMinMaxIS1_E11ProtoSimpleILi2ELi2ELi1ELi1ELi0ELi0EELi0ELi1ELi1ELi1EEEviiP15ncclDevWorkColl.private_seg_size, 320+max(.L__assert_fail.private_seg_size)
	.set .L_ZN12_GLOBAL__N_17runRingI12hip_bfloat1610FuncMinMaxIS1_E11ProtoSimpleILi2ELi2ELi1ELi1ELi0ELi0EELi0ELi1ELi1ELi1EEEviiP15ncclDevWorkColl.uses_vcc, or(1, .L__assert_fail.uses_vcc)
	.set .L_ZN12_GLOBAL__N_17runRingI12hip_bfloat1610FuncMinMaxIS1_E11ProtoSimpleILi2ELi2ELi1ELi1ELi0ELi0EELi0ELi1ELi1ELi1EEEviiP15ncclDevWorkColl.uses_flat_scratch, or(0, .L__assert_fail.uses_flat_scratch)
	.set .L_ZN12_GLOBAL__N_17runRingI12hip_bfloat1610FuncMinMaxIS1_E11ProtoSimpleILi2ELi2ELi1ELi1ELi0ELi0EELi0ELi1ELi1ELi1EEEviiP15ncclDevWorkColl.has_dyn_sized_stack, or(0, .L__assert_fail.has_dyn_sized_stack)
	.set .L_ZN12_GLOBAL__N_17runRingI12hip_bfloat1610FuncMinMaxIS1_E11ProtoSimpleILi2ELi2ELi1ELi1ELi0ELi0EELi0ELi1ELi1ELi1EEEviiP15ncclDevWorkColl.has_recursion, or(1, .L__assert_fail.has_recursion)
	.set .L_ZN12_GLOBAL__N_17runRingI12hip_bfloat1610FuncMinMaxIS1_E11ProtoSimpleILi2ELi2ELi1ELi1ELi0ELi0EELi0ELi1ELi1ELi1EEEviiP15ncclDevWorkColl.has_indirect_call, or(0, .L__assert_fail.has_indirect_call)
	.section	.AMDGPU.csdata,"",@progbits
; Function info:
; codeLenInByte = 65116
; TotalNumSgprs: 106
; NumVgprs: 128
; NumAgprs: 0
; TotalNumVgprs: 128
; ScratchSize: 384
; MemoryBound: 1
	.text
	.p2align	2                               ; -- Begin function _Z51ncclDevFunc_AllReduce_RING_SIMPLE_MinMax_bf16_1_1_1v
	.type	_Z51ncclDevFunc_AllReduce_RING_SIMPLE_MinMax_bf16_1_1_1v,@function
_Z51ncclDevFunc_AllReduce_RING_SIMPLE_MinMax_bf16_1_1_1v: ; @_Z51ncclDevFunc_AllReduce_RING_SIMPLE_MinMax_bf16_1_1_1v
; %bb.0:
	s_waitcnt vmcnt(0) expcnt(0) lgkmcnt(0)
	s_mov_b32 s0, s33
	s_mov_b32 s33, s32
	s_or_saveexec_b64 s[2:3], -1
	scratch_store_dword off, v44, s33 offset:24 ; 4-byte Folded Spill
	scratch_store_dword off, v45, s33 offset:28 ; 4-byte Folded Spill
	s_mov_b64 exec, s[2:3]
	v_writelane_b32 v45, s0, 38
	v_writelane_b32 v45, s100, 36
	;; [unrolled: 1-line block ×3, first 2 shown]
	s_add_i32 s32, s32, 48
	scratch_store_dword off, v40, s33 offset:16 ; 4-byte Folded Spill
	scratch_store_dword off, v41, s33 offset:12 ; 4-byte Folded Spill
	scratch_store_dword off, v42, s33 offset:8 ; 4-byte Folded Spill
	scratch_store_dword off, v43, s33 offset:4 ; 4-byte Folded Spill
	scratch_store_dword off, v126, s33      ; 4-byte Folded Spill
	v_writelane_b32 v45, s34, 0
	v_writelane_b32 v45, s35, 1
	;; [unrolled: 1-line block ×35, first 2 shown]
	s_nop 1
	v_writelane_b32 v45, s31, 35
	s_trap 2
	ds_read_b32 v0, v0
	v_mov_b32_e32 v40, v31
                                        ; implicit-def: $vgpr44 : SGPR spill to VGPR lane
	v_and_b32_e32 v41, 0x3ff, v40
	v_writelane_b32 v44, s12, 0
	v_writelane_b32 v44, s8, 1
	s_waitcnt lgkmcnt(0)
	v_cmp_lt_i32_e32 vcc, v41, v0
	v_writelane_b32 v44, s9, 2
	s_and_saveexec_b64 s[0:1], vcc
	s_cbranch_execz .LBB13_5
; %bb.1:
	v_readlane_b32 s4, v44, 1
	v_readlane_b32 s5, v44, 2
	s_load_dword s2, s[4:5], 0x0
	v_readlane_b32 s3, v44, 0
	v_mov_b32_e32 v1, 0
	s_mov_b32 s6, 0
	v_mov_b32_e32 v4, v41
	s_waitcnt lgkmcnt(0)
	s_cmp_lt_u32 s3, s2
	s_cselect_b32 s2, 12, 18
	s_add_u32 s2, s4, s2
	s_addc_u32 s3, s5, 0
	global_load_ushort v1, v1, s[2:3]
	s_trap 2
	ds_read_b32 v3, v0
	s_mov_b64 s[2:3], 0
                                        ; implicit-def: $vgpr2
	s_waitcnt vmcnt(0) lgkmcnt(0)
	v_mul_lo_u32 v3, v3, v1
	s_branch .LBB13_3
.LBB13_2:                               ;   in Loop: Header=BB13_3 Depth=1
	s_or_b64 exec, exec, s[4:5]
	v_add_u32_e32 v4, v4, v1
	v_cmp_ge_i32_e32 vcc, v4, v0
	s_or_b64 s[2:3], vcc, s[2:3]
	v_add_u32_e32 v2, v2, v3
	s_andn2_b64 exec, exec, s[2:3]
	s_cbranch_execz .LBB13_5
.LBB13_3:                               ; =>This Inner Loop Header: Depth=1
	ds_read_b32 v5, v2
	s_waitcnt lgkmcnt(0)
	v_and_b32_e32 v5, 0x1000000, v5
	v_cmp_ne_u32_e32 vcc, 0, v5
	s_and_saveexec_b64 s[4:5], vcc
	s_cbranch_execz .LBB13_2
; %bb.4:                                ;   in Loop: Header=BB13_3 Depth=1
	ds_read_b64 v[6:7], v2 offset:104
	s_waitcnt lgkmcnt(0)
	flat_load_ushort v5, v[6:7]
	v_mov_b32_e32 v7, s6
	s_waitcnt vmcnt(0) lgkmcnt(0)
	v_and_b32_e32 v6, 0xffff, v5
	ds_write_b64 v2, v[6:7] offset:104
	s_branch .LBB13_2
.LBB13_5:
	s_or_b64 exec, exec, s[0:1]
	s_waitcnt lgkmcnt(0)
	s_barrier
	s_trap 2
	ds_read_b32 v0, v0
	s_waitcnt lgkmcnt(0)
	v_cmp_gt_i32_e32 vcc, 1, v0
	s_cbranch_vccnz .LBB13_16
; %bb.6:
	s_mov_b32 s2, 0
	v_mov_b32_e32 v43, 6
	s_branch .LBB13_8
.LBB13_7:                               ;   in Loop: Header=BB13_8 Depth=1
	s_or_b64 exec, exec, s[4:5]
	s_trap 2
	ds_read_b32 v0, v0
	s_add_i32 s2, s2, 1
	s_waitcnt lgkmcnt(0)
	v_cmp_lt_i32_e32 vcc, s2, v0
	s_cbranch_vccz .LBB13_16
.LBB13_8:                               ; =>This Inner Loop Header: Depth=1
	s_trap 2
	ds_read_b32 v0, v0
	s_cmp_eq_u32 s2, 0
	s_cbranch_scc1 .LBB13_11
; %bb.9:                                ;   in Loop: Header=BB13_8 Depth=1
	s_trap 2
	s_waitcnt lgkmcnt(0)
	ds_read_b32 v1, v0
	s_waitcnt lgkmcnt(0)
	v_xor_b32_e32 v1, v1, v0
	v_and_b32_e32 v1, 0xff0000, v1
	v_cmp_eq_u32_e32 vcc, 0, v1
	s_cbranch_vccnz .LBB13_11
; %bb.10:                               ;   in Loop: Header=BB13_8 Depth=1
	s_barrier
	ds_read_b32 v0, v0
.LBB13_11:                              ;   in Loop: Header=BB13_8 Depth=1
	s_waitcnt lgkmcnt(0)
	v_lshlrev_b32_sdwa v42, v43, v0 dst_sel:DWORD dst_unused:UNUSED_PAD src0_sel:DWORD src1_sel:BYTE_2
	v_cmp_lt_u32_e32 vcc, v41, v42
	s_and_saveexec_b64 s[4:5], vcc
	s_cbranch_execz .LBB13_7
; %bb.12:                               ;   in Loop: Header=BB13_8 Depth=1
	v_cmp_lt_i32_e32 vcc, -1, v0
	v_writelane_b32 v44, s2, 3
	s_mov_b64 s[6:7], src_shared_base
	s_mov_b64 s[0:1], -1
	v_writelane_b32 v44, s4, 4
	s_nop 1
	v_writelane_b32 v44, s5, 5
	s_cbranch_vccnz .LBB13_14
; %bb.13:                               ;   in Loop: Header=BB13_8 Depth=1
	v_readlane_b32 s8, v44, 1
	v_readlane_b32 s9, v44, 2
	;; [unrolled: 1-line block ×3, first 2 shown]
	v_mov_b32_e32 v3, s7
	v_writelane_b32 v44, s6, 6
	s_getpc_b64 s[0:1]
	s_add_u32 s0, s0, _ZN12_GLOBAL__N_17runRingI12hip_bfloat1610FuncMinMaxIS1_E11ProtoSimpleILi1ELi4ELi1ELi1ELi0ELi0EELi0ELi1ELi1ELi1EEEviiP15ncclDevWorkColl@rel32@lo+4
	s_addc_u32 s1, s1, _ZN12_GLOBAL__N_17runRingI12hip_bfloat1610FuncMinMaxIS1_E11ProtoSimpleILi1ELi4ELi1ELi1ELi0ELi0EELi0ELi1ELi1ELi1EEEviiP15ncclDevWorkColl@rel32@hi+12
	v_mov_b32_e32 v31, v40
	v_mov_b32_e32 v0, v41
	;; [unrolled: 1-line block ×3, first 2 shown]
	v_writelane_b32 v44, s7, 7
	s_or_saveexec_b64 s[100:101], -1
	scratch_store_dword off, v44, s33 offset:20 ; 4-byte Folded Spill
	s_mov_b64 exec, s[100:101]
	s_swappc_b64 s[30:31], s[0:1]
	s_or_saveexec_b64 s[100:101], -1
	scratch_load_dword v44, off, s33 offset:20 ; 4-byte Folded Reload
	s_mov_b64 exec, s[100:101]
	s_waitcnt vmcnt(0)
	v_readlane_b32 s6, v44, 6
	v_readlane_b32 s4, v44, 4
	;; [unrolled: 1-line block ×5, first 2 shown]
	s_mov_b64 s[0:1], 0
.LBB13_14:                              ;   in Loop: Header=BB13_8 Depth=1
	s_andn2_b64 vcc, exec, s[0:1]
	s_cbranch_vccnz .LBB13_7
; %bb.15:                               ;   in Loop: Header=BB13_8 Depth=1
	v_readlane_b32 s8, v44, 1
	s_getpc_b64 s[0:1]
	s_add_u32 s0, s0, _ZN12_GLOBAL__N_17runRingI12hip_bfloat1610FuncMinMaxIS1_E11ProtoSimpleILi2ELi2ELi1ELi1ELi0ELi0EELi0ELi1ELi1ELi1EEEviiP15ncclDevWorkColl@rel32@lo+4
	s_addc_u32 s1, s1, _ZN12_GLOBAL__N_17runRingI12hip_bfloat1610FuncMinMaxIS1_E11ProtoSimpleILi2ELi2ELi1ELi1ELi0ELi0EELi0ELi1ELi1ELi1EEEviiP15ncclDevWorkColl@rel32@hi+12
	v_readlane_b32 s9, v44, 2
	v_readlane_b32 s12, v44, 0
	v_mov_b32_e32 v31, v40
	v_mov_b32_e32 v0, v41
	;; [unrolled: 1-line block ×4, first 2 shown]
	s_or_saveexec_b64 s[100:101], -1
	scratch_store_dword off, v44, s33 offset:20 ; 4-byte Folded Spill
	s_mov_b64 exec, s[100:101]
	s_swappc_b64 s[30:31], s[0:1]
	s_or_saveexec_b64 s[100:101], -1
	scratch_load_dword v44, off, s33 offset:20 ; 4-byte Folded Reload
	s_mov_b64 exec, s[100:101]
	s_waitcnt vmcnt(0)
	v_readlane_b32 s4, v44, 4
	v_readlane_b32 s5, v44, 5
	;; [unrolled: 1-line block ×3, first 2 shown]
	s_branch .LBB13_7
.LBB13_16:
	scratch_load_dword v126, off, s33       ; 4-byte Folded Reload
	scratch_load_dword v43, off, s33 offset:4 ; 4-byte Folded Reload
	scratch_load_dword v42, off, s33 offset:8 ; 4-byte Folded Reload
	;; [unrolled: 1-line block ×4, first 2 shown]
	v_readlane_b32 s30, v45, 34
	v_readlane_b32 s31, v45, 35
	;; [unrolled: 1-line block ×36, first 2 shown]
	s_mov_b32 s32, s33
	v_readlane_b32 s0, v45, 38
	v_readlane_b32 s100, v45, 36
	;; [unrolled: 1-line block ×3, first 2 shown]
	s_or_saveexec_b64 s[2:3], -1
	scratch_load_dword v44, off, s33 offset:24 ; 4-byte Folded Reload
	scratch_load_dword v45, off, s33 offset:28 ; 4-byte Folded Reload
	s_mov_b64 exec, s[2:3]
	s_mov_b32 s33, s0
	s_waitcnt vmcnt(0)
	s_setpc_b64 s[30:31]
.Lfunc_end13:
	.size	_Z51ncclDevFunc_AllReduce_RING_SIMPLE_MinMax_bf16_1_1_1v, .Lfunc_end13-_Z51ncclDevFunc_AllReduce_RING_SIMPLE_MinMax_bf16_1_1_1v
                                        ; -- End function
	.set .L_Z51ncclDevFunc_AllReduce_RING_SIMPLE_MinMax_bf16_1_1_1v.num_vgpr, max(127, .L_ZN12_GLOBAL__N_17runRingI12hip_bfloat1610FuncMinMaxIS1_E11ProtoSimpleILi1ELi4ELi1ELi1ELi0ELi0EELi0ELi1ELi1ELi1EEEviiP15ncclDevWorkColl.num_vgpr, .L_ZN12_GLOBAL__N_17runRingI12hip_bfloat1610FuncMinMaxIS1_E11ProtoSimpleILi2ELi2ELi1ELi1ELi0ELi0EELi0ELi1ELi1ELi1EEEviiP15ncclDevWorkColl.num_vgpr)
	.set .L_Z51ncclDevFunc_AllReduce_RING_SIMPLE_MinMax_bf16_1_1_1v.num_agpr, max(0, .L_ZN12_GLOBAL__N_17runRingI12hip_bfloat1610FuncMinMaxIS1_E11ProtoSimpleILi1ELi4ELi1ELi1ELi0ELi0EELi0ELi1ELi1ELi1EEEviiP15ncclDevWorkColl.num_agpr, .L_ZN12_GLOBAL__N_17runRingI12hip_bfloat1610FuncMinMaxIS1_E11ProtoSimpleILi2ELi2ELi1ELi1ELi0ELi0EELi0ELi1ELi1ELi1EEEviiP15ncclDevWorkColl.num_agpr)
	.set .L_Z51ncclDevFunc_AllReduce_RING_SIMPLE_MinMax_bf16_1_1_1v.numbered_sgpr, max(102, .L_ZN12_GLOBAL__N_17runRingI12hip_bfloat1610FuncMinMaxIS1_E11ProtoSimpleILi1ELi4ELi1ELi1ELi0ELi0EELi0ELi1ELi1ELi1EEEviiP15ncclDevWorkColl.numbered_sgpr, .L_ZN12_GLOBAL__N_17runRingI12hip_bfloat1610FuncMinMaxIS1_E11ProtoSimpleILi2ELi2ELi1ELi1ELi0ELi0EELi0ELi1ELi1ELi1EEEviiP15ncclDevWorkColl.numbered_sgpr)
	.set .L_Z51ncclDevFunc_AllReduce_RING_SIMPLE_MinMax_bf16_1_1_1v.num_named_barrier, max(0, .L_ZN12_GLOBAL__N_17runRingI12hip_bfloat1610FuncMinMaxIS1_E11ProtoSimpleILi1ELi4ELi1ELi1ELi0ELi0EELi0ELi1ELi1ELi1EEEviiP15ncclDevWorkColl.num_named_barrier, .L_ZN12_GLOBAL__N_17runRingI12hip_bfloat1610FuncMinMaxIS1_E11ProtoSimpleILi2ELi2ELi1ELi1ELi0ELi0EELi0ELi1ELi1ELi1EEEviiP15ncclDevWorkColl.num_named_barrier)
	.set .L_Z51ncclDevFunc_AllReduce_RING_SIMPLE_MinMax_bf16_1_1_1v.private_seg_size, 48+max(.L_ZN12_GLOBAL__N_17runRingI12hip_bfloat1610FuncMinMaxIS1_E11ProtoSimpleILi1ELi4ELi1ELi1ELi0ELi0EELi0ELi1ELi1ELi1EEEviiP15ncclDevWorkColl.private_seg_size, .L_ZN12_GLOBAL__N_17runRingI12hip_bfloat1610FuncMinMaxIS1_E11ProtoSimpleILi2ELi2ELi1ELi1ELi0ELi0EELi0ELi1ELi1ELi1EEEviiP15ncclDevWorkColl.private_seg_size)
	.set .L_Z51ncclDevFunc_AllReduce_RING_SIMPLE_MinMax_bf16_1_1_1v.uses_vcc, or(1, .L_ZN12_GLOBAL__N_17runRingI12hip_bfloat1610FuncMinMaxIS1_E11ProtoSimpleILi1ELi4ELi1ELi1ELi0ELi0EELi0ELi1ELi1ELi1EEEviiP15ncclDevWorkColl.uses_vcc, .L_ZN12_GLOBAL__N_17runRingI12hip_bfloat1610FuncMinMaxIS1_E11ProtoSimpleILi2ELi2ELi1ELi1ELi0ELi0EELi0ELi1ELi1ELi1EEEviiP15ncclDevWorkColl.uses_vcc)
	.set .L_Z51ncclDevFunc_AllReduce_RING_SIMPLE_MinMax_bf16_1_1_1v.uses_flat_scratch, or(0, .L_ZN12_GLOBAL__N_17runRingI12hip_bfloat1610FuncMinMaxIS1_E11ProtoSimpleILi1ELi4ELi1ELi1ELi0ELi0EELi0ELi1ELi1ELi1EEEviiP15ncclDevWorkColl.uses_flat_scratch, .L_ZN12_GLOBAL__N_17runRingI12hip_bfloat1610FuncMinMaxIS1_E11ProtoSimpleILi2ELi2ELi1ELi1ELi0ELi0EELi0ELi1ELi1ELi1EEEviiP15ncclDevWorkColl.uses_flat_scratch)
	.set .L_Z51ncclDevFunc_AllReduce_RING_SIMPLE_MinMax_bf16_1_1_1v.has_dyn_sized_stack, or(0, .L_ZN12_GLOBAL__N_17runRingI12hip_bfloat1610FuncMinMaxIS1_E11ProtoSimpleILi1ELi4ELi1ELi1ELi0ELi0EELi0ELi1ELi1ELi1EEEviiP15ncclDevWorkColl.has_dyn_sized_stack, .L_ZN12_GLOBAL__N_17runRingI12hip_bfloat1610FuncMinMaxIS1_E11ProtoSimpleILi2ELi2ELi1ELi1ELi0ELi0EELi0ELi1ELi1ELi1EEEviiP15ncclDevWorkColl.has_dyn_sized_stack)
	.set .L_Z51ncclDevFunc_AllReduce_RING_SIMPLE_MinMax_bf16_1_1_1v.has_recursion, or(1, .L_ZN12_GLOBAL__N_17runRingI12hip_bfloat1610FuncMinMaxIS1_E11ProtoSimpleILi1ELi4ELi1ELi1ELi0ELi0EELi0ELi1ELi1ELi1EEEviiP15ncclDevWorkColl.has_recursion, .L_ZN12_GLOBAL__N_17runRingI12hip_bfloat1610FuncMinMaxIS1_E11ProtoSimpleILi2ELi2ELi1ELi1ELi0ELi0EELi0ELi1ELi1ELi1EEEviiP15ncclDevWorkColl.has_recursion)
	.set .L_Z51ncclDevFunc_AllReduce_RING_SIMPLE_MinMax_bf16_1_1_1v.has_indirect_call, or(0, .L_ZN12_GLOBAL__N_17runRingI12hip_bfloat1610FuncMinMaxIS1_E11ProtoSimpleILi1ELi4ELi1ELi1ELi0ELi0EELi0ELi1ELi1ELi1EEEviiP15ncclDevWorkColl.has_indirect_call, .L_ZN12_GLOBAL__N_17runRingI12hip_bfloat1610FuncMinMaxIS1_E11ProtoSimpleILi2ELi2ELi1ELi1ELi0ELi0EELi0ELi1ELi1ELi1EEEviiP15ncclDevWorkColl.has_indirect_call)
	.section	.AMDGPU.csdata,"",@progbits
; Function info:
; codeLenInByte = 1580
; TotalNumSgprs: 108
; NumVgprs: 128
; NumAgprs: 0
; TotalNumVgprs: 128
; ScratchSize: 432
; MemoryBound: 0
	.text
	.p2align	2                               ; -- Begin function _ZN12_GLOBAL__N_17runRingI12hip_bfloat1610FuncMinMaxIS1_E11ProtoSimpleILi1ELi4ELi0ELi2ELi0ELi0EELi0ELi0ELi2ELi0EEEviiP15ncclDevWorkColl
	.type	_ZN12_GLOBAL__N_17runRingI12hip_bfloat1610FuncMinMaxIS1_E11ProtoSimpleILi1ELi4ELi0ELi2ELi0ELi0EELi0ELi0ELi2ELi0EEEviiP15ncclDevWorkColl,@function
_ZN12_GLOBAL__N_17runRingI12hip_bfloat1610FuncMinMaxIS1_E11ProtoSimpleILi1ELi4ELi0ELi2ELi0ELi0EELi0ELi0ELi2ELi0EEEviiP15ncclDevWorkColl: ; @_ZN12_GLOBAL__N_17runRingI12hip_bfloat1610FuncMinMaxIS1_E11ProtoSimpleILi1ELi4ELi0ELi2ELi0ELi0EELi0ELi0ELi2ELi0EEEviiP15ncclDevWorkColl
; %bb.0:
	s_waitcnt vmcnt(0) expcnt(0) lgkmcnt(0)
	s_mov_b32 s0, s33
	s_mov_b32 s33, s32
	s_or_saveexec_b64 s[2:3], -1
	scratch_store_dword off, v104, s33 offset:128 ; 4-byte Folded Spill
	s_mov_b64 exec, s[2:3]
	v_writelane_b32 v104, s0, 29
	s_addk_i32 s32, 0x90
	scratch_store_dword off, v40, s33 offset:124 ; 4-byte Folded Spill
	scratch_store_dword off, v41, s33 offset:120 ; 4-byte Folded Spill
	;; [unrolled: 1-line block ×31, first 2 shown]
	scratch_store_dword off, v95, s33       ; 4-byte Folded Spill
	v_writelane_b32 v104, s34, 0
	v_writelane_b32 v104, s35, 1
	;; [unrolled: 1-line block ×28, first 2 shown]
	s_nop 1
	v_writelane_b32 v104, s31, 28
	s_trap 2
	flat_load_dword v9, v[2:3]
	ds_read_b32 v6, v0
                                        ; implicit-def: $vgpr14_vgpr15
                                        ; implicit-def: $vgpr24_vgpr25
                                        ; implicit-def: $vgpr4_vgpr5
	s_waitcnt lgkmcnt(0)
	v_readfirstlane_b32 s54, v6
	s_waitcnt vmcnt(0)
	v_cmp_ne_u32_sdwa s[0:1], v6, v9 src0_sel:DWORD src1_sel:BYTE_0
	s_and_saveexec_b64 s[2:3], s[0:1]
	s_xor_b64 s[0:1], exec, s[2:3]
	s_cbranch_execz .LBB14_6
; %bb.1:
	v_not_b32_sdwa v8, v9 dst_sel:DWORD dst_unused:UNUSED_PAD src0_sel:BYTE_0
	v_cmp_ne_u32_sdwa s[2:3], v6, v9 src0_sel:DWORD src1_sel:BYTE_1
                                        ; implicit-def: $vgpr14_vgpr15
                                        ; implicit-def: $vgpr24_vgpr25
                                        ; implicit-def: $vgpr4_vgpr5
	s_and_saveexec_b64 s[4:5], s[2:3]
	s_xor_b64 s[2:3], exec, s[4:5]
	s_cbranch_execz .LBB14_3
; %bb.2:
	flat_load_dwordx4 v[10:13], v[2:3] offset:72
	flat_load_dwordx2 v[4:5], v[2:3] offset:96
	v_add_u32_e32 v6, v6, v8
	v_ashrrev_i32_e32 v7, 31, v6
                                        ; implicit-def: $vgpr9
                                        ; implicit-def: $vgpr8
	s_waitcnt vmcnt(0) lgkmcnt(0)
	v_mul_lo_u32 v7, v12, v7
	v_mad_u64_u32 v[24:25], s[4:5], v12, v6, v[10:11]
	v_mul_lo_u32 v6, v13, v6
	v_lshrrev_b64 v[14:15], 13, v[4:5]
	v_add3_u32 v25, v6, v25, v7
	v_mov_b64_e32 v[4:5], v[12:13]
.LBB14_3:
	s_andn2_saveexec_b64 s[2:3], s[2:3]
	s_cbranch_execz .LBB14_5
; %bb.4:
	flat_load_dwordx4 v[10:13], v[2:3] offset:72
	flat_load_dwordx4 v[4:7], v[2:3] offset:88
	s_waitcnt vmcnt(0) lgkmcnt(0)
	v_add_u32_sdwa v6, v9, v8 dst_sel:DWORD dst_unused:UNUSED_PAD src0_sel:BYTE_1 src1_sel:DWORD
	v_ashrrev_i32_e32 v8, 31, v6
	v_mul_lo_u32 v8, v12, v8
	v_mad_u64_u32 v[24:25], s[4:5], v12, v6, v[10:11]
	v_mul_lo_u32 v6, v13, v6
	v_add3_u32 v25, v6, v25, v8
	v_lshrrev_b32_e32 v14, 2, v7
.LBB14_5:
	s_or_b64 exec, exec, s[2:3]
.LBB14_6:
	s_andn2_saveexec_b64 s[0:1], s[0:1]
	s_cbranch_execz .LBB14_8
; %bb.7:
	flat_load_dwordx2 v[6:7], v[2:3] offset:96
	flat_load_dwordx2 v[4:5], v[2:3] offset:72
	v_mov_b64_e32 v[24:25], 0
	s_waitcnt vmcnt(0) lgkmcnt(0)
	v_lshlrev_b64 v[14:15], 8, v[6:7]
.LBB14_8:
	s_or_b64 exec, exec, s[0:1]
	s_trap 2
	ds_read_b64 v[6:7], v0
	s_waitcnt lgkmcnt(0)
	v_cmp_ne_u32_e32 vcc, -1, v6
	s_nop 1
	v_cndmask_b32_e64 v15, 0, 1, vcc
	v_cmp_ne_u32_e32 vcc, -1, v7
	s_nop 1
	v_addc_co_u32_e64 v8, s[0:1], 0, v15, vcc
	v_lshlrev_b32_e32 v6, 1, v8
	v_cmp_le_u32_e64 s[0:1], v6, v1
	s_and_saveexec_b64 s[2:3], s[0:1]
	s_xor_b64 s[44:45], exec, s[2:3]
	s_cbranch_execz .LBB14_1616
; %bb.9:
	flat_load_dwordx4 v[10:13], v[2:3] offset:16
	flat_load_dwordx2 v[16:17], v[2:3] offset:104
	flat_load_ushort v7, v[2:3] offset:8
	flat_load_dword v6, v[2:3] offset:4
	s_trap 2
	s_load_dword s0, s[8:9], 0x0
	v_mov_b32_e32 v9, 0
	v_mov_b32_e32 v62, 4
	s_waitcnt lgkmcnt(0)
	s_cmp_lt_u32 s12, s0
	s_cselect_b32 s0, 12, 18
	s_add_u32 s0, s8, s0
	s_addc_u32 s1, s9, 0
	global_load_ushort v50, v9, s[0:1]
	ds_read_b32 v9, v0
	v_cmp_ge_u32_e64 s[0:1], v0, v15
	s_waitcnt lgkmcnt(0)
	v_readfirstlane_b32 s22, v9
	s_and_saveexec_b64 s[2:3], s[0:1]
	s_cbranch_execz .LBB14_19
; %bb.10:
	v_cmp_ge_u32_e64 s[0:1], v0, v8
                                        ; implicit-def: $vgpr62
	s_and_saveexec_b64 s[4:5], s[0:1]
	s_xor_b64 s[0:1], exec, s[4:5]
	s_cbranch_execz .LBB14_16
; %bb.11:
	v_cndmask_b32_e64 v9, 0, 1, vcc
	v_sub_u32_e32 v9, v1, v9
	v_cmp_ge_u32_e32 vcc, v0, v9
	s_and_saveexec_b64 s[4:5], vcc
	s_xor_b64 s[4:5], exec, s[4:5]
; %bb.12:
                                        ; implicit-def: $vgpr8
; %bb.13:
	s_or_saveexec_b64 s[4:5], s[4:5]
	v_mov_b32_e32 v62, 16
	s_xor_b64 exec, exec, s[4:5]
; %bb.14:
	v_sub_u32_e32 v8, v1, v8
	v_cmp_lt_i32_e32 vcc, v0, v8
	s_nop 1
	v_cndmask_b32_e64 v62, 32, 0, vcc
; %bb.15:
	s_or_b64 exec, exec, s[4:5]
.LBB14_16:
	s_andn2_saveexec_b64 s[0:1], s[0:1]
; %bb.17:
	v_mov_b32_e32 v62, 8
; %bb.18:
	s_or_b64 exec, exec, s[0:1]
.LBB14_19:
	s_or_b64 exec, exec, s[2:3]
	v_and_b32_e32 v8, 36, v62
	v_cmp_ne_u32_e32 vcc, 0, v8
	v_mov_b32_e32 v8, -1
	s_and_saveexec_b64 s[0:1], vcc
	s_cbranch_execz .LBB14_21
; %bb.20:
	s_trap 2
	ds_read_b32 v8, v0
.LBB14_21:
	s_or_b64 exec, exec, s[0:1]
	v_and_b32_e32 v9, 24, v62
	v_cmp_ne_u32_e64 s[0:1], 0, v9
	s_and_saveexec_b64 s[2:3], s[0:1]
	s_cbranch_execz .LBB14_23
; %bb.22:
	s_trap 2
	s_waitcnt lgkmcnt(0)
	ds_read_b32 v8, v0
.LBB14_23:
	s_or_b64 exec, exec, s[2:3]
	s_waitcnt vmcnt(0)
	v_lshrrev_b64 v[6:7], 31, v[6:7]
	v_and_b32_e32 v20, 3, v6
	v_mov_b64_e32 v[28:29], 0
	s_waitcnt lgkmcnt(0)
	v_ashrrev_i32_e32 v9, 31, v8
	v_mov_b64_e32 v[6:7], 0
                                        ; implicit-def: $vgpr26_vgpr27
                                        ; implicit-def: $vgpr30
                                        ; implicit-def: $vgpr112_vgpr113
                                        ; implicit-def: $vgpr34_vgpr35
                                        ; implicit-def: $vgpr48_vgpr49
                                        ; implicit-def: $vgpr32_vgpr33
	s_and_saveexec_b64 s[0:1], vcc
	s_cbranch_execz .LBB14_33
; %bb.24:
	s_trap 2
	ds_read_b64 v[6:7], v0
	v_and_b32_e32 v18, 0xffff, v20
	s_movk_i32 s2, 0xa8
                                        ; implicit-def: $vgpr26_vgpr27
	s_waitcnt lgkmcnt(0)
	v_lshl_add_u64 v[6:7], v[8:9], 3, v[6:7]
	flat_load_dwordx2 v[6:7], v[6:7]
	s_waitcnt vmcnt(0) lgkmcnt(0)
	v_mad_u64_u32 v[18:19], s[2:3], v18, s2, v[6:7]
	flat_load_dword v6, v[18:19] offset:640
	s_waitcnt vmcnt(0) lgkmcnt(0)
	v_cmp_eq_u32_e32 vcc, 1, v6
	s_and_saveexec_b64 s[2:3], vcc
	s_cbranch_execz .LBB14_26
; %bb.25:
	flat_load_dwordx2 v[26:27], v[18:19] offset:648
	v_or_b32_e32 v62, 0x2000, v62
	s_waitcnt vmcnt(0) lgkmcnt(0)
	flat_load_dwordx2 v[6:7], v[26:27]
	s_trap 2
	s_waitcnt vmcnt(0) lgkmcnt(0)
	ds_write_b64 v0, v[6:7]
	flat_load_dwordx2 v[6:7], v[26:27] offset:8
	s_waitcnt vmcnt(0) lgkmcnt(0)
	ds_write_b64 v0, v[6:7]
	flat_load_dwordx2 v[6:7], v[26:27] offset:16
	s_waitcnt vmcnt(0) lgkmcnt(0)
	ds_write_b64 v0, v[6:7]
.LBB14_26:
	s_or_b64 exec, exec, s[2:3]
	flat_load_dwordx2 v[6:7], v[18:19] offset:608
	v_and_b32_e32 v21, 32, v62
	v_cmp_ne_u32_e32 vcc, 0, v21
                                        ; implicit-def: $vgpr32_vgpr33
	s_waitcnt vmcnt(0) lgkmcnt(0)
	v_lshl_add_u64 v[112:113], v[6:7], 0, 3
	v_and_b32_e32 v112, -4, v112
	s_and_saveexec_b64 s[2:3], vcc
	s_cbranch_execz .LBB14_28
; %bb.27:
	flat_load_dwordx2 v[32:33], v[18:19] offset:560
	s_waitcnt vmcnt(0) lgkmcnt(0)
	flat_store_dwordx2 v[32:33], v[112:113] sc0 sc1
.LBB14_28:
	s_or_b64 exec, exec, s[2:3]
	s_mov_b64 s[2:3], 0x1f8
	v_and_b32_e32 v6, 4, v62
	v_lshl_add_u64 v[28:29], v[18:19], 0, s[2:3]
	v_cmp_ne_u32_e32 vcc, 0, v6
	v_mov_b64_e32 v[6:7], 0
                                        ; implicit-def: $vgpr30
                                        ; implicit-def: $vgpr34_vgpr35
                                        ; implicit-def: $vgpr48_vgpr49
	s_and_saveexec_b64 s[2:3], vcc
	s_cbranch_execz .LBB14_32
; %bb.29:
	v_and_b32_e32 v6, 0x800, v62
	v_cmp_eq_u32_e32 vcc, 0, v6
	s_and_saveexec_b64 s[4:5], vcc
	s_cbranch_execz .LBB14_31
; %bb.30:
	s_trap 2
	ds_write_b64 v0, v[28:29]
.LBB14_31:
	s_or_b64 exec, exec, s[4:5]
	flat_load_dwordx2 v[32:33], v[18:19] offset:552
	s_waitcnt vmcnt(0) lgkmcnt(0)
	flat_load_dwordx2 v[48:49], v[32:33] sc0 sc1
	flat_load_dword v21, v[18:19] offset:576
	flat_load_dwordx2 v[6:7], v[18:19] offset:600
	flat_load_dwordx2 v[34:35], v[18:19] offset:520
	v_or_b32_e32 v18, 0x100, v62
	s_waitcnt vmcnt(0) lgkmcnt(0)
	v_ashrrev_i32_e32 v30, 1, v21
	v_cmp_eq_u64_e32 vcc, 0, v[6:7]
	s_nop 1
	v_cndmask_b32_e32 v62, v18, v62, vcc
.LBB14_32:
	s_or_b64 exec, exec, s[2:3]
.LBB14_33:
	s_or_b64 exec, exec, s[0:1]
	v_and_b32_e32 v18, 24, v62
	v_cmp_ne_u32_e32 vcc, 0, v18
                                        ; implicit-def: $vgpr36_vgpr37
	s_and_saveexec_b64 s[0:1], vcc
	s_cbranch_execz .LBB14_41
; %bb.34:
	s_trap 2
	ds_read_b64 v[6:7], v0
	s_movk_i32 s2, 0xa8
	v_or_b32_e32 v18, 0x100, v62
                                        ; implicit-def: $vgpr36_vgpr37
	s_waitcnt lgkmcnt(0)
	v_lshl_add_u64 v[6:7], v[8:9], 3, v[6:7]
	flat_load_dwordx2 v[6:7], v[6:7]
	v_and_b32_e32 v8, 0xffff, v20
	s_waitcnt vmcnt(0) lgkmcnt(0)
	v_mad_u64_u32 v[28:29], s[2:3], v8, s2, v[6:7]
	flat_load_dwordx4 v[6:9], v[28:29] offset:96
	s_waitcnt vmcnt(0) lgkmcnt(0)
	v_cmp_eq_u64_e32 vcc, 0, v[6:7]
	s_nop 1
	v_cndmask_b32_e32 v62, v18, v62, vcc
	v_and_b32_e32 v18, 16, v62
	v_cmp_ne_u32_e32 vcc, 0, v18
	s_and_saveexec_b64 s[2:3], vcc
	s_cbranch_execz .LBB14_36
; %bb.35:
	flat_load_dwordx2 v[32:33], v[28:29] offset:48
	flat_load_dwordx2 v[36:37], v[28:29] offset:120
	;; [unrolled: 1-line block ×3, first 2 shown]
.LBB14_36:
	s_or_b64 exec, exec, s[2:3]
	v_lshl_add_u64 v[112:113], v[8:9], 0, 3
	v_and_b32_e32 v8, 8, v62
	v_and_b32_e32 v112, -4, v112
	v_cmp_ne_u32_e32 vcc, 0, v8
	s_and_saveexec_b64 s[2:3], vcc
	s_cbranch_execz .LBB14_40
; %bb.37:
	v_and_b32_e32 v8, 0x800, v62
	v_cmp_eq_u32_e32 vcc, 0, v8
	s_and_saveexec_b64 s[4:5], vcc
	s_cbranch_execz .LBB14_39
; %bb.38:
	s_trap 2
	ds_write_b64 v0, v[28:29]
.LBB14_39:
	s_or_b64 exec, exec, s[4:5]
	s_waitcnt vmcnt(0) lgkmcnt(0)
	flat_load_dwordx2 v[32:33], v[28:29] offset:56
	s_waitcnt vmcnt(0) lgkmcnt(0)
	flat_load_dwordx2 v[48:49], v[32:33] sc0 sc1
	flat_load_dword v8, v[28:29] offset:72
	flat_load_dwordx2 v[34:35], v[28:29] offset:16
	s_waitcnt vmcnt(0) lgkmcnt(0)
	v_ashrrev_i32_e32 v30, 1, v8
.LBB14_40:
	s_or_b64 exec, exec, s[2:3]
.LBB14_41:
	s_or_b64 exec, exec, s[0:1]
	v_cmp_eq_u32_e64 s[0:1], 0, v0
	s_and_saveexec_b64 s[2:3], s[0:1]
	s_cbranch_execz .LBB14_43
; %bb.42:
	flat_load_dwordx2 v[8:9], v[2:3] offset:32
	ds_write2_b64 v0, v[12:13], v[10:11] offset1:1
	s_trap 2
	s_waitcnt vmcnt(0) lgkmcnt(0)
	ds_write_b64 v0, v[8:9]
	ds_write_b64 v0, v[16:17]
.LBB14_43:
	s_or_b64 exec, exec, s[2:3]
	v_mov_b64_e32 v[38:39], 0
	v_cmp_lt_i64_e32 vcc, 0, v[4:5]
	s_trap 2
	s_and_saveexec_b64 s[46:47], vcc
	s_cbranch_execz .LBB14_1582
; %bb.44:
	flat_load_dword v8, v[2:3] offset:4
	s_ashr_i32 s16, s22, 31
	s_lshr_b32 s23, s16, 29
	s_add_i32 s22, s22, s23
	s_ashr_i32 s55, s54, 31
	s_ashr_i32 s23, s22, 4
	s_add_u32 s76, s54, -1
	s_addc_u32 s77, s55, -1
	s_add_i32 s69, s54, s54
	s_not_b32 s24, s54
	s_cmp_gt_i32 s54, 0
	s_cselect_b32 s24, s24, -1
	s_ashr_i32 s22, s22, 31
	s_lshr_b32 s22, s22, 29
	s_add_i32 s70, s24, s69
	s_add_i32 s23, s23, s22
	s_ashr_i32 s71, s70, 31
	s_ashr_i32 s80, s23, 3
	s_cmp_gt_i32 s54, 2
	v_lshrrev_b32_e32 v52, 6, v1
	v_lshlrev_b32_e32 v10, 1, v1
	s_cselect_b64 s[78:79], -1, 0
	s_add_i32 s24, s54, 1
	v_and_b32_e32 v2, 0x1fffff00, v14
	v_lshlrev_b32_e32 v68, 10, v52
	v_and_b32_e32 v70, 0x7f80, v10
	v_and_b32_e32 v9, 63, v31
	;; [unrolled: 1-line block ×3, first 2 shown]
	v_mad_i64_i32 v[64:65], s[14:15], v2, s54, 0
	v_add_u32_e32 v86, 0xfffffc00, v68
	v_add_u32_e32 v96, 0xffffff80, v70
	v_mov_b32_e32 v3, 0
	v_lshrrev_b32_e32 v72, 6, v0
	s_mov_b64 s[62:63], 0x400
	s_mov_b64 s[72:73], 0x80
	v_cmp_eq_u32_e64 s[14:15], 0, v9
	v_lshlrev_b32_e32 v9, 4, v63
	v_ashrrev_i32_e32 v87, 31, v86
	v_ashrrev_i32_e32 v97, 31, v96
	s_mov_b32 s57, 0
	v_cmp_ge_u32_e64 s[2:3], v0, v1
	v_ashrrev_i32_e32 v51, 31, v30
	v_cmp_eq_u32_e64 s[4:5], 64, v1
	v_cmp_ne_u32_e64 s[6:7], 64, v1
	v_cmp_ne_u32_sdwa s[58:59], v1, v50 src0_sel:DWORD src1_sel:WORD_0
	s_mov_b64 s[60:61], 0
	s_waitcnt vmcnt(0) lgkmcnt(0)
	v_cmp_eq_u64_e64 s[10:11], 0, v[36:37]
	v_cmp_ne_u64_e64 s[12:13], 0, v[36:37]
	s_movk_i32 s64, 0xff80
	v_mov_b64_e32 v[54:55], 0
	v_mov_b64_e32 v[38:39], 0
	v_mov_b32_e32 v73, 1
	s_movk_i32 s65, 0x108
	s_mov_b32 s66, 0x7f800000
	s_movk_i32 s67, 0x7fff
	s_mov_b32 s68, 0xffff0000
	s_mov_b64 s[74:75], 0x380
	v_mov_b32_e32 v53, v3
	v_cmp_eq_u32_e64 s[16:17], 0, v63
	v_cmp_lt_u32_e64 s[18:19], v63, v15
	v_lshlrev_b32_e32 v66, 12, v52
	v_mov_b32_e32 v67, v3
	v_mov_b32_e32 v69, v3
	;; [unrolled: 1-line block ×3, first 2 shown]
	v_cmp_le_u32_e64 s[20:21], v63, v15
	v_mov_b32_e32 v81, v3
	v_lshlrev_b32_e32 v82, 11, v52
	v_mov_b32_e32 v83, v3
	v_mov_b32_e32 v85, v3
	;; [unrolled: 1-line block ×3, first 2 shown]
	v_lshl_or_b32 v80, v72, 11, v9
	v_lshl_or_b32 v84, v72, 12, v9
	v_lshl_add_u64 v[98:99], v[86:87], 0, s[62:63]
	v_lshl_add_u64 v[100:101], v[96:97], 0, s[72:73]
	v_mov_b32_e32 v95, v3
	v_mov_b32_e32 v74, 0xc8
	;; [unrolled: 1-line block ×5, first 2 shown]
	v_and_b32_e32 v8, 1, v8
	v_cmp_eq_u32_e64 s[22:23], 1, v8
	s_xor_b64 s[88:89], s[22:23], -1
	s_cmp_ge_i32 s24, s54
	s_cselect_b32 s25, s54, 0
	s_sub_i32 s82, s24, s25
	s_add_i32 s81, s54, -2
	s_ashr_i32 s83, s82, 31
	v_mov_b64_e32 v[102:103], v[2:3]
	s_trap 2
	s_branch .LBB14_47
.LBB14_45:                              ;   in Loop: Header=BB14_47 Depth=1
	s_or_b64 exec, exec, s[24:25]
.LBB14_46:                              ;   in Loop: Header=BB14_47 Depth=1
	s_or_b64 exec, exec, s[28:29]
	v_lshl_add_u64 v[54:55], v[54:55], 0, v[64:65]
	v_cmp_ge_i64_e32 vcc, v[54:55], v[4:5]
	s_or_b64 s[60:61], vcc, s[60:61]
	s_andn2_b64 exec, exec, s[60:61]
	s_cbranch_execz .LBB14_1581
.LBB14_47:                              ; =>This Loop Header: Depth=1
                                        ;     Child Loop BB14_62 Depth 2
                                        ;     Child Loop BB14_86 Depth 2
	;; [unrolled: 1-line block ×13, first 2 shown]
                                        ;       Child Loop BB14_274 Depth 3
                                        ;       Child Loop BB14_302 Depth 3
                                        ;       Child Loop BB14_321 Depth 3
                                        ;       Child Loop BB14_348 Depth 3
                                        ;       Child Loop BB14_417 Depth 3
                                        ;       Child Loop BB14_455 Depth 3
                                        ;       Child Loop BB14_492 Depth 3
                                        ;       Child Loop BB14_504 Depth 3
                                        ;       Child Loop BB14_523 Depth 3
                                        ;       Child Loop BB14_546 Depth 3
                                        ;       Child Loop BB14_586 Depth 3
                                        ;       Child Loop BB14_559 Depth 3
                                        ;     Child Loop BB14_625 Depth 2
                                        ;     Child Loop BB14_665 Depth 2
	;; [unrolled: 1-line block ×9, first 2 shown]
                                        ;       Child Loop BB14_873 Depth 3
                                        ;     Child Loop BB14_881 Depth 2
                                        ;     Child Loop BB14_917 Depth 2
                                        ;       Child Loop BB14_922 Depth 3
                                        ;     Child Loop BB14_1090 Depth 2
                                        ;     Child Loop BB14_1109 Depth 2
	;; [unrolled: 1-line block ×6, first 2 shown]
                                        ;       Child Loop BB14_1140 Depth 3
                                        ;       Child Loop BB14_1180 Depth 3
	;; [unrolled: 1-line block ×9, first 2 shown]
                                        ;         Child Loop BB14_1280 Depth 4
                                        ;       Child Loop BB14_1287 Depth 3
                                        ;       Child Loop BB14_1292 Depth 3
                                        ;         Child Loop BB14_1293 Depth 4
                                        ;       Child Loop BB14_1329 Depth 3
                                        ;       Child Loop BB14_1360 Depth 3
	;; [unrolled: 1-line block ×5, first 2 shown]
                                        ;     Child Loop BB14_1387 Depth 2
                                        ;     Child Loop BB14_1411 Depth 2
                                        ;     Child Loop BB14_1430 Depth 2
                                        ;     Child Loop BB14_1456 Depth 2
                                        ;     Child Loop BB14_1461 Depth 2
                                        ;     Child Loop BB14_1467 Depth 2
                                        ;     Child Loop BB14_1472 Depth 2
                                        ;     Child Loop BB14_1481 Depth 2
                                        ;     Child Loop BB14_1500 Depth 2
                                        ;     Child Loop BB14_1521 Depth 2
                                        ;     Child Loop BB14_1533 Depth 2
                                        ;     Child Loop BB14_1568 Depth 2
	v_sub_co_u32_e32 v114, vcc, v4, v54
	s_nop 1
	v_subb_co_u32_e32 v115, vcc, v5, v55, vcc
	v_cmp_lt_i64_e32 vcc, v[114:115], v[64:65]
	s_and_saveexec_b64 s[26:27], vcc
	s_cbranch_execz .LBB14_53
; %bb.48:                               ;   in Loop: Header=BB14_47 Depth=1
	v_lshl_add_u64 v[8:9], s[76:77], 0, v[114:115]
	v_or_b32_e32 v11, s55, v9
	v_mov_b32_e32 v10, v3
	v_cmp_ne_u64_e32 vcc, 0, v[10:11]
                                        ; implicit-def: $vgpr10_vgpr11
	s_and_saveexec_b64 s[24:25], vcc
	s_xor_b64 s[28:29], exec, s[24:25]
	s_cbranch_execz .LBB14_50
; %bb.49:                               ;   in Loop: Header=BB14_47 Depth=1
	s_ashr_i32 s40, s55, 31
	s_add_u32 s24, s54, s40
	s_mov_b32 s41, s40
	s_addc_u32 s25, s55, s40
	s_xor_b64 s[42:43], s[24:25], s[40:41]
	v_cvt_f32_u32_e32 v2, s42
	v_cvt_f32_u32_e32 v10, s43
	s_sub_u32 s41, 0, s42
	s_subb_u32 s56, 0, s43
	v_fmac_f32_e32 v2, 0x4f800000, v10
	v_rcp_f32_e32 v2, v2
	s_nop 0
	v_mul_f32_e32 v2, 0x5f7ffffc, v2
	v_mul_f32_e32 v10, 0x2f800000, v2
	v_trunc_f32_e32 v10, v10
	v_fmac_f32_e32 v2, 0xcf800000, v10
	v_cvt_u32_f32_e32 v10, v10
	v_cvt_u32_f32_e32 v2, v2
	v_readfirstlane_b32 s90, v10
	v_readfirstlane_b32 s24, v2
	s_mul_i32 s25, s41, s90
	s_mul_hi_u32 s92, s41, s24
	s_mul_i32 s91, s56, s24
	s_add_i32 s25, s92, s25
	s_add_i32 s25, s25, s91
	s_mul_i32 s93, s41, s24
	s_mul_i32 s92, s24, s25
	s_mul_hi_u32 s94, s24, s93
	s_mul_hi_u32 s91, s24, s25
	s_add_u32 s92, s94, s92
	s_addc_u32 s91, 0, s91
	s_mul_hi_u32 s95, s90, s93
	s_mul_i32 s93, s90, s93
	s_add_u32 s92, s92, s93
	s_mul_hi_u32 s94, s90, s25
	s_addc_u32 s91, s91, s95
	s_addc_u32 s92, s94, 0
	s_mul_i32 s25, s90, s25
	s_add_u32 s25, s91, s25
	s_addc_u32 s91, 0, s92
	s_add_u32 s92, s24, s25
	s_cselect_b64 s[24:25], -1, 0
	s_cmp_lg_u64 s[24:25], 0
	s_addc_u32 s90, s90, s91
	s_mul_i32 s24, s41, s90
	s_mul_hi_u32 s25, s41, s92
	s_add_i32 s24, s25, s24
	s_mul_i32 s56, s56, s92
	s_add_i32 s24, s24, s56
	s_mul_i32 s41, s41, s92
	s_mul_hi_u32 s56, s90, s41
	s_mul_i32 s91, s90, s41
	s_mul_i32 s94, s92, s24
	s_mul_hi_u32 s41, s92, s41
	s_mul_hi_u32 s93, s92, s24
	s_add_u32 s41, s41, s94
	s_addc_u32 s93, 0, s93
	s_add_u32 s41, s41, s91
	s_mul_hi_u32 s25, s90, s24
	s_addc_u32 s41, s93, s56
	s_addc_u32 s25, s25, 0
	s_mul_i32 s24, s90, s24
	s_add_u32 s24, s41, s24
	s_addc_u32 s41, 0, s25
	s_add_u32 s56, s92, s24
	v_ashrrev_i32_e32 v10, 31, v9
	s_cselect_b64 s[24:25], -1, 0
	v_mov_b32_e32 v11, v10
	s_cmp_lg_u64 s[24:25], 0
	v_lshl_add_u64 v[8:9], v[8:9], 0, v[10:11]
	s_addc_u32 s41, s90, s41
	v_xor_b32_e32 v16, v8, v10
	v_xor_b32_e32 v11, v9, v10
	v_mad_u64_u32 v[8:9], s[24:25], v16, s41, 0
	v_mul_hi_u32 v2, v16, s56
	v_lshl_add_u64 v[8:9], v[2:3], 0, v[8:9]
	v_mad_u64_u32 v[14:15], s[24:25], v11, s56, 0
	v_add_co_u32_e32 v2, vcc, v8, v14
	v_mad_u64_u32 v[12:13], s[24:25], v11, s41, 0
	s_nop 0
	v_addc_co_u32_e32 v2, vcc, v9, v15, vcc
	s_nop 1
	v_addc_co_u32_e32 v13, vcc, 0, v13, vcc
	v_lshl_add_u64 v[8:9], v[2:3], 0, v[12:13]
	v_mul_lo_u32 v2, s43, v8
	v_mul_lo_u32 v14, s42, v9
	v_mad_u64_u32 v[12:13], s[24:25], s42, v8, 0
	v_add3_u32 v2, v13, v14, v2
	v_sub_u32_e32 v13, v11, v2
	v_mov_b32_e32 v14, s43
	v_sub_co_u32_e32 v16, vcc, v16, v12
	s_nop 1
	v_subb_co_u32_e64 v12, s[24:25], v13, v14, vcc
	v_subrev_co_u32_e64 v13, s[24:25], s42, v16
	v_subb_co_u32_e32 v2, vcc, v11, v2, vcc
	s_nop 0
	v_subbrev_co_u32_e64 v12, s[24:25], 0, v12, s[24:25]
	v_cmp_le_u32_e64 s[24:25], s43, v12
	v_cmp_le_u32_e32 vcc, s43, v2
	s_nop 0
	v_cndmask_b32_e64 v14, 0, -1, s[24:25]
	v_cmp_le_u32_e64 s[24:25], s42, v13
	v_cndmask_b32_e64 v11, 0, -1, vcc
	v_cmp_le_u32_e32 vcc, s42, v16
	v_cndmask_b32_e64 v13, 0, -1, s[24:25]
	v_cmp_eq_u32_e64 s[24:25], s43, v12
	s_nop 1
	v_cndmask_b32_e64 v17, v14, v13, s[24:25]
	v_lshl_add_u64 v[12:13], v[8:9], 0, 2
	v_lshl_add_u64 v[14:15], v[8:9], 0, 1
	v_cmp_ne_u32_e64 s[24:25], 0, v17
	s_nop 1
	v_cndmask_b32_e64 v13, v15, v13, s[24:25]
	v_cndmask_b32_e64 v15, 0, -1, vcc
	v_cmp_eq_u32_e32 vcc, s43, v2
	s_nop 1
	v_cndmask_b32_e32 v2, v11, v15, vcc
	v_cmp_ne_u32_e32 vcc, 0, v2
	s_nop 1
	v_cndmask_b32_e32 v2, v9, v13, vcc
	v_cndmask_b32_e64 v9, v14, v12, s[24:25]
	v_cndmask_b32_e32 v8, v8, v9, vcc
	v_xor_b32_e32 v9, s40, v10
	v_xor_b32_e32 v8, v8, v9
	;; [unrolled: 1-line block ×3, first 2 shown]
	v_sub_co_u32_e32 v10, vcc, v8, v9
	s_nop 1
	v_subb_co_u32_e32 v11, vcc, v2, v9, vcc
                                        ; implicit-def: $vgpr8_vgpr9
.LBB14_50:                              ;   in Loop: Header=BB14_47 Depth=1
	s_andn2_saveexec_b64 s[24:25], s[28:29]
	s_cbranch_execz .LBB14_52
; %bb.51:                               ;   in Loop: Header=BB14_47 Depth=1
	v_cvt_f32_u32_e32 v2, s54
	s_sub_i32 s28, 0, s54
	v_rcp_iflag_f32_e32 v2, v2
	s_nop 0
	v_mul_f32_e32 v2, 0x4f7ffffe, v2
	v_cvt_u32_f32_e32 v2, v2
	v_mul_lo_u32 v9, s28, v2
	v_mul_hi_u32 v9, v2, v9
	v_add_u32_e32 v2, v2, v9
	v_mul_hi_u32 v2, v8, v2
	v_mul_lo_u32 v9, v2, s54
	v_sub_u32_e32 v8, v8, v9
	v_add_u32_e32 v10, 1, v2
	v_subrev_u32_e32 v9, s54, v8
	v_cmp_le_u32_e32 vcc, s54, v8
	s_nop 1
	v_cndmask_b32_e32 v8, v8, v9, vcc
	v_cndmask_b32_e32 v2, v2, v10, vcc
	v_add_u32_e32 v9, 1, v2
	v_cmp_le_u32_e32 vcc, s54, v8
	s_nop 1
	v_cndmask_b32_e32 v2, v2, v9, vcc
	v_mov_b64_e32 v[10:11], v[2:3]
.LBB14_52:                              ;   in Loop: Header=BB14_47 Depth=1
	s_or_b64 exec, exec, s[24:25]
	v_lshl_add_u64 v[102:103], v[10:11], 0, 7
	v_and_b32_e32 v102, -8, v102
.LBB14_53:                              ;   in Loop: Header=BB14_47 Depth=1
	s_or_b64 exec, exec, s[26:27]
	v_mul_lo_u32 v2, v103, s70
	v_mul_lo_u32 v8, v102, s71
	v_mad_u64_u32 v[10:11], s[24:25], v102, s70, 0
	v_add3_u32 v11, v11, v8, v2
	v_sub_co_u32_e32 v8, vcc, v114, v10
	v_lshl_add_u64 v[116:117], v[54:55], 0, v[24:25]
	s_nop 0
	v_subb_co_u32_e32 v9, vcc, v115, v11, vcc
	v_cmp_lt_i64_e32 vcc, v[102:103], v[8:9]
	v_mov_b32_e32 v2, 0
	s_nop 0
	v_cndmask_b32_e32 v9, v8, v102, vcc
	v_max_i32_e32 v20, 0, v9
	v_add_u32_e32 v8, 15, v20
	v_ashrrev_i32_e32 v12, 31, v8
	v_lshrrev_b32_e32 v12, 28, v12
	v_add_u32_e32 v8, v8, v12
	v_cmp_gt_i32_e32 vcc, 1, v9
	v_and_b32_e32 v8, -16, v8
	s_or_b64 s[26:27], s[2:3], vcc
	v_max_i32_e32 v8, s80, v8
	s_xor_b64 s[24:25], s[26:27], -1
	s_and_saveexec_b64 s[28:29], s[24:25]
	s_cbranch_execz .LBB14_191
; %bb.54:                               ;   in Loop: Header=BB14_47 Depth=1
	s_and_saveexec_b64 s[24:25], s[0:1]
	s_cbranch_execz .LBB14_56
; %bb.55:                               ;   in Loop: Header=BB14_47 Depth=1
	s_trap 2
	ds_read_b64 v[12:13], v0
	s_waitcnt lgkmcnt(0)
	v_lshl_add_u64 v[12:13], v[116:117], 1, v[12:13]
	v_lshl_add_u64 v[10:11], v[10:11], 1, v[12:13]
	ds_write_b64 v0, v[10:11]
	ds_write_b64 v0, v[94:95]
.LBB14_56:                              ;   in Loop: Header=BB14_47 Depth=1
	s_or_b64 exec, exec, s[24:25]
	v_and_b32_e32 v2, 8, v62
	v_min_i32_e32 v8, v8, v20
	v_cmp_ne_u32_e32 vcc, 0, v2
	s_and_saveexec_b64 s[40:41], vcc
	s_cbranch_execz .LBB14_78
; %bb.57:                               ;   in Loop: Header=BB14_47 Depth=1
	s_waitcnt vmcnt(0) lgkmcnt(0)
	v_lshl_add_u64 v[12:13], v[48:49], 0, 8
	v_lshl_add_u64 v[10:11], v[112:113], 0, 4
	v_cmp_lt_u64_e32 vcc, v[12:13], v[10:11]
	s_and_saveexec_b64 s[42:43], vcc
	s_cbranch_execz .LBB14_69
; %bb.58:                               ;   in Loop: Header=BB14_47 Depth=1
	v_and_b32_e32 v2, 64, v62
	s_mov_b32 s56, 0
	v_cmp_eq_u32_e32 vcc, 0, v2
	s_mov_b64 s[90:91], 0
                                        ; implicit-def: $sgpr92_sgpr93
                                        ; implicit-def: $sgpr94_sgpr95
                                        ; implicit-def: $sgpr30_sgpr31
	s_branch .LBB14_62
.LBB14_59:                              ;   in Loop: Header=BB14_62 Depth=2
	s_waitcnt vmcnt(0) lgkmcnt(0)
	v_lshl_add_u64 v[12:13], v[48:49], 0, 8
	v_cmp_ge_u64_e64 s[24:25], v[12:13], v[10:11]
	s_or_b64 s[38:39], s[38:39], exec
	s_orn2_b64 s[36:37], s[24:25], exec
.LBB14_60:                              ;   in Loop: Header=BB14_62 Depth=2
	s_or_b64 exec, exec, s[50:51]
	s_andn2_b64 s[24:25], s[30:31], exec
	s_and_b64 s[30:31], s[38:39], exec
	s_or_b64 s[30:31], s[24:25], s[30:31]
	s_andn2_b64 s[24:25], s[94:95], exec
	s_and_b64 s[94:95], s[36:37], exec
	s_or_b64 s[94:95], s[24:25], s[94:95]
.LBB14_61:                              ;   in Loop: Header=BB14_62 Depth=2
	s_or_b64 exec, exec, s[34:35]
	s_and_b64 s[24:25], exec, s[94:95]
	s_or_b64 s[90:91], s[24:25], s[90:91]
	s_andn2_b64 s[24:25], s[92:93], exec
	s_and_b64 s[92:93], s[30:31], exec
	s_or_b64 s[92:93], s[24:25], s[92:93]
	s_andn2_b64 exec, exec, s[90:91]
	s_cbranch_execz .LBB14_66
.LBB14_62:                              ;   Parent Loop BB14_47 Depth=1
                                        ; =>  This Inner Loop Header: Depth=2
	s_sleep 1
	s_waitcnt vmcnt(0) lgkmcnt(0)
	flat_load_dwordx2 v[48:49], v[32:33] sc0 sc1
	s_or_b64 s[30:31], s[30:31], exec
	s_or_b64 s[94:95], s[94:95], exec
                                        ; implicit-def: $vgpr2
	s_and_saveexec_b64 s[34:35], vcc
	s_cbranch_execz .LBB14_61
; %bb.63:                               ;   in Loop: Header=BB14_62 Depth=2
	s_cmpk_lt_i32 s56, 0x270f
	s_cselect_b64 s[48:49], -1, 0
	s_cmpk_gt_i32 s56, 0x270e
	s_mov_b64 s[36:37], -1
	s_cbranch_scc0 .LBB14_65
; %bb.64:                               ;   in Loop: Header=BB14_62 Depth=2
	s_trap 2
	ds_read_b64 v[12:13], v0
	s_andn2_b64 s[48:49], s[48:49], exec
	s_mov_b32 s56, 0
	s_mov_b64 s[38:39], 0
	s_waitcnt vmcnt(0) lgkmcnt(0)
	flat_load_dword v2, v[12:13] sc0 sc1
	s_waitcnt vmcnt(0) lgkmcnt(0)
	buffer_inv sc0 sc1
	v_cmp_eq_u32_e64 s[24:25], 0, v2
	s_and_b64 s[24:25], s[24:25], exec
	s_or_b64 s[48:49], s[48:49], s[24:25]
	s_and_saveexec_b64 s[50:51], s[48:49]
	s_cbranch_execz .LBB14_60
	s_branch .LBB14_59
.LBB14_65:                              ;   in Loop: Header=BB14_62 Depth=2
	s_add_i32 s56, s56, 1
	s_mov_b64 s[38:39], -1
                                        ; implicit-def: $vgpr2
	s_and_saveexec_b64 s[50:51], s[48:49]
	s_cbranch_execz .LBB14_60
	s_branch .LBB14_59
.LBB14_66:                              ;   in Loop: Header=BB14_47 Depth=1
	s_or_b64 exec, exec, s[90:91]
	s_xor_b64 s[24:25], s[92:93], -1
	s_and_saveexec_b64 s[90:91], s[24:25]
	s_xor_b64 s[24:25], exec, s[90:91]
	s_cbranch_execz .LBB14_68
; %bb.67:                               ;   in Loop: Header=BB14_47 Depth=1
	v_or_b32_e32 v62, 64, v62
	s_waitcnt lgkmcnt(0)
	ds_write_b32 v0, v2
	s_trap 2
.LBB14_68:                              ;   in Loop: Header=BB14_47 Depth=1
	s_or_b64 exec, exec, s[24:25]
.LBB14_69:                              ;   in Loop: Header=BB14_47 Depth=1
	s_or_b64 exec, exec, s[42:43]
	v_and_b32_e32 v2, 0x100, v62
	v_cmp_ne_u32_e32 vcc, 0, v2
	v_and_b32_e32 v2, 7, v112
	s_mov_b64 s[24:25], -1
	;;#ASMSTART
	s_wakeup
	;;#ASMEND
                                        ; implicit-def: $vgpr12_vgpr13
	s_and_saveexec_b64 s[42:43], vcc
	s_cbranch_execz .LBB14_73
; %bb.70:                               ;   in Loop: Header=BB14_47 Depth=1
	v_mad_u64_u32 v[14:15], s[24:25], v2, 24, v[6:7]
	flat_load_dword v16, v[14:15]
	v_ashrrev_i32_e32 v9, 31, v8
	v_lshlrev_b64 v[12:13], 1, v[8:9]
	flat_store_dwordx2 v[14:15], v[12:13] offset:8
                                        ; implicit-def: $vgpr12_vgpr13
	s_waitcnt vmcnt(0) lgkmcnt(0)
	v_cmp_ne_u32_e32 vcc, 1, v16
	v_cmp_eq_u32_e64 s[24:25], 1, v16
	s_and_saveexec_b64 s[90:91], s[24:25]
	s_cbranch_execz .LBB14_72
; %bb.71:                               ;   in Loop: Header=BB14_47 Depth=1
	flat_load_dword v12, v[14:15] offset:4 sc0 sc1
	s_waitcnt vmcnt(0) lgkmcnt(0)
	v_ashrrev_i32_e32 v13, 31, v12
	v_lshrrev_b64 v[12:13], 1, v[12:13]
.LBB14_72:                              ;   in Loop: Header=BB14_47 Depth=1
	s_or_b64 exec, exec, s[90:91]
	s_orn2_b64 s[24:25], vcc, exec
.LBB14_73:                              ;   in Loop: Header=BB14_47 Depth=1
	s_or_b64 exec, exec, s[42:43]
	s_and_saveexec_b64 s[42:43], s[24:25]
; %bb.74:                               ;   in Loop: Header=BB14_47 Depth=1
	v_mad_i64_i32 v[12:13], s[24:25], v2, v30, 0
; %bb.75:                               ;   in Loop: Header=BB14_47 Depth=1
	s_or_b64 exec, exec, s[42:43]
	v_and_b32_e32 v2, 0x2000, v62
	v_lshl_add_u64 v[12:13], v[12:13], 1, v[34:35]
	v_cmp_ne_u32_e32 vcc, 0, v2
	ds_write_b64 v0, v[12:13] offset:784
	s_and_saveexec_b64 s[24:25], vcc
	s_cbranch_execz .LBB14_77
; %bb.76:                               ;   in Loop: Header=BB14_47 Depth=1
	ds_read_b64 v[12:13], v0 offset:872
	s_waitcnt lgkmcnt(0)
	v_lshl_add_u64 v[12:13], v[12:13], 0, 1
	ds_write_b64 v0, v[12:13] offset:872
.LBB14_77:                              ;   in Loop: Header=BB14_47 Depth=1
	s_or_b64 exec, exec, s[24:25]
	v_mov_b64_e32 v[112:113], v[10:11]
.LBB14_78:                              ;   in Loop: Header=BB14_47 Depth=1
	s_or_b64 exec, exec, s[40:41]
	s_and_saveexec_b64 s[24:25], s[6:7]
	s_cbranch_execz .LBB14_97
; %bb.79:                               ;   in Loop: Header=BB14_47 Depth=1
	s_and_saveexec_b64 s[40:41], s[58:59]
	s_xor_b64 s[40:41], exec, s[40:41]
	s_cbranch_execz .LBB14_94
; %bb.80:                               ;   in Loop: Header=BB14_47 Depth=1
	s_and_saveexec_b64 s[42:43], s[14:15]
	s_cbranch_execz .LBB14_93
; %bb.81:                               ;   in Loop: Header=BB14_47 Depth=1
	s_mov_b64 s[92:93], exec
	v_mbcnt_lo_u32_b32 v2, s92, 0
	v_mbcnt_hi_u32_b32 v2, s93, v2
	v_cmp_eq_u32_e32 vcc, 0, v2
	s_waitcnt lgkmcnt(0)
	s_and_saveexec_b64 s[90:91], vcc
	s_cbranch_execz .LBB14_83
; %bb.82:                               ;   in Loop: Header=BB14_47 Depth=1
	s_bcnt1_i32_b64 s56, s[92:93]
	v_mov_b32_e32 v2, s56
	ds_add_u64 v0, v[2:3]
	s_trap 2
.LBB14_83:                              ;   in Loop: Header=BB14_47 Depth=1
	s_or_b64 exec, exec, s[90:91]
	s_trap 2
	ds_read_b64 v[10:11], v0
	s_waitcnt lgkmcnt(0)
	v_lshl_add_u64 v[38:39], v[38:39], 0, v[52:53]
	v_cmp_lt_u64_e32 vcc, v[10:11], v[38:39]
	s_and_saveexec_b64 s[90:91], vcc
	s_cbranch_execz .LBB14_92
; %bb.84:                               ;   in Loop: Header=BB14_47 Depth=1
	s_mov_b32 s56, 0
	s_mov_b64 s[92:93], 0
                                        ; implicit-def: $sgpr94_sgpr95
                                        ; implicit-def: $sgpr30_sgpr31
	s_branch .LBB14_86
.LBB14_85:                              ;   in Loop: Header=BB14_86 Depth=2
	s_or_b64 exec, exec, s[36:37]
	s_and_b64 vcc, exec, vcc
	s_or_b64 s[92:93], vcc, s[92:93]
	s_andn2_b64 s[94:95], s[94:95], exec
	s_and_b64 vcc, s[30:31], exec
	s_or_b64 s[94:95], s[94:95], vcc
	s_andn2_b64 exec, exec, s[92:93]
	s_cbranch_execz .LBB14_90
.LBB14_86:                              ;   Parent Loop BB14_47 Depth=1
                                        ; =>  This Inner Loop Header: Depth=2
	s_add_i32 s56, s56, 1
	s_cmpk_lg_i32 s56, 0x2710
	s_cselect_b64 s[34:35], -1, 0
	s_and_b64 vcc, exec, s[34:35]
	s_cbranch_vccz .LBB14_88
; %bb.87:                               ;   in Loop: Header=BB14_86 Depth=2
	s_mov_b64 vcc, -1
	s_or_b64 s[30:31], s[30:31], exec
	s_and_saveexec_b64 s[36:37], s[34:35]
	s_cbranch_execz .LBB14_85
	s_branch .LBB14_89
.LBB14_88:                              ;   in Loop: Header=BB14_86 Depth=2
	s_trap 2
	ds_read_b64 v[10:11], v0
	s_andn2_b64 s[34:35], s[34:35], exec
	s_mov_b32 s56, 0
	s_waitcnt vmcnt(0) lgkmcnt(0)
	flat_load_dword v2, v[10:11] sc0 sc1
	s_waitcnt vmcnt(0) lgkmcnt(0)
	buffer_inv sc0 sc1
	v_cmp_eq_u32_e32 vcc, 0, v2
	s_and_b64 vcc, vcc, exec
	s_or_b64 s[34:35], s[34:35], vcc
	s_mov_b64 vcc, -1
	s_or_b64 s[30:31], s[30:31], exec
	s_and_saveexec_b64 s[36:37], s[34:35]
	s_cbranch_execz .LBB14_85
.LBB14_89:                              ;   in Loop: Header=BB14_86 Depth=2
	s_sleep 1
	s_trap 2
	ds_read_b64 v[10:11], v0
	s_waitcnt lgkmcnt(0)
	s_andn2_b64 s[30:31], s[30:31], exec
	v_cmp_ge_u64_e32 vcc, v[10:11], v[38:39]
	s_orn2_b64 vcc, vcc, exec
	s_branch .LBB14_85
.LBB14_90:                              ;   in Loop: Header=BB14_47 Depth=1
	s_or_b64 exec, exec, s[92:93]
	s_and_saveexec_b64 s[92:93], s[94:95]
	s_xor_b64 s[92:93], exec, s[92:93]
	s_cbranch_execz .LBB14_92
; %bb.91:                               ;   in Loop: Header=BB14_47 Depth=1
	ds_write_b32 v0, v73
	s_trap 2
.LBB14_92:                              ;   in Loop: Header=BB14_47 Depth=1
	s_or_b64 exec, exec, s[90:91]
	;;#ASMSTART
	s_wakeup
	;;#ASMEND
.LBB14_93:                              ;   in Loop: Header=BB14_47 Depth=1
	s_or_b64 exec, exec, s[42:43]
.LBB14_94:                              ;   in Loop: Header=BB14_47 Depth=1
	s_andn2_saveexec_b64 s[40:41], s[40:41]
	s_cbranch_execz .LBB14_96
; %bb.95:                               ;   in Loop: Header=BB14_47 Depth=1
	s_waitcnt lgkmcnt(0)
	s_barrier
.LBB14_96:                              ;   in Loop: Header=BB14_47 Depth=1
	s_or_b64 exec, exec, s[40:41]
.LBB14_97:                              ;   in Loop: Header=BB14_47 Depth=1
	s_or_b64 exec, exec, s[24:25]
	s_trap 2
	ds_read_b32 v9, v0
	v_and_b32_e32 v2, 0x4000, v62
	v_cmp_ne_u32_e32 vcc, 0, v2
	s_xor_b64 s[24:25], s[4:5], -1
	s_and_b64 s[40:41], s[24:25], vcc
	s_and_saveexec_b64 s[24:25], s[40:41]
	s_cbranch_execz .LBB14_116
; %bb.98:                               ;   in Loop: Header=BB14_47 Depth=1
	s_and_saveexec_b64 s[40:41], s[58:59]
	s_xor_b64 s[40:41], exec, s[40:41]
	s_cbranch_execz .LBB14_113
; %bb.99:                               ;   in Loop: Header=BB14_47 Depth=1
	s_and_saveexec_b64 s[42:43], s[14:15]
	s_cbranch_execz .LBB14_112
; %bb.100:                              ;   in Loop: Header=BB14_47 Depth=1
	s_mov_b64 s[92:93], exec
	v_mbcnt_lo_u32_b32 v2, s92, 0
	v_mbcnt_hi_u32_b32 v2, s93, v2
	v_cmp_eq_u32_e32 vcc, 0, v2
	s_waitcnt lgkmcnt(0)
	s_and_saveexec_b64 s[90:91], vcc
	s_cbranch_execz .LBB14_102
; %bb.101:                              ;   in Loop: Header=BB14_47 Depth=1
	s_bcnt1_i32_b64 s56, s[92:93]
	v_mov_b32_e32 v2, s56
	ds_add_u64 v0, v[2:3]
	s_trap 2
.LBB14_102:                             ;   in Loop: Header=BB14_47 Depth=1
	s_or_b64 exec, exec, s[90:91]
	s_trap 2
	ds_read_b64 v[10:11], v0
	s_waitcnt lgkmcnt(0)
	v_lshl_add_u64 v[38:39], v[38:39], 0, v[52:53]
	v_cmp_lt_u64_e32 vcc, v[10:11], v[38:39]
	s_and_saveexec_b64 s[90:91], vcc
	s_cbranch_execz .LBB14_111
; %bb.103:                              ;   in Loop: Header=BB14_47 Depth=1
	s_mov_b32 s56, 0
	s_mov_b64 s[92:93], 0
                                        ; implicit-def: $sgpr94_sgpr95
                                        ; implicit-def: $sgpr30_sgpr31
	s_branch .LBB14_105
.LBB14_104:                             ;   in Loop: Header=BB14_105 Depth=2
	s_or_b64 exec, exec, s[36:37]
	s_and_b64 vcc, exec, vcc
	s_or_b64 s[92:93], vcc, s[92:93]
	s_andn2_b64 s[94:95], s[94:95], exec
	s_and_b64 vcc, s[30:31], exec
	s_or_b64 s[94:95], s[94:95], vcc
	s_andn2_b64 exec, exec, s[92:93]
	s_cbranch_execz .LBB14_109
.LBB14_105:                             ;   Parent Loop BB14_47 Depth=1
                                        ; =>  This Inner Loop Header: Depth=2
	s_add_i32 s56, s56, 1
	s_cmpk_lg_i32 s56, 0x2710
	s_cselect_b64 s[34:35], -1, 0
	s_and_b64 vcc, exec, s[34:35]
	s_cbranch_vccz .LBB14_107
; %bb.106:                              ;   in Loop: Header=BB14_105 Depth=2
	s_mov_b64 vcc, -1
	s_or_b64 s[30:31], s[30:31], exec
	s_and_saveexec_b64 s[36:37], s[34:35]
	s_cbranch_execz .LBB14_104
	s_branch .LBB14_108
.LBB14_107:                             ;   in Loop: Header=BB14_105 Depth=2
	s_trap 2
	ds_read_b64 v[10:11], v0
	s_andn2_b64 s[34:35], s[34:35], exec
	s_mov_b32 s56, 0
	s_waitcnt vmcnt(0) lgkmcnt(0)
	flat_load_dword v2, v[10:11] sc0 sc1
	s_waitcnt vmcnt(0) lgkmcnt(0)
	buffer_inv sc0 sc1
	v_cmp_eq_u32_e32 vcc, 0, v2
	s_and_b64 vcc, vcc, exec
	s_or_b64 s[34:35], s[34:35], vcc
	s_mov_b64 vcc, -1
	s_or_b64 s[30:31], s[30:31], exec
	s_and_saveexec_b64 s[36:37], s[34:35]
	s_cbranch_execz .LBB14_104
.LBB14_108:                             ;   in Loop: Header=BB14_105 Depth=2
	s_sleep 1
	s_trap 2
	ds_read_b64 v[10:11], v0
	s_waitcnt lgkmcnt(0)
	s_andn2_b64 s[30:31], s[30:31], exec
	v_cmp_ge_u64_e32 vcc, v[10:11], v[38:39]
	s_orn2_b64 vcc, vcc, exec
	s_branch .LBB14_104
.LBB14_109:                             ;   in Loop: Header=BB14_47 Depth=1
	s_or_b64 exec, exec, s[92:93]
	s_and_saveexec_b64 s[92:93], s[94:95]
	s_xor_b64 s[92:93], exec, s[92:93]
	s_cbranch_execz .LBB14_111
; %bb.110:                              ;   in Loop: Header=BB14_47 Depth=1
	ds_write_b32 v0, v73
	s_trap 2
.LBB14_111:                             ;   in Loop: Header=BB14_47 Depth=1
	s_or_b64 exec, exec, s[90:91]
	;;#ASMSTART
	s_wakeup
	;;#ASMEND
.LBB14_112:                             ;   in Loop: Header=BB14_47 Depth=1
	s_or_b64 exec, exec, s[42:43]
.LBB14_113:                             ;   in Loop: Header=BB14_47 Depth=1
	s_andn2_saveexec_b64 s[40:41], s[40:41]
	s_cbranch_execz .LBB14_115
; %bb.114:                              ;   in Loop: Header=BB14_47 Depth=1
	s_waitcnt lgkmcnt(0)
	s_barrier
.LBB14_115:                             ;   in Loop: Header=BB14_47 Depth=1
	s_or_b64 exec, exec, s[40:41]
.LBB14_116:                             ;   in Loop: Header=BB14_47 Depth=1
	s_or_b64 exec, exec, s[24:25]
	s_trap 2
	ds_read_b64 v[10:11], v0
	s_waitcnt lgkmcnt(0)
	v_cmp_eq_u64_e32 vcc, 0, v[10:11]
	s_cbranch_vccnz .LBB14_124
; %bb.117:                              ;   in Loop: Header=BB14_47 Depth=1
	s_trap 2
	ds_read_b64 v[12:13], v0
	s_waitcnt lgkmcnt(0)
	v_cmp_eq_u64_e32 vcc, 0, v[12:13]
	s_cbranch_vccnz .LBB14_124
; %bb.118:                              ;   in Loop: Header=BB14_47 Depth=1
	s_mov_b64 s[24:25], -1
	s_and_saveexec_b64 s[40:41], s[16:17]
	s_cbranch_execz .LBB14_120
; %bb.119:                              ;   in Loop: Header=BB14_47 Depth=1
	ds_read_b32 v2, v0 offset:720
	s_waitcnt lgkmcnt(0)
	v_and_b32_e32 v2, 15, v2
	v_cmp_eq_u32_e32 vcc, 0, v2
	s_orn2_b64 s[24:25], vcc, exec
.LBB14_120:                             ;   in Loop: Header=BB14_47 Depth=1
	s_or_b64 exec, exec, s[40:41]
	s_and_saveexec_b64 s[40:41], s[18:19]
	s_cbranch_execz .LBB14_122
; %bb.121:                              ;   in Loop: Header=BB14_47 Depth=1
	ds_read_b32 v2, v0 offset:784
	s_waitcnt lgkmcnt(0)
	v_and_b32_e32 v2, 15, v2
	v_cmp_eq_u32_e32 vcc, 0, v2
	s_and_b64 s[42:43], s[24:25], vcc
	s_andn2_b64 s[24:25], s[24:25], exec
	s_and_b64 s[42:43], s[42:43], exec
	s_or_b64 s[24:25], s[24:25], s[42:43]
.LBB14_122:                             ;   in Loop: Header=BB14_47 Depth=1
	s_or_b64 exec, exec, s[40:41]
	v_cmp_eq_u32_e32 vcc, 0, v9
	s_xor_b64 s[24:25], s[24:25], -1
	v_cndmask_b32_e64 v14, 0, 1, s[24:25]
	v_cndmask_b32_e32 v2, 0, v8, vcc
	v_lshlrev_b32_e32 v9, 1, v2
	s_mov_b64 s[42:43], -1
	v_cmp_ne_u32_e32 vcc, 0, v14
	v_mov_b32_e32 v21, 0
	s_cbranch_vccz .LBB14_130
; %bb.123:                              ;   in Loop: Header=BB14_47 Depth=1
	v_mov_b32_e32 v22, v0
	s_and_saveexec_b64 s[24:25], s[42:43]
	s_cbranch_execnz .LBB14_141
	s_branch .LBB14_149
.LBB14_124:                             ;   in Loop: Header=BB14_47 Depth=1
	s_mov_b64 s[24:25], 0
	s_and_saveexec_b64 s[40:41], s[6:7]
	s_cbranch_execnz .LBB14_150
.LBB14_125:                             ;   in Loop: Header=BB14_47 Depth=1
	s_or_b64 exec, exec, s[40:41]
                                        ; implicit-def: $vgpr2
	s_and_saveexec_b64 s[40:41], s[22:23]
	s_xor_b64 s[40:41], exec, s[40:41]
	s_cbranch_execz .LBB14_168
.LBB14_126:                             ;   in Loop: Header=BB14_47 Depth=1
	v_and_b32_e32 v9, 16, v62
	v_cmp_ne_u32_e32 vcc, 0, v9
	v_and_b32_e32 v2, 16, v62
	s_and_b64 s[42:43], vcc, s[24:25]
	s_and_saveexec_b64 s[24:25], s[42:43]
	s_cbranch_execz .LBB14_128
; %bb.127:                              ;   in Loop: Header=BB14_47 Depth=1
	v_mov_b32_e32 v2, 1
	buffer_wbl2 sc1
	s_waitcnt vmcnt(0) lgkmcnt(0)
	buffer_inv sc1
.LBB14_128:                             ;   in Loop: Header=BB14_47 Depth=1
	s_or_b64 exec, exec, s[24:25]
	s_andn2_saveexec_b64 s[24:25], s[40:41]
	s_cbranch_execnz .LBB14_169
.LBB14_129:                             ;   in Loop: Header=BB14_47 Depth=1
	s_or_b64 exec, exec, s[24:25]
	v_cmp_ne_u32_e32 vcc, 0, v2
	s_and_saveexec_b64 s[24:25], vcc
	s_cbranch_execnz .LBB14_187
	s_branch .LBB14_190
.LBB14_130:                             ;   in Loop: Header=BB14_47 Depth=1
	v_ashrrev_i32_e32 v14, 31, v9
	v_lshrrev_b32_e32 v14, 20, v14
	v_add_u32_e32 v14, v9, v14
	v_ashrrev_i32_e32 v19, 12, v14
	v_sub_u32_e32 v18, v19, v72
	v_cmp_lt_i32_e32 vcc, 0, v18
	s_and_saveexec_b64 s[24:25], vcc
	s_cbranch_execz .LBB14_134
; %bb.131:                              ;   in Loop: Header=BB14_47 Depth=1
	s_mov_b64 s[40:41], 0
	v_mov_b64_e32 v[14:15], v[12:13]
	v_mov_b64_e32 v[16:17], v[10:11]
.LBB14_132:                             ;   Parent Loop BB14_47 Depth=1
                                        ; =>  This Inner Loop Header: Depth=2
	v_lshl_add_u64 v[22:23], v[84:85], 0, v[16:17]
	global_load_dwordx4 v[40:43], v[22:23], off nt
	global_load_dwordx4 v[44:47], v[22:23], off offset:1024 nt
	global_load_dwordx4 v[56:59], v[22:23], off offset:2048 nt
	;; [unrolled: 1-line block ×3, first 2 shown]
	v_sub_u32_e32 v18, v18, v52
	v_cmp_gt_i32_e32 vcc, 1, v18
	v_lshl_add_u64 v[22:23], v[84:85], 0, v[14:15]
	v_lshl_add_u64 v[16:17], v[16:17], 0, v[66:67]
	;; [unrolled: 1-line block ×3, first 2 shown]
	s_or_b64 s[40:41], vcc, s[40:41]
	s_waitcnt vmcnt(0)
	global_store_dwordx4 v[22:23], v[40:43], off
	global_store_dwordx4 v[22:23], v[44:47], off offset:1024
	global_store_dwordx4 v[22:23], v[56:59], off offset:2048
	;; [unrolled: 1-line block ×3, first 2 shown]
	s_andn2_b64 exec, exec, s[40:41]
	s_cbranch_execnz .LBB14_132
; %bb.133:                              ;   in Loop: Header=BB14_47 Depth=1
	s_or_b64 exec, exec, s[40:41]
.LBB14_134:                             ;   in Loop: Header=BB14_47 Depth=1
	s_or_b64 exec, exec, s[24:25]
	v_lshlrev_b32_e32 v16, 12, v19
	v_cmp_ne_u32_e32 vcc, v9, v16
	s_mov_b64 s[42:43], 0
	v_mov_b32_e32 v21, 0
                                        ; implicit-def: $vgpr22
	s_and_saveexec_b64 s[40:41], vcc
	s_cbranch_execz .LBB14_140
; %bb.135:                              ;   in Loop: Header=BB14_47 Depth=1
	v_lshlrev_b32_e32 v14, 6, v18
	v_sub_u32_e32 v14, v63, v14
	v_sub_u32_e32 v15, v9, v16
	v_ashrrev_i32_e32 v17, 31, v14
	v_lshrrev_b32_e32 v17, 26, v17
	v_ashrrev_i32_e32 v18, 31, v15
	v_add_u32_e32 v17, v14, v17
	v_lshrrev_b32_e32 v18, 22, v18
	v_ashrrev_i32_e32 v22, 6, v17
	v_and_b32_e32 v17, 0xffffffc0, v17
	v_add_u32_e32 v18, v15, v18
	v_sub_u32_e32 v17, v14, v17
	v_ashrrev_i32_e32 v23, 10, v18
	v_and_b32_e32 v18, 0xfffffc00, v18
	v_lshlrev_b32_e32 v14, 4, v17
	v_sub_u32_e32 v19, v15, v18
	v_lshl_add_u32 v14, v22, 10, v14
	v_cmp_lt_i32_e32 vcc, 15, v19
	v_sub_u32_e32 v21, v15, v14
	s_nop 0
	v_addc_co_u32_e64 v15, s[24:25], 0, v23, vcc
	v_sub_u32_e32 v22, v15, v22
	v_cmp_lt_i32_e64 s[24:25], 15, v21
	s_and_saveexec_b64 s[42:43], s[24:25]
	s_cbranch_execz .LBB14_139
; %bb.136:                              ;   in Loop: Header=BB14_47 Depth=1
	v_add_u32_e32 v14, v14, v16
	v_ashrrev_i32_e32 v15, 31, v14
	s_mov_b64 s[90:91], 0
.LBB14_137:                             ;   Parent Loop BB14_47 Depth=1
                                        ; =>  This Inner Loop Header: Depth=2
	v_lshl_add_u64 v[118:119], v[10:11], 0, v[14:15]
	global_load_dwordx4 v[40:43], v[118:119], off nt
	v_sub_u32_e32 v21, v21, v68
	v_cmp_gt_i32_e64 s[24:25], 16, v21
	v_lshl_add_u64 v[118:119], v[12:13], 0, v[14:15]
	v_sub_u32_e32 v22, v22, v52
	v_lshl_add_u64 v[14:15], v[14:15], 0, v[68:69]
	s_or_b64 s[90:91], s[24:25], s[90:91]
	s_waitcnt vmcnt(0)
	global_store_dwordx4 v[118:119], v[40:43], off
	s_andn2_b64 exec, exec, s[90:91]
	s_cbranch_execnz .LBB14_137
; %bb.138:                              ;   in Loop: Header=BB14_47 Depth=1
	s_or_b64 exec, exec, s[90:91]
.LBB14_139:                             ;   in Loop: Header=BB14_47 Depth=1
	s_or_b64 exec, exec, s[42:43]
	v_and_b32_e32 v9, 14, v9
	v_sub_u32_e32 v14, v19, v9
	v_cndmask_b32_e32 v14, 0, v14, vcc
	v_cndmask_b32_e32 v9, v19, v9, vcc
	v_cmp_lt_i32_e32 vcc, 0, v22
	v_add3_u32 v21, v18, v16, v14
	s_nop 0
	v_cndmask_b32_e32 v14, 0, v52, vcc
	v_sub_u32_e32 v14, v14, v22
	v_cmp_ne_u32_e32 vcc, 0, v9
	v_lshl_add_u32 v22, v14, 6, v17
	s_and_b64 s[42:43], vcc, exec
.LBB14_140:                             ;   in Loop: Header=BB14_47 Depth=1
	s_or_b64 exec, exec, s[40:41]
	s_and_saveexec_b64 s[24:25], s[42:43]
	s_cbranch_execz .LBB14_149
.LBB14_141:                             ;   in Loop: Header=BB14_47 Depth=1
	v_ashrrev_i32_e32 v14, 31, v22
	v_ashrrev_i32_e32 v15, 31, v9
	v_lshrrev_b32_e32 v14, 26, v14
	v_lshrrev_b32_e32 v15, 22, v15
	v_add_u32_e32 v14, v22, v14
	v_add_u32_e32 v15, v9, v15
	v_ashrrev_i32_e32 v23, 6, v14
	v_ashrrev_i32_e32 v119, 10, v15
	v_sub_u32_e32 v118, v119, v23
	v_cmp_lt_i32_e32 vcc, 0, v118
	s_and_saveexec_b64 s[40:41], vcc
	s_cbranch_execz .LBB14_145
; %bb.142:                              ;   in Loop: Header=BB14_47 Depth=1
	v_and_b32_e32 v14, 0x7fffffc0, v14
	v_sub_u32_e32 v14, v22, v14
	v_lshlrev_b32_e32 v14, 1, v14
	v_lshlrev_b32_e32 v15, 10, v23
	v_add3_u32 v14, v14, v21, v15
	v_ashrrev_i32_e32 v15, 31, v14
	s_mov_b64 s[42:43], 0
	v_mov_b64_e32 v[16:17], v[12:13]
	v_mov_b64_e32 v[18:19], v[10:11]
.LBB14_143:                             ;   Parent Loop BB14_47 Depth=1
                                        ; =>  This Inner Loop Header: Depth=2
	v_lshl_add_u64 v[40:41], v[14:15], 0, v[18:19]
	flat_load_ushort v42, v[40:41] nt
	flat_load_ushort v43, v[40:41] offset:128 nt
	flat_load_ushort v44, v[40:41] offset:256 nt
	;; [unrolled: 1-line block ×7, first 2 shown]
	v_sub_u32_e32 v118, v118, v52
	v_cmp_gt_i32_e32 vcc, 1, v118
	v_lshl_add_u64 v[40:41], v[14:15], 0, v[16:17]
	v_lshl_add_u64 v[18:19], v[18:19], 0, v[68:69]
	;; [unrolled: 1-line block ×3, first 2 shown]
	s_or_b64 s[42:43], vcc, s[42:43]
	s_waitcnt vmcnt(0) lgkmcnt(0)
	flat_store_short v[40:41], v42 nt
	flat_store_short v[40:41], v43 offset:128 nt
	flat_store_short v[40:41], v44 offset:256 nt
	;; [unrolled: 1-line block ×7, first 2 shown]
	s_andn2_b64 exec, exec, s[42:43]
	s_cbranch_execnz .LBB14_143
; %bb.144:                              ;   in Loop: Header=BB14_47 Depth=1
	s_or_b64 exec, exec, s[42:43]
.LBB14_145:                             ;   in Loop: Header=BB14_47 Depth=1
	s_or_b64 exec, exec, s[40:41]
	v_lshlrev_b32_e32 v14, 10, v119
	v_cmp_ne_u32_e32 vcc, v9, v14
	s_and_b64 exec, exec, vcc
	s_cbranch_execz .LBB14_149
; %bb.146:                              ;   in Loop: Header=BB14_47 Depth=1
	v_lshlrev_b32_e32 v15, 6, v23
	v_sub_u32_e32 v15, v22, v15
	v_lshlrev_b32_e32 v16, 6, v118
	v_sub_u32_e32 v15, v15, v16
	v_ashrrev_i32_e32 v16, 31, v15
	v_lshrrev_b32_e32 v16, 26, v16
	v_add_u32_e32 v16, v15, v16
	v_and_b32_e32 v17, 0x7fffffc0, v16
	v_sub_u32_e32 v15, v15, v17
	v_lshlrev_b32_e32 v16, 1, v16
	v_and_b32_e32 v16, 0xffffff80, v16
	v_lshlrev_b32_e32 v15, 1, v15
	v_add3_u32 v14, v16, v15, v14
	v_sub_u32_e32 v9, v9, v14
	v_cmp_lt_i32_e32 vcc, 1, v9
	s_and_b64 exec, exec, vcc
	s_cbranch_execz .LBB14_149
; %bb.147:                              ;   in Loop: Header=BB14_47 Depth=1
	v_add_u32_e32 v14, v14, v21
	v_ashrrev_i32_e32 v15, 31, v14
	s_mov_b64 s[40:41], 0
.LBB14_148:                             ;   Parent Loop BB14_47 Depth=1
                                        ; =>  This Inner Loop Header: Depth=2
	v_lshl_add_u64 v[16:17], v[10:11], 0, v[14:15]
	flat_load_ushort v18, v[16:17] nt
	v_sub_u32_e32 v9, v9, v70
	v_cmp_gt_i32_e32 vcc, 2, v9
	v_lshl_add_u64 v[16:17], v[12:13], 0, v[14:15]
	v_lshl_add_u64 v[14:15], v[14:15], 0, v[70:71]
	s_or_b64 s[40:41], vcc, s[40:41]
	s_waitcnt vmcnt(0) lgkmcnt(0)
	flat_store_short v[16:17], v18 nt
	s_andn2_b64 exec, exec, s[40:41]
	s_cbranch_execnz .LBB14_148
.LBB14_149:                             ;   in Loop: Header=BB14_47 Depth=1
	s_or_b64 exec, exec, s[24:25]
	v_cmp_lt_i32_e64 s[24:25], 0, v2
	s_and_saveexec_b64 s[40:41], s[6:7]
	s_cbranch_execz .LBB14_125
.LBB14_150:                             ;   in Loop: Header=BB14_47 Depth=1
	s_and_saveexec_b64 s[42:43], s[58:59]
	s_xor_b64 s[42:43], exec, s[42:43]
	s_cbranch_execz .LBB14_165
; %bb.151:                              ;   in Loop: Header=BB14_47 Depth=1
	s_and_saveexec_b64 s[90:91], s[14:15]
	s_cbranch_execz .LBB14_164
; %bb.152:                              ;   in Loop: Header=BB14_47 Depth=1
	s_mov_b64 s[94:95], exec
	v_mbcnt_lo_u32_b32 v2, s94, 0
	v_mbcnt_hi_u32_b32 v2, s95, v2
	v_cmp_eq_u32_e32 vcc, 0, v2
	s_waitcnt lgkmcnt(0)
	s_and_saveexec_b64 s[92:93], vcc
	s_cbranch_execz .LBB14_154
; %bb.153:                              ;   in Loop: Header=BB14_47 Depth=1
	s_bcnt1_i32_b64 s56, s[94:95]
	v_mov_b32_e32 v2, s56
	ds_add_u64 v0, v[2:3]
	s_trap 2
.LBB14_154:                             ;   in Loop: Header=BB14_47 Depth=1
	s_or_b64 exec, exec, s[92:93]
	s_trap 2
	ds_read_b64 v[10:11], v0
	s_waitcnt lgkmcnt(0)
	v_lshl_add_u64 v[38:39], v[38:39], 0, v[52:53]
	v_cmp_lt_u64_e32 vcc, v[10:11], v[38:39]
	s_and_saveexec_b64 s[92:93], vcc
	s_cbranch_execz .LBB14_163
; %bb.155:                              ;   in Loop: Header=BB14_47 Depth=1
	s_mov_b32 s56, 0
	s_mov_b64 s[94:95], 0
                                        ; implicit-def: $sgpr30_sgpr31
                                        ; implicit-def: $sgpr34_sgpr35
	s_branch .LBB14_157
.LBB14_156:                             ;   in Loop: Header=BB14_157 Depth=2
	s_or_b64 exec, exec, s[38:39]
	s_and_b64 vcc, exec, vcc
	s_or_b64 s[94:95], vcc, s[94:95]
	s_andn2_b64 vcc, s[30:31], exec
	s_and_b64 s[30:31], s[34:35], exec
	s_or_b64 s[30:31], vcc, s[30:31]
	s_andn2_b64 exec, exec, s[94:95]
	s_cbranch_execz .LBB14_161
.LBB14_157:                             ;   Parent Loop BB14_47 Depth=1
                                        ; =>  This Inner Loop Header: Depth=2
	s_add_i32 s56, s56, 1
	s_cmpk_lg_i32 s56, 0x2710
	s_cselect_b64 s[36:37], -1, 0
	s_and_b64 vcc, exec, s[36:37]
	s_cbranch_vccz .LBB14_159
; %bb.158:                              ;   in Loop: Header=BB14_157 Depth=2
	s_mov_b64 vcc, -1
	s_or_b64 s[34:35], s[34:35], exec
	s_and_saveexec_b64 s[38:39], s[36:37]
	s_cbranch_execz .LBB14_156
	s_branch .LBB14_160
.LBB14_159:                             ;   in Loop: Header=BB14_157 Depth=2
	s_trap 2
	ds_read_b64 v[10:11], v0
	s_andn2_b64 s[36:37], s[36:37], exec
	s_mov_b32 s56, 0
	s_waitcnt vmcnt(0) lgkmcnt(0)
	flat_load_dword v2, v[10:11] sc0 sc1
	s_waitcnt vmcnt(0) lgkmcnt(0)
	buffer_inv sc0 sc1
	v_cmp_eq_u32_e32 vcc, 0, v2
	s_and_b64 vcc, vcc, exec
	s_or_b64 s[36:37], s[36:37], vcc
	s_mov_b64 vcc, -1
	s_or_b64 s[34:35], s[34:35], exec
	s_and_saveexec_b64 s[38:39], s[36:37]
	s_cbranch_execz .LBB14_156
.LBB14_160:                             ;   in Loop: Header=BB14_157 Depth=2
	s_sleep 1
	s_trap 2
	ds_read_b64 v[10:11], v0
	s_waitcnt lgkmcnt(0)
	s_andn2_b64 s[34:35], s[34:35], exec
	v_cmp_ge_u64_e32 vcc, v[10:11], v[38:39]
	s_orn2_b64 vcc, vcc, exec
	s_branch .LBB14_156
.LBB14_161:                             ;   in Loop: Header=BB14_47 Depth=1
	s_or_b64 exec, exec, s[94:95]
	s_and_saveexec_b64 s[94:95], s[30:31]
	s_xor_b64 s[94:95], exec, s[94:95]
	s_cbranch_execz .LBB14_163
; %bb.162:                              ;   in Loop: Header=BB14_47 Depth=1
	ds_write_b32 v0, v73
	s_trap 2
.LBB14_163:                             ;   in Loop: Header=BB14_47 Depth=1
	s_or_b64 exec, exec, s[92:93]
	;;#ASMSTART
	s_wakeup
	;;#ASMEND
.LBB14_164:                             ;   in Loop: Header=BB14_47 Depth=1
	s_or_b64 exec, exec, s[90:91]
.LBB14_165:                             ;   in Loop: Header=BB14_47 Depth=1
	s_andn2_saveexec_b64 s[42:43], s[42:43]
	s_cbranch_execz .LBB14_167
; %bb.166:                              ;   in Loop: Header=BB14_47 Depth=1
	s_waitcnt lgkmcnt(0)
	s_barrier
.LBB14_167:                             ;   in Loop: Header=BB14_47 Depth=1
	s_or_b64 exec, exec, s[42:43]
	s_or_b64 exec, exec, s[40:41]
                                        ; implicit-def: $vgpr2
	s_and_saveexec_b64 s[40:41], s[22:23]
	s_xor_b64 s[40:41], exec, s[40:41]
	s_cbranch_execnz .LBB14_126
.LBB14_168:                             ;   in Loop: Header=BB14_47 Depth=1
	s_andn2_saveexec_b64 s[24:25], s[40:41]
	s_cbranch_execz .LBB14_129
.LBB14_169:                             ;   in Loop: Header=BB14_47 Depth=1
	s_and_saveexec_b64 s[40:41], s[58:59]
	s_xor_b64 s[40:41], exec, s[40:41]
	s_cbranch_execz .LBB14_184
; %bb.170:                              ;   in Loop: Header=BB14_47 Depth=1
	s_and_saveexec_b64 s[42:43], s[14:15]
	s_cbranch_execz .LBB14_183
; %bb.171:                              ;   in Loop: Header=BB14_47 Depth=1
	s_mov_b64 s[92:93], exec
	v_mbcnt_lo_u32_b32 v2, s92, 0
	v_mbcnt_hi_u32_b32 v2, s93, v2
	v_cmp_eq_u32_e32 vcc, 0, v2
	;;#ASMSTART
	s_waitcnt lgkmcnt(0) vmcnt(0)
	;;#ASMEND
	s_and_saveexec_b64 s[90:91], vcc
	s_cbranch_execz .LBB14_173
; %bb.172:                              ;   in Loop: Header=BB14_47 Depth=1
	s_bcnt1_i32_b64 s56, s[92:93]
	v_mov_b32_e32 v2, s56
	s_waitcnt lgkmcnt(0)
	ds_add_u64 v0, v[2:3]
	s_trap 2
.LBB14_173:                             ;   in Loop: Header=BB14_47 Depth=1
	s_or_b64 exec, exec, s[90:91]
	s_trap 2
	ds_read_b64 v[10:11], v0
	s_waitcnt lgkmcnt(0)
	v_lshl_add_u64 v[38:39], v[38:39], 0, v[52:53]
	v_cmp_lt_u64_e32 vcc, v[10:11], v[38:39]
	s_and_saveexec_b64 s[90:91], vcc
	s_cbranch_execz .LBB14_182
; %bb.174:                              ;   in Loop: Header=BB14_47 Depth=1
	s_mov_b32 s56, 0
	s_mov_b64 s[92:93], 0
                                        ; implicit-def: $sgpr94_sgpr95
                                        ; implicit-def: $sgpr30_sgpr31
	s_branch .LBB14_176
.LBB14_175:                             ;   in Loop: Header=BB14_176 Depth=2
	s_or_b64 exec, exec, s[36:37]
	s_and_b64 vcc, exec, vcc
	s_or_b64 s[92:93], vcc, s[92:93]
	s_andn2_b64 s[94:95], s[94:95], exec
	s_and_b64 vcc, s[30:31], exec
	s_or_b64 s[94:95], s[94:95], vcc
	s_andn2_b64 exec, exec, s[92:93]
	s_cbranch_execz .LBB14_180
.LBB14_176:                             ;   Parent Loop BB14_47 Depth=1
                                        ; =>  This Inner Loop Header: Depth=2
	s_add_i32 s56, s56, 1
	s_cmpk_lg_i32 s56, 0x2710
	s_cselect_b64 s[34:35], -1, 0
	s_and_b64 vcc, exec, s[34:35]
	s_cbranch_vccz .LBB14_178
; %bb.177:                              ;   in Loop: Header=BB14_176 Depth=2
	s_mov_b64 vcc, -1
	s_or_b64 s[30:31], s[30:31], exec
	s_and_saveexec_b64 s[36:37], s[34:35]
	s_cbranch_execz .LBB14_175
	s_branch .LBB14_179
.LBB14_178:                             ;   in Loop: Header=BB14_176 Depth=2
	s_trap 2
	ds_read_b64 v[10:11], v0
	s_andn2_b64 s[34:35], s[34:35], exec
	s_mov_b32 s56, 0
	s_waitcnt vmcnt(0) lgkmcnt(0)
	flat_load_dword v2, v[10:11] sc0 sc1
	s_waitcnt vmcnt(0) lgkmcnt(0)
	buffer_inv sc0 sc1
	v_cmp_eq_u32_e32 vcc, 0, v2
	s_and_b64 vcc, vcc, exec
	s_or_b64 s[34:35], s[34:35], vcc
	s_mov_b64 vcc, -1
	s_or_b64 s[30:31], s[30:31], exec
	s_and_saveexec_b64 s[36:37], s[34:35]
	s_cbranch_execz .LBB14_175
.LBB14_179:                             ;   in Loop: Header=BB14_176 Depth=2
	s_sleep 1
	s_trap 2
	ds_read_b64 v[10:11], v0
	s_waitcnt lgkmcnt(0)
	s_andn2_b64 s[30:31], s[30:31], exec
	v_cmp_ge_u64_e32 vcc, v[10:11], v[38:39]
	s_orn2_b64 vcc, vcc, exec
	s_branch .LBB14_175
.LBB14_180:                             ;   in Loop: Header=BB14_47 Depth=1
	s_or_b64 exec, exec, s[92:93]
	s_and_saveexec_b64 s[92:93], s[94:95]
	s_xor_b64 s[92:93], exec, s[92:93]
	s_cbranch_execz .LBB14_182
; %bb.181:                              ;   in Loop: Header=BB14_47 Depth=1
	ds_write_b32 v0, v73
	s_trap 2
.LBB14_182:                             ;   in Loop: Header=BB14_47 Depth=1
	s_or_b64 exec, exec, s[90:91]
	;;#ASMSTART
	s_wakeup
	;;#ASMEND
.LBB14_183:                             ;   in Loop: Header=BB14_47 Depth=1
	s_or_b64 exec, exec, s[42:43]
.LBB14_184:                             ;   in Loop: Header=BB14_47 Depth=1
	s_andn2_saveexec_b64 s[40:41], s[40:41]
	s_cbranch_execz .LBB14_186
; %bb.185:                              ;   in Loop: Header=BB14_47 Depth=1
	;;#ASMSTART
	s_waitcnt lgkmcnt(0) vmcnt(0)
	;;#ASMEND
	s_barrier
.LBB14_186:                             ;   in Loop: Header=BB14_47 Depth=1
	s_or_b64 exec, exec, s[40:41]
	v_and_b32_e32 v2, 16, v62
	s_or_b64 exec, exec, s[24:25]
	v_cmp_ne_u32_e32 vcc, 0, v2
	s_and_saveexec_b64 s[24:25], vcc
	s_cbranch_execz .LBB14_190
.LBB14_187:                             ;   in Loop: Header=BB14_47 Depth=1
	s_and_saveexec_b64 s[40:41], s[12:13]
	s_cbranch_execz .LBB14_189
; %bb.188:                              ;   in Loop: Header=BB14_47 Depth=1
	flat_store_dword v[36:37], v73 sc0 sc1
.LBB14_189:                             ;   in Loop: Header=BB14_47 Depth=1
	s_or_b64 exec, exec, s[40:41]
	v_lshl_add_u64 v[112:113], v[112:113], 0, 4
	flat_store_dwordx2 v[32:33], v[112:113] sc0 sc1
.LBB14_190:                             ;   in Loop: Header=BB14_47 Depth=1
	s_or_b64 exec, exec, s[24:25]
	v_mov_b32_e32 v2, v8
.LBB14_191:                             ;   in Loop: Header=BB14_47 Depth=1
	s_or_b64 exec, exec, s[28:29]
	s_and_saveexec_b64 s[28:29], s[26:27]
	s_cbranch_execz .LBB14_261
; %bb.192:                              ;   in Loop: Header=BB14_47 Depth=1
	v_sub_u32_e32 v2, v20, v2
	v_min_i32_e32 v8, v8, v2
	v_and_b32_e32 v2, 8, v62
	v_cmp_ne_u32_e32 vcc, 0, v2
	s_and_saveexec_b64 s[26:27], vcc
	s_cbranch_execz .LBB14_202
; %bb.193:                              ;   in Loop: Header=BB14_47 Depth=1
	s_waitcnt vmcnt(0) lgkmcnt(0)
	v_lshl_add_u64 v[12:13], v[48:49], 0, 8
	v_lshl_add_u64 v[10:11], v[112:113], 0, 4
	v_cmp_lt_u64_e32 vcc, v[12:13], v[10:11]
	s_and_saveexec_b64 s[40:41], vcc
	s_cbranch_execz .LBB14_211
; %bb.194:                              ;   in Loop: Header=BB14_47 Depth=1
	v_and_b32_e32 v2, 64, v62
	s_mov_b32 s56, 0
	v_cmp_eq_u32_e32 vcc, 0, v2
	s_mov_b64 s[42:43], 0
                                        ; implicit-def: $sgpr90_sgpr91
                                        ; implicit-def: $sgpr92_sgpr93
                                        ; implicit-def: $sgpr94_sgpr95
	s_branch .LBB14_198
.LBB14_195:                             ;   in Loop: Header=BB14_198 Depth=2
	s_waitcnt vmcnt(0) lgkmcnt(0)
	v_lshl_add_u64 v[12:13], v[48:49], 0, 8
	v_cmp_ge_u64_e64 s[24:25], v[12:13], v[10:11]
	s_or_b64 s[36:37], s[36:37], exec
	s_orn2_b64 s[34:35], s[24:25], exec
.LBB14_196:                             ;   in Loop: Header=BB14_198 Depth=2
	s_or_b64 exec, exec, s[48:49]
	s_andn2_b64 s[24:25], s[94:95], exec
	s_and_b64 s[94:95], s[36:37], exec
	s_or_b64 s[94:95], s[24:25], s[94:95]
	s_andn2_b64 s[24:25], s[92:93], exec
	s_and_b64 s[92:93], s[34:35], exec
	s_or_b64 s[92:93], s[24:25], s[92:93]
.LBB14_197:                             ;   in Loop: Header=BB14_198 Depth=2
	s_or_b64 exec, exec, s[30:31]
	s_and_b64 s[24:25], exec, s[92:93]
	s_or_b64 s[42:43], s[24:25], s[42:43]
	s_andn2_b64 s[24:25], s[90:91], exec
	s_and_b64 s[90:91], s[94:95], exec
	s_or_b64 s[90:91], s[24:25], s[90:91]
	s_andn2_b64 exec, exec, s[42:43]
	s_cbranch_execz .LBB14_208
.LBB14_198:                             ;   Parent Loop BB14_47 Depth=1
                                        ; =>  This Inner Loop Header: Depth=2
	s_sleep 1
	s_waitcnt vmcnt(0) lgkmcnt(0)
	flat_load_dwordx2 v[48:49], v[32:33] sc0 sc1
	s_or_b64 s[94:95], s[94:95], exec
	s_or_b64 s[92:93], s[92:93], exec
                                        ; implicit-def: $vgpr2
	s_and_saveexec_b64 s[30:31], vcc
	s_cbranch_execz .LBB14_197
; %bb.199:                              ;   in Loop: Header=BB14_198 Depth=2
	s_cmpk_lt_i32 s56, 0x270f
	s_cselect_b64 s[38:39], -1, 0
	s_cmpk_gt_i32 s56, 0x270e
	s_mov_b64 s[34:35], -1
	s_cbranch_scc0 .LBB14_201
; %bb.200:                              ;   in Loop: Header=BB14_198 Depth=2
	s_trap 2
	ds_read_b64 v[12:13], v0
	s_andn2_b64 s[38:39], s[38:39], exec
	s_mov_b32 s56, 0
	s_mov_b64 s[36:37], 0
	s_waitcnt vmcnt(0) lgkmcnt(0)
	flat_load_dword v2, v[12:13] sc0 sc1
	s_waitcnt vmcnt(0) lgkmcnt(0)
	buffer_inv sc0 sc1
	v_cmp_eq_u32_e64 s[24:25], 0, v2
	s_and_b64 s[24:25], s[24:25], exec
	s_or_b64 s[38:39], s[38:39], s[24:25]
	s_and_saveexec_b64 s[48:49], s[38:39]
	s_cbranch_execz .LBB14_196
	s_branch .LBB14_195
.LBB14_201:                             ;   in Loop: Header=BB14_198 Depth=2
	s_add_i32 s56, s56, 1
	s_mov_b64 s[36:37], -1
                                        ; implicit-def: $vgpr2
	s_and_saveexec_b64 s[48:49], s[38:39]
	s_cbranch_execz .LBB14_196
	s_branch .LBB14_195
.LBB14_202:                             ;   in Loop: Header=BB14_47 Depth=1
	s_or_b64 exec, exec, s[26:27]
	s_and_saveexec_b64 s[24:25], s[6:7]
	s_cbranch_execnz .LBB14_220
.LBB14_203:                             ;   in Loop: Header=BB14_47 Depth=1
	s_or_b64 exec, exec, s[24:25]
                                        ; implicit-def: $vgpr2
	s_and_saveexec_b64 s[24:25], s[22:23]
	s_xor_b64 s[24:25], exec, s[24:25]
	s_cbranch_execz .LBB14_238
.LBB14_204:                             ;   in Loop: Header=BB14_47 Depth=1
	s_trap 2
	ds_read_b32 v9, v0
	v_cmp_lt_i32_e32 vcc, 0, v8
	v_and_b32_e32 v8, 16, v62
	v_and_b32_e32 v2, 16, v62
	s_waitcnt lgkmcnt(0)
	v_readfirstlane_b32 s26, v9
	s_cmp_eq_u32 s26, 0
	s_cselect_b64 s[26:27], -1, 0
	s_and_b64 s[26:27], vcc, s[26:27]
	v_cmp_ne_u32_e32 vcc, 0, v8
	s_and_b64 s[40:41], vcc, s[26:27]
	s_and_saveexec_b64 s[26:27], s[40:41]
	s_cbranch_execz .LBB14_206
; %bb.205:                              ;   in Loop: Header=BB14_47 Depth=1
	v_mov_b32_e32 v2, 1
	buffer_wbl2 sc1
	s_waitcnt vmcnt(0)
	buffer_inv sc1
.LBB14_206:                             ;   in Loop: Header=BB14_47 Depth=1
	s_or_b64 exec, exec, s[26:27]
	s_andn2_saveexec_b64 s[24:25], s[24:25]
	s_cbranch_execnz .LBB14_239
.LBB14_207:                             ;   in Loop: Header=BB14_47 Depth=1
	s_or_b64 exec, exec, s[24:25]
	v_cmp_ne_u32_e32 vcc, 0, v2
	s_and_saveexec_b64 s[24:25], vcc
	s_cbranch_execnz .LBB14_257
	s_branch .LBB14_260
.LBB14_208:                             ;   in Loop: Header=BB14_47 Depth=1
	s_or_b64 exec, exec, s[42:43]
	s_xor_b64 s[24:25], s[90:91], -1
	s_and_saveexec_b64 s[42:43], s[24:25]
	s_xor_b64 s[24:25], exec, s[42:43]
	s_cbranch_execz .LBB14_210
; %bb.209:                              ;   in Loop: Header=BB14_47 Depth=1
	v_or_b32_e32 v62, 64, v62
	s_waitcnt lgkmcnt(0)
	ds_write_b32 v0, v2
	s_trap 2
.LBB14_210:                             ;   in Loop: Header=BB14_47 Depth=1
	s_or_b64 exec, exec, s[24:25]
.LBB14_211:                             ;   in Loop: Header=BB14_47 Depth=1
	s_or_b64 exec, exec, s[40:41]
	v_and_b32_e32 v2, 0x100, v62
	v_cmp_ne_u32_e32 vcc, 0, v2
	v_and_b32_e32 v2, 7, v112
	s_mov_b64 s[24:25], -1
	;;#ASMSTART
	s_wakeup
	;;#ASMEND
                                        ; implicit-def: $vgpr12_vgpr13
	s_and_saveexec_b64 s[40:41], vcc
	s_cbranch_execz .LBB14_215
; %bb.212:                              ;   in Loop: Header=BB14_47 Depth=1
	v_mad_u64_u32 v[14:15], s[24:25], v2, 24, v[6:7]
	flat_load_dword v16, v[14:15]
	v_ashrrev_i32_e32 v9, 31, v8
	v_lshlrev_b64 v[12:13], 1, v[8:9]
	flat_store_dwordx2 v[14:15], v[12:13] offset:8
                                        ; implicit-def: $vgpr12_vgpr13
	s_waitcnt vmcnt(0) lgkmcnt(0)
	v_cmp_ne_u32_e32 vcc, 1, v16
	v_cmp_eq_u32_e64 s[24:25], 1, v16
	s_and_saveexec_b64 s[42:43], s[24:25]
	s_cbranch_execz .LBB14_214
; %bb.213:                              ;   in Loop: Header=BB14_47 Depth=1
	flat_load_dword v12, v[14:15] offset:4 sc0 sc1
	s_waitcnt vmcnt(0) lgkmcnt(0)
	v_ashrrev_i32_e32 v13, 31, v12
	v_lshrrev_b64 v[12:13], 1, v[12:13]
.LBB14_214:                             ;   in Loop: Header=BB14_47 Depth=1
	s_or_b64 exec, exec, s[42:43]
	s_orn2_b64 s[24:25], vcc, exec
.LBB14_215:                             ;   in Loop: Header=BB14_47 Depth=1
	s_or_b64 exec, exec, s[40:41]
	s_and_saveexec_b64 s[40:41], s[24:25]
; %bb.216:                              ;   in Loop: Header=BB14_47 Depth=1
	v_mad_i64_i32 v[12:13], s[24:25], v2, v30, 0
; %bb.217:                              ;   in Loop: Header=BB14_47 Depth=1
	s_or_b64 exec, exec, s[40:41]
	v_and_b32_e32 v2, 0x2000, v62
	v_lshl_add_u64 v[12:13], v[12:13], 1, v[34:35]
	v_cmp_ne_u32_e32 vcc, 0, v2
	ds_write_b64 v0, v[12:13] offset:784
	s_and_saveexec_b64 s[24:25], vcc
	s_cbranch_execz .LBB14_219
; %bb.218:                              ;   in Loop: Header=BB14_47 Depth=1
	ds_read_b64 v[12:13], v0 offset:872
	s_waitcnt lgkmcnt(0)
	v_lshl_add_u64 v[12:13], v[12:13], 0, 1
	ds_write_b64 v0, v[12:13] offset:872
.LBB14_219:                             ;   in Loop: Header=BB14_47 Depth=1
	s_or_b64 exec, exec, s[24:25]
	v_mov_b64_e32 v[112:113], v[10:11]
	s_or_b64 exec, exec, s[26:27]
	s_and_saveexec_b64 s[24:25], s[6:7]
	s_cbranch_execz .LBB14_203
.LBB14_220:                             ;   in Loop: Header=BB14_47 Depth=1
	s_and_saveexec_b64 s[26:27], s[58:59]
	s_xor_b64 s[26:27], exec, s[26:27]
	s_cbranch_execz .LBB14_235
; %bb.221:                              ;   in Loop: Header=BB14_47 Depth=1
	s_and_saveexec_b64 s[40:41], s[14:15]
	s_cbranch_execz .LBB14_234
; %bb.222:                              ;   in Loop: Header=BB14_47 Depth=1
	s_mov_b64 s[90:91], exec
	v_mbcnt_lo_u32_b32 v2, s90, 0
	v_mbcnt_hi_u32_b32 v2, s91, v2
	v_cmp_eq_u32_e32 vcc, 0, v2
	s_waitcnt lgkmcnt(0)
	s_and_saveexec_b64 s[42:43], vcc
	s_cbranch_execz .LBB14_224
; %bb.223:                              ;   in Loop: Header=BB14_47 Depth=1
	s_bcnt1_i32_b64 s56, s[90:91]
	v_mov_b32_e32 v2, s56
	ds_add_u64 v0, v[2:3]
	s_trap 2
.LBB14_224:                             ;   in Loop: Header=BB14_47 Depth=1
	s_or_b64 exec, exec, s[42:43]
	s_trap 2
	ds_read_b64 v[10:11], v0
	s_waitcnt lgkmcnt(0)
	v_lshl_add_u64 v[38:39], v[38:39], 0, v[52:53]
	v_cmp_lt_u64_e32 vcc, v[10:11], v[38:39]
	s_and_saveexec_b64 s[42:43], vcc
	s_cbranch_execz .LBB14_233
; %bb.225:                              ;   in Loop: Header=BB14_47 Depth=1
	s_mov_b32 s56, 0
	s_mov_b64 s[90:91], 0
                                        ; implicit-def: $sgpr92_sgpr93
                                        ; implicit-def: $sgpr94_sgpr95
	s_branch .LBB14_227
.LBB14_226:                             ;   in Loop: Header=BB14_227 Depth=2
	s_or_b64 exec, exec, s[34:35]
	s_and_b64 vcc, exec, vcc
	s_or_b64 s[90:91], vcc, s[90:91]
	s_andn2_b64 s[92:93], s[92:93], exec
	s_and_b64 vcc, s[94:95], exec
	s_or_b64 s[92:93], s[92:93], vcc
	s_andn2_b64 exec, exec, s[90:91]
	s_cbranch_execz .LBB14_231
.LBB14_227:                             ;   Parent Loop BB14_47 Depth=1
                                        ; =>  This Inner Loop Header: Depth=2
	s_add_i32 s56, s56, 1
	s_cmpk_lg_i32 s56, 0x2710
	s_cselect_b64 s[30:31], -1, 0
	s_and_b64 vcc, exec, s[30:31]
	s_cbranch_vccz .LBB14_229
; %bb.228:                              ;   in Loop: Header=BB14_227 Depth=2
	s_mov_b64 vcc, -1
	s_or_b64 s[94:95], s[94:95], exec
	s_and_saveexec_b64 s[34:35], s[30:31]
	s_cbranch_execz .LBB14_226
	s_branch .LBB14_230
.LBB14_229:                             ;   in Loop: Header=BB14_227 Depth=2
	s_trap 2
	ds_read_b64 v[10:11], v0
	s_andn2_b64 s[30:31], s[30:31], exec
	s_mov_b32 s56, 0
	s_waitcnt vmcnt(0) lgkmcnt(0)
	flat_load_dword v2, v[10:11] sc0 sc1
	s_waitcnt vmcnt(0) lgkmcnt(0)
	buffer_inv sc0 sc1
	v_cmp_eq_u32_e32 vcc, 0, v2
	s_and_b64 vcc, vcc, exec
	s_or_b64 s[30:31], s[30:31], vcc
	s_mov_b64 vcc, -1
	s_or_b64 s[94:95], s[94:95], exec
	s_and_saveexec_b64 s[34:35], s[30:31]
	s_cbranch_execz .LBB14_226
.LBB14_230:                             ;   in Loop: Header=BB14_227 Depth=2
	s_sleep 1
	s_trap 2
	ds_read_b64 v[10:11], v0
	s_waitcnt lgkmcnt(0)
	s_andn2_b64 s[94:95], s[94:95], exec
	v_cmp_ge_u64_e32 vcc, v[10:11], v[38:39]
	s_orn2_b64 vcc, vcc, exec
	s_branch .LBB14_226
.LBB14_231:                             ;   in Loop: Header=BB14_47 Depth=1
	s_or_b64 exec, exec, s[90:91]
	s_and_saveexec_b64 s[90:91], s[92:93]
	s_xor_b64 s[90:91], exec, s[90:91]
	s_cbranch_execz .LBB14_233
; %bb.232:                              ;   in Loop: Header=BB14_47 Depth=1
	ds_write_b32 v0, v73
	s_trap 2
.LBB14_233:                             ;   in Loop: Header=BB14_47 Depth=1
	s_or_b64 exec, exec, s[42:43]
	;;#ASMSTART
	s_wakeup
	;;#ASMEND
.LBB14_234:                             ;   in Loop: Header=BB14_47 Depth=1
	s_or_b64 exec, exec, s[40:41]
.LBB14_235:                             ;   in Loop: Header=BB14_47 Depth=1
	s_andn2_saveexec_b64 s[26:27], s[26:27]
	s_cbranch_execz .LBB14_237
; %bb.236:                              ;   in Loop: Header=BB14_47 Depth=1
	s_waitcnt lgkmcnt(0)
	s_barrier
.LBB14_237:                             ;   in Loop: Header=BB14_47 Depth=1
	s_or_b64 exec, exec, s[26:27]
	s_or_b64 exec, exec, s[24:25]
                                        ; implicit-def: $vgpr2
	s_and_saveexec_b64 s[24:25], s[22:23]
	s_xor_b64 s[24:25], exec, s[24:25]
	s_cbranch_execnz .LBB14_204
.LBB14_238:                             ;   in Loop: Header=BB14_47 Depth=1
	s_andn2_saveexec_b64 s[24:25], s[24:25]
	s_cbranch_execz .LBB14_207
.LBB14_239:                             ;   in Loop: Header=BB14_47 Depth=1
	s_and_saveexec_b64 s[26:27], s[58:59]
	s_xor_b64 s[26:27], exec, s[26:27]
	s_cbranch_execz .LBB14_254
; %bb.240:                              ;   in Loop: Header=BB14_47 Depth=1
	s_and_saveexec_b64 s[40:41], s[14:15]
	s_cbranch_execz .LBB14_253
; %bb.241:                              ;   in Loop: Header=BB14_47 Depth=1
	s_mov_b64 s[90:91], exec
	v_mbcnt_lo_u32_b32 v2, s90, 0
	v_mbcnt_hi_u32_b32 v2, s91, v2
	v_cmp_eq_u32_e32 vcc, 0, v2
	;;#ASMSTART
	s_waitcnt lgkmcnt(0) vmcnt(0)
	;;#ASMEND
	s_and_saveexec_b64 s[42:43], vcc
	s_cbranch_execz .LBB14_243
; %bb.242:                              ;   in Loop: Header=BB14_47 Depth=1
	s_bcnt1_i32_b64 s56, s[90:91]
	v_mov_b32_e32 v2, s56
	s_waitcnt lgkmcnt(0)
	ds_add_u64 v0, v[2:3]
	s_trap 2
.LBB14_243:                             ;   in Loop: Header=BB14_47 Depth=1
	s_or_b64 exec, exec, s[42:43]
	s_trap 2
	ds_read_b64 v[8:9], v0
	s_waitcnt lgkmcnt(0)
	v_lshl_add_u64 v[38:39], v[38:39], 0, v[52:53]
	v_cmp_lt_u64_e32 vcc, v[8:9], v[38:39]
	s_and_saveexec_b64 s[42:43], vcc
	s_cbranch_execz .LBB14_252
; %bb.244:                              ;   in Loop: Header=BB14_47 Depth=1
	s_mov_b32 s56, 0
	s_mov_b64 s[90:91], 0
                                        ; implicit-def: $sgpr92_sgpr93
                                        ; implicit-def: $sgpr94_sgpr95
	s_branch .LBB14_246
.LBB14_245:                             ;   in Loop: Header=BB14_246 Depth=2
	s_or_b64 exec, exec, s[34:35]
	s_and_b64 vcc, exec, vcc
	s_or_b64 s[90:91], vcc, s[90:91]
	s_andn2_b64 s[92:93], s[92:93], exec
	s_and_b64 vcc, s[94:95], exec
	s_or_b64 s[92:93], s[92:93], vcc
	s_andn2_b64 exec, exec, s[90:91]
	s_cbranch_execz .LBB14_250
.LBB14_246:                             ;   Parent Loop BB14_47 Depth=1
                                        ; =>  This Inner Loop Header: Depth=2
	s_add_i32 s56, s56, 1
	s_cmpk_lg_i32 s56, 0x2710
	s_cselect_b64 s[30:31], -1, 0
	s_and_b64 vcc, exec, s[30:31]
	s_cbranch_vccz .LBB14_248
; %bb.247:                              ;   in Loop: Header=BB14_246 Depth=2
	s_mov_b64 vcc, -1
	s_or_b64 s[94:95], s[94:95], exec
	s_and_saveexec_b64 s[34:35], s[30:31]
	s_cbranch_execz .LBB14_245
	s_branch .LBB14_249
.LBB14_248:                             ;   in Loop: Header=BB14_246 Depth=2
	s_trap 2
	ds_read_b64 v[8:9], v0
	s_andn2_b64 s[30:31], s[30:31], exec
	s_mov_b32 s56, 0
	s_waitcnt vmcnt(0) lgkmcnt(0)
	flat_load_dword v2, v[8:9] sc0 sc1
	s_waitcnt vmcnt(0) lgkmcnt(0)
	buffer_inv sc0 sc1
	v_cmp_eq_u32_e32 vcc, 0, v2
	s_and_b64 vcc, vcc, exec
	s_or_b64 s[30:31], s[30:31], vcc
	s_mov_b64 vcc, -1
	s_or_b64 s[94:95], s[94:95], exec
	s_and_saveexec_b64 s[34:35], s[30:31]
	s_cbranch_execz .LBB14_245
.LBB14_249:                             ;   in Loop: Header=BB14_246 Depth=2
	s_sleep 1
	s_trap 2
	ds_read_b64 v[8:9], v0
	s_waitcnt lgkmcnt(0)
	s_andn2_b64 s[94:95], s[94:95], exec
	v_cmp_ge_u64_e32 vcc, v[8:9], v[38:39]
	s_orn2_b64 vcc, vcc, exec
	s_branch .LBB14_245
.LBB14_250:                             ;   in Loop: Header=BB14_47 Depth=1
	s_or_b64 exec, exec, s[90:91]
	s_and_saveexec_b64 s[90:91], s[92:93]
	s_xor_b64 s[90:91], exec, s[90:91]
	s_cbranch_execz .LBB14_252
; %bb.251:                              ;   in Loop: Header=BB14_47 Depth=1
	ds_write_b32 v0, v73
	s_trap 2
.LBB14_252:                             ;   in Loop: Header=BB14_47 Depth=1
	s_or_b64 exec, exec, s[42:43]
	;;#ASMSTART
	s_wakeup
	;;#ASMEND
.LBB14_253:                             ;   in Loop: Header=BB14_47 Depth=1
	s_or_b64 exec, exec, s[40:41]
.LBB14_254:                             ;   in Loop: Header=BB14_47 Depth=1
	s_andn2_saveexec_b64 s[26:27], s[26:27]
	s_cbranch_execz .LBB14_256
; %bb.255:                              ;   in Loop: Header=BB14_47 Depth=1
	;;#ASMSTART
	s_waitcnt lgkmcnt(0) vmcnt(0)
	;;#ASMEND
	s_barrier
.LBB14_256:                             ;   in Loop: Header=BB14_47 Depth=1
	s_or_b64 exec, exec, s[26:27]
	v_and_b32_e32 v2, 16, v62
	s_or_b64 exec, exec, s[24:25]
	v_cmp_ne_u32_e32 vcc, 0, v2
	s_and_saveexec_b64 s[24:25], vcc
	s_cbranch_execz .LBB14_260
.LBB14_257:                             ;   in Loop: Header=BB14_47 Depth=1
	s_and_saveexec_b64 s[26:27], s[12:13]
	s_cbranch_execz .LBB14_259
; %bb.258:                              ;   in Loop: Header=BB14_47 Depth=1
	flat_store_dword v[36:37], v73 sc0 sc1
.LBB14_259:                             ;   in Loop: Header=BB14_47 Depth=1
	s_or_b64 exec, exec, s[26:27]
	v_lshl_add_u64 v[112:113], v[112:113], 0, 4
	flat_store_dwordx2 v[32:33], v[112:113] sc0 sc1
.LBB14_260:                             ;   in Loop: Header=BB14_47 Depth=1
	s_or_b64 exec, exec, s[24:25]
.LBB14_261:                             ;   in Loop: Header=BB14_47 Depth=1
	s_or_b64 exec, exec, s[28:29]
	v_cndmask_b32_e64 v2, 0, 1, s[78:79]
	v_cmp_ne_u32_e64 s[24:25], 1, v2
	s_andn2_b64 vcc, exec, s[78:79]
	s_cbranch_vccnz .LBB14_612
; %bb.262:                              ;   in Loop: Header=BB14_47 Depth=1
	s_mov_b32 s84, 2
	s_branch .LBB14_265
.LBB14_263:                             ;   in Loop: Header=BB14_265 Depth=2
	s_or_b64 exec, exec, s[26:27]
.LBB14_264:                             ;   in Loop: Header=BB14_265 Depth=2
	s_or_b64 exec, exec, s[28:29]
	s_add_i32 s84, s84, 1
	s_cmp_eq_u32 s84, s54
	s_cbranch_scc1 .LBB14_612
.LBB14_265:                             ;   Parent Loop BB14_47 Depth=1
                                        ; =>  This Loop Header: Depth=2
                                        ;       Child Loop BB14_274 Depth 3
                                        ;       Child Loop BB14_302 Depth 3
	;; [unrolled: 1-line block ×12, first 2 shown]
	s_sub_i32 s26, s69, s84
	s_cmp_ge_i32 s26, s54
	s_cselect_b32 s27, s54, 0
	s_sub_i32 s26, s26, s27
	s_ashr_i32 s27, s26, 31
	v_mul_lo_u32 v2, v102, s27
	v_mul_lo_u32 v10, v103, s26
	v_mad_u64_u32 v[8:9], s[26:27], v102, s26, 0
	v_add3_u32 v9, v9, v2, v10
	v_sub_co_u32_e32 v10, vcc, v114, v8
	s_nop 1
	v_subb_co_u32_e32 v11, vcc, v115, v9, vcc
	v_cmp_lt_i64_e32 vcc, v[102:103], v[10:11]
	s_nop 1
	v_cndmask_b32_e32 v2, v10, v102, vcc
	v_max_i32_e32 v58, 0, v2
	v_add_u32_e32 v10, 15, v58
	v_ashrrev_i32_e32 v11, 31, v10
	v_lshrrev_b32_e32 v11, 28, v11
	v_add_u32_e32 v10, v10, v11
	v_cmp_gt_i32_e32 vcc, 1, v2
	v_and_b32_e32 v10, -16, v10
	s_or_b64 s[40:41], s[2:3], vcc
	v_max_i32_e32 v118, s80, v10
	s_xor_b64 s[26:27], s[40:41], -1
	v_mov_b32_e32 v2, 0
	s_and_saveexec_b64 s[42:43], s[26:27]
	s_cbranch_execz .LBB14_539
; %bb.266:                              ;   in Loop: Header=BB14_265 Depth=2
	s_and_saveexec_b64 s[26:27], s[0:1]
	s_cbranch_execz .LBB14_268
; %bb.267:                              ;   in Loop: Header=BB14_265 Depth=2
	s_trap 2
	ds_read_b64 v[10:11], v0
	s_waitcnt lgkmcnt(0)
	v_lshl_add_u64 v[10:11], v[116:117], 1, v[10:11]
	v_lshl_add_u64 v[8:9], v[8:9], 1, v[10:11]
	ds_write_b64 v0, v[8:9]
	ds_write_b64 v0, v[94:95]
.LBB14_268:                             ;   in Loop: Header=BB14_265 Depth=2
	s_or_b64 exec, exec, s[26:27]
	v_and_b32_e32 v2, 12, v62
	v_min_i32_e32 v118, v118, v58
	v_cmp_ne_u32_e32 vcc, 0, v2
	s_and_saveexec_b64 s[28:29], vcc
	s_cbranch_execz .LBB14_294
; %bb.269:                              ;   in Loop: Header=BB14_265 Depth=2
	v_and_b32_e32 v2, 8, v62
	s_waitcnt vmcnt(0) lgkmcnt(0)
	v_lshl_add_u64 v[10:11], v[48:49], 0, v[2:3]
	v_lshl_add_u64 v[8:9], v[112:113], 0, 4
	v_cmp_lt_u64_e32 vcc, v[10:11], v[8:9]
	s_and_saveexec_b64 s[90:91], vcc
	s_cbranch_execz .LBB14_281
; %bb.270:                              ;   in Loop: Header=BB14_265 Depth=2
	v_and_b32_e32 v10, 64, v62
	s_mov_b32 s56, 0
	v_cmp_eq_u32_e32 vcc, 0, v10
	s_mov_b64 s[92:93], 0
                                        ; implicit-def: $sgpr94_sgpr95
                                        ; implicit-def: $sgpr30_sgpr31
                                        ; implicit-def: $sgpr34_sgpr35
	s_branch .LBB14_274
.LBB14_271:                             ;   in Loop: Header=BB14_274 Depth=3
	s_waitcnt vmcnt(0) lgkmcnt(0)
	v_lshl_add_u64 v[12:13], v[48:49], 0, v[2:3]
	v_cmp_ge_u64_e64 s[26:27], v[12:13], v[8:9]
	s_or_b64 s[48:49], s[48:49], exec
	s_orn2_b64 s[38:39], s[26:27], exec
.LBB14_272:                             ;   in Loop: Header=BB14_274 Depth=3
	s_or_b64 exec, exec, s[52:53]
	s_andn2_b64 s[26:27], s[34:35], exec
	s_and_b64 s[34:35], s[48:49], exec
	s_or_b64 s[34:35], s[26:27], s[34:35]
	s_andn2_b64 s[26:27], s[30:31], exec
	s_and_b64 s[30:31], s[38:39], exec
	s_or_b64 s[30:31], s[26:27], s[30:31]
.LBB14_273:                             ;   in Loop: Header=BB14_274 Depth=3
	s_or_b64 exec, exec, s[36:37]
	s_and_b64 s[26:27], exec, s[30:31]
	s_or_b64 s[92:93], s[26:27], s[92:93]
	s_andn2_b64 s[26:27], s[94:95], exec
	s_and_b64 s[94:95], s[34:35], exec
	s_or_b64 s[94:95], s[26:27], s[94:95]
	s_andn2_b64 exec, exec, s[92:93]
	s_cbranch_execz .LBB14_278
.LBB14_274:                             ;   Parent Loop BB14_47 Depth=1
                                        ;     Parent Loop BB14_265 Depth=2
                                        ; =>    This Inner Loop Header: Depth=3
	s_sleep 1
	s_waitcnt vmcnt(0) lgkmcnt(0)
	flat_load_dwordx2 v[48:49], v[32:33] sc0 sc1
	s_or_b64 s[34:35], s[34:35], exec
	s_or_b64 s[30:31], s[30:31], exec
                                        ; implicit-def: $vgpr10
	s_and_saveexec_b64 s[36:37], vcc
	s_cbranch_execz .LBB14_273
; %bb.275:                              ;   in Loop: Header=BB14_274 Depth=3
	s_cmpk_lt_i32 s56, 0x270f
	s_cselect_b64 s[50:51], -1, 0
	s_cmpk_gt_i32 s56, 0x270e
	s_mov_b64 s[38:39], -1
	s_cbranch_scc0 .LBB14_277
; %bb.276:                              ;   in Loop: Header=BB14_274 Depth=3
	s_trap 2
	ds_read_b64 v[10:11], v0
	s_andn2_b64 s[50:51], s[50:51], exec
	s_mov_b32 s56, 0
	s_mov_b64 s[48:49], 0
	s_waitcnt vmcnt(0) lgkmcnt(0)
	flat_load_dword v10, v[10:11] sc0 sc1
	s_waitcnt vmcnt(0) lgkmcnt(0)
	buffer_inv sc0 sc1
	v_cmp_eq_u32_e64 s[26:27], 0, v10
	s_and_b64 s[26:27], s[26:27], exec
	s_or_b64 s[50:51], s[50:51], s[26:27]
	s_and_saveexec_b64 s[52:53], s[50:51]
	s_cbranch_execz .LBB14_272
	s_branch .LBB14_271
.LBB14_277:                             ;   in Loop: Header=BB14_274 Depth=3
	s_add_i32 s56, s56, 1
	s_mov_b64 s[48:49], -1
                                        ; implicit-def: $vgpr10
	s_and_saveexec_b64 s[52:53], s[50:51]
	s_cbranch_execz .LBB14_272
	s_branch .LBB14_271
.LBB14_278:                             ;   in Loop: Header=BB14_265 Depth=2
	s_or_b64 exec, exec, s[92:93]
	s_xor_b64 s[26:27], s[94:95], -1
	s_and_saveexec_b64 s[92:93], s[26:27]
	s_xor_b64 s[26:27], exec, s[92:93]
	s_cbranch_execz .LBB14_280
; %bb.279:                              ;   in Loop: Header=BB14_265 Depth=2
	v_or_b32_e32 v62, 64, v62
	s_waitcnt lgkmcnt(0)
	ds_write_b32 v0, v10
	s_trap 2
.LBB14_280:                             ;   in Loop: Header=BB14_265 Depth=2
	s_or_b64 exec, exec, s[26:27]
.LBB14_281:                             ;   in Loop: Header=BB14_265 Depth=2
	s_or_b64 exec, exec, s[90:91]
	v_and_b32_e32 v10, 0x108, v62
	v_cmp_ne_u32_e32 vcc, s65, v10
	;;#ASMSTART
	s_wakeup
	;;#ASMEND
                                        ; implicit-def: $vgpr10_vgpr11
	s_and_saveexec_b64 s[26:27], vcc
	s_xor_b64 s[26:27], exec, s[26:27]
; %bb.282:                              ;   in Loop: Header=BB14_265 Depth=2
	v_and_b32_e32 v10, 7, v112
	v_mov_b32_e32 v11, v3
                                        ; implicit-def: $vgpr112_vgpr113
; %bb.283:                              ;   in Loop: Header=BB14_265 Depth=2
	s_andn2_saveexec_b64 s[26:27], s[26:27]
	s_cbranch_execz .LBB14_285
; %bb.284:                              ;   in Loop: Header=BB14_265 Depth=2
	v_and_b32_e32 v10, 7, v112
	v_ashrrev_i32_e32 v119, 31, v118
	v_mov_b32_e32 v11, v3
	v_mad_u64_u32 v[12:13], s[90:91], v10, 24, v[6:7]
	v_lshlrev_b64 v[14:15], 1, v[118:119]
	flat_store_dwordx2 v[12:13], v[14:15] offset:8
.LBB14_285:                             ;   in Loop: Header=BB14_265 Depth=2
	s_or_b64 exec, exec, s[26:27]
	v_and_b32_e32 v12, 0x100, v62
	v_cmp_ne_u32_e32 vcc, 0, v12
	s_mov_b64 s[26:27], -1
                                        ; implicit-def: $vgpr12_vgpr13
	s_and_saveexec_b64 s[90:91], vcc
	s_cbranch_execz .LBB14_289
; %bb.286:                              ;   in Loop: Header=BB14_265 Depth=2
	v_mad_u64_u32 v[14:15], s[26:27], v10, 24, v[6:7]
	v_mov_b32_e32 v12, v15
	v_mad_u64_u32 v[12:13], s[26:27], v11, 24, v[12:13]
	v_mov_b32_e32 v15, v12
	flat_load_dword v12, v[14:15]
	s_waitcnt vmcnt(0) lgkmcnt(0)
	v_cmp_ne_u32_e32 vcc, 1, v12
	v_cmp_eq_u32_e64 s[26:27], 1, v12
                                        ; implicit-def: $vgpr12_vgpr13
	s_and_saveexec_b64 s[92:93], s[26:27]
	s_cbranch_execz .LBB14_288
; %bb.287:                              ;   in Loop: Header=BB14_265 Depth=2
	flat_load_dword v12, v[14:15] offset:4 sc0 sc1
	s_waitcnt vmcnt(0) lgkmcnt(0)
	v_ashrrev_i32_e32 v13, 31, v12
	v_lshrrev_b64 v[12:13], 1, v[12:13]
.LBB14_288:                             ;   in Loop: Header=BB14_265 Depth=2
	s_or_b64 exec, exec, s[92:93]
	s_orn2_b64 s[26:27], vcc, exec
.LBB14_289:                             ;   in Loop: Header=BB14_265 Depth=2
	s_or_b64 exec, exec, s[90:91]
	s_and_saveexec_b64 s[90:91], s[26:27]
; %bb.290:                              ;   in Loop: Header=BB14_265 Depth=2
	v_mul_lo_u32 v11, v11, v30
	v_mul_lo_u32 v14, v10, v51
	v_mad_u64_u32 v[12:13], s[26:27], v10, v30, 0
	v_add3_u32 v13, v13, v14, v11
; %bb.291:                              ;   in Loop: Header=BB14_265 Depth=2
	s_or_b64 exec, exec, s[90:91]
	v_cmp_eq_u32_e32 vcc, 0, v2
	v_lshl_add_u64 v[10:11], v[12:13], 1, v[34:35]
	s_nop 0
	v_cndmask_b32_e32 v2, v74, v75, vcc
	v_add_u32_e32 v2, v0, v2
	ds_write_b64 v2, v[10:11] offset:584
	v_and_b32_e32 v2, 0x2000, v62
	v_cmp_ne_u32_e32 vcc, 0, v2
	s_and_saveexec_b64 s[26:27], vcc
	s_cbranch_execz .LBB14_293
; %bb.292:                              ;   in Loop: Header=BB14_265 Depth=2
	ds_read_b64 v[10:11], v0 offset:872
	s_waitcnt lgkmcnt(0)
	v_lshl_add_u64 v[10:11], v[10:11], 0, 1
	ds_write_b64 v0, v[10:11] offset:872
.LBB14_293:                             ;   in Loop: Header=BB14_265 Depth=2
	s_or_b64 exec, exec, s[26:27]
	v_mov_b64_e32 v[112:113], v[8:9]
.LBB14_294:                             ;   in Loop: Header=BB14_265 Depth=2
	s_or_b64 exec, exec, s[28:29]
	s_and_saveexec_b64 s[26:27], s[6:7]
	s_cbranch_execz .LBB14_313
; %bb.295:                              ;   in Loop: Header=BB14_265 Depth=2
	s_and_saveexec_b64 s[28:29], s[58:59]
	s_xor_b64 s[28:29], exec, s[28:29]
	s_cbranch_execz .LBB14_310
; %bb.296:                              ;   in Loop: Header=BB14_265 Depth=2
	s_and_saveexec_b64 s[90:91], s[14:15]
	s_cbranch_execz .LBB14_309
; %bb.297:                              ;   in Loop: Header=BB14_265 Depth=2
	s_mov_b64 s[94:95], exec
	v_mbcnt_lo_u32_b32 v2, s94, 0
	v_mbcnt_hi_u32_b32 v2, s95, v2
	v_cmp_eq_u32_e32 vcc, 0, v2
	s_waitcnt lgkmcnt(0)
	s_and_saveexec_b64 s[92:93], vcc
	s_cbranch_execz .LBB14_299
; %bb.298:                              ;   in Loop: Header=BB14_265 Depth=2
	s_bcnt1_i32_b64 s56, s[94:95]
	v_mov_b32_e32 v2, s56
	ds_add_u64 v0, v[2:3]
	s_trap 2
.LBB14_299:                             ;   in Loop: Header=BB14_265 Depth=2
	s_or_b64 exec, exec, s[92:93]
	s_trap 2
	ds_read_b64 v[8:9], v0
	s_waitcnt lgkmcnt(0)
	v_lshl_add_u64 v[38:39], v[38:39], 0, v[52:53]
	v_cmp_lt_u64_e32 vcc, v[8:9], v[38:39]
	s_and_saveexec_b64 s[92:93], vcc
	s_cbranch_execz .LBB14_308
; %bb.300:                              ;   in Loop: Header=BB14_265 Depth=2
	s_mov_b32 s56, 0
	s_mov_b64 s[94:95], 0
                                        ; implicit-def: $sgpr30_sgpr31
                                        ; implicit-def: $sgpr34_sgpr35
	s_branch .LBB14_302
.LBB14_301:                             ;   in Loop: Header=BB14_302 Depth=3
	s_or_b64 exec, exec, s[38:39]
	s_and_b64 vcc, exec, vcc
	s_or_b64 s[94:95], vcc, s[94:95]
	s_andn2_b64 vcc, s[30:31], exec
	s_and_b64 s[30:31], s[34:35], exec
	s_or_b64 s[30:31], vcc, s[30:31]
	s_andn2_b64 exec, exec, s[94:95]
	s_cbranch_execz .LBB14_306
.LBB14_302:                             ;   Parent Loop BB14_47 Depth=1
                                        ;     Parent Loop BB14_265 Depth=2
                                        ; =>    This Inner Loop Header: Depth=3
	s_add_i32 s56, s56, 1
	s_cmpk_lg_i32 s56, 0x2710
	s_cselect_b64 s[36:37], -1, 0
	s_and_b64 vcc, exec, s[36:37]
	s_cbranch_vccz .LBB14_304
; %bb.303:                              ;   in Loop: Header=BB14_302 Depth=3
	s_mov_b64 vcc, -1
	s_or_b64 s[34:35], s[34:35], exec
	s_and_saveexec_b64 s[38:39], s[36:37]
	s_cbranch_execz .LBB14_301
	s_branch .LBB14_305
.LBB14_304:                             ;   in Loop: Header=BB14_302 Depth=3
	s_trap 2
	ds_read_b64 v[8:9], v0
	s_andn2_b64 s[36:37], s[36:37], exec
	s_mov_b32 s56, 0
	s_waitcnt vmcnt(0) lgkmcnt(0)
	flat_load_dword v2, v[8:9] sc0 sc1
	s_waitcnt vmcnt(0) lgkmcnt(0)
	buffer_inv sc0 sc1
	v_cmp_eq_u32_e32 vcc, 0, v2
	s_and_b64 vcc, vcc, exec
	s_or_b64 s[36:37], s[36:37], vcc
	s_mov_b64 vcc, -1
	s_or_b64 s[34:35], s[34:35], exec
	s_and_saveexec_b64 s[38:39], s[36:37]
	s_cbranch_execz .LBB14_301
.LBB14_305:                             ;   in Loop: Header=BB14_302 Depth=3
	s_sleep 1
	s_trap 2
	ds_read_b64 v[8:9], v0
	s_waitcnt lgkmcnt(0)
	s_andn2_b64 s[34:35], s[34:35], exec
	v_cmp_ge_u64_e32 vcc, v[8:9], v[38:39]
	s_orn2_b64 vcc, vcc, exec
	s_branch .LBB14_301
.LBB14_306:                             ;   in Loop: Header=BB14_265 Depth=2
	s_or_b64 exec, exec, s[94:95]
	s_and_saveexec_b64 s[94:95], s[30:31]
	s_xor_b64 s[94:95], exec, s[94:95]
	s_cbranch_execz .LBB14_308
; %bb.307:                              ;   in Loop: Header=BB14_265 Depth=2
	ds_write_b32 v0, v73
	s_trap 2
.LBB14_308:                             ;   in Loop: Header=BB14_265 Depth=2
	s_or_b64 exec, exec, s[92:93]
	;;#ASMSTART
	s_wakeup
	;;#ASMEND
.LBB14_309:                             ;   in Loop: Header=BB14_265 Depth=2
	s_or_b64 exec, exec, s[90:91]
.LBB14_310:                             ;   in Loop: Header=BB14_265 Depth=2
	s_andn2_saveexec_b64 s[28:29], s[28:29]
	s_cbranch_execz .LBB14_312
; %bb.311:                              ;   in Loop: Header=BB14_265 Depth=2
	s_waitcnt lgkmcnt(0)
	s_barrier
.LBB14_312:                             ;   in Loop: Header=BB14_265 Depth=2
	s_or_b64 exec, exec, s[28:29]
.LBB14_313:                             ;   in Loop: Header=BB14_265 Depth=2
	s_or_b64 exec, exec, s[26:27]
	s_trap 2
	ds_read_b32 v8, v0
	v_and_b32_e32 v2, 0x4000, v62
	v_cmp_ne_u32_e32 vcc, 0, v2
	s_xor_b64 s[26:27], s[4:5], -1
	s_and_b64 s[28:29], s[26:27], vcc
	s_and_saveexec_b64 s[26:27], s[28:29]
	s_cbranch_execz .LBB14_332
; %bb.314:                              ;   in Loop: Header=BB14_265 Depth=2
	s_and_saveexec_b64 s[28:29], s[58:59]
	s_xor_b64 s[28:29], exec, s[28:29]
	s_cbranch_execz .LBB14_329
; %bb.315:                              ;   in Loop: Header=BB14_265 Depth=2
	s_and_saveexec_b64 s[90:91], s[14:15]
	s_cbranch_execz .LBB14_328
; %bb.316:                              ;   in Loop: Header=BB14_265 Depth=2
	s_mov_b64 s[94:95], exec
	v_mbcnt_lo_u32_b32 v2, s94, 0
	v_mbcnt_hi_u32_b32 v2, s95, v2
	v_cmp_eq_u32_e32 vcc, 0, v2
	s_waitcnt lgkmcnt(0)
	s_and_saveexec_b64 s[92:93], vcc
	s_cbranch_execz .LBB14_318
; %bb.317:                              ;   in Loop: Header=BB14_265 Depth=2
	s_bcnt1_i32_b64 s56, s[94:95]
	v_mov_b32_e32 v2, s56
	ds_add_u64 v0, v[2:3]
	s_trap 2
.LBB14_318:                             ;   in Loop: Header=BB14_265 Depth=2
	s_or_b64 exec, exec, s[92:93]
	s_trap 2
	ds_read_b64 v[10:11], v0
	s_waitcnt lgkmcnt(0)
	v_lshl_add_u64 v[38:39], v[38:39], 0, v[52:53]
	v_cmp_lt_u64_e32 vcc, v[10:11], v[38:39]
	s_and_saveexec_b64 s[92:93], vcc
	s_cbranch_execz .LBB14_327
; %bb.319:                              ;   in Loop: Header=BB14_265 Depth=2
	s_mov_b32 s56, 0
	s_mov_b64 s[94:95], 0
                                        ; implicit-def: $sgpr30_sgpr31
                                        ; implicit-def: $sgpr34_sgpr35
	s_branch .LBB14_321
.LBB14_320:                             ;   in Loop: Header=BB14_321 Depth=3
	s_or_b64 exec, exec, s[38:39]
	s_and_b64 vcc, exec, vcc
	s_or_b64 s[94:95], vcc, s[94:95]
	s_andn2_b64 vcc, s[30:31], exec
	s_and_b64 s[30:31], s[34:35], exec
	s_or_b64 s[30:31], vcc, s[30:31]
	s_andn2_b64 exec, exec, s[94:95]
	s_cbranch_execz .LBB14_325
.LBB14_321:                             ;   Parent Loop BB14_47 Depth=1
                                        ;     Parent Loop BB14_265 Depth=2
                                        ; =>    This Inner Loop Header: Depth=3
	s_add_i32 s56, s56, 1
	s_cmpk_lg_i32 s56, 0x2710
	s_cselect_b64 s[36:37], -1, 0
	s_and_b64 vcc, exec, s[36:37]
	s_cbranch_vccz .LBB14_323
; %bb.322:                              ;   in Loop: Header=BB14_321 Depth=3
	s_mov_b64 vcc, -1
	s_or_b64 s[34:35], s[34:35], exec
	s_and_saveexec_b64 s[38:39], s[36:37]
	s_cbranch_execz .LBB14_320
	s_branch .LBB14_324
.LBB14_323:                             ;   in Loop: Header=BB14_321 Depth=3
	s_trap 2
	ds_read_b64 v[10:11], v0
	s_andn2_b64 s[36:37], s[36:37], exec
	s_mov_b32 s56, 0
	s_waitcnt vmcnt(0) lgkmcnt(0)
	flat_load_dword v2, v[10:11] sc0 sc1
	s_waitcnt vmcnt(0) lgkmcnt(0)
	buffer_inv sc0 sc1
	v_cmp_eq_u32_e32 vcc, 0, v2
	s_and_b64 vcc, vcc, exec
	s_or_b64 s[36:37], s[36:37], vcc
	s_mov_b64 vcc, -1
	s_or_b64 s[34:35], s[34:35], exec
	s_and_saveexec_b64 s[38:39], s[36:37]
	s_cbranch_execz .LBB14_320
.LBB14_324:                             ;   in Loop: Header=BB14_321 Depth=3
	s_sleep 1
	s_trap 2
	ds_read_b64 v[10:11], v0
	s_waitcnt lgkmcnt(0)
	s_andn2_b64 s[34:35], s[34:35], exec
	v_cmp_ge_u64_e32 vcc, v[10:11], v[38:39]
	s_orn2_b64 vcc, vcc, exec
	s_branch .LBB14_320
.LBB14_325:                             ;   in Loop: Header=BB14_265 Depth=2
	s_or_b64 exec, exec, s[94:95]
	s_and_saveexec_b64 s[94:95], s[30:31]
	s_xor_b64 s[94:95], exec, s[94:95]
	s_cbranch_execz .LBB14_327
; %bb.326:                              ;   in Loop: Header=BB14_265 Depth=2
	ds_write_b32 v0, v73
	s_trap 2
.LBB14_327:                             ;   in Loop: Header=BB14_265 Depth=2
	s_or_b64 exec, exec, s[92:93]
	;;#ASMSTART
	s_wakeup
	;;#ASMEND
.LBB14_328:                             ;   in Loop: Header=BB14_265 Depth=2
	s_or_b64 exec, exec, s[90:91]
.LBB14_329:                             ;   in Loop: Header=BB14_265 Depth=2
	s_andn2_saveexec_b64 s[28:29], s[28:29]
	s_cbranch_execz .LBB14_331
; %bb.330:                              ;   in Loop: Header=BB14_265 Depth=2
	s_waitcnt lgkmcnt(0)
	s_barrier
.LBB14_331:                             ;   in Loop: Header=BB14_265 Depth=2
	s_or_b64 exec, exec, s[28:29]
.LBB14_332:                             ;   in Loop: Header=BB14_265 Depth=2
	s_or_b64 exec, exec, s[26:27]
	s_trap 2
	ds_read_b64 v[40:41], v0
	s_waitcnt lgkmcnt(0)
	v_cmp_eq_u64_e32 vcc, 0, v[40:41]
	s_cbranch_vccnz .LBB14_340
; %bb.333:                              ;   in Loop: Header=BB14_265 Depth=2
	s_trap 2
	ds_read_b64 v[42:43], v0
	s_waitcnt lgkmcnt(0)
	v_cmp_eq_u64_e32 vcc, 0, v[42:43]
	s_cbranch_vccnz .LBB14_340
; %bb.334:                              ;   in Loop: Header=BB14_265 Depth=2
	s_trap 2
	ds_read_b64 v[10:11], v0
	s_mov_b64 s[28:29], -1
	s_waitcnt lgkmcnt(0)
	v_readfirstlane_b32 s34, v10
	s_and_saveexec_b64 s[26:27], s[20:21]
	s_cbranch_execz .LBB14_336
; %bb.335:                              ;   in Loop: Header=BB14_265 Depth=2
	ds_read_b32 v2, v0 offset:720
	s_waitcnt lgkmcnt(0)
	v_and_b32_e32 v2, 15, v2
	v_cmp_eq_u32_e32 vcc, 0, v2
	s_orn2_b64 s[28:29], vcc, exec
.LBB14_336:                             ;   in Loop: Header=BB14_265 Depth=2
	s_or_b64 exec, exec, s[26:27]
	s_and_saveexec_b64 s[26:27], s[18:19]
	s_cbranch_execz .LBB14_338
; %bb.337:                              ;   in Loop: Header=BB14_265 Depth=2
	ds_read_b32 v2, v0 offset:784
	s_waitcnt lgkmcnt(0)
	v_and_b32_e32 v2, 15, v2
	v_cmp_eq_u32_e32 vcc, 0, v2
	s_and_b64 s[90:91], s[28:29], vcc
	s_andn2_b64 s[28:29], s[28:29], exec
	s_and_b64 s[90:91], s[90:91], exec
	s_or_b64 s[28:29], s[28:29], s[90:91]
.LBB14_338:                             ;   in Loop: Header=BB14_265 Depth=2
	s_or_b64 exec, exec, s[26:27]
	v_cmp_eq_u32_e32 vcc, 0, v8
	s_xor_b64 s[28:29], s[28:29], -1
	v_cndmask_b32_e64 v8, 0, 1, s[28:29]
	v_cndmask_b32_e32 v2, 0, v118, vcc
	v_lshlrev_b32_e32 v119, 1, v2
	s_mov_b64 s[26:27], -1
	v_cmp_ne_u32_e32 vcc, 0, v8
	v_mov_b32_e32 v14, 0
	s_cbranch_vccz .LBB14_345
; %bb.339:                              ;   in Loop: Header=BB14_265 Depth=2
	v_mov_b32_e32 v15, v0
	s_and_saveexec_b64 s[28:29], s[26:27]
	s_cbranch_execnz .LBB14_452
	s_branch .LBB14_496
.LBB14_340:                             ;   in Loop: Header=BB14_265 Depth=2
	s_mov_b64 s[26:27], 0
	s_and_saveexec_b64 s[28:29], s[6:7]
	s_cbranch_execnz .LBB14_497
.LBB14_341:                             ;   in Loop: Header=BB14_265 Depth=2
	s_or_b64 exec, exec, s[28:29]
                                        ; implicit-def: $vgpr2
	s_and_saveexec_b64 s[28:29], s[22:23]
	s_xor_b64 s[28:29], exec, s[28:29]
	s_cbranch_execz .LBB14_515
.LBB14_342:                             ;   in Loop: Header=BB14_265 Depth=2
	v_and_b32_e32 v8, 16, v62
	v_cmp_ne_u32_e32 vcc, 0, v8
	v_and_b32_e32 v2, 16, v62
	s_and_b64 s[90:91], vcc, s[26:27]
	s_and_saveexec_b64 s[26:27], s[90:91]
	s_cbranch_execz .LBB14_344
; %bb.343:                              ;   in Loop: Header=BB14_265 Depth=2
	v_mov_b32_e32 v2, 1
	buffer_wbl2 sc1
	s_waitcnt vmcnt(0) lgkmcnt(0)
	buffer_inv sc1
.LBB14_344:                             ;   in Loop: Header=BB14_265 Depth=2
	s_or_b64 exec, exec, s[26:27]
	s_andn2_saveexec_b64 s[26:27], s[28:29]
	s_cbranch_execz .LBB14_534
	s_branch .LBB14_516
.LBB14_345:                             ;   in Loop: Header=BB14_265 Depth=2
	v_ashrrev_i32_e32 v8, 31, v119
	v_lshrrev_b32_e32 v8, 21, v8
	v_add_u32_e32 v8, v119, v8
	v_ashrrev_i32_e32 v60, 11, v8
	v_sub_u32_e32 v59, v60, v72
	v_cmp_lt_i32_e32 vcc, 0, v59
	s_and_saveexec_b64 s[28:29], vcc
	s_cbranch_execz .LBB14_413
; %bb.346:                              ;   in Loop: Header=BB14_265 Depth=2
	s_trap 2
	ds_read_b64 v[8:9], v0
	s_and_b32 s56, s34, 1
	s_cmp_eq_u64 s[56:57], 0
	v_lshl_add_u64 v[44:45], v[40:41], 0, v[80:81]
	v_lshl_add_u64 v[46:47], v[42:43], 0, v[80:81]
	s_waitcnt lgkmcnt(0)
	v_lshl_add_u64 v[56:57], v[8:9], 0, v[80:81]
	s_mov_b64 s[90:91], 0
	s_cselect_b64 vcc, -1, 0
	s_branch .LBB14_348
.LBB14_347:                             ;   in Loop: Header=BB14_348 Depth=3
	s_or_b64 exec, exec, s[92:93]
	v_lshrrev_b32_e32 v15, 16, v20
	v_and_or_b32 v17, v17, s68, v15
	v_lshrrev_b32_e32 v15, 16, v61
	v_lshrrev_b32_e32 v12, 16, v12
	v_and_or_b32 v16, v16, s68, v15
	v_lshrrev_b32_e32 v15, 16, v21
	v_and_or_b32 v9, v9, s68, v12
	;; [unrolled: 2-line block ×4, first 2 shown]
	v_lshrrev_b32_e32 v12, 16, v13
	v_sub_u32_e32 v59, v59, v52
	v_and_or_b32 v19, v19, s68, v15
	v_and_or_b32 v10, v10, s68, v12
	v_lshrrev_b32_e32 v12, 16, v14
	v_cmp_gt_i32_e64 s[26:27], 1, v59
	v_and_or_b32 v11, v11, s68, v12
	global_store_dwordx4 v[46:47], v[16:19], off
	global_store_dwordx4 v[46:47], v[8:11], off offset:1024
	v_lshl_add_u64 v[44:45], v[44:45], 0, v[82:83]
	v_lshl_add_u64 v[56:57], v[56:57], 0, v[82:83]
	s_or_b64 s[90:91], s[26:27], s[90:91]
	v_lshl_add_u64 v[46:47], v[46:47], 0, v[82:83]
	s_andn2_b64 exec, exec, s[90:91]
	s_cbranch_execz .LBB14_412
.LBB14_348:                             ;   Parent Loop BB14_47 Depth=1
                                        ;     Parent Loop BB14_265 Depth=2
                                        ; =>    This Inner Loop Header: Depth=3
	global_load_dwordx4 v[16:19], v[44:45], off nt
	global_load_dwordx4 v[20:23], v[56:57], off nt
	global_load_dwordx4 v[8:11], v[44:45], off offset:1024 nt
	global_load_dwordx4 v[12:15], v[56:57], off offset:1024 nt
	s_waitcnt vmcnt(0)
	v_lshlrev_b32_e32 v61, 16, v16
	v_lshlrev_b32_e32 v78, 16, v20
	v_max_f32_e32 v78, v78, v78
	v_max_f32_e32 v61, v61, v61
	v_min_f32_e32 v79, v61, v78
	v_max_f32_e32 v61, v61, v78
	v_cndmask_b32_e32 v78, v61, v79, vcc
	v_and_b32_e32 v61, 0x7f800000, v78
	v_cmp_ne_u32_e64 s[26:27], s66, v61
                                        ; implicit-def: $vgpr61
	s_and_saveexec_b64 s[92:93], s[26:27]
	s_xor_b64 s[26:27], exec, s[92:93]
; %bb.349:                              ;   in Loop: Header=BB14_348 Depth=3
	v_bfe_u32 v61, v78, 16, 1
	v_add3_u32 v61, v78, v61, s67
                                        ; implicit-def: $vgpr78
; %bb.350:                              ;   in Loop: Header=BB14_348 Depth=3
	s_andn2_saveexec_b64 s[92:93], s[26:27]
; %bb.351:                              ;   in Loop: Header=BB14_348 Depth=3
	v_or_b32_e32 v61, 0x10000, v78
	v_cmp_eq_u32_sdwa s[26:27], v78, v3 src0_sel:WORD_0 src1_sel:DWORD
	s_nop 1
	v_cndmask_b32_e64 v61, v61, v78, s[26:27]
; %bb.352:                              ;   in Loop: Header=BB14_348 Depth=3
	s_or_b64 exec, exec, s[92:93]
	v_and_b32_e32 v16, 0xffff0000, v16
	v_and_b32_e32 v20, 0xffff0000, v20
	v_max_f32_e32 v20, v20, v20
	v_max_f32_e32 v16, v16, v16
	v_min_f32_e32 v78, v16, v20
	v_max_f32_e32 v16, v16, v20
	v_cndmask_b32_e32 v20, v16, v78, vcc
	v_and_b32_e32 v16, 0x7f800000, v20
	v_cmp_ne_u32_e64 s[26:27], s66, v16
                                        ; implicit-def: $vgpr16
	s_and_saveexec_b64 s[92:93], s[26:27]
	s_xor_b64 s[26:27], exec, s[92:93]
; %bb.353:                              ;   in Loop: Header=BB14_348 Depth=3
	v_bfe_u32 v16, v20, 16, 1
	v_add3_u32 v16, v20, v16, s67
                                        ; implicit-def: $vgpr20
; %bb.354:                              ;   in Loop: Header=BB14_348 Depth=3
	s_andn2_saveexec_b64 s[92:93], s[26:27]
; %bb.355:                              ;   in Loop: Header=BB14_348 Depth=3
	v_or_b32_e32 v16, 0x10000, v20
	v_cmp_eq_u32_sdwa s[26:27], v20, v3 src0_sel:WORD_0 src1_sel:DWORD
	s_nop 1
	v_cndmask_b32_e64 v16, v16, v20, s[26:27]
; %bb.356:                              ;   in Loop: Header=BB14_348 Depth=3
	s_or_b64 exec, exec, s[92:93]
	v_lshlrev_b32_e32 v20, 16, v17
	v_lshlrev_b32_e32 v78, 16, v21
	v_max_f32_e32 v78, v78, v78
	v_max_f32_e32 v20, v20, v20
	v_min_f32_e32 v79, v20, v78
	v_max_f32_e32 v20, v20, v78
	v_cndmask_b32_e32 v78, v20, v79, vcc
	v_and_b32_e32 v20, 0x7f800000, v78
	v_cmp_ne_u32_e64 s[26:27], s66, v20
                                        ; implicit-def: $vgpr20
	s_and_saveexec_b64 s[92:93], s[26:27]
	s_xor_b64 s[26:27], exec, s[92:93]
; %bb.357:                              ;   in Loop: Header=BB14_348 Depth=3
	v_bfe_u32 v20, v78, 16, 1
	v_add3_u32 v20, v78, v20, s67
                                        ; implicit-def: $vgpr78
; %bb.358:                              ;   in Loop: Header=BB14_348 Depth=3
	s_andn2_saveexec_b64 s[92:93], s[26:27]
; %bb.359:                              ;   in Loop: Header=BB14_348 Depth=3
	v_or_b32_e32 v20, 0x10000, v78
	v_cmp_eq_u32_sdwa s[26:27], v78, v3 src0_sel:WORD_0 src1_sel:DWORD
	s_nop 1
	v_cndmask_b32_e64 v20, v20, v78, s[26:27]
; %bb.360:                              ;   in Loop: Header=BB14_348 Depth=3
	s_or_b64 exec, exec, s[92:93]
	v_and_b32_e32 v17, 0xffff0000, v17
	v_and_b32_e32 v21, 0xffff0000, v21
	v_max_f32_e32 v21, v21, v21
	v_max_f32_e32 v17, v17, v17
	v_min_f32_e32 v78, v17, v21
	v_max_f32_e32 v17, v17, v21
	v_cndmask_b32_e32 v21, v17, v78, vcc
	v_and_b32_e32 v17, 0x7f800000, v21
	v_cmp_ne_u32_e64 s[26:27], s66, v17
                                        ; implicit-def: $vgpr17
	s_and_saveexec_b64 s[92:93], s[26:27]
	s_xor_b64 s[26:27], exec, s[92:93]
; %bb.361:                              ;   in Loop: Header=BB14_348 Depth=3
	v_bfe_u32 v17, v21, 16, 1
	v_add3_u32 v17, v21, v17, s67
                                        ; implicit-def: $vgpr21
; %bb.362:                              ;   in Loop: Header=BB14_348 Depth=3
	s_andn2_saveexec_b64 s[92:93], s[26:27]
; %bb.363:                              ;   in Loop: Header=BB14_348 Depth=3
	v_or_b32_e32 v17, 0x10000, v21
	v_cmp_eq_u32_sdwa s[26:27], v21, v3 src0_sel:WORD_0 src1_sel:DWORD
	s_nop 1
	v_cndmask_b32_e64 v17, v17, v21, s[26:27]
; %bb.364:                              ;   in Loop: Header=BB14_348 Depth=3
	s_or_b64 exec, exec, s[92:93]
	v_lshlrev_b32_e32 v21, 16, v18
	v_lshlrev_b32_e32 v78, 16, v22
	v_max_f32_e32 v78, v78, v78
	v_max_f32_e32 v21, v21, v21
	v_min_f32_e32 v79, v21, v78
	v_max_f32_e32 v21, v21, v78
	v_cndmask_b32_e32 v78, v21, v79, vcc
	v_and_b32_e32 v21, 0x7f800000, v78
	v_cmp_ne_u32_e64 s[26:27], s66, v21
                                        ; implicit-def: $vgpr21
	s_and_saveexec_b64 s[92:93], s[26:27]
	s_xor_b64 s[26:27], exec, s[92:93]
; %bb.365:                              ;   in Loop: Header=BB14_348 Depth=3
	v_bfe_u32 v21, v78, 16, 1
	v_add3_u32 v21, v78, v21, s67
                                        ; implicit-def: $vgpr78
; %bb.366:                              ;   in Loop: Header=BB14_348 Depth=3
	s_andn2_saveexec_b64 s[92:93], s[26:27]
; %bb.367:                              ;   in Loop: Header=BB14_348 Depth=3
	v_or_b32_e32 v21, 0x10000, v78
	v_cmp_eq_u32_sdwa s[26:27], v78, v3 src0_sel:WORD_0 src1_sel:DWORD
	s_nop 1
	v_cndmask_b32_e64 v21, v21, v78, s[26:27]
; %bb.368:                              ;   in Loop: Header=BB14_348 Depth=3
	s_or_b64 exec, exec, s[92:93]
	v_and_b32_e32 v18, 0xffff0000, v18
	v_and_b32_e32 v22, 0xffff0000, v22
	v_max_f32_e32 v22, v22, v22
	v_max_f32_e32 v18, v18, v18
	v_min_f32_e32 v78, v18, v22
	v_max_f32_e32 v18, v18, v22
	v_cndmask_b32_e32 v22, v18, v78, vcc
	v_and_b32_e32 v18, 0x7f800000, v22
	v_cmp_ne_u32_e64 s[26:27], s66, v18
                                        ; implicit-def: $vgpr18
	s_and_saveexec_b64 s[92:93], s[26:27]
	s_xor_b64 s[26:27], exec, s[92:93]
; %bb.369:                              ;   in Loop: Header=BB14_348 Depth=3
	v_bfe_u32 v18, v22, 16, 1
	v_add3_u32 v18, v22, v18, s67
                                        ; implicit-def: $vgpr22
; %bb.370:                              ;   in Loop: Header=BB14_348 Depth=3
	s_andn2_saveexec_b64 s[92:93], s[26:27]
; %bb.371:                              ;   in Loop: Header=BB14_348 Depth=3
	v_or_b32_e32 v18, 0x10000, v22
	v_cmp_eq_u32_sdwa s[26:27], v22, v3 src0_sel:WORD_0 src1_sel:DWORD
	s_nop 1
	v_cndmask_b32_e64 v18, v18, v22, s[26:27]
; %bb.372:                              ;   in Loop: Header=BB14_348 Depth=3
	s_or_b64 exec, exec, s[92:93]
	v_lshlrev_b32_e32 v22, 16, v19
	v_lshlrev_b32_e32 v78, 16, v23
	v_max_f32_e32 v78, v78, v78
	v_max_f32_e32 v22, v22, v22
	v_min_f32_e32 v79, v22, v78
	v_max_f32_e32 v22, v22, v78
	v_cndmask_b32_e32 v78, v22, v79, vcc
	v_and_b32_e32 v22, 0x7f800000, v78
	v_cmp_ne_u32_e64 s[26:27], s66, v22
                                        ; implicit-def: $vgpr22
	s_and_saveexec_b64 s[92:93], s[26:27]
	s_xor_b64 s[26:27], exec, s[92:93]
; %bb.373:                              ;   in Loop: Header=BB14_348 Depth=3
	v_bfe_u32 v22, v78, 16, 1
	v_add3_u32 v22, v78, v22, s67
                                        ; implicit-def: $vgpr78
; %bb.374:                              ;   in Loop: Header=BB14_348 Depth=3
	s_andn2_saveexec_b64 s[92:93], s[26:27]
; %bb.375:                              ;   in Loop: Header=BB14_348 Depth=3
	v_or_b32_e32 v22, 0x10000, v78
	v_cmp_eq_u32_sdwa s[26:27], v78, v3 src0_sel:WORD_0 src1_sel:DWORD
	s_nop 1
	v_cndmask_b32_e64 v22, v22, v78, s[26:27]
; %bb.376:                              ;   in Loop: Header=BB14_348 Depth=3
	s_or_b64 exec, exec, s[92:93]
	v_and_b32_e32 v19, 0xffff0000, v19
	v_and_b32_e32 v23, 0xffff0000, v23
	v_max_f32_e32 v23, v23, v23
	v_max_f32_e32 v19, v19, v19
	v_min_f32_e32 v78, v19, v23
	v_max_f32_e32 v19, v19, v23
	v_cndmask_b32_e32 v23, v19, v78, vcc
	v_and_b32_e32 v19, 0x7f800000, v23
	v_cmp_ne_u32_e64 s[26:27], s66, v19
                                        ; implicit-def: $vgpr19
	s_and_saveexec_b64 s[92:93], s[26:27]
	s_xor_b64 s[26:27], exec, s[92:93]
; %bb.377:                              ;   in Loop: Header=BB14_348 Depth=3
	v_bfe_u32 v19, v23, 16, 1
	v_add3_u32 v19, v23, v19, s67
                                        ; implicit-def: $vgpr23
; %bb.378:                              ;   in Loop: Header=BB14_348 Depth=3
	s_andn2_saveexec_b64 s[92:93], s[26:27]
; %bb.379:                              ;   in Loop: Header=BB14_348 Depth=3
	v_or_b32_e32 v19, 0x10000, v23
	v_cmp_eq_u32_sdwa s[26:27], v23, v3 src0_sel:WORD_0 src1_sel:DWORD
	s_nop 1
	v_cndmask_b32_e64 v19, v19, v23, s[26:27]
; %bb.380:                              ;   in Loop: Header=BB14_348 Depth=3
	s_or_b64 exec, exec, s[92:93]
	v_lshlrev_b32_e32 v23, 16, v8
	v_lshlrev_b32_e32 v78, 16, v12
	v_max_f32_e32 v78, v78, v78
	v_max_f32_e32 v23, v23, v23
	v_min_f32_e32 v79, v23, v78
	v_max_f32_e32 v23, v23, v78
	v_cndmask_b32_e32 v78, v23, v79, vcc
	v_and_b32_e32 v23, 0x7f800000, v78
	v_cmp_ne_u32_e64 s[26:27], s66, v23
                                        ; implicit-def: $vgpr23
	s_and_saveexec_b64 s[92:93], s[26:27]
	s_xor_b64 s[26:27], exec, s[92:93]
; %bb.381:                              ;   in Loop: Header=BB14_348 Depth=3
	v_bfe_u32 v23, v78, 16, 1
	v_add3_u32 v23, v78, v23, s67
                                        ; implicit-def: $vgpr78
; %bb.382:                              ;   in Loop: Header=BB14_348 Depth=3
	s_andn2_saveexec_b64 s[92:93], s[26:27]
; %bb.383:                              ;   in Loop: Header=BB14_348 Depth=3
	v_or_b32_e32 v23, 0x10000, v78
	v_cmp_eq_u32_sdwa s[26:27], v78, v3 src0_sel:WORD_0 src1_sel:DWORD
	s_nop 1
	v_cndmask_b32_e64 v23, v23, v78, s[26:27]
; %bb.384:                              ;   in Loop: Header=BB14_348 Depth=3
	s_or_b64 exec, exec, s[92:93]
	v_and_b32_e32 v8, 0xffff0000, v8
	v_and_b32_e32 v12, 0xffff0000, v12
	v_max_f32_e32 v12, v12, v12
	v_max_f32_e32 v8, v8, v8
	v_min_f32_e32 v78, v8, v12
	v_max_f32_e32 v8, v8, v12
	v_cndmask_b32_e32 v12, v8, v78, vcc
	v_and_b32_e32 v8, 0x7f800000, v12
	v_cmp_ne_u32_e64 s[26:27], s66, v8
                                        ; implicit-def: $vgpr8
	s_and_saveexec_b64 s[92:93], s[26:27]
	s_xor_b64 s[26:27], exec, s[92:93]
; %bb.385:                              ;   in Loop: Header=BB14_348 Depth=3
	v_bfe_u32 v8, v12, 16, 1
	v_add3_u32 v8, v12, v8, s67
                                        ; implicit-def: $vgpr12
; %bb.386:                              ;   in Loop: Header=BB14_348 Depth=3
	s_andn2_saveexec_b64 s[92:93], s[26:27]
; %bb.387:                              ;   in Loop: Header=BB14_348 Depth=3
	v_or_b32_e32 v8, 0x10000, v12
	v_cmp_eq_u32_sdwa s[26:27], v12, v3 src0_sel:WORD_0 src1_sel:DWORD
	s_nop 1
	v_cndmask_b32_e64 v8, v8, v12, s[26:27]
; %bb.388:                              ;   in Loop: Header=BB14_348 Depth=3
	s_or_b64 exec, exec, s[92:93]
	v_lshlrev_b32_e32 v12, 16, v9
	v_lshlrev_b32_e32 v78, 16, v13
	v_max_f32_e32 v78, v78, v78
	v_max_f32_e32 v12, v12, v12
	v_min_f32_e32 v79, v12, v78
	v_max_f32_e32 v12, v12, v78
	v_cndmask_b32_e32 v78, v12, v79, vcc
	v_and_b32_e32 v12, 0x7f800000, v78
	v_cmp_ne_u32_e64 s[26:27], s66, v12
                                        ; implicit-def: $vgpr12
	s_and_saveexec_b64 s[92:93], s[26:27]
	s_xor_b64 s[26:27], exec, s[92:93]
; %bb.389:                              ;   in Loop: Header=BB14_348 Depth=3
	v_bfe_u32 v12, v78, 16, 1
	v_add3_u32 v12, v78, v12, s67
                                        ; implicit-def: $vgpr78
; %bb.390:                              ;   in Loop: Header=BB14_348 Depth=3
	s_andn2_saveexec_b64 s[92:93], s[26:27]
; %bb.391:                              ;   in Loop: Header=BB14_348 Depth=3
	v_or_b32_e32 v12, 0x10000, v78
	v_cmp_eq_u32_sdwa s[26:27], v78, v3 src0_sel:WORD_0 src1_sel:DWORD
	s_nop 1
	v_cndmask_b32_e64 v12, v12, v78, s[26:27]
; %bb.392:                              ;   in Loop: Header=BB14_348 Depth=3
	s_or_b64 exec, exec, s[92:93]
	v_and_b32_e32 v9, 0xffff0000, v9
	v_and_b32_e32 v13, 0xffff0000, v13
	v_max_f32_e32 v13, v13, v13
	v_max_f32_e32 v9, v9, v9
	v_min_f32_e32 v78, v9, v13
	v_max_f32_e32 v9, v9, v13
	v_cndmask_b32_e32 v13, v9, v78, vcc
	v_and_b32_e32 v9, 0x7f800000, v13
	v_cmp_ne_u32_e64 s[26:27], s66, v9
                                        ; implicit-def: $vgpr9
	s_and_saveexec_b64 s[92:93], s[26:27]
	s_xor_b64 s[26:27], exec, s[92:93]
; %bb.393:                              ;   in Loop: Header=BB14_348 Depth=3
	v_bfe_u32 v9, v13, 16, 1
	v_add3_u32 v9, v13, v9, s67
                                        ; implicit-def: $vgpr13
; %bb.394:                              ;   in Loop: Header=BB14_348 Depth=3
	s_andn2_saveexec_b64 s[92:93], s[26:27]
; %bb.395:                              ;   in Loop: Header=BB14_348 Depth=3
	v_or_b32_e32 v9, 0x10000, v13
	v_cmp_eq_u32_sdwa s[26:27], v13, v3 src0_sel:WORD_0 src1_sel:DWORD
	s_nop 1
	v_cndmask_b32_e64 v9, v9, v13, s[26:27]
; %bb.396:                              ;   in Loop: Header=BB14_348 Depth=3
	s_or_b64 exec, exec, s[92:93]
	v_lshlrev_b32_e32 v13, 16, v10
	v_lshlrev_b32_e32 v78, 16, v14
	v_max_f32_e32 v78, v78, v78
	v_max_f32_e32 v13, v13, v13
	v_min_f32_e32 v79, v13, v78
	v_max_f32_e32 v13, v13, v78
	v_cndmask_b32_e32 v78, v13, v79, vcc
	v_and_b32_e32 v13, 0x7f800000, v78
	v_cmp_ne_u32_e64 s[26:27], s66, v13
                                        ; implicit-def: $vgpr13
	s_and_saveexec_b64 s[92:93], s[26:27]
	s_xor_b64 s[26:27], exec, s[92:93]
; %bb.397:                              ;   in Loop: Header=BB14_348 Depth=3
	v_bfe_u32 v13, v78, 16, 1
	v_add3_u32 v13, v78, v13, s67
                                        ; implicit-def: $vgpr78
; %bb.398:                              ;   in Loop: Header=BB14_348 Depth=3
	s_andn2_saveexec_b64 s[92:93], s[26:27]
; %bb.399:                              ;   in Loop: Header=BB14_348 Depth=3
	v_or_b32_e32 v13, 0x10000, v78
	v_cmp_eq_u32_sdwa s[26:27], v78, v3 src0_sel:WORD_0 src1_sel:DWORD
	s_nop 1
	v_cndmask_b32_e64 v13, v13, v78, s[26:27]
; %bb.400:                              ;   in Loop: Header=BB14_348 Depth=3
	s_or_b64 exec, exec, s[92:93]
	v_and_b32_e32 v10, 0xffff0000, v10
	v_and_b32_e32 v14, 0xffff0000, v14
	v_max_f32_e32 v14, v14, v14
	v_max_f32_e32 v10, v10, v10
	v_min_f32_e32 v78, v10, v14
	v_max_f32_e32 v10, v10, v14
	v_cndmask_b32_e32 v14, v10, v78, vcc
	v_and_b32_e32 v10, 0x7f800000, v14
	v_cmp_ne_u32_e64 s[26:27], s66, v10
                                        ; implicit-def: $vgpr10
	s_and_saveexec_b64 s[92:93], s[26:27]
	s_xor_b64 s[26:27], exec, s[92:93]
; %bb.401:                              ;   in Loop: Header=BB14_348 Depth=3
	v_bfe_u32 v10, v14, 16, 1
	v_add3_u32 v10, v14, v10, s67
                                        ; implicit-def: $vgpr14
; %bb.402:                              ;   in Loop: Header=BB14_348 Depth=3
	s_andn2_saveexec_b64 s[92:93], s[26:27]
; %bb.403:                              ;   in Loop: Header=BB14_348 Depth=3
	v_or_b32_e32 v10, 0x10000, v14
	v_cmp_eq_u32_sdwa s[26:27], v14, v3 src0_sel:WORD_0 src1_sel:DWORD
	s_nop 1
	v_cndmask_b32_e64 v10, v10, v14, s[26:27]
; %bb.404:                              ;   in Loop: Header=BB14_348 Depth=3
	s_or_b64 exec, exec, s[92:93]
	v_lshlrev_b32_e32 v14, 16, v11
	v_lshlrev_b32_e32 v78, 16, v15
	v_max_f32_e32 v78, v78, v78
	v_max_f32_e32 v14, v14, v14
	v_min_f32_e32 v79, v14, v78
	v_max_f32_e32 v14, v14, v78
	v_cndmask_b32_e32 v78, v14, v79, vcc
	v_and_b32_e32 v14, 0x7f800000, v78
	v_cmp_ne_u32_e64 s[26:27], s66, v14
                                        ; implicit-def: $vgpr14
	s_and_saveexec_b64 s[92:93], s[26:27]
	s_xor_b64 s[26:27], exec, s[92:93]
; %bb.405:                              ;   in Loop: Header=BB14_348 Depth=3
	v_bfe_u32 v14, v78, 16, 1
	v_add3_u32 v14, v78, v14, s67
                                        ; implicit-def: $vgpr78
; %bb.406:                              ;   in Loop: Header=BB14_348 Depth=3
	s_andn2_saveexec_b64 s[92:93], s[26:27]
; %bb.407:                              ;   in Loop: Header=BB14_348 Depth=3
	v_or_b32_e32 v14, 0x10000, v78
	v_cmp_eq_u32_sdwa s[26:27], v78, v3 src0_sel:WORD_0 src1_sel:DWORD
	s_nop 1
	v_cndmask_b32_e64 v14, v14, v78, s[26:27]
; %bb.408:                              ;   in Loop: Header=BB14_348 Depth=3
	s_or_b64 exec, exec, s[92:93]
	v_and_b32_e32 v11, 0xffff0000, v11
	v_and_b32_e32 v15, 0xffff0000, v15
	v_max_f32_e32 v15, v15, v15
	v_max_f32_e32 v11, v11, v11
	v_min_f32_e32 v78, v11, v15
	v_max_f32_e32 v11, v11, v15
	v_cndmask_b32_e32 v15, v11, v78, vcc
	v_and_b32_e32 v11, 0x7f800000, v15
	v_cmp_ne_u32_e64 s[26:27], s66, v11
                                        ; implicit-def: $vgpr11
	s_and_saveexec_b64 s[92:93], s[26:27]
	s_xor_b64 s[26:27], exec, s[92:93]
; %bb.409:                              ;   in Loop: Header=BB14_348 Depth=3
	v_bfe_u32 v11, v15, 16, 1
	v_add3_u32 v11, v15, v11, s67
                                        ; implicit-def: $vgpr15
; %bb.410:                              ;   in Loop: Header=BB14_348 Depth=3
	s_andn2_saveexec_b64 s[92:93], s[26:27]
	s_cbranch_execz .LBB14_347
; %bb.411:                              ;   in Loop: Header=BB14_348 Depth=3
	v_or_b32_e32 v11, 0x10000, v15
	v_cmp_eq_u32_sdwa s[26:27], v15, v3 src0_sel:WORD_0 src1_sel:DWORD
	s_nop 1
	v_cndmask_b32_e64 v11, v11, v15, s[26:27]
	s_branch .LBB14_347
.LBB14_412:                             ;   in Loop: Header=BB14_265 Depth=2
	s_or_b64 exec, exec, s[90:91]
.LBB14_413:                             ;   in Loop: Header=BB14_265 Depth=2
	s_or_b64 exec, exec, s[28:29]
	v_lshlrev_b32_e32 v22, 11, v60
	v_cmp_ne_u32_e32 vcc, v119, v22
	s_mov_b64 s[26:27], 0
	v_mov_b32_e32 v14, 0
                                        ; implicit-def: $vgpr15
	s_and_saveexec_b64 s[90:91], vcc
	s_cbranch_execz .LBB14_451
; %bb.414:                              ;   in Loop: Header=BB14_265 Depth=2
	v_lshlrev_b32_e32 v8, 6, v59
	v_sub_u32_e32 v8, v63, v8
	v_ashrrev_i32_e32 v10, 31, v8
	v_lshrrev_b32_e32 v10, 26, v10
	v_add_u32_e32 v10, v8, v10
	v_sub_u32_e32 v9, v119, v22
	v_ashrrev_i32_e32 v11, 6, v10
	v_and_b32_e32 v10, 0xffffffc0, v10
	v_sub_u32_e32 v23, v8, v10
	v_ashrrev_i32_e32 v10, 31, v9
	v_lshrrev_b32_e32 v10, 22, v10
	v_add_u32_e32 v10, v9, v10
	v_and_b32_e32 v44, 0xfffffc00, v10
	v_lshlrev_b32_e32 v8, 4, v23
	v_sub_u32_e32 v45, v9, v44
	v_lshl_add_u32 v8, v11, 10, v8
	v_ashrrev_i32_e32 v12, 10, v10
	v_cmp_lt_i32_e32 vcc, 15, v45
	v_sub_u32_e32 v47, v9, v8
	s_nop 0
	v_addc_co_u32_e64 v9, s[26:27], 0, v12, vcc
	v_sub_u32_e32 v46, v9, v11
	v_cmp_lt_i32_e64 s[26:27], 15, v47
	s_and_saveexec_b64 s[92:93], s[26:27]
	s_cbranch_execz .LBB14_450
; %bb.415:                              ;   in Loop: Header=BB14_265 Depth=2
	s_trap 2
	ds_read_b64 v[10:11], v0
	v_add_u32_e32 v8, v8, v22
	s_and_b32 s56, s34, 1
	v_ashrrev_i32_e32 v9, 31, v8
	s_cmp_eq_u64 s[56:57], 0
	v_lshl_add_u64 v[16:17], v[8:9], 0, v[40:41]
	s_waitcnt lgkmcnt(0)
	v_lshl_add_u64 v[18:19], v[10:11], 0, v[8:9]
	v_lshl_add_u64 v[20:21], v[8:9], 0, v[42:43]
	s_mov_b64 s[94:95], 0
	s_cselect_b64 s[26:27], -1, 0
	s_branch .LBB14_417
.LBB14_416:                             ;   in Loop: Header=BB14_417 Depth=3
	s_or_b64 exec, exec, s[30:31]
	v_lshrrev_b32_e32 v12, 16, v12
	v_and_or_b32 v9, v9, s68, v12
	v_lshrrev_b32_e32 v12, 16, v56
	v_and_or_b32 v8, v8, s68, v12
	;; [unrolled: 2-line block ×3, first 2 shown]
	v_lshrrev_b32_e32 v12, 16, v14
	v_sub_u32_e32 v47, v47, v68
	v_and_or_b32 v11, v11, s68, v12
	v_cmp_gt_i32_e64 s[28:29], 16, v47
	global_store_dwordx4 v[20:21], v[8:11], off
	v_lshl_add_u64 v[16:17], v[16:17], 0, v[68:69]
	v_lshl_add_u64 v[18:19], v[18:19], 0, v[68:69]
	;; [unrolled: 1-line block ×3, first 2 shown]
	s_or_b64 s[94:95], s[28:29], s[94:95]
	v_sub_u32_e32 v46, v46, v52
	s_andn2_b64 exec, exec, s[94:95]
	s_cbranch_execz .LBB14_449
.LBB14_417:                             ;   Parent Loop BB14_47 Depth=1
                                        ;     Parent Loop BB14_265 Depth=2
                                        ; =>    This Inner Loop Header: Depth=3
	global_load_dwordx4 v[8:11], v[18:19], off nt
	global_load_dwordx4 v[12:15], v[16:17], off nt
	s_waitcnt vmcnt(0)
	v_lshlrev_b32_e32 v56, 16, v8
	v_lshlrev_b32_e32 v57, 16, v12
	v_max_f32_e32 v56, v56, v56
	v_max_f32_e32 v57, v57, v57
	v_min_f32_e32 v59, v57, v56
	v_max_f32_e32 v56, v57, v56
	v_cndmask_b32_e64 v57, v56, v59, s[26:27]
	v_and_b32_e32 v56, 0x7f800000, v57
	v_cmp_ne_u32_e64 s[28:29], s66, v56
                                        ; implicit-def: $vgpr56
	s_and_saveexec_b64 s[30:31], s[28:29]
	s_xor_b64 s[28:29], exec, s[30:31]
; %bb.418:                              ;   in Loop: Header=BB14_417 Depth=3
	v_bfe_u32 v56, v57, 16, 1
	v_add3_u32 v56, v57, v56, s67
                                        ; implicit-def: $vgpr57
; %bb.419:                              ;   in Loop: Header=BB14_417 Depth=3
	s_andn2_saveexec_b64 s[30:31], s[28:29]
; %bb.420:                              ;   in Loop: Header=BB14_417 Depth=3
	v_or_b32_e32 v56, 0x10000, v57
	v_cmp_eq_u32_sdwa s[28:29], v57, v3 src0_sel:WORD_0 src1_sel:DWORD
	s_nop 1
	v_cndmask_b32_e64 v56, v56, v57, s[28:29]
; %bb.421:                              ;   in Loop: Header=BB14_417 Depth=3
	s_or_b64 exec, exec, s[30:31]
	v_and_b32_e32 v8, 0xffff0000, v8
	v_and_b32_e32 v12, 0xffff0000, v12
	v_max_f32_e32 v8, v8, v8
	v_max_f32_e32 v12, v12, v12
	v_min_f32_e32 v57, v12, v8
	v_max_f32_e32 v8, v12, v8
	v_cndmask_b32_e64 v12, v8, v57, s[26:27]
	v_and_b32_e32 v8, 0x7f800000, v12
	v_cmp_ne_u32_e64 s[28:29], s66, v8
                                        ; implicit-def: $vgpr8
	s_and_saveexec_b64 s[30:31], s[28:29]
	s_xor_b64 s[28:29], exec, s[30:31]
; %bb.422:                              ;   in Loop: Header=BB14_417 Depth=3
	v_bfe_u32 v8, v12, 16, 1
	v_add3_u32 v8, v12, v8, s67
                                        ; implicit-def: $vgpr12
; %bb.423:                              ;   in Loop: Header=BB14_417 Depth=3
	s_andn2_saveexec_b64 s[30:31], s[28:29]
; %bb.424:                              ;   in Loop: Header=BB14_417 Depth=3
	v_or_b32_e32 v8, 0x10000, v12
	v_cmp_eq_u32_sdwa s[28:29], v12, v3 src0_sel:WORD_0 src1_sel:DWORD
	s_nop 1
	v_cndmask_b32_e64 v8, v8, v12, s[28:29]
; %bb.425:                              ;   in Loop: Header=BB14_417 Depth=3
	s_or_b64 exec, exec, s[30:31]
	v_lshlrev_b32_e32 v12, 16, v9
	v_lshlrev_b32_e32 v57, 16, v13
	v_max_f32_e32 v12, v12, v12
	v_max_f32_e32 v57, v57, v57
	v_min_f32_e32 v59, v57, v12
	v_max_f32_e32 v12, v57, v12
	v_cndmask_b32_e64 v57, v12, v59, s[26:27]
	v_and_b32_e32 v12, 0x7f800000, v57
	v_cmp_ne_u32_e64 s[28:29], s66, v12
                                        ; implicit-def: $vgpr12
	s_and_saveexec_b64 s[30:31], s[28:29]
	s_xor_b64 s[28:29], exec, s[30:31]
; %bb.426:                              ;   in Loop: Header=BB14_417 Depth=3
	v_bfe_u32 v12, v57, 16, 1
	v_add3_u32 v12, v57, v12, s67
                                        ; implicit-def: $vgpr57
; %bb.427:                              ;   in Loop: Header=BB14_417 Depth=3
	s_andn2_saveexec_b64 s[30:31], s[28:29]
; %bb.428:                              ;   in Loop: Header=BB14_417 Depth=3
	v_or_b32_e32 v12, 0x10000, v57
	v_cmp_eq_u32_sdwa s[28:29], v57, v3 src0_sel:WORD_0 src1_sel:DWORD
	s_nop 1
	v_cndmask_b32_e64 v12, v12, v57, s[28:29]
; %bb.429:                              ;   in Loop: Header=BB14_417 Depth=3
	s_or_b64 exec, exec, s[30:31]
	v_and_b32_e32 v13, 0xffff0000, v13
	v_and_b32_e32 v9, 0xffff0000, v9
	v_max_f32_e32 v9, v9, v9
	v_max_f32_e32 v13, v13, v13
	v_min_f32_e32 v57, v13, v9
	v_max_f32_e32 v9, v13, v9
	v_cndmask_b32_e64 v13, v9, v57, s[26:27]
	v_and_b32_e32 v9, 0x7f800000, v13
	v_cmp_ne_u32_e64 s[28:29], s66, v9
                                        ; implicit-def: $vgpr9
	s_and_saveexec_b64 s[30:31], s[28:29]
	s_xor_b64 s[28:29], exec, s[30:31]
; %bb.430:                              ;   in Loop: Header=BB14_417 Depth=3
	v_bfe_u32 v9, v13, 16, 1
	v_add3_u32 v9, v13, v9, s67
                                        ; implicit-def: $vgpr13
; %bb.431:                              ;   in Loop: Header=BB14_417 Depth=3
	s_andn2_saveexec_b64 s[30:31], s[28:29]
; %bb.432:                              ;   in Loop: Header=BB14_417 Depth=3
	v_or_b32_e32 v9, 0x10000, v13
	v_cmp_eq_u32_sdwa s[28:29], v13, v3 src0_sel:WORD_0 src1_sel:DWORD
	s_nop 1
	v_cndmask_b32_e64 v9, v9, v13, s[28:29]
; %bb.433:                              ;   in Loop: Header=BB14_417 Depth=3
	s_or_b64 exec, exec, s[30:31]
	v_lshlrev_b32_e32 v13, 16, v10
	v_lshlrev_b32_e32 v57, 16, v14
	v_max_f32_e32 v13, v13, v13
	v_max_f32_e32 v57, v57, v57
	v_min_f32_e32 v59, v57, v13
	v_max_f32_e32 v13, v57, v13
	v_cndmask_b32_e64 v57, v13, v59, s[26:27]
	v_and_b32_e32 v13, 0x7f800000, v57
	v_cmp_ne_u32_e64 s[28:29], s66, v13
                                        ; implicit-def: $vgpr13
	s_and_saveexec_b64 s[30:31], s[28:29]
	s_xor_b64 s[28:29], exec, s[30:31]
; %bb.434:                              ;   in Loop: Header=BB14_417 Depth=3
	v_bfe_u32 v13, v57, 16, 1
	v_add3_u32 v13, v57, v13, s67
                                        ; implicit-def: $vgpr57
; %bb.435:                              ;   in Loop: Header=BB14_417 Depth=3
	s_andn2_saveexec_b64 s[30:31], s[28:29]
; %bb.436:                              ;   in Loop: Header=BB14_417 Depth=3
	v_or_b32_e32 v13, 0x10000, v57
	v_cmp_eq_u32_sdwa s[28:29], v57, v3 src0_sel:WORD_0 src1_sel:DWORD
	s_nop 1
	v_cndmask_b32_e64 v13, v13, v57, s[28:29]
; %bb.437:                              ;   in Loop: Header=BB14_417 Depth=3
	s_or_b64 exec, exec, s[30:31]
	v_and_b32_e32 v14, 0xffff0000, v14
	v_and_b32_e32 v10, 0xffff0000, v10
	v_max_f32_e32 v10, v10, v10
	v_max_f32_e32 v14, v14, v14
	v_min_f32_e32 v57, v14, v10
	v_max_f32_e32 v10, v14, v10
	v_cndmask_b32_e64 v14, v10, v57, s[26:27]
	v_and_b32_e32 v10, 0x7f800000, v14
	v_cmp_ne_u32_e64 s[28:29], s66, v10
                                        ; implicit-def: $vgpr10
	s_and_saveexec_b64 s[30:31], s[28:29]
	s_xor_b64 s[28:29], exec, s[30:31]
; %bb.438:                              ;   in Loop: Header=BB14_417 Depth=3
	v_bfe_u32 v10, v14, 16, 1
	v_add3_u32 v10, v14, v10, s67
                                        ; implicit-def: $vgpr14
; %bb.439:                              ;   in Loop: Header=BB14_417 Depth=3
	s_andn2_saveexec_b64 s[30:31], s[28:29]
; %bb.440:                              ;   in Loop: Header=BB14_417 Depth=3
	v_or_b32_e32 v10, 0x10000, v14
	v_cmp_eq_u32_sdwa s[28:29], v14, v3 src0_sel:WORD_0 src1_sel:DWORD
	s_nop 1
	v_cndmask_b32_e64 v10, v10, v14, s[28:29]
; %bb.441:                              ;   in Loop: Header=BB14_417 Depth=3
	s_or_b64 exec, exec, s[30:31]
	v_lshlrev_b32_e32 v14, 16, v11
	v_lshlrev_b32_e32 v57, 16, v15
	v_max_f32_e32 v14, v14, v14
	v_max_f32_e32 v57, v57, v57
	v_min_f32_e32 v59, v57, v14
	v_max_f32_e32 v14, v57, v14
	v_cndmask_b32_e64 v57, v14, v59, s[26:27]
	v_and_b32_e32 v14, 0x7f800000, v57
	v_cmp_ne_u32_e64 s[28:29], s66, v14
                                        ; implicit-def: $vgpr14
	s_and_saveexec_b64 s[30:31], s[28:29]
	s_xor_b64 s[28:29], exec, s[30:31]
; %bb.442:                              ;   in Loop: Header=BB14_417 Depth=3
	v_bfe_u32 v14, v57, 16, 1
	v_add3_u32 v14, v57, v14, s67
                                        ; implicit-def: $vgpr57
; %bb.443:                              ;   in Loop: Header=BB14_417 Depth=3
	s_andn2_saveexec_b64 s[30:31], s[28:29]
; %bb.444:                              ;   in Loop: Header=BB14_417 Depth=3
	v_or_b32_e32 v14, 0x10000, v57
	v_cmp_eq_u32_sdwa s[28:29], v57, v3 src0_sel:WORD_0 src1_sel:DWORD
	s_nop 1
	v_cndmask_b32_e64 v14, v14, v57, s[28:29]
; %bb.445:                              ;   in Loop: Header=BB14_417 Depth=3
	s_or_b64 exec, exec, s[30:31]
	v_and_b32_e32 v15, 0xffff0000, v15
	v_and_b32_e32 v11, 0xffff0000, v11
	v_max_f32_e32 v11, v11, v11
	v_max_f32_e32 v15, v15, v15
	v_min_f32_e32 v57, v15, v11
	v_max_f32_e32 v11, v15, v11
	v_cndmask_b32_e64 v15, v11, v57, s[26:27]
	v_and_b32_e32 v11, 0x7f800000, v15
	v_cmp_ne_u32_e64 s[28:29], s66, v11
                                        ; implicit-def: $vgpr11
	s_and_saveexec_b64 s[30:31], s[28:29]
	s_xor_b64 s[28:29], exec, s[30:31]
; %bb.446:                              ;   in Loop: Header=BB14_417 Depth=3
	v_bfe_u32 v11, v15, 16, 1
	v_add3_u32 v11, v15, v11, s67
                                        ; implicit-def: $vgpr15
; %bb.447:                              ;   in Loop: Header=BB14_417 Depth=3
	s_andn2_saveexec_b64 s[30:31], s[28:29]
	s_cbranch_execz .LBB14_416
; %bb.448:                              ;   in Loop: Header=BB14_417 Depth=3
	v_or_b32_e32 v11, 0x10000, v15
	v_cmp_eq_u32_sdwa s[28:29], v15, v3 src0_sel:WORD_0 src1_sel:DWORD
	s_nop 1
	v_cndmask_b32_e64 v11, v11, v15, s[28:29]
	s_branch .LBB14_416
.LBB14_449:                             ;   in Loop: Header=BB14_265 Depth=2
	s_or_b64 exec, exec, s[94:95]
.LBB14_450:                             ;   in Loop: Header=BB14_265 Depth=2
	s_or_b64 exec, exec, s[92:93]
	v_and_b32_e32 v8, 14, v119
	v_sub_u32_e32 v9, v45, v8
	v_cndmask_b32_e32 v9, 0, v9, vcc
	v_cndmask_b32_e32 v119, v45, v8, vcc
	v_cmp_lt_i32_e32 vcc, 0, v46
	v_add3_u32 v14, v44, v22, v9
	s_nop 0
	v_cndmask_b32_e32 v8, 0, v52, vcc
	v_sub_u32_e32 v8, v8, v46
	v_cmp_ne_u32_e32 vcc, 0, v119
	v_lshl_add_u32 v15, v8, 6, v23
	s_and_b64 s[26:27], vcc, exec
.LBB14_451:                             ;   in Loop: Header=BB14_265 Depth=2
	s_or_b64 exec, exec, s[90:91]
	s_and_saveexec_b64 s[28:29], s[26:27]
	s_cbranch_execz .LBB14_496
.LBB14_452:                             ;   in Loop: Header=BB14_265 Depth=2
	v_ashrrev_i32_e32 v8, 31, v15
	v_ashrrev_i32_e32 v9, 31, v119
	v_lshrrev_b32_e32 v8, 26, v8
	v_lshrrev_b32_e32 v9, 22, v9
	v_add_u32_e32 v8, v15, v8
	v_add_u32_e32 v9, v119, v9
	v_ashrrev_i32_e32 v16, 6, v8
	v_ashrrev_i32_e32 v18, 10, v9
	v_sub_u32_e32 v17, v18, v16
	v_cmp_lt_i32_e32 vcc, 0, v17
	s_and_saveexec_b64 s[90:91], vcc
	s_cbranch_execz .LBB14_488
; %bb.453:                              ;   in Loop: Header=BB14_265 Depth=2
	v_and_b32_e32 v8, 0x7fffffc0, v8
	s_trap 2
	ds_read_b64 v[10:11], v0
	v_sub_u32_e32 v8, v15, v8
	v_lshlrev_b32_e32 v8, 1, v8
	v_lshlrev_b32_e32 v9, 10, v16
	v_add3_u32 v12, v8, v14, v9
	s_and_b32 s56, s34, 1
	v_ashrrev_i32_e32 v13, 31, v12
	s_cmp_eq_u64 s[56:57], 0
	v_lshl_add_u64 v[20:21], v[42:43], 0, s[74:75]
	v_lshl_add_u64 v[8:9], v[12:13], 0, v[40:41]
	s_waitcnt lgkmcnt(0)
	v_lshl_add_u64 v[10:11], v[10:11], 0, v[12:13]
	s_mov_b64 s[92:93], 0
	s_cselect_b64 s[26:27], -1, 0
	v_lshl_add_u64 v[12:13], v[20:21], 0, v[12:13]
	s_branch .LBB14_455
.LBB14_454:                             ;   in Loop: Header=BB14_455 Depth=3
	s_or_b64 exec, exec, s[94:95]
	v_add_co_u32_e32 v60, vcc, 0xfffffc80, v12
	v_sub_u32_e32 v17, v17, v52
	s_nop 0
	v_addc_co_u32_e32 v61, vcc, -1, v13, vcc
	flat_store_short_d16_hi v[60:61], v19 nt
	v_add_co_u32_e32 v60, vcc, 0xfffffd00, v12
	v_lshl_add_u64 v[8:9], v[8:9], 0, v[68:69]
	s_nop 0
	v_addc_co_u32_e32 v61, vcc, -1, v13, vcc
	flat_store_short_d16_hi v[60:61], v22 nt
	v_add_co_u32_e32 v60, vcc, 0xfffffd80, v12
	v_lshl_add_u64 v[10:11], v[10:11], 0, v[68:69]
	s_nop 0
	v_addc_co_u32_e32 v61, vcc, -1, v13, vcc
	v_add_co_u32_e32 v44, vcc, 0xfffffe00, v12
	flat_store_short_d16_hi v[60:61], v45 nt
	s_nop 0
	v_addc_co_u32_e32 v45, vcc, -1, v13, vcc
	flat_store_short_d16_hi v[44:45], v47 nt
	v_add_co_u32_e32 v44, vcc, 0xfffffe80, v12
	s_nop 1
	v_addc_co_u32_e32 v45, vcc, -1, v13, vcc
	flat_store_short_d16_hi v[44:45], v57 nt
	v_add_co_u32_e32 v44, vcc, 0xffffff00, v12
	;; [unrolled: 4-line block ×3, first 2 shown]
	s_nop 1
	v_addc_co_u32_e32 v45, vcc, -1, v13, vcc
	v_cmp_gt_i32_e32 vcc, 1, v17
	flat_store_short_d16_hi v[44:45], v23 nt
	flat_store_short_d16_hi v[12:13], v20 nt
	s_or_b64 s[92:93], vcc, s[92:93]
	v_lshl_add_u64 v[12:13], v[12:13], 0, v[68:69]
	s_andn2_b64 exec, exec, s[92:93]
	s_cbranch_execz .LBB14_487
.LBB14_455:                             ;   Parent Loop BB14_47 Depth=1
                                        ;     Parent Loop BB14_265 Depth=2
                                        ; =>    This Inner Loop Header: Depth=3
	flat_load_ushort v45, v[8:9] offset:256 nt
	flat_load_ushort v47, v[8:9] offset:384 nt
	;; [unrolled: 1-line block ×6, first 2 shown]
	flat_load_ushort v19, v[8:9] nt
	flat_load_ushort v61, v[10:11] offset:256 nt
	flat_load_ushort v60, v[10:11] offset:384 nt
	;; [unrolled: 1-line block ×6, first 2 shown]
	flat_load_ushort v79, v[10:11] nt
	flat_load_ushort v22, v[8:9] offset:128 nt
	flat_load_ushort v78, v[10:11] offset:128 nt
	s_waitcnt vmcnt(0) lgkmcnt(0)
	v_lshlrev_b32_e32 v19, 16, v19
	v_max_f32_e32 v19, v19, v19
	v_lshlrev_b32_e32 v79, 16, v79
	v_max_f32_e32 v79, v79, v79
	v_min_f32_e32 v88, v19, v79
	v_max_f32_e32 v19, v19, v79
	v_cndmask_b32_e64 v79, v19, v88, s[26:27]
	v_and_b32_e32 v19, 0x7f800000, v79
	v_cmp_ne_u32_e32 vcc, s66, v19
                                        ; implicit-def: $vgpr19
	s_and_saveexec_b64 s[94:95], vcc
	s_xor_b64 s[94:95], exec, s[94:95]
; %bb.456:                              ;   in Loop: Header=BB14_455 Depth=3
	v_bfe_u32 v19, v79, 16, 1
	v_add3_u32 v19, v79, v19, s67
                                        ; implicit-def: $vgpr79
; %bb.457:                              ;   in Loop: Header=BB14_455 Depth=3
	s_andn2_saveexec_b64 s[94:95], s[94:95]
; %bb.458:                              ;   in Loop: Header=BB14_455 Depth=3
	v_or_b32_e32 v19, 0x10000, v79
	v_cmp_eq_u32_sdwa vcc, v79, v3 src0_sel:WORD_0 src1_sel:DWORD
	s_nop 1
	v_cndmask_b32_e32 v19, v19, v79, vcc
; %bb.459:                              ;   in Loop: Header=BB14_455 Depth=3
	s_or_b64 exec, exec, s[94:95]
	v_lshlrev_b32_e32 v22, 16, v22
	v_lshlrev_b32_e32 v78, 16, v78
	v_max_f32_e32 v78, v78, v78
	v_max_f32_e32 v22, v22, v22
	v_min_f32_e32 v79, v22, v78
	v_max_f32_e32 v22, v22, v78
	v_cndmask_b32_e64 v78, v22, v79, s[26:27]
	v_and_b32_e32 v22, 0x7f800000, v78
	v_cmp_ne_u32_e32 vcc, s66, v22
                                        ; implicit-def: $vgpr22
	s_and_saveexec_b64 s[94:95], vcc
	s_xor_b64 s[94:95], exec, s[94:95]
; %bb.460:                              ;   in Loop: Header=BB14_455 Depth=3
	v_bfe_u32 v22, v78, 16, 1
	v_add3_u32 v22, v78, v22, s67
                                        ; implicit-def: $vgpr78
; %bb.461:                              ;   in Loop: Header=BB14_455 Depth=3
	s_andn2_saveexec_b64 s[94:95], s[94:95]
; %bb.462:                              ;   in Loop: Header=BB14_455 Depth=3
	v_or_b32_e32 v22, 0x10000, v78
	v_cmp_eq_u32_sdwa vcc, v78, v3 src0_sel:WORD_0 src1_sel:DWORD
	s_nop 1
	v_cndmask_b32_e32 v22, v22, v78, vcc
; %bb.463:                              ;   in Loop: Header=BB14_455 Depth=3
	s_or_b64 exec, exec, s[94:95]
	v_lshlrev_b32_e32 v45, 16, v45
	v_lshlrev_b32_e32 v61, 16, v61
	v_max_f32_e32 v61, v61, v61
	v_max_f32_e32 v45, v45, v45
	v_min_f32_e32 v78, v45, v61
	v_max_f32_e32 v45, v45, v61
	v_cndmask_b32_e64 v61, v45, v78, s[26:27]
	v_and_b32_e32 v45, 0x7f800000, v61
	v_cmp_ne_u32_e32 vcc, s66, v45
                                        ; implicit-def: $vgpr45
	s_and_saveexec_b64 s[94:95], vcc
	s_xor_b64 s[94:95], exec, s[94:95]
; %bb.464:                              ;   in Loop: Header=BB14_455 Depth=3
	v_bfe_u32 v45, v61, 16, 1
	v_add3_u32 v45, v61, v45, s67
                                        ; implicit-def: $vgpr61
; %bb.465:                              ;   in Loop: Header=BB14_455 Depth=3
	s_andn2_saveexec_b64 s[94:95], s[94:95]
; %bb.466:                              ;   in Loop: Header=BB14_455 Depth=3
	v_or_b32_e32 v45, 0x10000, v61
	v_cmp_eq_u32_sdwa vcc, v61, v3 src0_sel:WORD_0 src1_sel:DWORD
	s_nop 1
	v_cndmask_b32_e32 v45, v45, v61, vcc
; %bb.467:                              ;   in Loop: Header=BB14_455 Depth=3
	s_or_b64 exec, exec, s[94:95]
	v_lshlrev_b32_e32 v47, 16, v47
	v_lshlrev_b32_e32 v60, 16, v60
	v_max_f32_e32 v60, v60, v60
	v_max_f32_e32 v47, v47, v47
	v_min_f32_e32 v61, v47, v60
	v_max_f32_e32 v47, v47, v60
	v_cndmask_b32_e64 v60, v47, v61, s[26:27]
	v_and_b32_e32 v47, 0x7f800000, v60
	v_cmp_ne_u32_e32 vcc, s66, v47
                                        ; implicit-def: $vgpr47
	s_and_saveexec_b64 s[94:95], vcc
	s_xor_b64 s[94:95], exec, s[94:95]
; %bb.468:                              ;   in Loop: Header=BB14_455 Depth=3
	v_bfe_u32 v47, v60, 16, 1
	v_add3_u32 v47, v60, v47, s67
                                        ; implicit-def: $vgpr60
; %bb.469:                              ;   in Loop: Header=BB14_455 Depth=3
	s_andn2_saveexec_b64 s[94:95], s[94:95]
; %bb.470:                              ;   in Loop: Header=BB14_455 Depth=3
	v_or_b32_e32 v47, 0x10000, v60
	v_cmp_eq_u32_sdwa vcc, v60, v3 src0_sel:WORD_0 src1_sel:DWORD
	s_nop 1
	v_cndmask_b32_e32 v47, v47, v60, vcc
; %bb.471:                              ;   in Loop: Header=BB14_455 Depth=3
	s_or_b64 exec, exec, s[94:95]
	v_lshlrev_b32_e32 v57, 16, v57
	v_lshlrev_b32_e32 v59, 16, v59
	v_max_f32_e32 v59, v59, v59
	v_max_f32_e32 v57, v57, v57
	v_min_f32_e32 v60, v57, v59
	v_max_f32_e32 v57, v57, v59
	v_cndmask_b32_e64 v59, v57, v60, s[26:27]
	v_and_b32_e32 v57, 0x7f800000, v59
	v_cmp_ne_u32_e32 vcc, s66, v57
                                        ; implicit-def: $vgpr57
	s_and_saveexec_b64 s[94:95], vcc
	s_xor_b64 s[94:95], exec, s[94:95]
; %bb.472:                              ;   in Loop: Header=BB14_455 Depth=3
	v_bfe_u32 v57, v59, 16, 1
	v_add3_u32 v57, v59, v57, s67
                                        ; implicit-def: $vgpr59
; %bb.473:                              ;   in Loop: Header=BB14_455 Depth=3
	s_andn2_saveexec_b64 s[94:95], s[94:95]
; %bb.474:                              ;   in Loop: Header=BB14_455 Depth=3
	v_or_b32_e32 v57, 0x10000, v59
	v_cmp_eq_u32_sdwa vcc, v59, v3 src0_sel:WORD_0 src1_sel:DWORD
	s_nop 1
	v_cndmask_b32_e32 v57, v57, v59, vcc
; %bb.475:                              ;   in Loop: Header=BB14_455 Depth=3
	s_or_b64 exec, exec, s[94:95]
	v_lshlrev_b32_e32 v46, 16, v46
	v_lshlrev_b32_e32 v56, 16, v56
	v_max_f32_e32 v56, v56, v56
	v_max_f32_e32 v46, v46, v46
	v_min_f32_e32 v59, v46, v56
	v_max_f32_e32 v46, v46, v56
	v_cndmask_b32_e64 v56, v46, v59, s[26:27]
	v_and_b32_e32 v46, 0x7f800000, v56
	v_cmp_ne_u32_e32 vcc, s66, v46
                                        ; implicit-def: $vgpr46
	s_and_saveexec_b64 s[94:95], vcc
	s_xor_b64 s[94:95], exec, s[94:95]
; %bb.476:                              ;   in Loop: Header=BB14_455 Depth=3
	v_bfe_u32 v46, v56, 16, 1
	v_add3_u32 v46, v56, v46, s67
                                        ; implicit-def: $vgpr56
; %bb.477:                              ;   in Loop: Header=BB14_455 Depth=3
	s_andn2_saveexec_b64 s[94:95], s[94:95]
; %bb.478:                              ;   in Loop: Header=BB14_455 Depth=3
	v_or_b32_e32 v46, 0x10000, v56
	v_cmp_eq_u32_sdwa vcc, v56, v3 src0_sel:WORD_0 src1_sel:DWORD
	s_nop 1
	v_cndmask_b32_e32 v46, v46, v56, vcc
; %bb.479:                              ;   in Loop: Header=BB14_455 Depth=3
	s_or_b64 exec, exec, s[94:95]
	v_lshlrev_b32_e32 v23, 16, v23
	v_lshlrev_b32_e32 v44, 16, v44
	v_max_f32_e32 v44, v44, v44
	v_max_f32_e32 v23, v23, v23
	v_min_f32_e32 v56, v23, v44
	v_max_f32_e32 v23, v23, v44
	v_cndmask_b32_e64 v44, v23, v56, s[26:27]
	v_and_b32_e32 v23, 0x7f800000, v44
	v_cmp_ne_u32_e32 vcc, s66, v23
                                        ; implicit-def: $vgpr23
	s_and_saveexec_b64 s[94:95], vcc
	s_xor_b64 s[94:95], exec, s[94:95]
; %bb.480:                              ;   in Loop: Header=BB14_455 Depth=3
	v_bfe_u32 v23, v44, 16, 1
	v_add3_u32 v23, v44, v23, s67
                                        ; implicit-def: $vgpr44
; %bb.481:                              ;   in Loop: Header=BB14_455 Depth=3
	s_andn2_saveexec_b64 s[94:95], s[94:95]
; %bb.482:                              ;   in Loop: Header=BB14_455 Depth=3
	v_or_b32_e32 v23, 0x10000, v44
	v_cmp_eq_u32_sdwa vcc, v44, v3 src0_sel:WORD_0 src1_sel:DWORD
	s_nop 1
	v_cndmask_b32_e32 v23, v23, v44, vcc
; %bb.483:                              ;   in Loop: Header=BB14_455 Depth=3
	s_or_b64 exec, exec, s[94:95]
	v_lshlrev_b32_e32 v20, 16, v20
	v_lshlrev_b32_e32 v21, 16, v21
	v_max_f32_e32 v21, v21, v21
	v_max_f32_e32 v20, v20, v20
	v_min_f32_e32 v44, v20, v21
	v_max_f32_e32 v20, v20, v21
	v_cndmask_b32_e64 v21, v20, v44, s[26:27]
	v_and_b32_e32 v20, 0x7f800000, v21
	v_cmp_ne_u32_e32 vcc, s66, v20
                                        ; implicit-def: $vgpr20
	s_and_saveexec_b64 s[94:95], vcc
	s_xor_b64 s[94:95], exec, s[94:95]
; %bb.484:                              ;   in Loop: Header=BB14_455 Depth=3
	v_bfe_u32 v20, v21, 16, 1
	v_add3_u32 v20, v21, v20, s67
                                        ; implicit-def: $vgpr21
; %bb.485:                              ;   in Loop: Header=BB14_455 Depth=3
	s_andn2_saveexec_b64 s[94:95], s[94:95]
	s_cbranch_execz .LBB14_454
; %bb.486:                              ;   in Loop: Header=BB14_455 Depth=3
	v_or_b32_e32 v20, 0x10000, v21
	v_cmp_eq_u32_sdwa vcc, v21, v3 src0_sel:WORD_0 src1_sel:DWORD
	s_nop 1
	v_cndmask_b32_e32 v20, v20, v21, vcc
	s_branch .LBB14_454
.LBB14_487:                             ;   in Loop: Header=BB14_265 Depth=2
	s_or_b64 exec, exec, s[92:93]
.LBB14_488:                             ;   in Loop: Header=BB14_265 Depth=2
	s_or_b64 exec, exec, s[90:91]
	v_lshlrev_b32_e32 v8, 10, v18
	v_cmp_ne_u32_e32 vcc, v119, v8
	s_and_b64 exec, exec, vcc
	s_cbranch_execz .LBB14_496
; %bb.489:                              ;   in Loop: Header=BB14_265 Depth=2
	v_lshlrev_b32_e32 v9, 6, v16
	v_sub_u32_e32 v9, v15, v9
	v_lshlrev_b32_e32 v10, 6, v17
	v_sub_u32_e32 v9, v9, v10
	v_ashrrev_i32_e32 v10, 31, v9
	v_lshrrev_b32_e32 v10, 26, v10
	v_add_u32_e32 v10, v9, v10
	v_and_b32_e32 v11, 0x7fffffc0, v10
	v_sub_u32_e32 v9, v9, v11
	v_lshlrev_b32_e32 v10, 1, v10
	v_and_b32_e32 v10, 0xffffff80, v10
	v_lshlrev_b32_e32 v9, 1, v9
	v_add3_u32 v8, v10, v9, v8
	v_sub_u32_e32 v15, v119, v8
	v_cmp_lt_i32_e32 vcc, 1, v15
	s_and_b64 exec, exec, vcc
	s_cbranch_execz .LBB14_496
; %bb.490:                              ;   in Loop: Header=BB14_265 Depth=2
	s_trap 2
	ds_read_b64 v[10:11], v0
	v_add_u32_e32 v12, v8, v14
	s_and_b32 s56, s34, 1
	v_ashrrev_i32_e32 v13, 31, v12
	s_cmp_eq_u64 s[56:57], 0
	v_lshl_add_u64 v[8:9], v[12:13], 0, v[40:41]
	s_waitcnt lgkmcnt(0)
	v_lshl_add_u64 v[10:11], v[10:11], 0, v[12:13]
	v_lshl_add_u64 v[12:13], v[12:13], 0, v[42:43]
	s_mov_b64 s[90:91], 0
	s_cselect_b64 vcc, -1, 0
	s_branch .LBB14_492
.LBB14_491:                             ;   in Loop: Header=BB14_492 Depth=3
	s_or_b64 exec, exec, s[92:93]
	v_sub_u32_e32 v15, v15, v70
	v_cmp_gt_i32_e64 s[26:27], 2, v15
	flat_store_short_d16_hi v[12:13], v16 nt
	v_lshl_add_u64 v[8:9], v[8:9], 0, v[70:71]
	v_lshl_add_u64 v[10:11], v[10:11], 0, v[70:71]
	s_or_b64 s[90:91], s[26:27], s[90:91]
	v_lshl_add_u64 v[12:13], v[12:13], 0, v[70:71]
	s_andn2_b64 exec, exec, s[90:91]
	s_cbranch_execz .LBB14_496
.LBB14_492:                             ;   Parent Loop BB14_47 Depth=1
                                        ;     Parent Loop BB14_265 Depth=2
                                        ; =>    This Inner Loop Header: Depth=3
	flat_load_ushort v14, v[10:11] nt
	flat_load_ushort v16, v[8:9] nt
	s_waitcnt vmcnt(0) lgkmcnt(0)
	v_lshlrev_b32_e32 v14, 16, v14
	v_lshlrev_b32_e32 v16, 16, v16
	v_max_f32_e32 v14, v14, v14
	v_max_f32_e32 v16, v16, v16
	v_min_f32_e32 v17, v16, v14
	v_max_f32_e32 v14, v16, v14
	v_cndmask_b32_e32 v14, v14, v17, vcc
	v_and_b32_e32 v16, 0x7f800000, v14
	v_cmp_ne_u32_e64 s[26:27], s66, v16
                                        ; implicit-def: $vgpr16
	s_and_saveexec_b64 s[92:93], s[26:27]
	s_xor_b64 s[26:27], exec, s[92:93]
; %bb.493:                              ;   in Loop: Header=BB14_492 Depth=3
	v_bfe_u32 v16, v14, 16, 1
	v_add3_u32 v16, v14, v16, s67
                                        ; implicit-def: $vgpr14
; %bb.494:                              ;   in Loop: Header=BB14_492 Depth=3
	s_andn2_saveexec_b64 s[92:93], s[26:27]
	s_cbranch_execz .LBB14_491
; %bb.495:                              ;   in Loop: Header=BB14_492 Depth=3
	v_or_b32_e32 v16, 0x10000, v14
	v_cmp_eq_u32_sdwa s[26:27], v14, v3 src0_sel:WORD_0 src1_sel:DWORD
	s_nop 1
	v_cndmask_b32_e64 v16, v16, v14, s[26:27]
	s_branch .LBB14_491
.LBB14_496:                             ;   in Loop: Header=BB14_265 Depth=2
	s_or_b64 exec, exec, s[28:29]
	v_cmp_lt_i32_e64 s[26:27], 0, v2
	s_and_saveexec_b64 s[28:29], s[6:7]
	s_cbranch_execz .LBB14_341
.LBB14_497:                             ;   in Loop: Header=BB14_265 Depth=2
	s_and_saveexec_b64 s[90:91], s[58:59]
	s_xor_b64 s[90:91], exec, s[90:91]
	s_cbranch_execz .LBB14_512
; %bb.498:                              ;   in Loop: Header=BB14_265 Depth=2
	s_and_saveexec_b64 s[92:93], s[14:15]
	s_cbranch_execz .LBB14_511
; %bb.499:                              ;   in Loop: Header=BB14_265 Depth=2
	s_mov_b64 s[30:31], exec
	v_mbcnt_lo_u32_b32 v2, s30, 0
	v_mbcnt_hi_u32_b32 v2, s31, v2
	v_cmp_eq_u32_e32 vcc, 0, v2
	s_waitcnt lgkmcnt(0)
	s_and_saveexec_b64 s[94:95], vcc
	s_cbranch_execz .LBB14_501
; %bb.500:                              ;   in Loop: Header=BB14_265 Depth=2
	s_bcnt1_i32_b64 s56, s[30:31]
	v_mov_b32_e32 v2, s56
	ds_add_u64 v0, v[2:3]
	s_trap 2
.LBB14_501:                             ;   in Loop: Header=BB14_265 Depth=2
	s_or_b64 exec, exec, s[94:95]
	s_trap 2
	ds_read_b64 v[8:9], v0
	s_waitcnt lgkmcnt(0)
	v_lshl_add_u64 v[38:39], v[38:39], 0, v[52:53]
	v_cmp_lt_u64_e32 vcc, v[8:9], v[38:39]
	s_and_saveexec_b64 s[94:95], vcc
	s_cbranch_execz .LBB14_510
; %bb.502:                              ;   in Loop: Header=BB14_265 Depth=2
	s_mov_b32 s56, 0
	s_mov_b64 s[30:31], 0
                                        ; implicit-def: $sgpr34_sgpr35
                                        ; implicit-def: $sgpr36_sgpr37
	s_branch .LBB14_504
.LBB14_503:                             ;   in Loop: Header=BB14_504 Depth=3
	s_or_b64 exec, exec, s[48:49]
	s_and_b64 vcc, exec, vcc
	s_or_b64 s[30:31], vcc, s[30:31]
	s_andn2_b64 vcc, s[34:35], exec
	s_and_b64 s[34:35], s[36:37], exec
	s_or_b64 s[34:35], vcc, s[34:35]
	s_andn2_b64 exec, exec, s[30:31]
	s_cbranch_execz .LBB14_508
.LBB14_504:                             ;   Parent Loop BB14_47 Depth=1
                                        ;     Parent Loop BB14_265 Depth=2
                                        ; =>    This Inner Loop Header: Depth=3
	s_add_i32 s56, s56, 1
	s_cmpk_lg_i32 s56, 0x2710
	s_cselect_b64 s[38:39], -1, 0
	s_and_b64 vcc, exec, s[38:39]
	s_cbranch_vccz .LBB14_506
; %bb.505:                              ;   in Loop: Header=BB14_504 Depth=3
	s_mov_b64 vcc, -1
	s_or_b64 s[36:37], s[36:37], exec
	s_and_saveexec_b64 s[48:49], s[38:39]
	s_cbranch_execz .LBB14_503
	s_branch .LBB14_507
.LBB14_506:                             ;   in Loop: Header=BB14_504 Depth=3
	s_trap 2
	ds_read_b64 v[8:9], v0
	s_andn2_b64 s[38:39], s[38:39], exec
	s_mov_b32 s56, 0
	s_waitcnt vmcnt(0) lgkmcnt(0)
	flat_load_dword v2, v[8:9] sc0 sc1
	s_waitcnt vmcnt(0) lgkmcnt(0)
	buffer_inv sc0 sc1
	v_cmp_eq_u32_e32 vcc, 0, v2
	s_and_b64 vcc, vcc, exec
	s_or_b64 s[38:39], s[38:39], vcc
	s_mov_b64 vcc, -1
	s_or_b64 s[36:37], s[36:37], exec
	s_and_saveexec_b64 s[48:49], s[38:39]
	s_cbranch_execz .LBB14_503
.LBB14_507:                             ;   in Loop: Header=BB14_504 Depth=3
	s_sleep 1
	s_trap 2
	ds_read_b64 v[8:9], v0
	s_waitcnt lgkmcnt(0)
	s_andn2_b64 s[36:37], s[36:37], exec
	v_cmp_ge_u64_e32 vcc, v[8:9], v[38:39]
	s_orn2_b64 vcc, vcc, exec
	s_branch .LBB14_503
.LBB14_508:                             ;   in Loop: Header=BB14_265 Depth=2
	s_or_b64 exec, exec, s[30:31]
	s_and_saveexec_b64 vcc, s[34:35]
	s_xor_b64 vcc, exec, vcc
	s_cbranch_execz .LBB14_510
; %bb.509:                              ;   in Loop: Header=BB14_265 Depth=2
	ds_write_b32 v0, v73
	s_trap 2
.LBB14_510:                             ;   in Loop: Header=BB14_265 Depth=2
	s_or_b64 exec, exec, s[94:95]
	;;#ASMSTART
	s_wakeup
	;;#ASMEND
.LBB14_511:                             ;   in Loop: Header=BB14_265 Depth=2
	s_or_b64 exec, exec, s[92:93]
.LBB14_512:                             ;   in Loop: Header=BB14_265 Depth=2
	s_andn2_saveexec_b64 s[90:91], s[90:91]
	s_cbranch_execz .LBB14_514
; %bb.513:                              ;   in Loop: Header=BB14_265 Depth=2
	s_waitcnt lgkmcnt(0)
	s_barrier
.LBB14_514:                             ;   in Loop: Header=BB14_265 Depth=2
	s_or_b64 exec, exec, s[90:91]
	s_or_b64 exec, exec, s[28:29]
                                        ; implicit-def: $vgpr2
	s_and_saveexec_b64 s[28:29], s[22:23]
	s_xor_b64 s[28:29], exec, s[28:29]
	s_cbranch_execnz .LBB14_342
.LBB14_515:                             ;   in Loop: Header=BB14_265 Depth=2
	s_andn2_saveexec_b64 s[26:27], s[28:29]
	s_cbranch_execz .LBB14_534
.LBB14_516:                             ;   in Loop: Header=BB14_265 Depth=2
	s_and_saveexec_b64 s[28:29], s[58:59]
	s_xor_b64 s[28:29], exec, s[28:29]
	s_cbranch_execz .LBB14_531
; %bb.517:                              ;   in Loop: Header=BB14_265 Depth=2
	s_and_saveexec_b64 s[90:91], s[14:15]
	s_cbranch_execz .LBB14_530
; %bb.518:                              ;   in Loop: Header=BB14_265 Depth=2
	s_mov_b64 s[94:95], exec
	v_mbcnt_lo_u32_b32 v2, s94, 0
	v_mbcnt_hi_u32_b32 v2, s95, v2
	v_cmp_eq_u32_e32 vcc, 0, v2
	;;#ASMSTART
	s_waitcnt lgkmcnt(0) vmcnt(0)
	;;#ASMEND
	s_and_saveexec_b64 s[92:93], vcc
	s_cbranch_execz .LBB14_520
; %bb.519:                              ;   in Loop: Header=BB14_265 Depth=2
	s_bcnt1_i32_b64 s56, s[94:95]
	v_mov_b32_e32 v2, s56
	s_waitcnt lgkmcnt(0)
	ds_add_u64 v0, v[2:3]
	s_trap 2
.LBB14_520:                             ;   in Loop: Header=BB14_265 Depth=2
	s_or_b64 exec, exec, s[92:93]
	s_trap 2
	ds_read_b64 v[8:9], v0
	s_waitcnt lgkmcnt(0)
	v_lshl_add_u64 v[38:39], v[38:39], 0, v[52:53]
	v_cmp_lt_u64_e32 vcc, v[8:9], v[38:39]
	s_and_saveexec_b64 s[92:93], vcc
	s_cbranch_execz .LBB14_529
; %bb.521:                              ;   in Loop: Header=BB14_265 Depth=2
	s_mov_b32 s56, 0
	s_mov_b64 s[94:95], 0
                                        ; implicit-def: $sgpr30_sgpr31
                                        ; implicit-def: $sgpr34_sgpr35
	s_branch .LBB14_523
.LBB14_522:                             ;   in Loop: Header=BB14_523 Depth=3
	s_or_b64 exec, exec, s[38:39]
	s_and_b64 vcc, exec, vcc
	s_or_b64 s[94:95], vcc, s[94:95]
	s_andn2_b64 vcc, s[30:31], exec
	s_and_b64 s[30:31], s[34:35], exec
	s_or_b64 s[30:31], vcc, s[30:31]
	s_andn2_b64 exec, exec, s[94:95]
	s_cbranch_execz .LBB14_527
.LBB14_523:                             ;   Parent Loop BB14_47 Depth=1
                                        ;     Parent Loop BB14_265 Depth=2
                                        ; =>    This Inner Loop Header: Depth=3
	s_add_i32 s56, s56, 1
	s_cmpk_lg_i32 s56, 0x2710
	s_cselect_b64 s[36:37], -1, 0
	s_and_b64 vcc, exec, s[36:37]
	s_cbranch_vccz .LBB14_525
; %bb.524:                              ;   in Loop: Header=BB14_523 Depth=3
	s_mov_b64 vcc, -1
	s_or_b64 s[34:35], s[34:35], exec
	s_and_saveexec_b64 s[38:39], s[36:37]
	s_cbranch_execz .LBB14_522
	s_branch .LBB14_526
.LBB14_525:                             ;   in Loop: Header=BB14_523 Depth=3
	s_trap 2
	ds_read_b64 v[8:9], v0
	s_andn2_b64 s[36:37], s[36:37], exec
	s_mov_b32 s56, 0
	s_waitcnt vmcnt(0) lgkmcnt(0)
	flat_load_dword v2, v[8:9] sc0 sc1
	s_waitcnt vmcnt(0) lgkmcnt(0)
	buffer_inv sc0 sc1
	v_cmp_eq_u32_e32 vcc, 0, v2
	s_and_b64 vcc, vcc, exec
	s_or_b64 s[36:37], s[36:37], vcc
	s_mov_b64 vcc, -1
	s_or_b64 s[34:35], s[34:35], exec
	s_and_saveexec_b64 s[38:39], s[36:37]
	s_cbranch_execz .LBB14_522
.LBB14_526:                             ;   in Loop: Header=BB14_523 Depth=3
	s_sleep 1
	s_trap 2
	ds_read_b64 v[8:9], v0
	s_waitcnt lgkmcnt(0)
	s_andn2_b64 s[34:35], s[34:35], exec
	v_cmp_ge_u64_e32 vcc, v[8:9], v[38:39]
	s_orn2_b64 vcc, vcc, exec
	s_branch .LBB14_522
.LBB14_527:                             ;   in Loop: Header=BB14_265 Depth=2
	s_or_b64 exec, exec, s[94:95]
	s_and_saveexec_b64 s[94:95], s[30:31]
	s_xor_b64 s[94:95], exec, s[94:95]
	s_cbranch_execz .LBB14_529
; %bb.528:                              ;   in Loop: Header=BB14_265 Depth=2
	ds_write_b32 v0, v73
	s_trap 2
.LBB14_529:                             ;   in Loop: Header=BB14_265 Depth=2
	s_or_b64 exec, exec, s[92:93]
	;;#ASMSTART
	s_wakeup
	;;#ASMEND
.LBB14_530:                             ;   in Loop: Header=BB14_265 Depth=2
	s_or_b64 exec, exec, s[90:91]
.LBB14_531:                             ;   in Loop: Header=BB14_265 Depth=2
	s_andn2_saveexec_b64 s[28:29], s[28:29]
	s_cbranch_execz .LBB14_533
; %bb.532:                              ;   in Loop: Header=BB14_265 Depth=2
	;;#ASMSTART
	s_waitcnt lgkmcnt(0) vmcnt(0)
	;;#ASMEND
	s_barrier
.LBB14_533:                             ;   in Loop: Header=BB14_265 Depth=2
	s_or_b64 exec, exec, s[28:29]
	v_and_b32_e32 v2, 16, v62
.LBB14_534:                             ;   in Loop: Header=BB14_265 Depth=2
	s_or_b64 exec, exec, s[26:27]
	v_cmp_ne_u32_e32 vcc, 0, v2
	s_xor_b64 s[26:27], s[10:11], -1
	s_and_b64 s[28:29], vcc, s[26:27]
	s_and_saveexec_b64 s[26:27], s[28:29]
	s_cbranch_execz .LBB14_536
; %bb.535:                              ;   in Loop: Header=BB14_265 Depth=2
	flat_store_dword v[36:37], v73 sc0 sc1
.LBB14_536:                             ;   in Loop: Header=BB14_265 Depth=2
	s_or_b64 exec, exec, s[26:27]
	v_and_b32_e32 v2, 48, v62
	v_cmp_ne_u32_e32 vcc, 0, v2
	s_and_saveexec_b64 s[26:27], vcc
	s_cbranch_execz .LBB14_538
; %bb.537:                              ;   in Loop: Header=BB14_265 Depth=2
	v_lshl_add_u64 v[112:113], v[112:113], 0, 4
	flat_store_dwordx2 v[32:33], v[112:113] sc0 sc1
.LBB14_538:                             ;   in Loop: Header=BB14_265 Depth=2
	s_or_b64 exec, exec, s[26:27]
	v_mov_b32_e32 v2, v118
.LBB14_539:                             ;   in Loop: Header=BB14_265 Depth=2
	s_or_b64 exec, exec, s[42:43]
	s_and_saveexec_b64 s[28:29], s[40:41]
	s_cbranch_execz .LBB14_264
; %bb.540:                              ;   in Loop: Header=BB14_265 Depth=2
	v_sub_u32_e32 v2, v58, v2
	v_min_i32_e32 v8, v118, v2
	v_and_b32_e32 v2, 12, v62
	v_cmp_ne_u32_e32 vcc, 0, v2
	s_and_saveexec_b64 s[40:41], vcc
	s_cbranch_execz .LBB14_550
; %bb.541:                              ;   in Loop: Header=BB14_265 Depth=2
	v_and_b32_e32 v2, 8, v62
	s_waitcnt vmcnt(0) lgkmcnt(0)
	v_lshl_add_u64 v[12:13], v[48:49], 0, v[2:3]
	v_lshl_add_u64 v[10:11], v[112:113], 0, 4
	v_cmp_lt_u64_e32 vcc, v[12:13], v[10:11]
	s_and_saveexec_b64 s[42:43], vcc
	s_cbranch_execz .LBB14_566
; %bb.542:                              ;   in Loop: Header=BB14_265 Depth=2
	v_and_b32_e32 v9, 64, v62
	s_mov_b32 s56, 0
	v_cmp_eq_u32_e32 vcc, 0, v9
	s_mov_b64 s[90:91], 0
                                        ; implicit-def: $sgpr92_sgpr93
                                        ; implicit-def: $sgpr94_sgpr95
                                        ; implicit-def: $sgpr30_sgpr31
	s_branch .LBB14_546
.LBB14_543:                             ;   in Loop: Header=BB14_546 Depth=3
	s_waitcnt vmcnt(0) lgkmcnt(0)
	v_lshl_add_u64 v[12:13], v[48:49], 0, v[2:3]
	v_cmp_ge_u64_e64 s[26:27], v[12:13], v[10:11]
	s_or_b64 s[38:39], s[38:39], exec
	s_orn2_b64 s[36:37], s[26:27], exec
.LBB14_544:                             ;   in Loop: Header=BB14_546 Depth=3
	s_or_b64 exec, exec, s[50:51]
	s_andn2_b64 s[26:27], s[30:31], exec
	s_and_b64 s[30:31], s[38:39], exec
	s_or_b64 s[30:31], s[26:27], s[30:31]
	s_andn2_b64 s[26:27], s[94:95], exec
	s_and_b64 s[94:95], s[36:37], exec
	s_or_b64 s[94:95], s[26:27], s[94:95]
.LBB14_545:                             ;   in Loop: Header=BB14_546 Depth=3
	s_or_b64 exec, exec, s[34:35]
	s_and_b64 s[26:27], exec, s[94:95]
	s_or_b64 s[90:91], s[26:27], s[90:91]
	s_andn2_b64 s[26:27], s[92:93], exec
	s_and_b64 s[92:93], s[30:31], exec
	s_or_b64 s[92:93], s[26:27], s[92:93]
	s_andn2_b64 exec, exec, s[90:91]
	s_cbranch_execz .LBB14_563
.LBB14_546:                             ;   Parent Loop BB14_47 Depth=1
                                        ;     Parent Loop BB14_265 Depth=2
                                        ; =>    This Inner Loop Header: Depth=3
	s_sleep 1
	s_waitcnt vmcnt(0) lgkmcnt(0)
	flat_load_dwordx2 v[48:49], v[32:33] sc0 sc1
	s_or_b64 s[30:31], s[30:31], exec
	s_or_b64 s[94:95], s[94:95], exec
                                        ; implicit-def: $vgpr9
	s_and_saveexec_b64 s[34:35], vcc
	s_cbranch_execz .LBB14_545
; %bb.547:                              ;   in Loop: Header=BB14_546 Depth=3
	s_cmpk_lt_i32 s56, 0x270f
	s_cselect_b64 s[48:49], -1, 0
	s_cmpk_gt_i32 s56, 0x270e
	s_mov_b64 s[36:37], -1
	s_cbranch_scc0 .LBB14_549
; %bb.548:                              ;   in Loop: Header=BB14_546 Depth=3
	s_trap 2
	ds_read_b64 v[12:13], v0
	s_andn2_b64 s[48:49], s[48:49], exec
	s_mov_b32 s56, 0
	s_mov_b64 s[38:39], 0
	s_waitcnt vmcnt(0) lgkmcnt(0)
	flat_load_dword v9, v[12:13] sc0 sc1
	s_waitcnt vmcnt(0) lgkmcnt(0)
	buffer_inv sc0 sc1
	v_cmp_eq_u32_e64 s[26:27], 0, v9
	s_and_b64 s[26:27], s[26:27], exec
	s_or_b64 s[48:49], s[48:49], s[26:27]
	s_and_saveexec_b64 s[50:51], s[48:49]
	s_cbranch_execz .LBB14_544
	s_branch .LBB14_543
.LBB14_549:                             ;   in Loop: Header=BB14_546 Depth=3
	s_add_i32 s56, s56, 1
	s_mov_b64 s[38:39], -1
                                        ; implicit-def: $vgpr9
	s_and_saveexec_b64 s[50:51], s[48:49]
	s_cbranch_execz .LBB14_544
	s_branch .LBB14_543
.LBB14_550:                             ;   in Loop: Header=BB14_265 Depth=2
	s_or_b64 exec, exec, s[40:41]
	s_and_saveexec_b64 s[26:27], s[6:7]
	s_cbranch_execnz .LBB14_579
.LBB14_551:                             ;   in Loop: Header=BB14_265 Depth=2
	s_or_b64 exec, exec, s[26:27]
                                        ; implicit-def: $vgpr2
	s_and_saveexec_b64 s[26:27], s[88:89]
	s_xor_b64 s[26:27], exec, s[26:27]
	s_cbranch_execz .LBB14_604
.LBB14_552:                             ;   in Loop: Header=BB14_265 Depth=2
	s_and_saveexec_b64 s[40:41], s[58:59]
	s_xor_b64 s[40:41], exec, s[40:41]
	s_cbranch_execz .LBB14_594
; %bb.553:                              ;   in Loop: Header=BB14_265 Depth=2
	s_and_saveexec_b64 s[42:43], s[14:15]
	s_cbranch_execz .LBB14_593
; %bb.554:                              ;   in Loop: Header=BB14_265 Depth=2
	s_mov_b64 s[92:93], exec
	v_mbcnt_lo_u32_b32 v2, s92, 0
	v_mbcnt_hi_u32_b32 v2, s93, v2
	v_cmp_eq_u32_e32 vcc, 0, v2
	;;#ASMSTART
	s_waitcnt lgkmcnt(0) vmcnt(0)
	;;#ASMEND
	s_and_saveexec_b64 s[90:91], vcc
	s_cbranch_execz .LBB14_556
; %bb.555:                              ;   in Loop: Header=BB14_265 Depth=2
	s_bcnt1_i32_b64 s56, s[92:93]
	v_mov_b32_e32 v2, s56
	s_waitcnt lgkmcnt(0)
	ds_add_u64 v0, v[2:3]
	s_trap 2
.LBB14_556:                             ;   in Loop: Header=BB14_265 Depth=2
	s_or_b64 exec, exec, s[90:91]
	s_trap 2
	ds_read_b64 v[8:9], v0
	s_waitcnt lgkmcnt(0)
	v_lshl_add_u64 v[38:39], v[38:39], 0, v[52:53]
	v_cmp_lt_u64_e32 vcc, v[8:9], v[38:39]
	s_and_saveexec_b64 s[90:91], vcc
	s_cbranch_execz .LBB14_592
; %bb.557:                              ;   in Loop: Header=BB14_265 Depth=2
	s_mov_b32 s56, 0
	s_mov_b64 s[92:93], 0
                                        ; implicit-def: $sgpr94_sgpr95
                                        ; implicit-def: $sgpr30_sgpr31
	s_branch .LBB14_559
.LBB14_558:                             ;   in Loop: Header=BB14_559 Depth=3
	s_or_b64 exec, exec, s[36:37]
	s_and_b64 vcc, exec, vcc
	s_or_b64 s[92:93], vcc, s[92:93]
	s_andn2_b64 s[94:95], s[94:95], exec
	s_and_b64 vcc, s[30:31], exec
	s_or_b64 s[94:95], s[94:95], vcc
	s_andn2_b64 exec, exec, s[92:93]
	s_cbranch_execz .LBB14_590
.LBB14_559:                             ;   Parent Loop BB14_47 Depth=1
                                        ;     Parent Loop BB14_265 Depth=2
                                        ; =>    This Inner Loop Header: Depth=3
	s_add_i32 s56, s56, 1
	s_cmpk_lg_i32 s56, 0x2710
	s_cselect_b64 s[34:35], -1, 0
	s_and_b64 vcc, exec, s[34:35]
	s_cbranch_vccz .LBB14_561
; %bb.560:                              ;   in Loop: Header=BB14_559 Depth=3
	s_mov_b64 vcc, -1
	s_or_b64 s[30:31], s[30:31], exec
	s_and_saveexec_b64 s[36:37], s[34:35]
	s_cbranch_execz .LBB14_558
	s_branch .LBB14_562
.LBB14_561:                             ;   in Loop: Header=BB14_559 Depth=3
	s_trap 2
	ds_read_b64 v[8:9], v0
	s_andn2_b64 s[34:35], s[34:35], exec
	s_mov_b32 s56, 0
	s_waitcnt vmcnt(0) lgkmcnt(0)
	flat_load_dword v2, v[8:9] sc0 sc1
	s_waitcnt vmcnt(0) lgkmcnt(0)
	buffer_inv sc0 sc1
	v_cmp_eq_u32_e32 vcc, 0, v2
	s_and_b64 vcc, vcc, exec
	s_or_b64 s[34:35], s[34:35], vcc
	s_mov_b64 vcc, -1
	s_or_b64 s[30:31], s[30:31], exec
	s_and_saveexec_b64 s[36:37], s[34:35]
	s_cbranch_execz .LBB14_558
.LBB14_562:                             ;   in Loop: Header=BB14_559 Depth=3
	s_sleep 1
	s_trap 2
	ds_read_b64 v[8:9], v0
	s_waitcnt lgkmcnt(0)
	s_andn2_b64 s[30:31], s[30:31], exec
	v_cmp_ge_u64_e32 vcc, v[8:9], v[38:39]
	s_orn2_b64 vcc, vcc, exec
	s_branch .LBB14_558
.LBB14_563:                             ;   in Loop: Header=BB14_265 Depth=2
	s_or_b64 exec, exec, s[90:91]
	s_xor_b64 s[26:27], s[92:93], -1
	s_and_saveexec_b64 s[90:91], s[26:27]
	s_xor_b64 s[26:27], exec, s[90:91]
	s_cbranch_execz .LBB14_565
; %bb.564:                              ;   in Loop: Header=BB14_265 Depth=2
	v_or_b32_e32 v62, 64, v62
	s_waitcnt lgkmcnt(0)
	ds_write_b32 v0, v9
	s_trap 2
.LBB14_565:                             ;   in Loop: Header=BB14_265 Depth=2
	s_or_b64 exec, exec, s[26:27]
.LBB14_566:                             ;   in Loop: Header=BB14_265 Depth=2
	s_or_b64 exec, exec, s[42:43]
	v_and_b32_e32 v9, 0x108, v62
	v_cmp_ne_u32_e32 vcc, s65, v9
	;;#ASMSTART
	s_wakeup
	;;#ASMEND
                                        ; implicit-def: $vgpr12_vgpr13
	s_and_saveexec_b64 s[26:27], vcc
	s_xor_b64 s[26:27], exec, s[26:27]
; %bb.567:                              ;   in Loop: Header=BB14_265 Depth=2
	v_and_b32_e32 v12, 7, v112
	v_mov_b32_e32 v13, v3
                                        ; implicit-def: $vgpr112_vgpr113
; %bb.568:                              ;   in Loop: Header=BB14_265 Depth=2
	s_andn2_saveexec_b64 s[26:27], s[26:27]
	s_cbranch_execz .LBB14_570
; %bb.569:                              ;   in Loop: Header=BB14_265 Depth=2
	v_and_b32_e32 v12, 7, v112
	v_ashrrev_i32_e32 v9, 31, v8
	v_mov_b32_e32 v13, v3
	v_mad_u64_u32 v[14:15], s[42:43], v12, 24, v[6:7]
	v_lshlrev_b64 v[16:17], 1, v[8:9]
	flat_store_dwordx2 v[14:15], v[16:17] offset:8
.LBB14_570:                             ;   in Loop: Header=BB14_265 Depth=2
	s_or_b64 exec, exec, s[26:27]
	v_and_b32_e32 v9, 0x100, v62
	v_cmp_ne_u32_e32 vcc, 0, v9
	s_mov_b64 s[26:27], -1
                                        ; implicit-def: $vgpr14_vgpr15
	s_and_saveexec_b64 s[42:43], vcc
	s_cbranch_execz .LBB14_574
; %bb.571:                              ;   in Loop: Header=BB14_265 Depth=2
	v_mad_u64_u32 v[16:17], s[26:27], v12, 24, v[6:7]
	v_mov_b32_e32 v14, v17
	v_mad_u64_u32 v[14:15], s[26:27], v13, 24, v[14:15]
	v_mov_b32_e32 v17, v14
	flat_load_dword v9, v[16:17]
                                        ; implicit-def: $vgpr14_vgpr15
	s_waitcnt vmcnt(0) lgkmcnt(0)
	v_cmp_ne_u32_e32 vcc, 1, v9
	v_cmp_eq_u32_e64 s[26:27], 1, v9
	s_and_saveexec_b64 s[90:91], s[26:27]
	s_cbranch_execz .LBB14_573
; %bb.572:                              ;   in Loop: Header=BB14_265 Depth=2
	flat_load_dword v14, v[16:17] offset:4 sc0 sc1
	s_waitcnt vmcnt(0) lgkmcnt(0)
	v_ashrrev_i32_e32 v15, 31, v14
	v_lshrrev_b64 v[14:15], 1, v[14:15]
.LBB14_573:                             ;   in Loop: Header=BB14_265 Depth=2
	s_or_b64 exec, exec, s[90:91]
	s_orn2_b64 s[26:27], vcc, exec
.LBB14_574:                             ;   in Loop: Header=BB14_265 Depth=2
	s_or_b64 exec, exec, s[42:43]
	s_and_saveexec_b64 s[42:43], s[26:27]
; %bb.575:                              ;   in Loop: Header=BB14_265 Depth=2
	v_mul_lo_u32 v9, v13, v30
	v_mul_lo_u32 v13, v12, v51
	v_mad_u64_u32 v[14:15], s[26:27], v12, v30, 0
	v_add3_u32 v15, v15, v13, v9
; %bb.576:                              ;   in Loop: Header=BB14_265 Depth=2
	s_or_b64 exec, exec, s[42:43]
	v_cmp_eq_u32_e32 vcc, 0, v2
	v_lshl_add_u64 v[12:13], v[14:15], 1, v[34:35]
	s_nop 0
	v_cndmask_b32_e32 v2, v74, v75, vcc
	v_add_u32_e32 v2, v0, v2
	ds_write_b64 v2, v[12:13] offset:584
	v_and_b32_e32 v2, 0x2000, v62
	v_cmp_ne_u32_e32 vcc, 0, v2
	s_and_saveexec_b64 s[26:27], vcc
	s_cbranch_execz .LBB14_578
; %bb.577:                              ;   in Loop: Header=BB14_265 Depth=2
	ds_read_b64 v[12:13], v0 offset:872
	s_waitcnt lgkmcnt(0)
	v_lshl_add_u64 v[12:13], v[12:13], 0, 1
	ds_write_b64 v0, v[12:13] offset:872
.LBB14_578:                             ;   in Loop: Header=BB14_265 Depth=2
	s_or_b64 exec, exec, s[26:27]
	v_mov_b64_e32 v[112:113], v[10:11]
	s_or_b64 exec, exec, s[40:41]
	s_and_saveexec_b64 s[26:27], s[6:7]
	s_cbranch_execz .LBB14_551
.LBB14_579:                             ;   in Loop: Header=BB14_265 Depth=2
	s_and_saveexec_b64 s[40:41], s[58:59]
	s_xor_b64 s[40:41], exec, s[40:41]
	s_cbranch_execz .LBB14_601
; %bb.580:                              ;   in Loop: Header=BB14_265 Depth=2
	s_and_saveexec_b64 s[42:43], s[14:15]
	s_cbranch_execz .LBB14_600
; %bb.581:                              ;   in Loop: Header=BB14_265 Depth=2
	s_mov_b64 s[92:93], exec
	v_mbcnt_lo_u32_b32 v2, s92, 0
	v_mbcnt_hi_u32_b32 v2, s93, v2
	v_cmp_eq_u32_e32 vcc, 0, v2
	s_waitcnt lgkmcnt(0)
	s_and_saveexec_b64 s[90:91], vcc
	s_cbranch_execz .LBB14_583
; %bb.582:                              ;   in Loop: Header=BB14_265 Depth=2
	s_bcnt1_i32_b64 s56, s[92:93]
	v_mov_b32_e32 v2, s56
	ds_add_u64 v0, v[2:3]
	s_trap 2
.LBB14_583:                             ;   in Loop: Header=BB14_265 Depth=2
	s_or_b64 exec, exec, s[90:91]
	s_trap 2
	ds_read_b64 v[10:11], v0
	s_waitcnt lgkmcnt(0)
	v_lshl_add_u64 v[38:39], v[38:39], 0, v[52:53]
	v_cmp_lt_u64_e32 vcc, v[10:11], v[38:39]
	s_and_saveexec_b64 s[90:91], vcc
	s_cbranch_execz .LBB14_599
; %bb.584:                              ;   in Loop: Header=BB14_265 Depth=2
	s_mov_b32 s56, 0
	s_mov_b64 s[92:93], 0
                                        ; implicit-def: $sgpr94_sgpr95
                                        ; implicit-def: $sgpr30_sgpr31
	s_branch .LBB14_586
.LBB14_585:                             ;   in Loop: Header=BB14_586 Depth=3
	s_or_b64 exec, exec, s[36:37]
	s_and_b64 vcc, exec, vcc
	s_or_b64 s[92:93], vcc, s[92:93]
	s_andn2_b64 s[94:95], s[94:95], exec
	s_and_b64 vcc, s[30:31], exec
	s_or_b64 s[94:95], s[94:95], vcc
	s_andn2_b64 exec, exec, s[92:93]
	s_cbranch_execz .LBB14_597
.LBB14_586:                             ;   Parent Loop BB14_47 Depth=1
                                        ;     Parent Loop BB14_265 Depth=2
                                        ; =>    This Inner Loop Header: Depth=3
	s_add_i32 s56, s56, 1
	s_cmpk_lg_i32 s56, 0x2710
	s_cselect_b64 s[34:35], -1, 0
	s_and_b64 vcc, exec, s[34:35]
	s_cbranch_vccz .LBB14_588
; %bb.587:                              ;   in Loop: Header=BB14_586 Depth=3
	s_mov_b64 vcc, -1
	s_or_b64 s[30:31], s[30:31], exec
	s_and_saveexec_b64 s[36:37], s[34:35]
	s_cbranch_execz .LBB14_585
	s_branch .LBB14_589
.LBB14_588:                             ;   in Loop: Header=BB14_586 Depth=3
	s_trap 2
	ds_read_b64 v[10:11], v0
	s_andn2_b64 s[34:35], s[34:35], exec
	s_mov_b32 s56, 0
	s_waitcnt vmcnt(0) lgkmcnt(0)
	flat_load_dword v2, v[10:11] sc0 sc1
	s_waitcnt vmcnt(0) lgkmcnt(0)
	buffer_inv sc0 sc1
	v_cmp_eq_u32_e32 vcc, 0, v2
	s_and_b64 vcc, vcc, exec
	s_or_b64 s[34:35], s[34:35], vcc
	s_mov_b64 vcc, -1
	s_or_b64 s[30:31], s[30:31], exec
	s_and_saveexec_b64 s[36:37], s[34:35]
	s_cbranch_execz .LBB14_585
.LBB14_589:                             ;   in Loop: Header=BB14_586 Depth=3
	s_sleep 1
	s_trap 2
	ds_read_b64 v[10:11], v0
	s_waitcnt lgkmcnt(0)
	s_andn2_b64 s[30:31], s[30:31], exec
	v_cmp_ge_u64_e32 vcc, v[10:11], v[38:39]
	s_orn2_b64 vcc, vcc, exec
	s_branch .LBB14_585
.LBB14_590:                             ;   in Loop: Header=BB14_265 Depth=2
	s_or_b64 exec, exec, s[92:93]
	s_and_saveexec_b64 s[92:93], s[94:95]
	s_xor_b64 s[92:93], exec, s[92:93]
	s_cbranch_execz .LBB14_592
; %bb.591:                              ;   in Loop: Header=BB14_265 Depth=2
	ds_write_b32 v0, v73
	s_trap 2
.LBB14_592:                             ;   in Loop: Header=BB14_265 Depth=2
	s_or_b64 exec, exec, s[90:91]
	;;#ASMSTART
	s_wakeup
	;;#ASMEND
.LBB14_593:                             ;   in Loop: Header=BB14_265 Depth=2
	s_or_b64 exec, exec, s[42:43]
.LBB14_594:                             ;   in Loop: Header=BB14_265 Depth=2
	s_andn2_saveexec_b64 s[40:41], s[40:41]
	s_cbranch_execz .LBB14_596
; %bb.595:                              ;   in Loop: Header=BB14_265 Depth=2
	;;#ASMSTART
	s_waitcnt lgkmcnt(0) vmcnt(0)
	;;#ASMEND
	s_barrier
.LBB14_596:                             ;   in Loop: Header=BB14_265 Depth=2
	s_or_b64 exec, exec, s[40:41]
	v_and_b32_e32 v2, 16, v62
                                        ; implicit-def: $vgpr8
	s_andn2_saveexec_b64 s[26:27], s[26:27]
	s_cbranch_execz .LBB14_608
	s_branch .LBB14_605
.LBB14_597:                             ;   in Loop: Header=BB14_265 Depth=2
	s_or_b64 exec, exec, s[92:93]
	s_and_saveexec_b64 s[92:93], s[94:95]
	s_xor_b64 s[92:93], exec, s[92:93]
	s_cbranch_execz .LBB14_599
; %bb.598:                              ;   in Loop: Header=BB14_265 Depth=2
	ds_write_b32 v0, v73
	s_trap 2
.LBB14_599:                             ;   in Loop: Header=BB14_265 Depth=2
	s_or_b64 exec, exec, s[90:91]
	;;#ASMSTART
	s_wakeup
	;;#ASMEND
.LBB14_600:                             ;   in Loop: Header=BB14_265 Depth=2
	s_or_b64 exec, exec, s[42:43]
.LBB14_601:                             ;   in Loop: Header=BB14_265 Depth=2
	s_andn2_saveexec_b64 s[40:41], s[40:41]
	s_cbranch_execz .LBB14_603
; %bb.602:                              ;   in Loop: Header=BB14_265 Depth=2
	s_waitcnt lgkmcnt(0)
	s_barrier
.LBB14_603:                             ;   in Loop: Header=BB14_265 Depth=2
	s_or_b64 exec, exec, s[40:41]
	s_or_b64 exec, exec, s[26:27]
                                        ; implicit-def: $vgpr2
	s_and_saveexec_b64 s[26:27], s[88:89]
	s_xor_b64 s[26:27], exec, s[26:27]
	s_cbranch_execnz .LBB14_552
.LBB14_604:                             ;   in Loop: Header=BB14_265 Depth=2
	s_andn2_saveexec_b64 s[26:27], s[26:27]
	s_cbranch_execz .LBB14_608
.LBB14_605:                             ;   in Loop: Header=BB14_265 Depth=2
	s_trap 2
	ds_read_b32 v9, v0
	v_cmp_lt_i32_e32 vcc, 0, v8
	v_and_b32_e32 v8, 16, v62
	v_and_b32_e32 v2, 16, v62
	s_waitcnt lgkmcnt(0)
	v_readfirstlane_b32 s40, v9
	s_cmp_eq_u32 s40, 0
	s_cselect_b64 s[40:41], -1, 0
	s_and_b64 s[40:41], vcc, s[40:41]
	v_cmp_ne_u32_e32 vcc, 0, v8
	s_and_b64 s[42:43], vcc, s[40:41]
	s_and_saveexec_b64 s[40:41], s[42:43]
	s_cbranch_execz .LBB14_607
; %bb.606:                              ;   in Loop: Header=BB14_265 Depth=2
	v_mov_b32_e32 v2, 1
	buffer_wbl2 sc1
	s_waitcnt vmcnt(0)
	buffer_inv sc1
.LBB14_607:                             ;   in Loop: Header=BB14_265 Depth=2
	s_or_b64 exec, exec, s[40:41]
.LBB14_608:                             ;   in Loop: Header=BB14_265 Depth=2
	s_or_b64 exec, exec, s[26:27]
	v_cmp_ne_u32_e32 vcc, 0, v2
	s_xor_b64 s[26:27], s[10:11], -1
	s_and_b64 s[40:41], vcc, s[26:27]
	s_and_saveexec_b64 s[26:27], s[40:41]
	s_cbranch_execz .LBB14_610
; %bb.609:                              ;   in Loop: Header=BB14_265 Depth=2
	flat_store_dword v[36:37], v73 sc0 sc1
.LBB14_610:                             ;   in Loop: Header=BB14_265 Depth=2
	s_or_b64 exec, exec, s[26:27]
	v_and_b32_e32 v2, 48, v62
	v_cmp_ne_u32_e32 vcc, 0, v2
	s_and_saveexec_b64 s[26:27], vcc
	s_cbranch_execz .LBB14_263
; %bb.611:                              ;   in Loop: Header=BB14_265 Depth=2
	v_lshl_add_u64 v[112:113], v[112:113], 0, 4
	flat_store_dwordx2 v[32:33], v[112:113] sc0 sc1
	s_branch .LBB14_263
.LBB14_612:                             ;   in Loop: Header=BB14_47 Depth=1
	v_mul_lo_u32 v2, v103, s54
	v_mul_lo_u32 v10, v102, s55
	v_mad_u64_u32 v[8:9], s[26:27], v102, s54, 0
	v_add3_u32 v9, v9, v10, v2
	v_sub_co_u32_e32 v10, vcc, v114, v8
	v_mov_b32_e32 v2, 0
	s_nop 0
	v_subb_co_u32_e32 v11, vcc, v115, v9, vcc
	v_cmp_lt_i64_e32 vcc, v[102:103], v[10:11]
	s_nop 1
	v_cndmask_b32_e32 v10, v10, v102, vcc
	v_max_i32_e32 v78, 0, v10
	v_add_u32_e32 v11, 15, v78
	v_ashrrev_i32_e32 v12, 31, v11
	v_lshrrev_b32_e32 v12, 28, v12
	v_add_u32_e32 v11, v11, v12
	v_cmp_gt_i32_e32 vcc, 1, v10
	v_and_b32_e32 v11, -16, v11
	s_or_b64 s[90:91], s[2:3], vcc
	v_max_i32_e32 v118, s80, v11
	s_xor_b64 s[26:27], s[90:91], -1
	s_and_saveexec_b64 s[92:93], s[26:27]
	s_cbranch_execz .LBB14_618
; %bb.613:                              ;   in Loop: Header=BB14_47 Depth=1
	s_and_saveexec_b64 s[26:27], s[0:1]
	s_cbranch_execz .LBB14_615
; %bb.614:                              ;   in Loop: Header=BB14_47 Depth=1
	s_trap 2
	ds_read2_b64 v[10:13], v0 offset1:1
	ds_read_b64 v[14:15], v0
	v_lshl_add_u64 v[8:9], v[8:9], 0, v[116:117]
	v_lshlrev_b64 v[8:9], 1, v[8:9]
	s_waitcnt lgkmcnt(0)
	v_lshl_add_u64 v[10:11], v[10:11], 0, v[8:9]
	ds_write_b64 v0, v[10:11]
	v_lshl_add_u64 v[10:11], v[12:13], 0, v[8:9]
	v_lshl_add_u64 v[8:9], v[14:15], 0, v[8:9]
	v_cmp_ne_u64_e32 vcc, 0, v[14:15]
	ds_write_b64 v0, v[10:11]
	s_nop 0
	v_cndmask_b32_e32 v9, 0, v9, vcc
	v_cndmask_b32_e32 v8, 0, v8, vcc
	ds_write_b64 v0, v[8:9]
.LBB14_615:                             ;   in Loop: Header=BB14_47 Depth=1
	s_or_b64 exec, exec, s[26:27]
	v_and_b32_e32 v2, 12, v62
	v_min_i32_e32 v118, v118, v78
	v_cmp_ne_u32_e32 vcc, 0, v2
	s_and_saveexec_b64 s[28:29], vcc
	s_cbranch_execz .LBB14_657
; %bb.616:                              ;   in Loop: Header=BB14_47 Depth=1
	v_and_b32_e32 v2, 8, v62
	s_waitcnt vmcnt(0) lgkmcnt(0)
	v_lshl_add_u64 v[10:11], v[48:49], 0, v[2:3]
	v_lshl_add_u64 v[8:9], v[112:113], 0, 4
	v_cmp_lt_u64_e32 vcc, v[10:11], v[8:9]
	s_and_saveexec_b64 s[40:41], vcc
	s_cbranch_execz .LBB14_644
; %bb.617:                              ;   in Loop: Header=BB14_47 Depth=1
	v_and_b32_e32 v10, 64, v62
	s_mov_b32 s56, 0
	v_cmp_eq_u32_e32 vcc, 0, v10
	s_mov_b64 s[42:43], 0
                                        ; implicit-def: $sgpr94_sgpr95
                                        ; implicit-def: $sgpr30_sgpr31
                                        ; implicit-def: $sgpr34_sgpr35
	s_branch .LBB14_625
.LBB14_618:                             ;   in Loop: Header=BB14_47 Depth=1
	s_or_b64 exec, exec, s[92:93]
	s_and_saveexec_b64 s[28:29], s[90:91]
	s_cbranch_execz .LBB14_1125
.LBB14_619:                             ;   in Loop: Header=BB14_47 Depth=1
	v_sub_u32_e32 v2, v78, v2
	v_min_i32_e32 v8, v118, v2
	v_and_b32_e32 v2, 12, v62
	v_cmp_ne_u32_e32 vcc, 0, v2
	s_and_saveexec_b64 s[40:41], vcc
	s_cbranch_execz .LBB14_636
; %bb.620:                              ;   in Loop: Header=BB14_47 Depth=1
	v_and_b32_e32 v2, 8, v62
	s_waitcnt vmcnt(0) lgkmcnt(0)
	v_lshl_add_u64 v[12:13], v[48:49], 0, v[2:3]
	v_lshl_add_u64 v[10:11], v[112:113], 0, 4
	v_cmp_lt_u64_e32 vcc, v[12:13], v[10:11]
	s_and_saveexec_b64 s[42:43], vcc
	s_cbranch_execz .LBB14_672
; %bb.621:                              ;   in Loop: Header=BB14_47 Depth=1
	v_and_b32_e32 v9, 64, v62
	s_mov_b32 s56, 0
	v_cmp_eq_u32_e32 vcc, 0, v9
	s_mov_b64 s[90:91], 0
                                        ; implicit-def: $sgpr92_sgpr93
                                        ; implicit-def: $sgpr94_sgpr95
                                        ; implicit-def: $sgpr30_sgpr31
	s_branch .LBB14_632
.LBB14_622:                             ;   in Loop: Header=BB14_625 Depth=2
	s_waitcnt vmcnt(0) lgkmcnt(0)
	v_lshl_add_u64 v[12:13], v[48:49], 0, v[2:3]
	v_cmp_ge_u64_e64 s[26:27], v[12:13], v[8:9]
	s_or_b64 s[48:49], s[48:49], exec
	s_orn2_b64 s[38:39], s[26:27], exec
.LBB14_623:                             ;   in Loop: Header=BB14_625 Depth=2
	s_or_b64 exec, exec, s[52:53]
	s_andn2_b64 s[26:27], s[34:35], exec
	s_and_b64 s[34:35], s[48:49], exec
	s_or_b64 s[34:35], s[26:27], s[34:35]
	s_andn2_b64 s[26:27], s[30:31], exec
	s_and_b64 s[30:31], s[38:39], exec
	s_or_b64 s[30:31], s[26:27], s[30:31]
.LBB14_624:                             ;   in Loop: Header=BB14_625 Depth=2
	s_or_b64 exec, exec, s[36:37]
	s_and_b64 s[26:27], exec, s[30:31]
	s_or_b64 s[42:43], s[26:27], s[42:43]
	s_andn2_b64 s[26:27], s[94:95], exec
	s_and_b64 s[94:95], s[34:35], exec
	s_or_b64 s[94:95], s[26:27], s[94:95]
	s_andn2_b64 exec, exec, s[42:43]
	s_cbranch_execz .LBB14_641
.LBB14_625:                             ;   Parent Loop BB14_47 Depth=1
                                        ; =>  This Inner Loop Header: Depth=2
	s_sleep 1
	s_waitcnt vmcnt(0) lgkmcnt(0)
	flat_load_dwordx2 v[48:49], v[32:33] sc0 sc1
	s_or_b64 s[34:35], s[34:35], exec
	s_or_b64 s[30:31], s[30:31], exec
                                        ; implicit-def: $vgpr10
	s_and_saveexec_b64 s[36:37], vcc
	s_cbranch_execz .LBB14_624
; %bb.626:                              ;   in Loop: Header=BB14_625 Depth=2
	s_cmpk_lt_i32 s56, 0x270f
	s_cselect_b64 s[50:51], -1, 0
	s_cmpk_gt_i32 s56, 0x270e
	s_mov_b64 s[38:39], -1
	s_cbranch_scc0 .LBB14_628
; %bb.627:                              ;   in Loop: Header=BB14_625 Depth=2
	s_trap 2
	ds_read_b64 v[10:11], v0
	s_andn2_b64 s[50:51], s[50:51], exec
	s_mov_b32 s56, 0
	s_mov_b64 s[48:49], 0
	s_waitcnt vmcnt(0) lgkmcnt(0)
	flat_load_dword v10, v[10:11] sc0 sc1
	s_waitcnt vmcnt(0) lgkmcnt(0)
	buffer_inv sc0 sc1
	v_cmp_eq_u32_e64 s[26:27], 0, v10
	s_and_b64 s[26:27], s[26:27], exec
	s_or_b64 s[50:51], s[50:51], s[26:27]
	s_and_saveexec_b64 s[52:53], s[50:51]
	s_cbranch_execz .LBB14_623
	s_branch .LBB14_622
.LBB14_628:                             ;   in Loop: Header=BB14_625 Depth=2
	s_add_i32 s56, s56, 1
	s_mov_b64 s[48:49], -1
                                        ; implicit-def: $vgpr10
	s_and_saveexec_b64 s[52:53], s[50:51]
	s_cbranch_execz .LBB14_623
	s_branch .LBB14_622
.LBB14_629:                             ;   in Loop: Header=BB14_632 Depth=2
	s_waitcnt vmcnt(0) lgkmcnt(0)
	v_lshl_add_u64 v[12:13], v[48:49], 0, v[2:3]
	v_cmp_ge_u64_e64 s[26:27], v[12:13], v[10:11]
	s_or_b64 s[38:39], s[38:39], exec
	s_orn2_b64 s[36:37], s[26:27], exec
.LBB14_630:                             ;   in Loop: Header=BB14_632 Depth=2
	s_or_b64 exec, exec, s[50:51]
	s_andn2_b64 s[26:27], s[30:31], exec
	s_and_b64 s[30:31], s[38:39], exec
	s_or_b64 s[30:31], s[26:27], s[30:31]
	s_andn2_b64 s[26:27], s[94:95], exec
	s_and_b64 s[94:95], s[36:37], exec
	s_or_b64 s[94:95], s[26:27], s[94:95]
.LBB14_631:                             ;   in Loop: Header=BB14_632 Depth=2
	s_or_b64 exec, exec, s[34:35]
	s_and_b64 s[26:27], exec, s[94:95]
	s_or_b64 s[90:91], s[26:27], s[90:91]
	s_andn2_b64 s[26:27], s[92:93], exec
	s_and_b64 s[92:93], s[30:31], exec
	s_or_b64 s[92:93], s[26:27], s[92:93]
	s_andn2_b64 exec, exec, s[90:91]
	s_cbranch_execz .LBB14_669
.LBB14_632:                             ;   Parent Loop BB14_47 Depth=1
                                        ; =>  This Inner Loop Header: Depth=2
	s_sleep 1
	s_waitcnt vmcnt(0) lgkmcnt(0)
	flat_load_dwordx2 v[48:49], v[32:33] sc0 sc1
	s_or_b64 s[30:31], s[30:31], exec
	s_or_b64 s[94:95], s[94:95], exec
                                        ; implicit-def: $vgpr9
	s_and_saveexec_b64 s[34:35], vcc
	s_cbranch_execz .LBB14_631
; %bb.633:                              ;   in Loop: Header=BB14_632 Depth=2
	s_cmpk_lt_i32 s56, 0x270f
	s_cselect_b64 s[48:49], -1, 0
	s_cmpk_gt_i32 s56, 0x270e
	s_mov_b64 s[36:37], -1
	s_cbranch_scc0 .LBB14_635
; %bb.634:                              ;   in Loop: Header=BB14_632 Depth=2
	s_trap 2
	ds_read_b64 v[12:13], v0
	s_andn2_b64 s[48:49], s[48:49], exec
	s_mov_b32 s56, 0
	s_mov_b64 s[38:39], 0
	s_waitcnt vmcnt(0) lgkmcnt(0)
	flat_load_dword v9, v[12:13] sc0 sc1
	s_waitcnt vmcnt(0) lgkmcnt(0)
	buffer_inv sc0 sc1
	v_cmp_eq_u32_e64 s[26:27], 0, v9
	s_and_b64 s[26:27], s[26:27], exec
	s_or_b64 s[48:49], s[48:49], s[26:27]
	s_and_saveexec_b64 s[50:51], s[48:49]
	s_cbranch_execz .LBB14_630
	s_branch .LBB14_629
.LBB14_635:                             ;   in Loop: Header=BB14_632 Depth=2
	s_add_i32 s56, s56, 1
	s_mov_b64 s[38:39], -1
                                        ; implicit-def: $vgpr9
	s_and_saveexec_b64 s[50:51], s[48:49]
	s_cbranch_execz .LBB14_630
	s_branch .LBB14_629
.LBB14_636:                             ;   in Loop: Header=BB14_47 Depth=1
	s_or_b64 exec, exec, s[40:41]
	s_and_saveexec_b64 s[26:27], s[6:7]
	s_cbranch_execnz .LBB14_685
.LBB14_637:                             ;   in Loop: Header=BB14_47 Depth=1
	s_or_b64 exec, exec, s[26:27]
                                        ; implicit-def: $vgpr2
	s_and_saveexec_b64 s[26:27], s[22:23]
	s_xor_b64 s[26:27], exec, s[26:27]
	s_cbranch_execz .LBB14_722
.LBB14_638:                             ;   in Loop: Header=BB14_47 Depth=1
	s_trap 2
	ds_read_b32 v9, v0
	v_cmp_lt_i32_e32 vcc, 0, v8
	v_and_b32_e32 v8, 16, v62
	v_and_b32_e32 v2, 16, v62
	s_waitcnt lgkmcnt(0)
	v_readfirstlane_b32 s40, v9
	s_cmp_eq_u32 s40, 0
	s_cselect_b64 s[40:41], -1, 0
	s_and_b64 s[40:41], vcc, s[40:41]
	v_cmp_ne_u32_e32 vcc, 0, v8
	s_and_b64 s[42:43], vcc, s[40:41]
	s_and_saveexec_b64 s[40:41], s[42:43]
	s_cbranch_execz .LBB14_640
; %bb.639:                              ;   in Loop: Header=BB14_47 Depth=1
	v_mov_b32_e32 v2, 1
	buffer_wbl2 sc1
	s_waitcnt vmcnt(0)
	buffer_inv sc1
.LBB14_640:                             ;   in Loop: Header=BB14_47 Depth=1
	s_or_b64 exec, exec, s[40:41]
	s_andn2_saveexec_b64 s[26:27], s[26:27]
	s_cbranch_execz .LBB14_831
	s_branch .LBB14_723
.LBB14_641:                             ;   in Loop: Header=BB14_47 Depth=1
	s_or_b64 exec, exec, s[42:43]
	s_xor_b64 s[26:27], s[94:95], -1
	s_and_saveexec_b64 s[42:43], s[26:27]
	s_xor_b64 s[26:27], exec, s[42:43]
	s_cbranch_execz .LBB14_643
; %bb.642:                              ;   in Loop: Header=BB14_47 Depth=1
	v_or_b32_e32 v62, 64, v62
	s_waitcnt lgkmcnt(0)
	ds_write_b32 v0, v10
	s_trap 2
.LBB14_643:                             ;   in Loop: Header=BB14_47 Depth=1
	s_or_b64 exec, exec, s[26:27]
.LBB14_644:                             ;   in Loop: Header=BB14_47 Depth=1
	s_or_b64 exec, exec, s[40:41]
	v_and_b32_e32 v10, 0x108, v62
	v_cmp_ne_u32_e32 vcc, s65, v10
	;;#ASMSTART
	s_wakeup
	;;#ASMEND
                                        ; implicit-def: $vgpr10_vgpr11
	s_and_saveexec_b64 s[26:27], vcc
	s_xor_b64 s[26:27], exec, s[26:27]
; %bb.645:                              ;   in Loop: Header=BB14_47 Depth=1
	v_and_b32_e32 v10, 7, v112
	v_mov_b32_e32 v11, v3
                                        ; implicit-def: $vgpr112_vgpr113
; %bb.646:                              ;   in Loop: Header=BB14_47 Depth=1
	s_andn2_saveexec_b64 s[26:27], s[26:27]
	s_cbranch_execz .LBB14_648
; %bb.647:                              ;   in Loop: Header=BB14_47 Depth=1
	v_and_b32_e32 v10, 7, v112
	v_ashrrev_i32_e32 v119, 31, v118
	v_mov_b32_e32 v11, v3
	v_mad_u64_u32 v[12:13], s[40:41], v10, 24, v[6:7]
	v_lshlrev_b64 v[14:15], 1, v[118:119]
	flat_store_dwordx2 v[12:13], v[14:15] offset:8
.LBB14_648:                             ;   in Loop: Header=BB14_47 Depth=1
	s_or_b64 exec, exec, s[26:27]
	v_and_b32_e32 v12, 0x100, v62
	v_cmp_ne_u32_e32 vcc, 0, v12
	s_mov_b64 s[26:27], -1
                                        ; implicit-def: $vgpr12_vgpr13
	s_and_saveexec_b64 s[40:41], vcc
	s_cbranch_execz .LBB14_652
; %bb.649:                              ;   in Loop: Header=BB14_47 Depth=1
	v_mad_u64_u32 v[14:15], s[26:27], v10, 24, v[6:7]
	v_mov_b32_e32 v12, v15
	v_mad_u64_u32 v[12:13], s[26:27], v11, 24, v[12:13]
	v_mov_b32_e32 v15, v12
	flat_load_dword v12, v[14:15]
	s_waitcnt vmcnt(0) lgkmcnt(0)
	v_cmp_ne_u32_e32 vcc, 1, v12
	v_cmp_eq_u32_e64 s[26:27], 1, v12
                                        ; implicit-def: $vgpr12_vgpr13
	s_and_saveexec_b64 s[42:43], s[26:27]
	s_cbranch_execz .LBB14_651
; %bb.650:                              ;   in Loop: Header=BB14_47 Depth=1
	flat_load_dword v12, v[14:15] offset:4 sc0 sc1
	s_waitcnt vmcnt(0) lgkmcnt(0)
	v_ashrrev_i32_e32 v13, 31, v12
	v_lshrrev_b64 v[12:13], 1, v[12:13]
.LBB14_651:                             ;   in Loop: Header=BB14_47 Depth=1
	s_or_b64 exec, exec, s[42:43]
	s_orn2_b64 s[26:27], vcc, exec
.LBB14_652:                             ;   in Loop: Header=BB14_47 Depth=1
	s_or_b64 exec, exec, s[40:41]
	s_and_saveexec_b64 s[40:41], s[26:27]
; %bb.653:                              ;   in Loop: Header=BB14_47 Depth=1
	v_mul_lo_u32 v11, v11, v30
	v_mul_lo_u32 v14, v10, v51
	v_mad_u64_u32 v[12:13], s[26:27], v10, v30, 0
	v_add3_u32 v13, v13, v14, v11
; %bb.654:                              ;   in Loop: Header=BB14_47 Depth=1
	s_or_b64 exec, exec, s[40:41]
	v_cmp_eq_u32_e32 vcc, 0, v2
	v_lshl_add_u64 v[10:11], v[12:13], 1, v[34:35]
	s_nop 0
	v_cndmask_b32_e32 v2, v76, v75, vcc
	v_add_u32_e32 v2, v0, v2
	ds_write_b64 v2, v[10:11] offset:584
	v_and_b32_e32 v2, 0x2000, v62
	v_cmp_ne_u32_e32 vcc, 0, v2
	s_and_saveexec_b64 s[26:27], vcc
	s_cbranch_execz .LBB14_656
; %bb.655:                              ;   in Loop: Header=BB14_47 Depth=1
	ds_read_b64 v[10:11], v0 offset:872
	s_waitcnt lgkmcnt(0)
	v_lshl_add_u64 v[10:11], v[10:11], 0, 1
	ds_write_b64 v0, v[10:11] offset:872
.LBB14_656:                             ;   in Loop: Header=BB14_47 Depth=1
	s_or_b64 exec, exec, s[26:27]
	v_mov_b64_e32 v[112:113], v[8:9]
.LBB14_657:                             ;   in Loop: Header=BB14_47 Depth=1
	s_or_b64 exec, exec, s[28:29]
	s_and_saveexec_b64 s[26:27], s[6:7]
	s_cbranch_execz .LBB14_703
; %bb.658:                              ;   in Loop: Header=BB14_47 Depth=1
	s_and_saveexec_b64 s[28:29], s[58:59]
	s_xor_b64 s[28:29], exec, s[28:29]
	s_cbranch_execz .LBB14_700
; %bb.659:                              ;   in Loop: Header=BB14_47 Depth=1
	s_and_saveexec_b64 s[40:41], s[14:15]
	s_cbranch_execz .LBB14_699
; %bb.660:                              ;   in Loop: Header=BB14_47 Depth=1
	s_mov_b64 s[94:95], exec
	v_mbcnt_lo_u32_b32 v2, s94, 0
	v_mbcnt_hi_u32_b32 v2, s95, v2
	v_cmp_eq_u32_e32 vcc, 0, v2
	s_waitcnt lgkmcnt(0)
	s_and_saveexec_b64 s[42:43], vcc
	s_cbranch_execz .LBB14_662
; %bb.661:                              ;   in Loop: Header=BB14_47 Depth=1
	s_bcnt1_i32_b64 s56, s[94:95]
	v_mov_b32_e32 v2, s56
	ds_add_u64 v0, v[2:3]
	s_trap 2
.LBB14_662:                             ;   in Loop: Header=BB14_47 Depth=1
	s_or_b64 exec, exec, s[42:43]
	s_trap 2
	ds_read_b64 v[8:9], v0
	s_waitcnt lgkmcnt(0)
	v_lshl_add_u64 v[38:39], v[38:39], 0, v[52:53]
	v_cmp_lt_u64_e32 vcc, v[8:9], v[38:39]
	s_and_saveexec_b64 s[42:43], vcc
	s_cbranch_execz .LBB14_698
; %bb.663:                              ;   in Loop: Header=BB14_47 Depth=1
	s_mov_b32 s56, 0
	s_mov_b64 s[94:95], 0
                                        ; implicit-def: $sgpr30_sgpr31
                                        ; implicit-def: $sgpr34_sgpr35
	s_branch .LBB14_665
.LBB14_664:                             ;   in Loop: Header=BB14_665 Depth=2
	s_or_b64 exec, exec, s[38:39]
	s_and_b64 vcc, exec, vcc
	s_or_b64 s[94:95], vcc, s[94:95]
	s_andn2_b64 vcc, s[30:31], exec
	s_and_b64 s[30:31], s[34:35], exec
	s_or_b64 s[30:31], vcc, s[30:31]
	s_andn2_b64 exec, exec, s[94:95]
	s_cbranch_execz .LBB14_696
.LBB14_665:                             ;   Parent Loop BB14_47 Depth=1
                                        ; =>  This Inner Loop Header: Depth=2
	s_add_i32 s56, s56, 1
	s_cmpk_lg_i32 s56, 0x2710
	s_cselect_b64 s[36:37], -1, 0
	s_and_b64 vcc, exec, s[36:37]
	s_cbranch_vccz .LBB14_667
; %bb.666:                              ;   in Loop: Header=BB14_665 Depth=2
	s_mov_b64 vcc, -1
	s_or_b64 s[34:35], s[34:35], exec
	s_and_saveexec_b64 s[38:39], s[36:37]
	s_cbranch_execz .LBB14_664
	s_branch .LBB14_668
.LBB14_667:                             ;   in Loop: Header=BB14_665 Depth=2
	s_trap 2
	ds_read_b64 v[8:9], v0
	s_andn2_b64 s[36:37], s[36:37], exec
	s_mov_b32 s56, 0
	s_waitcnt vmcnt(0) lgkmcnt(0)
	flat_load_dword v2, v[8:9] sc0 sc1
	s_waitcnt vmcnt(0) lgkmcnt(0)
	buffer_inv sc0 sc1
	v_cmp_eq_u32_e32 vcc, 0, v2
	s_and_b64 vcc, vcc, exec
	s_or_b64 s[36:37], s[36:37], vcc
	s_mov_b64 vcc, -1
	s_or_b64 s[34:35], s[34:35], exec
	s_and_saveexec_b64 s[38:39], s[36:37]
	s_cbranch_execz .LBB14_664
.LBB14_668:                             ;   in Loop: Header=BB14_665 Depth=2
	s_sleep 1
	s_trap 2
	ds_read_b64 v[8:9], v0
	s_waitcnt lgkmcnt(0)
	s_andn2_b64 s[34:35], s[34:35], exec
	v_cmp_ge_u64_e32 vcc, v[8:9], v[38:39]
	s_orn2_b64 vcc, vcc, exec
	s_branch .LBB14_664
.LBB14_669:                             ;   in Loop: Header=BB14_47 Depth=1
	s_or_b64 exec, exec, s[90:91]
	s_xor_b64 s[26:27], s[92:93], -1
	s_and_saveexec_b64 s[90:91], s[26:27]
	s_xor_b64 s[26:27], exec, s[90:91]
	s_cbranch_execz .LBB14_671
; %bb.670:                              ;   in Loop: Header=BB14_47 Depth=1
	v_or_b32_e32 v62, 64, v62
	s_waitcnt lgkmcnt(0)
	ds_write_b32 v0, v9
	s_trap 2
.LBB14_671:                             ;   in Loop: Header=BB14_47 Depth=1
	s_or_b64 exec, exec, s[26:27]
.LBB14_672:                             ;   in Loop: Header=BB14_47 Depth=1
	s_or_b64 exec, exec, s[42:43]
	v_and_b32_e32 v9, 0x108, v62
	v_cmp_ne_u32_e32 vcc, s65, v9
	;;#ASMSTART
	s_wakeup
	;;#ASMEND
                                        ; implicit-def: $vgpr12_vgpr13
	s_and_saveexec_b64 s[26:27], vcc
	s_xor_b64 s[26:27], exec, s[26:27]
; %bb.673:                              ;   in Loop: Header=BB14_47 Depth=1
	v_and_b32_e32 v12, 7, v112
	v_mov_b32_e32 v13, v3
                                        ; implicit-def: $vgpr112_vgpr113
; %bb.674:                              ;   in Loop: Header=BB14_47 Depth=1
	s_andn2_saveexec_b64 s[26:27], s[26:27]
	s_cbranch_execz .LBB14_676
; %bb.675:                              ;   in Loop: Header=BB14_47 Depth=1
	v_and_b32_e32 v12, 7, v112
	v_ashrrev_i32_e32 v9, 31, v8
	v_mov_b32_e32 v13, v3
	v_mad_u64_u32 v[14:15], s[42:43], v12, 24, v[6:7]
	v_lshlrev_b64 v[16:17], 1, v[8:9]
	flat_store_dwordx2 v[14:15], v[16:17] offset:8
.LBB14_676:                             ;   in Loop: Header=BB14_47 Depth=1
	s_or_b64 exec, exec, s[26:27]
	v_and_b32_e32 v9, 0x100, v62
	v_cmp_ne_u32_e32 vcc, 0, v9
	s_mov_b64 s[26:27], -1
                                        ; implicit-def: $vgpr14_vgpr15
	s_and_saveexec_b64 s[42:43], vcc
	s_cbranch_execz .LBB14_680
; %bb.677:                              ;   in Loop: Header=BB14_47 Depth=1
	v_mad_u64_u32 v[16:17], s[26:27], v12, 24, v[6:7]
	v_mov_b32_e32 v14, v17
	v_mad_u64_u32 v[14:15], s[26:27], v13, 24, v[14:15]
	v_mov_b32_e32 v17, v14
	flat_load_dword v9, v[16:17]
                                        ; implicit-def: $vgpr14_vgpr15
	s_waitcnt vmcnt(0) lgkmcnt(0)
	v_cmp_ne_u32_e32 vcc, 1, v9
	v_cmp_eq_u32_e64 s[26:27], 1, v9
	s_and_saveexec_b64 s[90:91], s[26:27]
	s_cbranch_execz .LBB14_679
; %bb.678:                              ;   in Loop: Header=BB14_47 Depth=1
	flat_load_dword v14, v[16:17] offset:4 sc0 sc1
	s_waitcnt vmcnt(0) lgkmcnt(0)
	v_ashrrev_i32_e32 v15, 31, v14
	v_lshrrev_b64 v[14:15], 1, v[14:15]
.LBB14_679:                             ;   in Loop: Header=BB14_47 Depth=1
	s_or_b64 exec, exec, s[90:91]
	s_orn2_b64 s[26:27], vcc, exec
.LBB14_680:                             ;   in Loop: Header=BB14_47 Depth=1
	s_or_b64 exec, exec, s[42:43]
	s_and_saveexec_b64 s[42:43], s[26:27]
; %bb.681:                              ;   in Loop: Header=BB14_47 Depth=1
	v_mul_lo_u32 v9, v13, v30
	v_mul_lo_u32 v13, v12, v51
	v_mad_u64_u32 v[14:15], s[26:27], v12, v30, 0
	v_add3_u32 v15, v15, v13, v9
; %bb.682:                              ;   in Loop: Header=BB14_47 Depth=1
	s_or_b64 exec, exec, s[42:43]
	v_cmp_eq_u32_e32 vcc, 0, v2
	v_lshl_add_u64 v[12:13], v[14:15], 1, v[34:35]
	s_nop 0
	v_cndmask_b32_e32 v2, v76, v75, vcc
	v_add_u32_e32 v2, v0, v2
	ds_write_b64 v2, v[12:13] offset:584
	v_and_b32_e32 v2, 0x2000, v62
	v_cmp_ne_u32_e32 vcc, 0, v2
	s_and_saveexec_b64 s[26:27], vcc
	s_cbranch_execz .LBB14_684
; %bb.683:                              ;   in Loop: Header=BB14_47 Depth=1
	ds_read_b64 v[12:13], v0 offset:872
	s_waitcnt lgkmcnt(0)
	v_lshl_add_u64 v[12:13], v[12:13], 0, 1
	ds_write_b64 v0, v[12:13] offset:872
.LBB14_684:                             ;   in Loop: Header=BB14_47 Depth=1
	s_or_b64 exec, exec, s[26:27]
	v_mov_b64_e32 v[112:113], v[10:11]
	s_or_b64 exec, exec, s[40:41]
	s_and_saveexec_b64 s[26:27], s[6:7]
	s_cbranch_execz .LBB14_637
.LBB14_685:                             ;   in Loop: Header=BB14_47 Depth=1
	s_and_saveexec_b64 s[40:41], s[58:59]
	s_xor_b64 s[40:41], exec, s[40:41]
	s_cbranch_execz .LBB14_719
; %bb.686:                              ;   in Loop: Header=BB14_47 Depth=1
	s_and_saveexec_b64 s[42:43], s[14:15]
	s_cbranch_execz .LBB14_718
; %bb.687:                              ;   in Loop: Header=BB14_47 Depth=1
	s_mov_b64 s[92:93], exec
	v_mbcnt_lo_u32_b32 v2, s92, 0
	v_mbcnt_hi_u32_b32 v2, s93, v2
	v_cmp_eq_u32_e32 vcc, 0, v2
	s_waitcnt lgkmcnt(0)
	s_and_saveexec_b64 s[90:91], vcc
	s_cbranch_execz .LBB14_689
; %bb.688:                              ;   in Loop: Header=BB14_47 Depth=1
	s_bcnt1_i32_b64 s56, s[92:93]
	v_mov_b32_e32 v2, s56
	ds_add_u64 v0, v[2:3]
	s_trap 2
.LBB14_689:                             ;   in Loop: Header=BB14_47 Depth=1
	s_or_b64 exec, exec, s[90:91]
	s_trap 2
	ds_read_b64 v[10:11], v0
	s_waitcnt lgkmcnt(0)
	v_lshl_add_u64 v[38:39], v[38:39], 0, v[52:53]
	v_cmp_lt_u64_e32 vcc, v[10:11], v[38:39]
	s_and_saveexec_b64 s[90:91], vcc
	s_cbranch_execz .LBB14_717
; %bb.690:                              ;   in Loop: Header=BB14_47 Depth=1
	s_mov_b32 s56, 0
	s_mov_b64 s[92:93], 0
                                        ; implicit-def: $sgpr94_sgpr95
                                        ; implicit-def: $sgpr30_sgpr31
	s_branch .LBB14_692
.LBB14_691:                             ;   in Loop: Header=BB14_692 Depth=2
	s_or_b64 exec, exec, s[36:37]
	s_and_b64 vcc, exec, vcc
	s_or_b64 s[92:93], vcc, s[92:93]
	s_andn2_b64 s[94:95], s[94:95], exec
	s_and_b64 vcc, s[30:31], exec
	s_or_b64 s[94:95], s[94:95], vcc
	s_andn2_b64 exec, exec, s[92:93]
	s_cbranch_execz .LBB14_715
.LBB14_692:                             ;   Parent Loop BB14_47 Depth=1
                                        ; =>  This Inner Loop Header: Depth=2
	s_add_i32 s56, s56, 1
	s_cmpk_lg_i32 s56, 0x2710
	s_cselect_b64 s[34:35], -1, 0
	s_and_b64 vcc, exec, s[34:35]
	s_cbranch_vccz .LBB14_694
; %bb.693:                              ;   in Loop: Header=BB14_692 Depth=2
	s_mov_b64 vcc, -1
	s_or_b64 s[30:31], s[30:31], exec
	s_and_saveexec_b64 s[36:37], s[34:35]
	s_cbranch_execz .LBB14_691
	s_branch .LBB14_695
.LBB14_694:                             ;   in Loop: Header=BB14_692 Depth=2
	s_trap 2
	ds_read_b64 v[10:11], v0
	s_andn2_b64 s[34:35], s[34:35], exec
	s_mov_b32 s56, 0
	s_waitcnt vmcnt(0) lgkmcnt(0)
	flat_load_dword v2, v[10:11] sc0 sc1
	s_waitcnt vmcnt(0) lgkmcnt(0)
	buffer_inv sc0 sc1
	v_cmp_eq_u32_e32 vcc, 0, v2
	s_and_b64 vcc, vcc, exec
	s_or_b64 s[34:35], s[34:35], vcc
	s_mov_b64 vcc, -1
	s_or_b64 s[30:31], s[30:31], exec
	s_and_saveexec_b64 s[36:37], s[34:35]
	s_cbranch_execz .LBB14_691
.LBB14_695:                             ;   in Loop: Header=BB14_692 Depth=2
	s_sleep 1
	s_trap 2
	ds_read_b64 v[10:11], v0
	s_waitcnt lgkmcnt(0)
	s_andn2_b64 s[30:31], s[30:31], exec
	v_cmp_ge_u64_e32 vcc, v[10:11], v[38:39]
	s_orn2_b64 vcc, vcc, exec
	s_branch .LBB14_691
.LBB14_696:                             ;   in Loop: Header=BB14_47 Depth=1
	s_or_b64 exec, exec, s[94:95]
	s_and_saveexec_b64 s[94:95], s[30:31]
	s_xor_b64 s[94:95], exec, s[94:95]
	s_cbranch_execz .LBB14_698
; %bb.697:                              ;   in Loop: Header=BB14_47 Depth=1
	ds_write_b32 v0, v73
	s_trap 2
.LBB14_698:                             ;   in Loop: Header=BB14_47 Depth=1
	s_or_b64 exec, exec, s[42:43]
	;;#ASMSTART
	s_wakeup
	;;#ASMEND
.LBB14_699:                             ;   in Loop: Header=BB14_47 Depth=1
	s_or_b64 exec, exec, s[40:41]
.LBB14_700:                             ;   in Loop: Header=BB14_47 Depth=1
	s_andn2_saveexec_b64 s[28:29], s[28:29]
	s_cbranch_execz .LBB14_702
; %bb.701:                              ;   in Loop: Header=BB14_47 Depth=1
	s_waitcnt lgkmcnt(0)
	s_barrier
.LBB14_702:                             ;   in Loop: Header=BB14_47 Depth=1
	s_or_b64 exec, exec, s[28:29]
.LBB14_703:                             ;   in Loop: Header=BB14_47 Depth=1
	s_or_b64 exec, exec, s[26:27]
	s_trap 2
	ds_read_b32 v8, v0
	v_and_b32_e32 v2, 0x4000, v62
	v_cmp_ne_u32_e32 vcc, 0, v2
	s_xor_b64 s[26:27], s[4:5], -1
	s_and_b64 s[28:29], s[26:27], vcc
	s_and_saveexec_b64 s[26:27], s[28:29]
	s_cbranch_execz .LBB14_741
; %bb.704:                              ;   in Loop: Header=BB14_47 Depth=1
	s_and_saveexec_b64 s[28:29], s[58:59]
	s_xor_b64 s[28:29], exec, s[28:29]
	s_cbranch_execz .LBB14_738
; %bb.705:                              ;   in Loop: Header=BB14_47 Depth=1
	s_and_saveexec_b64 s[40:41], s[14:15]
	s_cbranch_execz .LBB14_737
; %bb.706:                              ;   in Loop: Header=BB14_47 Depth=1
	s_mov_b64 s[94:95], exec
	v_mbcnt_lo_u32_b32 v2, s94, 0
	v_mbcnt_hi_u32_b32 v2, s95, v2
	v_cmp_eq_u32_e32 vcc, 0, v2
	s_waitcnt lgkmcnt(0)
	s_and_saveexec_b64 s[42:43], vcc
	s_cbranch_execz .LBB14_708
; %bb.707:                              ;   in Loop: Header=BB14_47 Depth=1
	s_bcnt1_i32_b64 s56, s[94:95]
	v_mov_b32_e32 v2, s56
	ds_add_u64 v0, v[2:3]
	s_trap 2
.LBB14_708:                             ;   in Loop: Header=BB14_47 Depth=1
	s_or_b64 exec, exec, s[42:43]
	s_trap 2
	ds_read_b64 v[10:11], v0
	s_waitcnt lgkmcnt(0)
	v_lshl_add_u64 v[38:39], v[38:39], 0, v[52:53]
	v_cmp_lt_u64_e32 vcc, v[10:11], v[38:39]
	s_and_saveexec_b64 s[42:43], vcc
	s_cbranch_execz .LBB14_736
; %bb.709:                              ;   in Loop: Header=BB14_47 Depth=1
	s_mov_b32 s56, 0
	s_mov_b64 s[94:95], 0
                                        ; implicit-def: $sgpr30_sgpr31
                                        ; implicit-def: $sgpr34_sgpr35
	s_branch .LBB14_711
.LBB14_710:                             ;   in Loop: Header=BB14_711 Depth=2
	s_or_b64 exec, exec, s[38:39]
	s_and_b64 vcc, exec, vcc
	s_or_b64 s[94:95], vcc, s[94:95]
	s_andn2_b64 vcc, s[30:31], exec
	s_and_b64 s[30:31], s[34:35], exec
	s_or_b64 s[30:31], vcc, s[30:31]
	s_andn2_b64 exec, exec, s[94:95]
	s_cbranch_execz .LBB14_734
.LBB14_711:                             ;   Parent Loop BB14_47 Depth=1
                                        ; =>  This Inner Loop Header: Depth=2
	s_add_i32 s56, s56, 1
	s_cmpk_lg_i32 s56, 0x2710
	s_cselect_b64 s[36:37], -1, 0
	s_and_b64 vcc, exec, s[36:37]
	s_cbranch_vccz .LBB14_713
; %bb.712:                              ;   in Loop: Header=BB14_711 Depth=2
	s_mov_b64 vcc, -1
	s_or_b64 s[34:35], s[34:35], exec
	s_and_saveexec_b64 s[38:39], s[36:37]
	s_cbranch_execz .LBB14_710
	s_branch .LBB14_714
.LBB14_713:                             ;   in Loop: Header=BB14_711 Depth=2
	s_trap 2
	ds_read_b64 v[10:11], v0
	s_andn2_b64 s[36:37], s[36:37], exec
	s_mov_b32 s56, 0
	s_waitcnt vmcnt(0) lgkmcnt(0)
	flat_load_dword v2, v[10:11] sc0 sc1
	s_waitcnt vmcnt(0) lgkmcnt(0)
	buffer_inv sc0 sc1
	v_cmp_eq_u32_e32 vcc, 0, v2
	s_and_b64 vcc, vcc, exec
	s_or_b64 s[36:37], s[36:37], vcc
	s_mov_b64 vcc, -1
	s_or_b64 s[34:35], s[34:35], exec
	s_and_saveexec_b64 s[38:39], s[36:37]
	s_cbranch_execz .LBB14_710
.LBB14_714:                             ;   in Loop: Header=BB14_711 Depth=2
	s_sleep 1
	s_trap 2
	ds_read_b64 v[10:11], v0
	s_waitcnt lgkmcnt(0)
	s_andn2_b64 s[34:35], s[34:35], exec
	v_cmp_ge_u64_e32 vcc, v[10:11], v[38:39]
	s_orn2_b64 vcc, vcc, exec
	s_branch .LBB14_710
.LBB14_715:                             ;   in Loop: Header=BB14_47 Depth=1
	s_or_b64 exec, exec, s[92:93]
	s_and_saveexec_b64 s[92:93], s[94:95]
	s_xor_b64 s[92:93], exec, s[92:93]
	s_cbranch_execz .LBB14_717
; %bb.716:                              ;   in Loop: Header=BB14_47 Depth=1
	ds_write_b32 v0, v73
	s_trap 2
.LBB14_717:                             ;   in Loop: Header=BB14_47 Depth=1
	s_or_b64 exec, exec, s[90:91]
	;;#ASMSTART
	s_wakeup
	;;#ASMEND
.LBB14_718:                             ;   in Loop: Header=BB14_47 Depth=1
	s_or_b64 exec, exec, s[42:43]
.LBB14_719:                             ;   in Loop: Header=BB14_47 Depth=1
	s_andn2_saveexec_b64 s[40:41], s[40:41]
	s_cbranch_execz .LBB14_721
; %bb.720:                              ;   in Loop: Header=BB14_47 Depth=1
	s_waitcnt lgkmcnt(0)
	s_barrier
.LBB14_721:                             ;   in Loop: Header=BB14_47 Depth=1
	s_or_b64 exec, exec, s[40:41]
	s_or_b64 exec, exec, s[26:27]
                                        ; implicit-def: $vgpr2
	s_and_saveexec_b64 s[26:27], s[22:23]
	s_xor_b64 s[26:27], exec, s[26:27]
	s_cbranch_execnz .LBB14_638
.LBB14_722:                             ;   in Loop: Header=BB14_47 Depth=1
	s_andn2_saveexec_b64 s[26:27], s[26:27]
	s_cbranch_execz .LBB14_831
.LBB14_723:                             ;   in Loop: Header=BB14_47 Depth=1
	s_and_saveexec_b64 s[40:41], s[58:59]
	s_xor_b64 s[40:41], exec, s[40:41]
	s_cbranch_execz .LBB14_828
; %bb.724:                              ;   in Loop: Header=BB14_47 Depth=1
	s_and_saveexec_b64 s[42:43], s[14:15]
	s_cbranch_execz .LBB14_827
; %bb.725:                              ;   in Loop: Header=BB14_47 Depth=1
	s_mov_b64 s[92:93], exec
	v_mbcnt_lo_u32_b32 v2, s92, 0
	v_mbcnt_hi_u32_b32 v2, s93, v2
	v_cmp_eq_u32_e32 vcc, 0, v2
	;;#ASMSTART
	s_waitcnt lgkmcnt(0) vmcnt(0)
	;;#ASMEND
	s_and_saveexec_b64 s[90:91], vcc
	s_cbranch_execz .LBB14_727
; %bb.726:                              ;   in Loop: Header=BB14_47 Depth=1
	s_bcnt1_i32_b64 s56, s[92:93]
	v_mov_b32_e32 v2, s56
	s_waitcnt lgkmcnt(0)
	ds_add_u64 v0, v[2:3]
	s_trap 2
.LBB14_727:                             ;   in Loop: Header=BB14_47 Depth=1
	s_or_b64 exec, exec, s[90:91]
	s_trap 2
	ds_read_b64 v[8:9], v0
	s_waitcnt lgkmcnt(0)
	v_lshl_add_u64 v[38:39], v[38:39], 0, v[52:53]
	v_cmp_lt_u64_e32 vcc, v[8:9], v[38:39]
	s_and_saveexec_b64 s[90:91], vcc
	s_cbranch_execz .LBB14_826
; %bb.728:                              ;   in Loop: Header=BB14_47 Depth=1
	s_mov_b32 s56, 0
	s_mov_b64 s[92:93], 0
                                        ; implicit-def: $sgpr94_sgpr95
                                        ; implicit-def: $sgpr30_sgpr31
	s_branch .LBB14_730
.LBB14_729:                             ;   in Loop: Header=BB14_730 Depth=2
	s_or_b64 exec, exec, s[36:37]
	s_and_b64 vcc, exec, vcc
	s_or_b64 s[92:93], vcc, s[92:93]
	s_andn2_b64 s[94:95], s[94:95], exec
	s_and_b64 vcc, s[30:31], exec
	s_or_b64 s[94:95], s[94:95], vcc
	s_andn2_b64 exec, exec, s[92:93]
	s_cbranch_execz .LBB14_824
.LBB14_730:                             ;   Parent Loop BB14_47 Depth=1
                                        ; =>  This Inner Loop Header: Depth=2
	s_add_i32 s56, s56, 1
	s_cmpk_lg_i32 s56, 0x2710
	s_cselect_b64 s[34:35], -1, 0
	s_and_b64 vcc, exec, s[34:35]
	s_cbranch_vccz .LBB14_732
; %bb.731:                              ;   in Loop: Header=BB14_730 Depth=2
	s_mov_b64 vcc, -1
	s_or_b64 s[30:31], s[30:31], exec
	s_and_saveexec_b64 s[36:37], s[34:35]
	s_cbranch_execz .LBB14_729
	s_branch .LBB14_733
.LBB14_732:                             ;   in Loop: Header=BB14_730 Depth=2
	s_trap 2
	ds_read_b64 v[8:9], v0
	s_andn2_b64 s[34:35], s[34:35], exec
	s_mov_b32 s56, 0
	s_waitcnt vmcnt(0) lgkmcnt(0)
	flat_load_dword v2, v[8:9] sc0 sc1
	s_waitcnt vmcnt(0) lgkmcnt(0)
	buffer_inv sc0 sc1
	v_cmp_eq_u32_e32 vcc, 0, v2
	s_and_b64 vcc, vcc, exec
	s_or_b64 s[34:35], s[34:35], vcc
	s_mov_b64 vcc, -1
	s_or_b64 s[30:31], s[30:31], exec
	s_and_saveexec_b64 s[36:37], s[34:35]
	s_cbranch_execz .LBB14_729
.LBB14_733:                             ;   in Loop: Header=BB14_730 Depth=2
	s_sleep 1
	s_trap 2
	ds_read_b64 v[8:9], v0
	s_waitcnt lgkmcnt(0)
	s_andn2_b64 s[30:31], s[30:31], exec
	v_cmp_ge_u64_e32 vcc, v[8:9], v[38:39]
	s_orn2_b64 vcc, vcc, exec
	s_branch .LBB14_729
.LBB14_734:                             ;   in Loop: Header=BB14_47 Depth=1
	s_or_b64 exec, exec, s[94:95]
	s_and_saveexec_b64 s[94:95], s[30:31]
	s_xor_b64 s[94:95], exec, s[94:95]
	s_cbranch_execz .LBB14_736
; %bb.735:                              ;   in Loop: Header=BB14_47 Depth=1
	ds_write_b32 v0, v73
	s_trap 2
.LBB14_736:                             ;   in Loop: Header=BB14_47 Depth=1
	s_or_b64 exec, exec, s[42:43]
	;;#ASMSTART
	s_wakeup
	;;#ASMEND
.LBB14_737:                             ;   in Loop: Header=BB14_47 Depth=1
	s_or_b64 exec, exec, s[40:41]
.LBB14_738:                             ;   in Loop: Header=BB14_47 Depth=1
	s_andn2_saveexec_b64 s[28:29], s[28:29]
	s_cbranch_execz .LBB14_740
; %bb.739:                              ;   in Loop: Header=BB14_47 Depth=1
	s_waitcnt lgkmcnt(0)
	s_barrier
.LBB14_740:                             ;   in Loop: Header=BB14_47 Depth=1
	s_or_b64 exec, exec, s[28:29]
.LBB14_741:                             ;   in Loop: Header=BB14_47 Depth=1
	s_or_b64 exec, exec, s[26:27]
	s_trap 2
	ds_read_b64 v[40:41], v0
	s_waitcnt lgkmcnt(0)
	v_cmp_eq_u64_e32 vcc, 0, v[40:41]
	s_cbranch_vccnz .LBB14_750
; %bb.742:                              ;   in Loop: Header=BB14_47 Depth=1
	s_trap 2
	ds_read_b64 v[42:43], v0
	s_waitcnt lgkmcnt(0)
	v_cmp_eq_u64_e32 vcc, 0, v[42:43]
	s_cbranch_vccnz .LBB14_750
; %bb.743:                              ;   in Loop: Header=BB14_47 Depth=1
	s_trap 2
	ds_read_b64 v[44:45], v0
	v_cmp_eq_u32_e32 vcc, 0, v8
	s_waitcnt lgkmcnt(0)
	v_readfirstlane_b32 s48, v44
	v_cndmask_b32_e32 v2, 0, v118, vcc
	v_cmp_ne_u64_e32 vcc, 0, v[44:45]
	v_lshlrev_b32_e32 v119, 1, v2
	s_cbranch_vccz .LBB14_755
; %bb.744:                              ;   in Loop: Header=BB14_47 Depth=1
	s_mov_b64 s[28:29], -1
	s_and_saveexec_b64 s[26:27], s[20:21]
	s_cbranch_execz .LBB14_746
; %bb.745:                              ;   in Loop: Header=BB14_47 Depth=1
	ds_read_b32 v8, v0 offset:720
	s_waitcnt lgkmcnt(0)
	v_and_b32_e32 v8, 15, v8
	v_cmp_eq_u32_e32 vcc, 0, v8
	s_orn2_b64 s[28:29], vcc, exec
.LBB14_746:                             ;   in Loop: Header=BB14_47 Depth=1
	s_or_b64 exec, exec, s[26:27]
	s_and_saveexec_b64 s[26:27], s[20:21]
	s_cbranch_execz .LBB14_748
; %bb.747:                              ;   in Loop: Header=BB14_47 Depth=1
	ds_read_b32 v8, v0 offset:784
	s_waitcnt lgkmcnt(0)
	v_and_b32_e32 v8, 15, v8
	v_cmp_eq_u32_e32 vcc, 0, v8
	s_and_b64 s[40:41], s[28:29], vcc
	s_andn2_b64 s[28:29], s[28:29], exec
	s_and_b64 s[40:41], s[40:41], exec
	s_or_b64 s[28:29], s[28:29], s[40:41]
.LBB14_748:                             ;   in Loop: Header=BB14_47 Depth=1
	s_or_b64 exec, exec, s[26:27]
	s_xor_b64 s[28:29], s[28:29], -1
	v_cndmask_b32_e64 v8, 0, 1, s[28:29]
	s_mov_b64 s[26:27], -1
	v_mov_b32_e32 v16, 0
	v_cmp_ne_u32_e32 vcc, 0, v8
	v_mov_b32_e32 v17, v119
	v_mov_b32_e32 v18, v0
	s_cbranch_vccz .LBB14_757
; %bb.749:                              ;   in Loop: Header=BB14_47 Depth=1
	s_and_saveexec_b64 s[42:43], s[26:27]
	s_cbranch_execnz .LBB14_878
	s_branch .LBB14_924
.LBB14_750:                             ;   in Loop: Header=BB14_47 Depth=1
	s_mov_b64 s[26:27], 0
	s_and_saveexec_b64 s[28:29], s[6:7]
	s_cbranch_execnz .LBB14_1083
.LBB14_751:                             ;   in Loop: Header=BB14_47 Depth=1
	s_or_b64 exec, exec, s[28:29]
                                        ; implicit-def: $vgpr2
	s_and_saveexec_b64 s[28:29], s[22:23]
	s_xor_b64 s[28:29], exec, s[28:29]
	s_cbranch_execz .LBB14_1101
.LBB14_752:                             ;   in Loop: Header=BB14_47 Depth=1
	v_and_b32_e32 v8, 16, v62
	v_cmp_ne_u32_e32 vcc, 0, v8
	v_and_b32_e32 v2, 16, v62
	s_and_b64 s[40:41], vcc, s[26:27]
	s_and_saveexec_b64 s[26:27], s[40:41]
	s_cbranch_execz .LBB14_754
; %bb.753:                              ;   in Loop: Header=BB14_47 Depth=1
	v_mov_b32_e32 v2, 1
	buffer_wbl2 sc1
	s_waitcnt vmcnt(0) lgkmcnt(0)
	buffer_inv sc1
.LBB14_754:                             ;   in Loop: Header=BB14_47 Depth=1
	s_or_b64 exec, exec, s[26:27]
	s_andn2_saveexec_b64 s[26:27], s[28:29]
	s_cbranch_execz .LBB14_1120
	s_branch .LBB14_1102
.LBB14_755:                             ;   in Loop: Header=BB14_47 Depth=1
	s_cbranch_execnz .LBB14_925
.LBB14_756:                             ;   in Loop: Header=BB14_47 Depth=1
	v_cmp_lt_i32_e64 s[26:27], 0, v2
	s_and_saveexec_b64 s[28:29], s[6:7]
	s_cbranch_execnz .LBB14_1083
	s_branch .LBB14_751
.LBB14_757:                             ;   in Loop: Header=BB14_47 Depth=1
	v_ashrrev_i32_e32 v8, 31, v119
	v_lshrrev_b32_e32 v8, 21, v8
	v_add_u32_e32 v8, v119, v8
	v_ashrrev_i32_e32 v88, 11, v8
	v_sub_u32_e32 v79, v88, v72
	v_cmp_lt_i32_e32 vcc, 0, v79
	s_and_saveexec_b64 s[28:29], vcc
	s_cbranch_execz .LBB14_837
; %bb.758:                              ;   in Loop: Header=BB14_47 Depth=1
	s_trap 2
	ds_read_b64 v[8:9], v0
	s_and_b32 s56, s48, 1
	s_cmp_eq_u64 s[56:57], 0
	v_lshl_add_u64 v[46:47], v[42:43], 0, v[80:81]
	v_lshl_add_u64 v[56:57], v[44:45], 0, v[80:81]
	;; [unrolled: 1-line block ×3, first 2 shown]
	s_waitcnt lgkmcnt(0)
	v_lshl_add_u64 v[60:61], v[8:9], 0, v[80:81]
	s_mov_b64 s[40:41], 0
	s_cselect_b64 vcc, -1, 0
	s_branch .LBB14_760
.LBB14_759:                             ;   in Loop: Header=BB14_760 Depth=2
	s_or_b64 exec, exec, s[42:43]
	v_lshrrev_b32_e32 v15, 16, v20
	v_and_or_b32 v17, v17, s68, v15
	v_lshrrev_b32_e32 v15, 16, v89
	v_lshrrev_b32_e32 v12, 16, v12
	v_and_or_b32 v16, v16, s68, v15
	v_lshrrev_b32_e32 v15, 16, v21
	v_and_or_b32 v9, v9, s68, v12
	;; [unrolled: 2-line block ×4, first 2 shown]
	v_lshrrev_b32_e32 v12, 16, v13
	v_sub_u32_e32 v79, v79, v52
	v_and_or_b32 v19, v19, s68, v15
	v_and_or_b32 v10, v10, s68, v12
	v_lshrrev_b32_e32 v12, 16, v14
	v_cmp_gt_i32_e64 s[26:27], 1, v79
	v_and_or_b32 v11, v11, s68, v12
	global_store_dwordx4 v[46:47], v[16:19], off
	global_store_dwordx4 v[46:47], v[8:11], off offset:1024
	global_store_dwordx4 v[56:57], v[16:19], off
	global_store_dwordx4 v[56:57], v[8:11], off offset:1024
	v_lshl_add_u64 v[58:59], v[58:59], 0, v[82:83]
	v_lshl_add_u64 v[60:61], v[60:61], 0, v[82:83]
	;; [unrolled: 1-line block ×3, first 2 shown]
	s_or_b64 s[40:41], s[26:27], s[40:41]
	v_lshl_add_u64 v[56:57], v[56:57], 0, v[82:83]
	s_andn2_b64 exec, exec, s[40:41]
	s_cbranch_execz .LBB14_836
.LBB14_760:                             ;   Parent Loop BB14_47 Depth=1
                                        ; =>  This Inner Loop Header: Depth=2
	global_load_dwordx4 v[16:19], v[58:59], off nt
	global_load_dwordx4 v[20:23], v[60:61], off nt
	global_load_dwordx4 v[8:11], v[58:59], off offset:1024 nt
	global_load_dwordx4 v[12:15], v[60:61], off offset:1024 nt
	s_waitcnt vmcnt(0)
	v_lshlrev_b32_e32 v89, 16, v16
	v_lshlrev_b32_e32 v90, 16, v20
	v_max_f32_e32 v90, v90, v90
	v_max_f32_e32 v89, v89, v89
	v_min_f32_e32 v91, v89, v90
	v_max_f32_e32 v89, v89, v90
	v_cndmask_b32_e32 v90, v89, v91, vcc
	v_and_b32_e32 v89, 0x7f800000, v90
	v_cmp_ne_u32_e64 s[26:27], s66, v89
                                        ; implicit-def: $vgpr89
	s_and_saveexec_b64 s[42:43], s[26:27]
	s_xor_b64 s[26:27], exec, s[42:43]
; %bb.761:                              ;   in Loop: Header=BB14_760 Depth=2
	v_bfe_u32 v89, v90, 16, 1
	v_add3_u32 v89, v90, v89, s67
                                        ; implicit-def: $vgpr90
; %bb.762:                              ;   in Loop: Header=BB14_760 Depth=2
	s_andn2_saveexec_b64 s[42:43], s[26:27]
; %bb.763:                              ;   in Loop: Header=BB14_760 Depth=2
	v_or_b32_e32 v89, 0x10000, v90
	v_cmp_eq_u32_sdwa s[26:27], v90, v3 src0_sel:WORD_0 src1_sel:DWORD
	s_nop 1
	v_cndmask_b32_e64 v89, v89, v90, s[26:27]
; %bb.764:                              ;   in Loop: Header=BB14_760 Depth=2
	s_or_b64 exec, exec, s[42:43]
	v_and_b32_e32 v16, 0xffff0000, v16
	v_and_b32_e32 v20, 0xffff0000, v20
	v_max_f32_e32 v20, v20, v20
	v_max_f32_e32 v16, v16, v16
	v_min_f32_e32 v90, v16, v20
	v_max_f32_e32 v16, v16, v20
	v_cndmask_b32_e32 v20, v16, v90, vcc
	v_and_b32_e32 v16, 0x7f800000, v20
	v_cmp_ne_u32_e64 s[26:27], s66, v16
                                        ; implicit-def: $vgpr16
	s_and_saveexec_b64 s[42:43], s[26:27]
	s_xor_b64 s[26:27], exec, s[42:43]
; %bb.765:                              ;   in Loop: Header=BB14_760 Depth=2
	v_bfe_u32 v16, v20, 16, 1
	v_add3_u32 v16, v20, v16, s67
                                        ; implicit-def: $vgpr20
; %bb.766:                              ;   in Loop: Header=BB14_760 Depth=2
	s_andn2_saveexec_b64 s[42:43], s[26:27]
; %bb.767:                              ;   in Loop: Header=BB14_760 Depth=2
	v_or_b32_e32 v16, 0x10000, v20
	v_cmp_eq_u32_sdwa s[26:27], v20, v3 src0_sel:WORD_0 src1_sel:DWORD
	s_nop 1
	v_cndmask_b32_e64 v16, v16, v20, s[26:27]
; %bb.768:                              ;   in Loop: Header=BB14_760 Depth=2
	s_or_b64 exec, exec, s[42:43]
	v_lshlrev_b32_e32 v20, 16, v17
	v_lshlrev_b32_e32 v90, 16, v21
	v_max_f32_e32 v90, v90, v90
	v_max_f32_e32 v20, v20, v20
	v_min_f32_e32 v91, v20, v90
	v_max_f32_e32 v20, v20, v90
	v_cndmask_b32_e32 v90, v20, v91, vcc
	v_and_b32_e32 v20, 0x7f800000, v90
	v_cmp_ne_u32_e64 s[26:27], s66, v20
                                        ; implicit-def: $vgpr20
	s_and_saveexec_b64 s[42:43], s[26:27]
	s_xor_b64 s[26:27], exec, s[42:43]
; %bb.769:                              ;   in Loop: Header=BB14_760 Depth=2
	v_bfe_u32 v20, v90, 16, 1
	v_add3_u32 v20, v90, v20, s67
                                        ; implicit-def: $vgpr90
; %bb.770:                              ;   in Loop: Header=BB14_760 Depth=2
	s_andn2_saveexec_b64 s[42:43], s[26:27]
; %bb.771:                              ;   in Loop: Header=BB14_760 Depth=2
	v_or_b32_e32 v20, 0x10000, v90
	v_cmp_eq_u32_sdwa s[26:27], v90, v3 src0_sel:WORD_0 src1_sel:DWORD
	s_nop 1
	v_cndmask_b32_e64 v20, v20, v90, s[26:27]
; %bb.772:                              ;   in Loop: Header=BB14_760 Depth=2
	s_or_b64 exec, exec, s[42:43]
	v_and_b32_e32 v17, 0xffff0000, v17
	v_and_b32_e32 v21, 0xffff0000, v21
	v_max_f32_e32 v21, v21, v21
	v_max_f32_e32 v17, v17, v17
	v_min_f32_e32 v90, v17, v21
	v_max_f32_e32 v17, v17, v21
	v_cndmask_b32_e32 v21, v17, v90, vcc
	v_and_b32_e32 v17, 0x7f800000, v21
	v_cmp_ne_u32_e64 s[26:27], s66, v17
                                        ; implicit-def: $vgpr17
	s_and_saveexec_b64 s[42:43], s[26:27]
	s_xor_b64 s[26:27], exec, s[42:43]
; %bb.773:                              ;   in Loop: Header=BB14_760 Depth=2
	v_bfe_u32 v17, v21, 16, 1
	v_add3_u32 v17, v21, v17, s67
                                        ; implicit-def: $vgpr21
; %bb.774:                              ;   in Loop: Header=BB14_760 Depth=2
	s_andn2_saveexec_b64 s[42:43], s[26:27]
; %bb.775:                              ;   in Loop: Header=BB14_760 Depth=2
	v_or_b32_e32 v17, 0x10000, v21
	v_cmp_eq_u32_sdwa s[26:27], v21, v3 src0_sel:WORD_0 src1_sel:DWORD
	s_nop 1
	v_cndmask_b32_e64 v17, v17, v21, s[26:27]
; %bb.776:                              ;   in Loop: Header=BB14_760 Depth=2
	s_or_b64 exec, exec, s[42:43]
	v_lshlrev_b32_e32 v21, 16, v18
	v_lshlrev_b32_e32 v90, 16, v22
	v_max_f32_e32 v90, v90, v90
	v_max_f32_e32 v21, v21, v21
	v_min_f32_e32 v91, v21, v90
	v_max_f32_e32 v21, v21, v90
	v_cndmask_b32_e32 v90, v21, v91, vcc
	v_and_b32_e32 v21, 0x7f800000, v90
	v_cmp_ne_u32_e64 s[26:27], s66, v21
                                        ; implicit-def: $vgpr21
	s_and_saveexec_b64 s[42:43], s[26:27]
	s_xor_b64 s[26:27], exec, s[42:43]
; %bb.777:                              ;   in Loop: Header=BB14_760 Depth=2
	v_bfe_u32 v21, v90, 16, 1
	v_add3_u32 v21, v90, v21, s67
                                        ; implicit-def: $vgpr90
; %bb.778:                              ;   in Loop: Header=BB14_760 Depth=2
	s_andn2_saveexec_b64 s[42:43], s[26:27]
; %bb.779:                              ;   in Loop: Header=BB14_760 Depth=2
	v_or_b32_e32 v21, 0x10000, v90
	v_cmp_eq_u32_sdwa s[26:27], v90, v3 src0_sel:WORD_0 src1_sel:DWORD
	s_nop 1
	v_cndmask_b32_e64 v21, v21, v90, s[26:27]
; %bb.780:                              ;   in Loop: Header=BB14_760 Depth=2
	s_or_b64 exec, exec, s[42:43]
	v_and_b32_e32 v18, 0xffff0000, v18
	v_and_b32_e32 v22, 0xffff0000, v22
	v_max_f32_e32 v22, v22, v22
	v_max_f32_e32 v18, v18, v18
	v_min_f32_e32 v90, v18, v22
	v_max_f32_e32 v18, v18, v22
	v_cndmask_b32_e32 v22, v18, v90, vcc
	v_and_b32_e32 v18, 0x7f800000, v22
	v_cmp_ne_u32_e64 s[26:27], s66, v18
                                        ; implicit-def: $vgpr18
	s_and_saveexec_b64 s[42:43], s[26:27]
	s_xor_b64 s[26:27], exec, s[42:43]
; %bb.781:                              ;   in Loop: Header=BB14_760 Depth=2
	v_bfe_u32 v18, v22, 16, 1
	v_add3_u32 v18, v22, v18, s67
                                        ; implicit-def: $vgpr22
; %bb.782:                              ;   in Loop: Header=BB14_760 Depth=2
	s_andn2_saveexec_b64 s[42:43], s[26:27]
; %bb.783:                              ;   in Loop: Header=BB14_760 Depth=2
	v_or_b32_e32 v18, 0x10000, v22
	v_cmp_eq_u32_sdwa s[26:27], v22, v3 src0_sel:WORD_0 src1_sel:DWORD
	s_nop 1
	v_cndmask_b32_e64 v18, v18, v22, s[26:27]
; %bb.784:                              ;   in Loop: Header=BB14_760 Depth=2
	s_or_b64 exec, exec, s[42:43]
	v_lshlrev_b32_e32 v22, 16, v19
	v_lshlrev_b32_e32 v90, 16, v23
	v_max_f32_e32 v90, v90, v90
	v_max_f32_e32 v22, v22, v22
	v_min_f32_e32 v91, v22, v90
	v_max_f32_e32 v22, v22, v90
	v_cndmask_b32_e32 v90, v22, v91, vcc
	v_and_b32_e32 v22, 0x7f800000, v90
	v_cmp_ne_u32_e64 s[26:27], s66, v22
                                        ; implicit-def: $vgpr22
	s_and_saveexec_b64 s[42:43], s[26:27]
	s_xor_b64 s[26:27], exec, s[42:43]
; %bb.785:                              ;   in Loop: Header=BB14_760 Depth=2
	v_bfe_u32 v22, v90, 16, 1
	v_add3_u32 v22, v90, v22, s67
                                        ; implicit-def: $vgpr90
; %bb.786:                              ;   in Loop: Header=BB14_760 Depth=2
	s_andn2_saveexec_b64 s[42:43], s[26:27]
; %bb.787:                              ;   in Loop: Header=BB14_760 Depth=2
	v_or_b32_e32 v22, 0x10000, v90
	v_cmp_eq_u32_sdwa s[26:27], v90, v3 src0_sel:WORD_0 src1_sel:DWORD
	s_nop 1
	v_cndmask_b32_e64 v22, v22, v90, s[26:27]
; %bb.788:                              ;   in Loop: Header=BB14_760 Depth=2
	s_or_b64 exec, exec, s[42:43]
	v_and_b32_e32 v19, 0xffff0000, v19
	v_and_b32_e32 v23, 0xffff0000, v23
	v_max_f32_e32 v23, v23, v23
	v_max_f32_e32 v19, v19, v19
	v_min_f32_e32 v90, v19, v23
	v_max_f32_e32 v19, v19, v23
	v_cndmask_b32_e32 v23, v19, v90, vcc
	v_and_b32_e32 v19, 0x7f800000, v23
	v_cmp_ne_u32_e64 s[26:27], s66, v19
                                        ; implicit-def: $vgpr19
	s_and_saveexec_b64 s[42:43], s[26:27]
	s_xor_b64 s[26:27], exec, s[42:43]
; %bb.789:                              ;   in Loop: Header=BB14_760 Depth=2
	v_bfe_u32 v19, v23, 16, 1
	v_add3_u32 v19, v23, v19, s67
                                        ; implicit-def: $vgpr23
; %bb.790:                              ;   in Loop: Header=BB14_760 Depth=2
	s_andn2_saveexec_b64 s[42:43], s[26:27]
; %bb.791:                              ;   in Loop: Header=BB14_760 Depth=2
	v_or_b32_e32 v19, 0x10000, v23
	v_cmp_eq_u32_sdwa s[26:27], v23, v3 src0_sel:WORD_0 src1_sel:DWORD
	s_nop 1
	v_cndmask_b32_e64 v19, v19, v23, s[26:27]
; %bb.792:                              ;   in Loop: Header=BB14_760 Depth=2
	s_or_b64 exec, exec, s[42:43]
	v_lshlrev_b32_e32 v23, 16, v8
	v_lshlrev_b32_e32 v90, 16, v12
	v_max_f32_e32 v90, v90, v90
	v_max_f32_e32 v23, v23, v23
	v_min_f32_e32 v91, v23, v90
	v_max_f32_e32 v23, v23, v90
	v_cndmask_b32_e32 v90, v23, v91, vcc
	v_and_b32_e32 v23, 0x7f800000, v90
	v_cmp_ne_u32_e64 s[26:27], s66, v23
                                        ; implicit-def: $vgpr23
	s_and_saveexec_b64 s[42:43], s[26:27]
	s_xor_b64 s[26:27], exec, s[42:43]
; %bb.793:                              ;   in Loop: Header=BB14_760 Depth=2
	v_bfe_u32 v23, v90, 16, 1
	v_add3_u32 v23, v90, v23, s67
                                        ; implicit-def: $vgpr90
; %bb.794:                              ;   in Loop: Header=BB14_760 Depth=2
	s_andn2_saveexec_b64 s[42:43], s[26:27]
; %bb.795:                              ;   in Loop: Header=BB14_760 Depth=2
	v_or_b32_e32 v23, 0x10000, v90
	v_cmp_eq_u32_sdwa s[26:27], v90, v3 src0_sel:WORD_0 src1_sel:DWORD
	s_nop 1
	v_cndmask_b32_e64 v23, v23, v90, s[26:27]
; %bb.796:                              ;   in Loop: Header=BB14_760 Depth=2
	s_or_b64 exec, exec, s[42:43]
	v_and_b32_e32 v8, 0xffff0000, v8
	v_and_b32_e32 v12, 0xffff0000, v12
	v_max_f32_e32 v12, v12, v12
	v_max_f32_e32 v8, v8, v8
	v_min_f32_e32 v90, v8, v12
	v_max_f32_e32 v8, v8, v12
	v_cndmask_b32_e32 v12, v8, v90, vcc
	v_and_b32_e32 v8, 0x7f800000, v12
	v_cmp_ne_u32_e64 s[26:27], s66, v8
                                        ; implicit-def: $vgpr8
	s_and_saveexec_b64 s[42:43], s[26:27]
	s_xor_b64 s[26:27], exec, s[42:43]
; %bb.797:                              ;   in Loop: Header=BB14_760 Depth=2
	v_bfe_u32 v8, v12, 16, 1
	v_add3_u32 v8, v12, v8, s67
                                        ; implicit-def: $vgpr12
; %bb.798:                              ;   in Loop: Header=BB14_760 Depth=2
	s_andn2_saveexec_b64 s[42:43], s[26:27]
; %bb.799:                              ;   in Loop: Header=BB14_760 Depth=2
	v_or_b32_e32 v8, 0x10000, v12
	v_cmp_eq_u32_sdwa s[26:27], v12, v3 src0_sel:WORD_0 src1_sel:DWORD
	s_nop 1
	v_cndmask_b32_e64 v8, v8, v12, s[26:27]
; %bb.800:                              ;   in Loop: Header=BB14_760 Depth=2
	s_or_b64 exec, exec, s[42:43]
	v_lshlrev_b32_e32 v12, 16, v9
	v_lshlrev_b32_e32 v90, 16, v13
	v_max_f32_e32 v90, v90, v90
	v_max_f32_e32 v12, v12, v12
	v_min_f32_e32 v91, v12, v90
	v_max_f32_e32 v12, v12, v90
	v_cndmask_b32_e32 v90, v12, v91, vcc
	v_and_b32_e32 v12, 0x7f800000, v90
	v_cmp_ne_u32_e64 s[26:27], s66, v12
                                        ; implicit-def: $vgpr12
	s_and_saveexec_b64 s[42:43], s[26:27]
	s_xor_b64 s[26:27], exec, s[42:43]
; %bb.801:                              ;   in Loop: Header=BB14_760 Depth=2
	v_bfe_u32 v12, v90, 16, 1
	v_add3_u32 v12, v90, v12, s67
                                        ; implicit-def: $vgpr90
; %bb.802:                              ;   in Loop: Header=BB14_760 Depth=2
	s_andn2_saveexec_b64 s[42:43], s[26:27]
; %bb.803:                              ;   in Loop: Header=BB14_760 Depth=2
	v_or_b32_e32 v12, 0x10000, v90
	v_cmp_eq_u32_sdwa s[26:27], v90, v3 src0_sel:WORD_0 src1_sel:DWORD
	s_nop 1
	v_cndmask_b32_e64 v12, v12, v90, s[26:27]
; %bb.804:                              ;   in Loop: Header=BB14_760 Depth=2
	s_or_b64 exec, exec, s[42:43]
	v_and_b32_e32 v9, 0xffff0000, v9
	v_and_b32_e32 v13, 0xffff0000, v13
	v_max_f32_e32 v13, v13, v13
	v_max_f32_e32 v9, v9, v9
	v_min_f32_e32 v90, v9, v13
	v_max_f32_e32 v9, v9, v13
	v_cndmask_b32_e32 v13, v9, v90, vcc
	v_and_b32_e32 v9, 0x7f800000, v13
	v_cmp_ne_u32_e64 s[26:27], s66, v9
                                        ; implicit-def: $vgpr9
	s_and_saveexec_b64 s[42:43], s[26:27]
	s_xor_b64 s[26:27], exec, s[42:43]
; %bb.805:                              ;   in Loop: Header=BB14_760 Depth=2
	v_bfe_u32 v9, v13, 16, 1
	v_add3_u32 v9, v13, v9, s67
                                        ; implicit-def: $vgpr13
; %bb.806:                              ;   in Loop: Header=BB14_760 Depth=2
	s_andn2_saveexec_b64 s[42:43], s[26:27]
; %bb.807:                              ;   in Loop: Header=BB14_760 Depth=2
	v_or_b32_e32 v9, 0x10000, v13
	v_cmp_eq_u32_sdwa s[26:27], v13, v3 src0_sel:WORD_0 src1_sel:DWORD
	s_nop 1
	v_cndmask_b32_e64 v9, v9, v13, s[26:27]
; %bb.808:                              ;   in Loop: Header=BB14_760 Depth=2
	s_or_b64 exec, exec, s[42:43]
	v_lshlrev_b32_e32 v13, 16, v10
	v_lshlrev_b32_e32 v90, 16, v14
	v_max_f32_e32 v90, v90, v90
	v_max_f32_e32 v13, v13, v13
	v_min_f32_e32 v91, v13, v90
	v_max_f32_e32 v13, v13, v90
	v_cndmask_b32_e32 v90, v13, v91, vcc
	v_and_b32_e32 v13, 0x7f800000, v90
	v_cmp_ne_u32_e64 s[26:27], s66, v13
                                        ; implicit-def: $vgpr13
	s_and_saveexec_b64 s[42:43], s[26:27]
	s_xor_b64 s[26:27], exec, s[42:43]
; %bb.809:                              ;   in Loop: Header=BB14_760 Depth=2
	v_bfe_u32 v13, v90, 16, 1
	v_add3_u32 v13, v90, v13, s67
                                        ; implicit-def: $vgpr90
; %bb.810:                              ;   in Loop: Header=BB14_760 Depth=2
	s_andn2_saveexec_b64 s[42:43], s[26:27]
; %bb.811:                              ;   in Loop: Header=BB14_760 Depth=2
	v_or_b32_e32 v13, 0x10000, v90
	v_cmp_eq_u32_sdwa s[26:27], v90, v3 src0_sel:WORD_0 src1_sel:DWORD
	s_nop 1
	v_cndmask_b32_e64 v13, v13, v90, s[26:27]
; %bb.812:                              ;   in Loop: Header=BB14_760 Depth=2
	s_or_b64 exec, exec, s[42:43]
	v_and_b32_e32 v10, 0xffff0000, v10
	v_and_b32_e32 v14, 0xffff0000, v14
	v_max_f32_e32 v14, v14, v14
	v_max_f32_e32 v10, v10, v10
	v_min_f32_e32 v90, v10, v14
	v_max_f32_e32 v10, v10, v14
	v_cndmask_b32_e32 v14, v10, v90, vcc
	v_and_b32_e32 v10, 0x7f800000, v14
	v_cmp_ne_u32_e64 s[26:27], s66, v10
                                        ; implicit-def: $vgpr10
	s_and_saveexec_b64 s[42:43], s[26:27]
	s_xor_b64 s[26:27], exec, s[42:43]
; %bb.813:                              ;   in Loop: Header=BB14_760 Depth=2
	v_bfe_u32 v10, v14, 16, 1
	v_add3_u32 v10, v14, v10, s67
                                        ; implicit-def: $vgpr14
; %bb.814:                              ;   in Loop: Header=BB14_760 Depth=2
	s_andn2_saveexec_b64 s[42:43], s[26:27]
; %bb.815:                              ;   in Loop: Header=BB14_760 Depth=2
	v_or_b32_e32 v10, 0x10000, v14
	v_cmp_eq_u32_sdwa s[26:27], v14, v3 src0_sel:WORD_0 src1_sel:DWORD
	s_nop 1
	v_cndmask_b32_e64 v10, v10, v14, s[26:27]
; %bb.816:                              ;   in Loop: Header=BB14_760 Depth=2
	s_or_b64 exec, exec, s[42:43]
	v_lshlrev_b32_e32 v14, 16, v11
	v_lshlrev_b32_e32 v90, 16, v15
	v_max_f32_e32 v90, v90, v90
	v_max_f32_e32 v14, v14, v14
	v_min_f32_e32 v91, v14, v90
	v_max_f32_e32 v14, v14, v90
	v_cndmask_b32_e32 v90, v14, v91, vcc
	v_and_b32_e32 v14, 0x7f800000, v90
	v_cmp_ne_u32_e64 s[26:27], s66, v14
                                        ; implicit-def: $vgpr14
	s_and_saveexec_b64 s[42:43], s[26:27]
	s_xor_b64 s[26:27], exec, s[42:43]
; %bb.817:                              ;   in Loop: Header=BB14_760 Depth=2
	v_bfe_u32 v14, v90, 16, 1
	v_add3_u32 v14, v90, v14, s67
                                        ; implicit-def: $vgpr90
; %bb.818:                              ;   in Loop: Header=BB14_760 Depth=2
	s_andn2_saveexec_b64 s[42:43], s[26:27]
; %bb.819:                              ;   in Loop: Header=BB14_760 Depth=2
	v_or_b32_e32 v14, 0x10000, v90
	v_cmp_eq_u32_sdwa s[26:27], v90, v3 src0_sel:WORD_0 src1_sel:DWORD
	s_nop 1
	v_cndmask_b32_e64 v14, v14, v90, s[26:27]
; %bb.820:                              ;   in Loop: Header=BB14_760 Depth=2
	s_or_b64 exec, exec, s[42:43]
	v_and_b32_e32 v11, 0xffff0000, v11
	v_and_b32_e32 v15, 0xffff0000, v15
	v_max_f32_e32 v15, v15, v15
	v_max_f32_e32 v11, v11, v11
	v_min_f32_e32 v90, v11, v15
	v_max_f32_e32 v11, v11, v15
	v_cndmask_b32_e32 v15, v11, v90, vcc
	v_and_b32_e32 v11, 0x7f800000, v15
	v_cmp_ne_u32_e64 s[26:27], s66, v11
                                        ; implicit-def: $vgpr11
	s_and_saveexec_b64 s[42:43], s[26:27]
	s_xor_b64 s[26:27], exec, s[42:43]
; %bb.821:                              ;   in Loop: Header=BB14_760 Depth=2
	v_bfe_u32 v11, v15, 16, 1
	v_add3_u32 v11, v15, v11, s67
                                        ; implicit-def: $vgpr15
; %bb.822:                              ;   in Loop: Header=BB14_760 Depth=2
	s_andn2_saveexec_b64 s[42:43], s[26:27]
	s_cbranch_execz .LBB14_759
; %bb.823:                              ;   in Loop: Header=BB14_760 Depth=2
	v_or_b32_e32 v11, 0x10000, v15
	v_cmp_eq_u32_sdwa s[26:27], v15, v3 src0_sel:WORD_0 src1_sel:DWORD
	s_nop 1
	v_cndmask_b32_e64 v11, v11, v15, s[26:27]
	s_branch .LBB14_759
.LBB14_824:                             ;   in Loop: Header=BB14_47 Depth=1
	s_or_b64 exec, exec, s[92:93]
	s_and_saveexec_b64 s[92:93], s[94:95]
	s_xor_b64 s[92:93], exec, s[92:93]
	s_cbranch_execz .LBB14_826
; %bb.825:                              ;   in Loop: Header=BB14_47 Depth=1
	ds_write_b32 v0, v73
	s_trap 2
.LBB14_826:                             ;   in Loop: Header=BB14_47 Depth=1
	s_or_b64 exec, exec, s[90:91]
	;;#ASMSTART
	s_wakeup
	;;#ASMEND
.LBB14_827:                             ;   in Loop: Header=BB14_47 Depth=1
	s_or_b64 exec, exec, s[42:43]
.LBB14_828:                             ;   in Loop: Header=BB14_47 Depth=1
	s_andn2_saveexec_b64 s[40:41], s[40:41]
	s_cbranch_execz .LBB14_830
; %bb.829:                              ;   in Loop: Header=BB14_47 Depth=1
	;;#ASMSTART
	s_waitcnt lgkmcnt(0) vmcnt(0)
	;;#ASMEND
	s_barrier
.LBB14_830:                             ;   in Loop: Header=BB14_47 Depth=1
	s_or_b64 exec, exec, s[40:41]
	v_and_b32_e32 v2, 16, v62
.LBB14_831:                             ;   in Loop: Header=BB14_47 Depth=1
	s_or_b64 exec, exec, s[26:27]
	v_cmp_ne_u32_e32 vcc, 0, v2
	s_xor_b64 s[26:27], s[10:11], -1
	s_and_b64 s[40:41], vcc, s[26:27]
	s_and_saveexec_b64 s[26:27], s[40:41]
	s_cbranch_execz .LBB14_833
; %bb.832:                              ;   in Loop: Header=BB14_47 Depth=1
	flat_store_dword v[36:37], v73 sc0 sc1
.LBB14_833:                             ;   in Loop: Header=BB14_47 Depth=1
	s_or_b64 exec, exec, s[26:27]
	v_and_b32_e32 v2, 48, v62
	v_cmp_ne_u32_e32 vcc, 0, v2
	s_and_saveexec_b64 s[26:27], vcc
	s_cbranch_execz .LBB14_835
; %bb.834:                              ;   in Loop: Header=BB14_47 Depth=1
	v_lshl_add_u64 v[112:113], v[112:113], 0, 4
	flat_store_dwordx2 v[32:33], v[112:113] sc0 sc1
.LBB14_835:                             ;   in Loop: Header=BB14_47 Depth=1
	s_or_b64 exec, exec, s[26:27]
	s_or_b64 exec, exec, s[28:29]
	s_and_b64 vcc, exec, s[24:25]
	s_cbranch_vccnz .LBB14_1378
	s_branch .LBB14_1126
.LBB14_836:                             ;   in Loop: Header=BB14_47 Depth=1
	s_or_b64 exec, exec, s[40:41]
.LBB14_837:                             ;   in Loop: Header=BB14_47 Depth=1
	s_or_b64 exec, exec, s[28:29]
	v_lshlrev_b32_e32 v46, 11, v88
	v_cmp_ne_u32_e32 vcc, v119, v46
	s_mov_b64 s[26:27], 0
	v_mov_b32_e32 v16, 0
                                        ; implicit-def: $vgpr17
                                        ; implicit-def: $vgpr18
	s_and_saveexec_b64 s[94:95], vcc
	s_cbranch_execz .LBB14_877
; %bb.838:                              ;   in Loop: Header=BB14_47 Depth=1
	v_lshlrev_b32_e32 v8, 6, v79
	v_sub_u32_e32 v8, v63, v8
	v_ashrrev_i32_e32 v10, 31, v8
	v_lshrrev_b32_e32 v10, 26, v10
	v_add_u32_e32 v10, v8, v10
	v_sub_u32_e32 v9, v119, v46
	v_ashrrev_i32_e32 v11, 6, v10
	v_and_b32_e32 v10, 0xffffffc0, v10
	v_sub_u32_e32 v47, v8, v10
	v_ashrrev_i32_e32 v10, 31, v9
	v_lshrrev_b32_e32 v10, 22, v10
	v_add_u32_e32 v10, v9, v10
	v_and_b32_e32 v56, 0xfffffc00, v10
	v_lshlrev_b32_e32 v8, 4, v47
	v_sub_u32_e32 v57, v9, v56
	v_lshl_add_u32 v8, v11, 10, v8
	v_ashrrev_i32_e32 v12, 10, v10
	v_cmp_lt_i32_e64 s[26:27], 15, v57
	v_sub_u32_e32 v59, v9, v8
	s_nop 0
	v_addc_co_u32_e64 v9, vcc, 0, v12, s[26:27]
	v_sub_u32_e32 v58, v9, v11
	v_cmp_lt_i32_e32 vcc, 15, v59
	s_and_saveexec_b64 s[30:31], vcc
	s_cbranch_execz .LBB14_876
; %bb.839:                              ;   in Loop: Header=BB14_47 Depth=1
	s_trap 2
	ds_read_b64 v[10:11], v0
	v_add_u32_e32 v8, v8, v46
	s_and_b32 s56, s48, 1
	v_ashrrev_i32_e32 v9, 31, v8
	s_cmp_eq_u64 s[56:57], 0
	v_lshl_add_u64 v[16:17], v[8:9], 0, v[42:43]
	v_lshl_add_u64 v[18:19], v[8:9], 0, v[44:45]
	;; [unrolled: 1-line block ×3, first 2 shown]
	s_waitcnt lgkmcnt(0)
	v_lshl_add_u64 v[22:23], v[10:11], 0, v[8:9]
	s_mov_b64 s[34:35], 0
	s_cselect_b64 s[28:29], -1, 0
.LBB14_840:                             ;   Parent Loop BB14_47 Depth=1
                                        ; =>  This Loop Header: Depth=2
                                        ;       Child Loop BB14_873 Depth 3
	global_load_dwordx4 v[8:11], v[22:23], off nt
	global_load_dwordx4 v[12:15], v[20:21], off nt
	s_waitcnt vmcnt(0)
	v_lshlrev_b32_e32 v60, 16, v8
	v_lshlrev_b32_e32 v61, 16, v12
	v_max_f32_e32 v60, v60, v60
	v_max_f32_e32 v61, v61, v61
	v_min_f32_e32 v79, v61, v60
	v_max_f32_e32 v60, v61, v60
	v_cndmask_b32_e64 v61, v60, v79, s[28:29]
	v_and_b32_e32 v60, 0x7f800000, v61
	v_cmp_ne_u32_e32 vcc, s66, v60
                                        ; implicit-def: $vgpr60
	s_and_saveexec_b64 s[40:41], vcc
	s_xor_b64 s[40:41], exec, s[40:41]
; %bb.841:                              ;   in Loop: Header=BB14_840 Depth=2
	v_bfe_u32 v60, v61, 16, 1
	v_add3_u32 v60, v61, v60, s67
                                        ; implicit-def: $vgpr61
; %bb.842:                              ;   in Loop: Header=BB14_840 Depth=2
	s_andn2_saveexec_b64 s[40:41], s[40:41]
; %bb.843:                              ;   in Loop: Header=BB14_840 Depth=2
	v_or_b32_e32 v60, 0x10000, v61
	v_cmp_eq_u32_sdwa vcc, v61, v3 src0_sel:WORD_0 src1_sel:DWORD
	s_nop 1
	v_cndmask_b32_e32 v60, v60, v61, vcc
; %bb.844:                              ;   in Loop: Header=BB14_840 Depth=2
	s_or_b64 exec, exec, s[40:41]
	v_and_b32_e32 v8, 0xffff0000, v8
	v_and_b32_e32 v12, 0xffff0000, v12
	v_max_f32_e32 v8, v8, v8
	v_max_f32_e32 v12, v12, v12
	v_min_f32_e32 v61, v12, v8
	v_max_f32_e32 v8, v12, v8
	v_cndmask_b32_e64 v12, v8, v61, s[28:29]
	v_and_b32_e32 v8, 0x7f800000, v12
	v_cmp_ne_u32_e32 vcc, s66, v8
                                        ; implicit-def: $vgpr8
	s_and_saveexec_b64 s[40:41], vcc
	s_xor_b64 s[40:41], exec, s[40:41]
; %bb.845:                              ;   in Loop: Header=BB14_840 Depth=2
	v_bfe_u32 v8, v12, 16, 1
	v_add3_u32 v8, v12, v8, s67
                                        ; implicit-def: $vgpr12
; %bb.846:                              ;   in Loop: Header=BB14_840 Depth=2
	s_andn2_saveexec_b64 s[40:41], s[40:41]
; %bb.847:                              ;   in Loop: Header=BB14_840 Depth=2
	v_or_b32_e32 v8, 0x10000, v12
	v_cmp_eq_u32_sdwa vcc, v12, v3 src0_sel:WORD_0 src1_sel:DWORD
	s_nop 1
	v_cndmask_b32_e32 v8, v8, v12, vcc
; %bb.848:                              ;   in Loop: Header=BB14_840 Depth=2
	s_or_b64 exec, exec, s[40:41]
	v_lshlrev_b32_e32 v12, 16, v9
	v_lshlrev_b32_e32 v61, 16, v13
	v_max_f32_e32 v12, v12, v12
	v_max_f32_e32 v61, v61, v61
	v_min_f32_e32 v79, v61, v12
	v_max_f32_e32 v12, v61, v12
	v_cndmask_b32_e64 v61, v12, v79, s[28:29]
	v_and_b32_e32 v12, 0x7f800000, v61
	v_cmp_ne_u32_e32 vcc, s66, v12
                                        ; implicit-def: $vgpr12
	s_and_saveexec_b64 s[40:41], vcc
	s_xor_b64 s[40:41], exec, s[40:41]
; %bb.849:                              ;   in Loop: Header=BB14_840 Depth=2
	v_bfe_u32 v12, v61, 16, 1
	v_add3_u32 v12, v61, v12, s67
                                        ; implicit-def: $vgpr61
; %bb.850:                              ;   in Loop: Header=BB14_840 Depth=2
	s_andn2_saveexec_b64 s[40:41], s[40:41]
; %bb.851:                              ;   in Loop: Header=BB14_840 Depth=2
	v_or_b32_e32 v12, 0x10000, v61
	v_cmp_eq_u32_sdwa vcc, v61, v3 src0_sel:WORD_0 src1_sel:DWORD
	s_nop 1
	v_cndmask_b32_e32 v12, v12, v61, vcc
; %bb.852:                              ;   in Loop: Header=BB14_840 Depth=2
	s_or_b64 exec, exec, s[40:41]
	v_and_b32_e32 v13, 0xffff0000, v13
	v_and_b32_e32 v9, 0xffff0000, v9
	v_max_f32_e32 v9, v9, v9
	v_max_f32_e32 v13, v13, v13
	v_min_f32_e32 v61, v13, v9
	v_max_f32_e32 v9, v13, v9
	v_cndmask_b32_e64 v13, v9, v61, s[28:29]
	v_and_b32_e32 v9, 0x7f800000, v13
	v_cmp_ne_u32_e32 vcc, s66, v9
                                        ; implicit-def: $vgpr9
	s_and_saveexec_b64 s[40:41], vcc
	s_xor_b64 s[40:41], exec, s[40:41]
; %bb.853:                              ;   in Loop: Header=BB14_840 Depth=2
	v_bfe_u32 v9, v13, 16, 1
	v_add3_u32 v9, v13, v9, s67
                                        ; implicit-def: $vgpr13
; %bb.854:                              ;   in Loop: Header=BB14_840 Depth=2
	s_andn2_saveexec_b64 s[40:41], s[40:41]
; %bb.855:                              ;   in Loop: Header=BB14_840 Depth=2
	v_or_b32_e32 v9, 0x10000, v13
	v_cmp_eq_u32_sdwa vcc, v13, v3 src0_sel:WORD_0 src1_sel:DWORD
	s_nop 1
	v_cndmask_b32_e32 v9, v9, v13, vcc
; %bb.856:                              ;   in Loop: Header=BB14_840 Depth=2
	s_or_b64 exec, exec, s[40:41]
	v_lshlrev_b32_e32 v13, 16, v10
	v_lshlrev_b32_e32 v61, 16, v14
	v_max_f32_e32 v13, v13, v13
	v_max_f32_e32 v61, v61, v61
	v_min_f32_e32 v79, v61, v13
	v_max_f32_e32 v13, v61, v13
	v_cndmask_b32_e64 v61, v13, v79, s[28:29]
	v_and_b32_e32 v13, 0x7f800000, v61
	v_cmp_ne_u32_e32 vcc, s66, v13
                                        ; implicit-def: $vgpr13
	s_and_saveexec_b64 s[40:41], vcc
	s_xor_b64 s[40:41], exec, s[40:41]
; %bb.857:                              ;   in Loop: Header=BB14_840 Depth=2
	v_bfe_u32 v13, v61, 16, 1
	v_add3_u32 v13, v61, v13, s67
                                        ; implicit-def: $vgpr61
; %bb.858:                              ;   in Loop: Header=BB14_840 Depth=2
	s_andn2_saveexec_b64 s[40:41], s[40:41]
; %bb.859:                              ;   in Loop: Header=BB14_840 Depth=2
	v_or_b32_e32 v13, 0x10000, v61
	v_cmp_eq_u32_sdwa vcc, v61, v3 src0_sel:WORD_0 src1_sel:DWORD
	s_nop 1
	v_cndmask_b32_e32 v13, v13, v61, vcc
; %bb.860:                              ;   in Loop: Header=BB14_840 Depth=2
	s_or_b64 exec, exec, s[40:41]
	v_and_b32_e32 v14, 0xffff0000, v14
	v_and_b32_e32 v10, 0xffff0000, v10
	v_max_f32_e32 v10, v10, v10
	v_max_f32_e32 v14, v14, v14
	v_min_f32_e32 v61, v14, v10
	v_max_f32_e32 v10, v14, v10
	v_cndmask_b32_e64 v14, v10, v61, s[28:29]
	v_and_b32_e32 v10, 0x7f800000, v14
	v_cmp_ne_u32_e32 vcc, s66, v10
                                        ; implicit-def: $vgpr10
	s_and_saveexec_b64 s[40:41], vcc
	s_xor_b64 s[40:41], exec, s[40:41]
; %bb.861:                              ;   in Loop: Header=BB14_840 Depth=2
	v_bfe_u32 v10, v14, 16, 1
	v_add3_u32 v10, v14, v10, s67
                                        ; implicit-def: $vgpr14
; %bb.862:                              ;   in Loop: Header=BB14_840 Depth=2
	s_andn2_saveexec_b64 s[40:41], s[40:41]
; %bb.863:                              ;   in Loop: Header=BB14_840 Depth=2
	v_or_b32_e32 v10, 0x10000, v14
	v_cmp_eq_u32_sdwa vcc, v14, v3 src0_sel:WORD_0 src1_sel:DWORD
	s_nop 1
	v_cndmask_b32_e32 v10, v10, v14, vcc
; %bb.864:                              ;   in Loop: Header=BB14_840 Depth=2
	s_or_b64 exec, exec, s[40:41]
	v_lshlrev_b32_e32 v14, 16, v11
	v_lshlrev_b32_e32 v61, 16, v15
	v_max_f32_e32 v14, v14, v14
	v_max_f32_e32 v61, v61, v61
	v_min_f32_e32 v79, v61, v14
	v_max_f32_e32 v14, v61, v14
	v_cndmask_b32_e64 v61, v14, v79, s[28:29]
	v_and_b32_e32 v14, 0x7f800000, v61
	v_cmp_ne_u32_e32 vcc, s66, v14
                                        ; implicit-def: $vgpr14
	s_and_saveexec_b64 s[40:41], vcc
	s_xor_b64 s[40:41], exec, s[40:41]
; %bb.865:                              ;   in Loop: Header=BB14_840 Depth=2
	v_bfe_u32 v14, v61, 16, 1
	v_add3_u32 v14, v61, v14, s67
                                        ; implicit-def: $vgpr61
; %bb.866:                              ;   in Loop: Header=BB14_840 Depth=2
	s_andn2_saveexec_b64 s[40:41], s[40:41]
; %bb.867:                              ;   in Loop: Header=BB14_840 Depth=2
	v_or_b32_e32 v14, 0x10000, v61
	v_cmp_eq_u32_sdwa vcc, v61, v3 src0_sel:WORD_0 src1_sel:DWORD
	s_nop 1
	v_cndmask_b32_e32 v14, v14, v61, vcc
; %bb.868:                              ;   in Loop: Header=BB14_840 Depth=2
	s_or_b64 exec, exec, s[40:41]
	v_and_b32_e32 v15, 0xffff0000, v15
	v_and_b32_e32 v11, 0xffff0000, v11
	v_max_f32_e32 v11, v11, v11
	v_max_f32_e32 v15, v15, v15
	v_min_f32_e32 v61, v15, v11
	v_max_f32_e32 v11, v15, v11
	v_cndmask_b32_e64 v15, v11, v61, s[28:29]
	v_and_b32_e32 v11, 0x7f800000, v15
	v_cmp_ne_u32_e32 vcc, s66, v11
                                        ; implicit-def: $vgpr11
	s_and_saveexec_b64 s[40:41], vcc
	s_xor_b64 s[40:41], exec, s[40:41]
; %bb.869:                              ;   in Loop: Header=BB14_840 Depth=2
	v_bfe_u32 v11, v15, 16, 1
	v_add3_u32 v11, v15, v11, s67
                                        ; implicit-def: $vgpr15
; %bb.870:                              ;   in Loop: Header=BB14_840 Depth=2
	s_andn2_saveexec_b64 s[40:41], s[40:41]
; %bb.871:                              ;   in Loop: Header=BB14_840 Depth=2
	v_or_b32_e32 v11, 0x10000, v15
	v_cmp_eq_u32_sdwa vcc, v15, v3 src0_sel:WORD_0 src1_sel:DWORD
	s_nop 1
	v_cndmask_b32_e32 v11, v11, v15, vcc
; %bb.872:                              ;   in Loop: Header=BB14_840 Depth=2
	s_or_b64 exec, exec, s[40:41]
	v_lshrrev_b32_e32 v12, 16, v12
	v_and_or_b32 v9, v9, s68, v12
	v_lshrrev_b32_e32 v12, 16, v60
	v_and_or_b32 v8, v8, s68, v12
	;; [unrolled: 2-line block ×4, first 2 shown]
	s_mov_b64 s[38:39], 0
	s_mov_b64 s[36:37], -1
.LBB14_873:                             ;   Parent Loop BB14_47 Depth=1
                                        ;     Parent Loop BB14_840 Depth=2
                                        ; =>    This Inner Loop Header: Depth=3
	s_cmp_eq_u32 s38, 1
	s_cselect_b64 vcc, -1, 0
	v_cndmask_b32_e32 v13, v17, v19, vcc
	s_cmp_eq_u32 s38, 0
	v_cndmask_b32_e32 v12, v16, v18, vcc
	global_store_dwordx4 v[12:13], v[8:11], off
	v_lshl_add_u64 v[12:13], v[12:13], 0, s[62:63]
	s_cselect_b64 s[40:41], -1, 0
	s_and_b64 s[42:43], exec, s[36:37]
	s_mov_b64 s[38:39], 1
	s_mov_b64 s[36:37], 0
	v_cndmask_b32_e32 v19, v19, v13, vcc
	v_cndmask_b32_e32 v18, v18, v12, vcc
	v_cndmask_b32_e64 v17, v17, v13, s[40:41]
	v_cndmask_b32_e64 v16, v16, v12, s[40:41]
	s_mov_b64 vcc, s[42:43]
	s_cbranch_vccnz .LBB14_873
; %bb.874:                              ;   in Loop: Header=BB14_840 Depth=2
	v_sub_u32_e32 v59, v59, v68
	v_cmp_gt_i32_e32 vcc, 16, v59
	v_lshl_add_u64 v[20:21], v[20:21], 0, v[98:99]
	v_lshl_add_u64 v[22:23], v[22:23], 0, v[98:99]
	;; [unrolled: 1-line block ×4, first 2 shown]
	s_or_b64 s[34:35], vcc, s[34:35]
	v_sub_u32_e32 v58, v58, v52
	s_andn2_b64 exec, exec, s[34:35]
	s_cbranch_execnz .LBB14_840
; %bb.875:                              ;   in Loop: Header=BB14_47 Depth=1
	s_or_b64 exec, exec, s[34:35]
.LBB14_876:                             ;   in Loop: Header=BB14_47 Depth=1
	s_or_b64 exec, exec, s[30:31]
	v_and_b32_e32 v8, 14, v119
	v_cmp_lt_i32_e32 vcc, 0, v58
	v_sub_u32_e32 v9, v57, v8
	v_cndmask_b32_e64 v17, v57, v8, s[26:27]
	v_cndmask_b32_e32 v8, 0, v52, vcc
	v_cndmask_b32_e64 v9, 0, v9, s[26:27]
	v_sub_u32_e32 v8, v8, v58
	v_cmp_ne_u32_e32 vcc, 0, v17
	v_add3_u32 v16, v56, v46, v9
	v_lshl_add_u32 v18, v8, 6, v47
	s_and_b64 s[26:27], vcc, exec
.LBB14_877:                             ;   in Loop: Header=BB14_47 Depth=1
	s_or_b64 exec, exec, s[94:95]
	s_and_saveexec_b64 s[42:43], s[26:27]
	s_cbranch_execz .LBB14_924
.LBB14_878:                             ;   in Loop: Header=BB14_47 Depth=1
	v_ashrrev_i32_e32 v8, 31, v18
	v_ashrrev_i32_e32 v9, 31, v17
	v_lshrrev_b32_e32 v8, 26, v8
	v_lshrrev_b32_e32 v9, 22, v9
	v_add_u32_e32 v8, v18, v8
	v_add_u32_e32 v9, v17, v9
	v_ashrrev_i32_e32 v19, 6, v8
	v_ashrrev_i32_e32 v21, 10, v9
	v_sub_u32_e32 v20, v21, v19
	v_cmp_lt_i32_e32 vcc, 0, v20
	s_and_saveexec_b64 s[28:29], vcc
	s_cbranch_execz .LBB14_914
; %bb.879:                              ;   in Loop: Header=BB14_47 Depth=1
	v_and_b32_e32 v8, 0x7fffffc0, v8
	s_trap 2
	ds_read_b64 v[22:23], v0
	v_sub_u32_e32 v8, v18, v8
	v_lshlrev_b32_e32 v8, 1, v8
	v_lshlrev_b32_e32 v9, 10, v19
	v_add3_u32 v14, v8, v16, v9
	s_and_b32 s56, s48, 1
	v_ashrrev_i32_e32 v15, 31, v14
	s_cmp_eq_u64 s[56:57], 0
	v_lshl_add_u64 v[8:9], v[14:15], 0, v[42:43]
	v_lshl_add_u64 v[10:11], v[14:15], 0, v[44:45]
	;; [unrolled: 1-line block ×3, first 2 shown]
	s_waitcnt lgkmcnt(0)
	v_lshl_add_u64 v[14:15], v[22:23], 0, v[14:15]
	s_mov_b64 s[40:41], 0
	s_cselect_b64 vcc, -1, 0
	s_branch .LBB14_881
.LBB14_880:                             ;   in Loop: Header=BB14_881 Depth=2
	s_or_b64 exec, exec, s[94:95]
	v_sub_u32_e32 v20, v20, v52
	v_lshrrev_b32_e32 v22, 16, v22
	v_cmp_gt_i32_e64 s[26:27], 1, v20
	v_lshrrev_b32_e32 v46, 16, v56
	v_lshrrev_b32_e32 v56, 16, v59
	;; [unrolled: 1-line block ×7, first 2 shown]
	flat_store_short v[8:9], v22 nt
	flat_store_short v[8:9], v47 offset:128 nt
	flat_store_short v[8:9], v58 offset:256 nt
	;; [unrolled: 1-line block ×7, first 2 shown]
	flat_store_short v[10:11], v22 nt
	flat_store_short v[10:11], v47 offset:128 nt
	flat_store_short v[10:11], v58 offset:256 nt
	;; [unrolled: 1-line block ×7, first 2 shown]
	v_lshl_add_u64 v[12:13], v[12:13], 0, v[68:69]
	v_lshl_add_u64 v[14:15], v[14:15], 0, v[68:69]
	;; [unrolled: 1-line block ×3, first 2 shown]
	s_or_b64 s[40:41], s[26:27], s[40:41]
	v_lshl_add_u64 v[10:11], v[10:11], 0, v[68:69]
	s_andn2_b64 exec, exec, s[40:41]
	s_cbranch_execz .LBB14_913
.LBB14_881:                             ;   Parent Loop BB14_47 Depth=1
                                        ; =>  This Inner Loop Header: Depth=2
	flat_load_ushort v58, v[12:13] offset:256 nt
	flat_load_ushort v61, v[12:13] offset:384 nt
	;; [unrolled: 1-line block ×6, first 2 shown]
	flat_load_ushort v22, v[12:13] nt
	flat_load_ushort v90, v[14:15] offset:256 nt
	flat_load_ushort v89, v[14:15] offset:384 nt
	;; [unrolled: 1-line block ×6, first 2 shown]
	flat_load_ushort v92, v[14:15] nt
	flat_load_ushort v47, v[12:13] offset:128 nt
	flat_load_ushort v91, v[14:15] offset:128 nt
	s_waitcnt vmcnt(0) lgkmcnt(0)
	v_lshlrev_b32_e32 v22, 16, v22
	v_max_f32_e32 v22, v22, v22
	v_lshlrev_b32_e32 v92, 16, v92
	v_max_f32_e32 v92, v92, v92
	v_min_f32_e32 v93, v22, v92
	v_max_f32_e32 v22, v22, v92
	v_cndmask_b32_e32 v92, v22, v93, vcc
	v_and_b32_e32 v22, 0x7f800000, v92
	v_cmp_ne_u32_e64 s[26:27], s66, v22
                                        ; implicit-def: $vgpr22
	s_and_saveexec_b64 s[94:95], s[26:27]
	s_xor_b64 s[26:27], exec, s[94:95]
; %bb.882:                              ;   in Loop: Header=BB14_881 Depth=2
	v_bfe_u32 v22, v92, 16, 1
	v_add3_u32 v22, v92, v22, s67
                                        ; implicit-def: $vgpr92
; %bb.883:                              ;   in Loop: Header=BB14_881 Depth=2
	s_andn2_saveexec_b64 s[94:95], s[26:27]
; %bb.884:                              ;   in Loop: Header=BB14_881 Depth=2
	v_or_b32_e32 v22, 0x10000, v92
	v_cmp_eq_u32_sdwa s[26:27], v92, v3 src0_sel:WORD_0 src1_sel:DWORD
	s_nop 1
	v_cndmask_b32_e64 v22, v22, v92, s[26:27]
; %bb.885:                              ;   in Loop: Header=BB14_881 Depth=2
	s_or_b64 exec, exec, s[94:95]
	v_lshlrev_b32_e32 v47, 16, v47
	v_lshlrev_b32_e32 v91, 16, v91
	v_max_f32_e32 v91, v91, v91
	v_max_f32_e32 v47, v47, v47
	v_min_f32_e32 v92, v47, v91
	v_max_f32_e32 v47, v47, v91
	v_cndmask_b32_e32 v91, v47, v92, vcc
	v_and_b32_e32 v47, 0x7f800000, v91
	v_cmp_ne_u32_e64 s[26:27], s66, v47
                                        ; implicit-def: $vgpr47
	s_and_saveexec_b64 s[94:95], s[26:27]
	s_xor_b64 s[26:27], exec, s[94:95]
; %bb.886:                              ;   in Loop: Header=BB14_881 Depth=2
	v_bfe_u32 v47, v91, 16, 1
	v_add3_u32 v47, v91, v47, s67
                                        ; implicit-def: $vgpr91
; %bb.887:                              ;   in Loop: Header=BB14_881 Depth=2
	s_andn2_saveexec_b64 s[94:95], s[26:27]
; %bb.888:                              ;   in Loop: Header=BB14_881 Depth=2
	v_or_b32_e32 v47, 0x10000, v91
	v_cmp_eq_u32_sdwa s[26:27], v91, v3 src0_sel:WORD_0 src1_sel:DWORD
	s_nop 1
	v_cndmask_b32_e64 v47, v47, v91, s[26:27]
; %bb.889:                              ;   in Loop: Header=BB14_881 Depth=2
	s_or_b64 exec, exec, s[94:95]
	v_lshlrev_b32_e32 v58, 16, v58
	v_lshlrev_b32_e32 v90, 16, v90
	v_max_f32_e32 v90, v90, v90
	v_max_f32_e32 v58, v58, v58
	v_min_f32_e32 v91, v58, v90
	v_max_f32_e32 v58, v58, v90
	v_cndmask_b32_e32 v90, v58, v91, vcc
	v_and_b32_e32 v58, 0x7f800000, v90
	v_cmp_ne_u32_e64 s[26:27], s66, v58
                                        ; implicit-def: $vgpr58
	s_and_saveexec_b64 s[94:95], s[26:27]
	s_xor_b64 s[26:27], exec, s[94:95]
; %bb.890:                              ;   in Loop: Header=BB14_881 Depth=2
	v_bfe_u32 v58, v90, 16, 1
	v_add3_u32 v58, v90, v58, s67
                                        ; implicit-def: $vgpr90
; %bb.891:                              ;   in Loop: Header=BB14_881 Depth=2
	s_andn2_saveexec_b64 s[94:95], s[26:27]
; %bb.892:                              ;   in Loop: Header=BB14_881 Depth=2
	v_or_b32_e32 v58, 0x10000, v90
	v_cmp_eq_u32_sdwa s[26:27], v90, v3 src0_sel:WORD_0 src1_sel:DWORD
	s_nop 1
	v_cndmask_b32_e64 v58, v58, v90, s[26:27]
; %bb.893:                              ;   in Loop: Header=BB14_881 Depth=2
	s_or_b64 exec, exec, s[94:95]
	v_lshlrev_b32_e32 v61, 16, v61
	v_lshlrev_b32_e32 v89, 16, v89
	v_max_f32_e32 v89, v89, v89
	v_max_f32_e32 v61, v61, v61
	v_min_f32_e32 v90, v61, v89
	v_max_f32_e32 v61, v61, v89
	v_cndmask_b32_e32 v89, v61, v90, vcc
	v_and_b32_e32 v61, 0x7f800000, v89
	v_cmp_ne_u32_e64 s[26:27], s66, v61
                                        ; implicit-def: $vgpr61
	s_and_saveexec_b64 s[94:95], s[26:27]
	s_xor_b64 s[26:27], exec, s[94:95]
; %bb.894:                              ;   in Loop: Header=BB14_881 Depth=2
	v_bfe_u32 v61, v89, 16, 1
	v_add3_u32 v61, v89, v61, s67
                                        ; implicit-def: $vgpr89
; %bb.895:                              ;   in Loop: Header=BB14_881 Depth=2
	s_andn2_saveexec_b64 s[94:95], s[26:27]
; %bb.896:                              ;   in Loop: Header=BB14_881 Depth=2
	v_or_b32_e32 v61, 0x10000, v89
	v_cmp_eq_u32_sdwa s[26:27], v89, v3 src0_sel:WORD_0 src1_sel:DWORD
	s_nop 1
	v_cndmask_b32_e64 v61, v61, v89, s[26:27]
; %bb.897:                              ;   in Loop: Header=BB14_881 Depth=2
	s_or_b64 exec, exec, s[94:95]
	v_lshlrev_b32_e32 v79, 16, v79
	v_lshlrev_b32_e32 v88, 16, v88
	v_max_f32_e32 v88, v88, v88
	v_max_f32_e32 v79, v79, v79
	v_min_f32_e32 v89, v79, v88
	v_max_f32_e32 v79, v79, v88
	v_cndmask_b32_e32 v88, v79, v89, vcc
	v_and_b32_e32 v79, 0x7f800000, v88
	v_cmp_ne_u32_e64 s[26:27], s66, v79
                                        ; implicit-def: $vgpr79
	s_and_saveexec_b64 s[94:95], s[26:27]
	s_xor_b64 s[26:27], exec, s[94:95]
; %bb.898:                              ;   in Loop: Header=BB14_881 Depth=2
	v_bfe_u32 v79, v88, 16, 1
	v_add3_u32 v79, v88, v79, s67
                                        ; implicit-def: $vgpr88
; %bb.899:                              ;   in Loop: Header=BB14_881 Depth=2
	s_andn2_saveexec_b64 s[94:95], s[26:27]
; %bb.900:                              ;   in Loop: Header=BB14_881 Depth=2
	v_or_b32_e32 v79, 0x10000, v88
	v_cmp_eq_u32_sdwa s[26:27], v88, v3 src0_sel:WORD_0 src1_sel:DWORD
	s_nop 1
	v_cndmask_b32_e64 v79, v79, v88, s[26:27]
; %bb.901:                              ;   in Loop: Header=BB14_881 Depth=2
	s_or_b64 exec, exec, s[94:95]
	v_lshlrev_b32_e32 v59, 16, v59
	v_lshlrev_b32_e32 v60, 16, v60
	v_max_f32_e32 v60, v60, v60
	v_max_f32_e32 v59, v59, v59
	v_min_f32_e32 v88, v59, v60
	v_max_f32_e32 v59, v59, v60
	v_cndmask_b32_e32 v60, v59, v88, vcc
	v_and_b32_e32 v59, 0x7f800000, v60
	v_cmp_ne_u32_e64 s[26:27], s66, v59
                                        ; implicit-def: $vgpr59
	s_and_saveexec_b64 s[94:95], s[26:27]
	s_xor_b64 s[26:27], exec, s[94:95]
; %bb.902:                              ;   in Loop: Header=BB14_881 Depth=2
	v_bfe_u32 v59, v60, 16, 1
	v_add3_u32 v59, v60, v59, s67
                                        ; implicit-def: $vgpr60
; %bb.903:                              ;   in Loop: Header=BB14_881 Depth=2
	s_andn2_saveexec_b64 s[94:95], s[26:27]
; %bb.904:                              ;   in Loop: Header=BB14_881 Depth=2
	v_or_b32_e32 v59, 0x10000, v60
	v_cmp_eq_u32_sdwa s[26:27], v60, v3 src0_sel:WORD_0 src1_sel:DWORD
	s_nop 1
	v_cndmask_b32_e64 v59, v59, v60, s[26:27]
; %bb.905:                              ;   in Loop: Header=BB14_881 Depth=2
	s_or_b64 exec, exec, s[94:95]
	v_lshlrev_b32_e32 v56, 16, v56
	v_lshlrev_b32_e32 v57, 16, v57
	v_max_f32_e32 v57, v57, v57
	v_max_f32_e32 v56, v56, v56
	v_min_f32_e32 v60, v56, v57
	v_max_f32_e32 v56, v56, v57
	v_cndmask_b32_e32 v57, v56, v60, vcc
	v_and_b32_e32 v56, 0x7f800000, v57
	v_cmp_ne_u32_e64 s[26:27], s66, v56
                                        ; implicit-def: $vgpr56
	s_and_saveexec_b64 s[94:95], s[26:27]
	s_xor_b64 s[26:27], exec, s[94:95]
; %bb.906:                              ;   in Loop: Header=BB14_881 Depth=2
	v_bfe_u32 v56, v57, 16, 1
	v_add3_u32 v56, v57, v56, s67
                                        ; implicit-def: $vgpr57
; %bb.907:                              ;   in Loop: Header=BB14_881 Depth=2
	s_andn2_saveexec_b64 s[94:95], s[26:27]
; %bb.908:                              ;   in Loop: Header=BB14_881 Depth=2
	v_or_b32_e32 v56, 0x10000, v57
	v_cmp_eq_u32_sdwa s[26:27], v57, v3 src0_sel:WORD_0 src1_sel:DWORD
	s_nop 1
	v_cndmask_b32_e64 v56, v56, v57, s[26:27]
; %bb.909:                              ;   in Loop: Header=BB14_881 Depth=2
	s_or_b64 exec, exec, s[94:95]
	v_lshlrev_b32_e32 v23, 16, v23
	v_lshlrev_b32_e32 v46, 16, v46
	v_max_f32_e32 v46, v46, v46
	v_max_f32_e32 v23, v23, v23
	v_min_f32_e32 v57, v23, v46
	v_max_f32_e32 v23, v23, v46
	v_cndmask_b32_e32 v46, v23, v57, vcc
	v_and_b32_e32 v23, 0x7f800000, v46
	v_cmp_ne_u32_e64 s[26:27], s66, v23
                                        ; implicit-def: $vgpr23
	s_and_saveexec_b64 s[94:95], s[26:27]
	s_xor_b64 s[26:27], exec, s[94:95]
; %bb.910:                              ;   in Loop: Header=BB14_881 Depth=2
	v_bfe_u32 v23, v46, 16, 1
	v_add3_u32 v23, v46, v23, s67
                                        ; implicit-def: $vgpr46
; %bb.911:                              ;   in Loop: Header=BB14_881 Depth=2
	s_andn2_saveexec_b64 s[94:95], s[26:27]
	s_cbranch_execz .LBB14_880
; %bb.912:                              ;   in Loop: Header=BB14_881 Depth=2
	v_or_b32_e32 v23, 0x10000, v46
	v_cmp_eq_u32_sdwa s[26:27], v46, v3 src0_sel:WORD_0 src1_sel:DWORD
	s_nop 1
	v_cndmask_b32_e64 v23, v23, v46, s[26:27]
	s_branch .LBB14_880
.LBB14_913:                             ;   in Loop: Header=BB14_47 Depth=1
	s_or_b64 exec, exec, s[40:41]
.LBB14_914:                             ;   in Loop: Header=BB14_47 Depth=1
	s_or_b64 exec, exec, s[28:29]
	v_lshlrev_b32_e32 v8, 10, v21
	v_cmp_ne_u32_e32 vcc, v17, v8
	s_and_b64 exec, exec, vcc
	s_cbranch_execz .LBB14_924
; %bb.915:                              ;   in Loop: Header=BB14_47 Depth=1
	v_lshlrev_b32_e32 v9, 6, v19
	v_sub_u32_e32 v9, v18, v9
	v_lshlrev_b32_e32 v10, 6, v20
	v_sub_u32_e32 v9, v9, v10
	v_ashrrev_i32_e32 v10, 31, v9
	v_lshrrev_b32_e32 v10, 26, v10
	v_add_u32_e32 v10, v9, v10
	v_and_b32_e32 v11, 0x7fffffc0, v10
	v_sub_u32_e32 v9, v9, v11
	v_lshlrev_b32_e32 v10, 1, v10
	v_and_b32_e32 v10, 0xffffff80, v10
	v_lshlrev_b32_e32 v9, 1, v9
	v_add3_u32 v8, v10, v9, v8
	v_sub_u32_e32 v17, v17, v8
	v_cmp_lt_i32_e32 vcc, 1, v17
	s_and_b64 exec, exec, vcc
	s_cbranch_execz .LBB14_924
; %bb.916:                              ;   in Loop: Header=BB14_47 Depth=1
	s_trap 2
	ds_read_b64 v[18:19], v0
	v_add_u32_e32 v14, v8, v16
	s_and_b32 s56, s48, 1
	v_ashrrev_i32_e32 v15, 31, v14
	s_cmp_eq_u64 s[56:57], 0
	v_lshl_add_u64 v[8:9], v[14:15], 0, v[42:43]
	v_lshl_add_u64 v[10:11], v[14:15], 0, v[44:45]
	;; [unrolled: 1-line block ×3, first 2 shown]
	s_waitcnt lgkmcnt(0)
	v_lshl_add_u64 v[14:15], v[18:19], 0, v[14:15]
	s_mov_b64 s[94:95], 0
	s_cselect_b64 s[26:27], -1, 0
.LBB14_917:                             ;   Parent Loop BB14_47 Depth=1
                                        ; =>  This Loop Header: Depth=2
                                        ;       Child Loop BB14_922 Depth 3
	flat_load_ushort v16, v[14:15] nt
	flat_load_ushort v18, v[12:13] nt
	s_waitcnt vmcnt(0) lgkmcnt(0)
	v_lshlrev_b32_e32 v16, 16, v16
	v_lshlrev_b32_e32 v18, 16, v18
	v_max_f32_e32 v16, v16, v16
	v_max_f32_e32 v18, v18, v18
	v_min_f32_e32 v19, v18, v16
	v_max_f32_e32 v16, v18, v16
	v_cndmask_b32_e64 v16, v16, v19, s[26:27]
	v_and_b32_e32 v18, 0x7f800000, v16
	v_cmp_ne_u32_e32 vcc, s66, v18
                                        ; implicit-def: $vgpr18
	s_and_saveexec_b64 s[28:29], vcc
	s_xor_b64 s[28:29], exec, s[28:29]
; %bb.918:                              ;   in Loop: Header=BB14_917 Depth=2
	v_bfe_u32 v18, v16, 16, 1
	v_add3_u32 v18, v16, v18, s67
                                        ; implicit-def: $vgpr16
; %bb.919:                              ;   in Loop: Header=BB14_917 Depth=2
	s_andn2_saveexec_b64 s[28:29], s[28:29]
; %bb.920:                              ;   in Loop: Header=BB14_917 Depth=2
	v_or_b32_e32 v18, 0x10000, v16
	v_cmp_eq_u32_sdwa vcc, v16, v3 src0_sel:WORD_0 src1_sel:DWORD
	s_nop 1
	v_cndmask_b32_e32 v18, v18, v16, vcc
; %bb.921:                              ;   in Loop: Header=BB14_917 Depth=2
	s_or_b64 exec, exec, s[28:29]
	v_lshrrev_b32_e32 v16, 16, v18
	s_mov_b64 s[34:35], 0
	s_mov_b64 s[30:31], -1
.LBB14_922:                             ;   Parent Loop BB14_47 Depth=1
                                        ;     Parent Loop BB14_917 Depth=2
                                        ; =>    This Inner Loop Header: Depth=3
	s_cmp_eq_u32 s34, 1
	s_cselect_b64 vcc, -1, 0
	v_cndmask_b32_e32 v19, v9, v11, vcc
	s_cmp_eq_u32 s34, 0
	v_cndmask_b32_e32 v18, v8, v10, vcc
	flat_store_short v[18:19], v16 nt
	v_lshl_add_u64 v[18:19], v[18:19], 0, s[72:73]
	s_cselect_b64 s[28:29], -1, 0
	s_and_b64 s[40:41], exec, s[30:31]
	s_mov_b64 s[34:35], 1
	s_mov_b64 s[30:31], 0
	v_cndmask_b32_e32 v11, v11, v19, vcc
	v_cndmask_b32_e32 v10, v10, v18, vcc
	v_cndmask_b32_e64 v9, v9, v19, s[28:29]
	v_cndmask_b32_e64 v8, v8, v18, s[28:29]
	s_mov_b64 vcc, s[40:41]
	s_cbranch_vccnz .LBB14_922
; %bb.923:                              ;   in Loop: Header=BB14_917 Depth=2
	v_sub_u32_e32 v17, v17, v70
	v_cmp_gt_i32_e32 vcc, 2, v17
	v_lshl_add_u64 v[12:13], v[12:13], 0, v[100:101]
	v_lshl_add_u64 v[14:15], v[14:15], 0, v[100:101]
	;; [unrolled: 1-line block ×3, first 2 shown]
	s_or_b64 s[94:95], vcc, s[94:95]
	v_lshl_add_u64 v[10:11], v[10:11], 0, v[96:97]
	s_andn2_b64 exec, exec, s[94:95]
	s_cbranch_execnz .LBB14_917
.LBB14_924:                             ;   in Loop: Header=BB14_47 Depth=1
	s_or_b64 exec, exec, s[42:43]
	s_branch .LBB14_756
.LBB14_925:                             ;   in Loop: Header=BB14_47 Depth=1
	s_mov_b64 s[28:29], -1
	s_and_saveexec_b64 s[26:27], s[20:21]
	s_cbranch_execz .LBB14_927
; %bb.926:                              ;   in Loop: Header=BB14_47 Depth=1
	ds_read_b32 v8, v0 offset:720
	s_waitcnt lgkmcnt(0)
	v_and_b32_e32 v8, 15, v8
	v_cmp_eq_u32_e32 vcc, 0, v8
	s_orn2_b64 s[28:29], vcc, exec
.LBB14_927:                             ;   in Loop: Header=BB14_47 Depth=1
	s_or_b64 exec, exec, s[26:27]
	s_and_saveexec_b64 s[26:27], s[16:17]
	s_cbranch_execz .LBB14_929
; %bb.928:                              ;   in Loop: Header=BB14_47 Depth=1
	ds_read_b32 v8, v0 offset:784
	s_waitcnt lgkmcnt(0)
	v_and_b32_e32 v8, 15, v8
	v_cmp_eq_u32_e32 vcc, 0, v8
	s_and_b64 s[40:41], s[28:29], vcc
	s_andn2_b64 s[28:29], s[28:29], exec
	s_and_b64 s[40:41], s[40:41], exec
	s_or_b64 s[28:29], s[28:29], s[40:41]
.LBB14_929:                             ;   in Loop: Header=BB14_47 Depth=1
	s_or_b64 exec, exec, s[26:27]
	s_xor_b64 s[28:29], s[28:29], -1
	v_cndmask_b32_e64 v8, 0, 1, s[28:29]
	s_mov_b64 s[26:27], -1
	v_mov_b32_e32 v14, 0
	v_cmp_ne_u32_e32 vcc, 0, v8
	s_cbranch_vccz .LBB14_931
; %bb.930:                              ;   in Loop: Header=BB14_47 Depth=1
	v_mov_b32_e32 v15, v0
	s_and_saveexec_b64 s[28:29], s[26:27]
	s_cbranch_execnz .LBB14_1038
	s_branch .LBB14_1082
.LBB14_931:                             ;   in Loop: Header=BB14_47 Depth=1
	v_ashrrev_i32_e32 v8, 31, v119
	v_lshrrev_b32_e32 v8, 21, v8
	v_add_u32_e32 v8, v119, v8
	v_ashrrev_i32_e32 v59, 11, v8
	v_sub_u32_e32 v58, v59, v72
	v_cmp_lt_i32_e32 vcc, 0, v58
	s_and_saveexec_b64 s[28:29], vcc
	s_cbranch_execz .LBB14_999
; %bb.932:                              ;   in Loop: Header=BB14_47 Depth=1
	s_trap 2
	ds_read_b64 v[8:9], v0
	s_and_b32 s56, s48, 1
	s_cmp_eq_u64 s[56:57], 0
	v_lshl_add_u64 v[44:45], v[40:41], 0, v[80:81]
	v_lshl_add_u64 v[46:47], v[42:43], 0, v[80:81]
	s_waitcnt lgkmcnt(0)
	v_lshl_add_u64 v[56:57], v[8:9], 0, v[80:81]
	s_mov_b64 s[40:41], 0
	s_cselect_b64 vcc, -1, 0
	s_branch .LBB14_934
.LBB14_933:                             ;   in Loop: Header=BB14_934 Depth=2
	s_or_b64 exec, exec, s[42:43]
	v_lshrrev_b32_e32 v15, 16, v20
	v_and_or_b32 v17, v17, s68, v15
	v_lshrrev_b32_e32 v15, 16, v60
	v_lshrrev_b32_e32 v12, 16, v12
	v_and_or_b32 v16, v16, s68, v15
	v_lshrrev_b32_e32 v15, 16, v21
	v_and_or_b32 v9, v9, s68, v12
	;; [unrolled: 2-line block ×4, first 2 shown]
	v_lshrrev_b32_e32 v12, 16, v13
	v_sub_u32_e32 v58, v58, v52
	v_and_or_b32 v19, v19, s68, v15
	v_and_or_b32 v10, v10, s68, v12
	v_lshrrev_b32_e32 v12, 16, v14
	v_cmp_gt_i32_e64 s[26:27], 1, v58
	v_and_or_b32 v11, v11, s68, v12
	global_store_dwordx4 v[46:47], v[16:19], off
	global_store_dwordx4 v[46:47], v[8:11], off offset:1024
	v_lshl_add_u64 v[44:45], v[44:45], 0, v[82:83]
	v_lshl_add_u64 v[56:57], v[56:57], 0, v[82:83]
	s_or_b64 s[40:41], s[26:27], s[40:41]
	v_lshl_add_u64 v[46:47], v[46:47], 0, v[82:83]
	s_andn2_b64 exec, exec, s[40:41]
	s_cbranch_execz .LBB14_998
.LBB14_934:                             ;   Parent Loop BB14_47 Depth=1
                                        ; =>  This Inner Loop Header: Depth=2
	global_load_dwordx4 v[16:19], v[44:45], off nt
	global_load_dwordx4 v[20:23], v[56:57], off nt
	global_load_dwordx4 v[8:11], v[44:45], off offset:1024 nt
	global_load_dwordx4 v[12:15], v[56:57], off offset:1024 nt
	s_waitcnt vmcnt(0)
	v_lshlrev_b32_e32 v60, 16, v16
	v_lshlrev_b32_e32 v61, 16, v20
	v_max_f32_e32 v61, v61, v61
	v_max_f32_e32 v60, v60, v60
	v_min_f32_e32 v79, v60, v61
	v_max_f32_e32 v60, v60, v61
	v_cndmask_b32_e32 v61, v60, v79, vcc
	v_and_b32_e32 v60, 0x7f800000, v61
	v_cmp_ne_u32_e64 s[26:27], s66, v60
                                        ; implicit-def: $vgpr60
	s_and_saveexec_b64 s[42:43], s[26:27]
	s_xor_b64 s[26:27], exec, s[42:43]
; %bb.935:                              ;   in Loop: Header=BB14_934 Depth=2
	v_bfe_u32 v60, v61, 16, 1
	v_add3_u32 v60, v61, v60, s67
                                        ; implicit-def: $vgpr61
; %bb.936:                              ;   in Loop: Header=BB14_934 Depth=2
	s_andn2_saveexec_b64 s[42:43], s[26:27]
; %bb.937:                              ;   in Loop: Header=BB14_934 Depth=2
	v_or_b32_e32 v60, 0x10000, v61
	v_cmp_eq_u32_sdwa s[26:27], v61, v3 src0_sel:WORD_0 src1_sel:DWORD
	s_nop 1
	v_cndmask_b32_e64 v60, v60, v61, s[26:27]
; %bb.938:                              ;   in Loop: Header=BB14_934 Depth=2
	s_or_b64 exec, exec, s[42:43]
	v_and_b32_e32 v16, 0xffff0000, v16
	v_and_b32_e32 v20, 0xffff0000, v20
	v_max_f32_e32 v20, v20, v20
	v_max_f32_e32 v16, v16, v16
	v_min_f32_e32 v61, v16, v20
	v_max_f32_e32 v16, v16, v20
	v_cndmask_b32_e32 v20, v16, v61, vcc
	v_and_b32_e32 v16, 0x7f800000, v20
	v_cmp_ne_u32_e64 s[26:27], s66, v16
                                        ; implicit-def: $vgpr16
	s_and_saveexec_b64 s[42:43], s[26:27]
	s_xor_b64 s[26:27], exec, s[42:43]
; %bb.939:                              ;   in Loop: Header=BB14_934 Depth=2
	v_bfe_u32 v16, v20, 16, 1
	v_add3_u32 v16, v20, v16, s67
                                        ; implicit-def: $vgpr20
; %bb.940:                              ;   in Loop: Header=BB14_934 Depth=2
	s_andn2_saveexec_b64 s[42:43], s[26:27]
; %bb.941:                              ;   in Loop: Header=BB14_934 Depth=2
	v_or_b32_e32 v16, 0x10000, v20
	v_cmp_eq_u32_sdwa s[26:27], v20, v3 src0_sel:WORD_0 src1_sel:DWORD
	s_nop 1
	v_cndmask_b32_e64 v16, v16, v20, s[26:27]
; %bb.942:                              ;   in Loop: Header=BB14_934 Depth=2
	s_or_b64 exec, exec, s[42:43]
	v_lshlrev_b32_e32 v20, 16, v17
	v_lshlrev_b32_e32 v61, 16, v21
	v_max_f32_e32 v61, v61, v61
	v_max_f32_e32 v20, v20, v20
	v_min_f32_e32 v79, v20, v61
	v_max_f32_e32 v20, v20, v61
	v_cndmask_b32_e32 v61, v20, v79, vcc
	v_and_b32_e32 v20, 0x7f800000, v61
	v_cmp_ne_u32_e64 s[26:27], s66, v20
                                        ; implicit-def: $vgpr20
	s_and_saveexec_b64 s[42:43], s[26:27]
	s_xor_b64 s[26:27], exec, s[42:43]
; %bb.943:                              ;   in Loop: Header=BB14_934 Depth=2
	v_bfe_u32 v20, v61, 16, 1
	v_add3_u32 v20, v61, v20, s67
                                        ; implicit-def: $vgpr61
; %bb.944:                              ;   in Loop: Header=BB14_934 Depth=2
	s_andn2_saveexec_b64 s[42:43], s[26:27]
; %bb.945:                              ;   in Loop: Header=BB14_934 Depth=2
	v_or_b32_e32 v20, 0x10000, v61
	v_cmp_eq_u32_sdwa s[26:27], v61, v3 src0_sel:WORD_0 src1_sel:DWORD
	s_nop 1
	v_cndmask_b32_e64 v20, v20, v61, s[26:27]
; %bb.946:                              ;   in Loop: Header=BB14_934 Depth=2
	s_or_b64 exec, exec, s[42:43]
	v_and_b32_e32 v17, 0xffff0000, v17
	v_and_b32_e32 v21, 0xffff0000, v21
	v_max_f32_e32 v21, v21, v21
	v_max_f32_e32 v17, v17, v17
	v_min_f32_e32 v61, v17, v21
	v_max_f32_e32 v17, v17, v21
	v_cndmask_b32_e32 v21, v17, v61, vcc
	v_and_b32_e32 v17, 0x7f800000, v21
	v_cmp_ne_u32_e64 s[26:27], s66, v17
                                        ; implicit-def: $vgpr17
	s_and_saveexec_b64 s[42:43], s[26:27]
	s_xor_b64 s[26:27], exec, s[42:43]
; %bb.947:                              ;   in Loop: Header=BB14_934 Depth=2
	v_bfe_u32 v17, v21, 16, 1
	v_add3_u32 v17, v21, v17, s67
                                        ; implicit-def: $vgpr21
; %bb.948:                              ;   in Loop: Header=BB14_934 Depth=2
	s_andn2_saveexec_b64 s[42:43], s[26:27]
; %bb.949:                              ;   in Loop: Header=BB14_934 Depth=2
	v_or_b32_e32 v17, 0x10000, v21
	v_cmp_eq_u32_sdwa s[26:27], v21, v3 src0_sel:WORD_0 src1_sel:DWORD
	s_nop 1
	v_cndmask_b32_e64 v17, v17, v21, s[26:27]
; %bb.950:                              ;   in Loop: Header=BB14_934 Depth=2
	s_or_b64 exec, exec, s[42:43]
	v_lshlrev_b32_e32 v21, 16, v18
	v_lshlrev_b32_e32 v61, 16, v22
	v_max_f32_e32 v61, v61, v61
	v_max_f32_e32 v21, v21, v21
	v_min_f32_e32 v79, v21, v61
	v_max_f32_e32 v21, v21, v61
	v_cndmask_b32_e32 v61, v21, v79, vcc
	v_and_b32_e32 v21, 0x7f800000, v61
	v_cmp_ne_u32_e64 s[26:27], s66, v21
                                        ; implicit-def: $vgpr21
	s_and_saveexec_b64 s[42:43], s[26:27]
	s_xor_b64 s[26:27], exec, s[42:43]
; %bb.951:                              ;   in Loop: Header=BB14_934 Depth=2
	v_bfe_u32 v21, v61, 16, 1
	v_add3_u32 v21, v61, v21, s67
                                        ; implicit-def: $vgpr61
; %bb.952:                              ;   in Loop: Header=BB14_934 Depth=2
	s_andn2_saveexec_b64 s[42:43], s[26:27]
; %bb.953:                              ;   in Loop: Header=BB14_934 Depth=2
	v_or_b32_e32 v21, 0x10000, v61
	v_cmp_eq_u32_sdwa s[26:27], v61, v3 src0_sel:WORD_0 src1_sel:DWORD
	s_nop 1
	v_cndmask_b32_e64 v21, v21, v61, s[26:27]
; %bb.954:                              ;   in Loop: Header=BB14_934 Depth=2
	s_or_b64 exec, exec, s[42:43]
	v_and_b32_e32 v18, 0xffff0000, v18
	v_and_b32_e32 v22, 0xffff0000, v22
	v_max_f32_e32 v22, v22, v22
	v_max_f32_e32 v18, v18, v18
	v_min_f32_e32 v61, v18, v22
	v_max_f32_e32 v18, v18, v22
	v_cndmask_b32_e32 v22, v18, v61, vcc
	v_and_b32_e32 v18, 0x7f800000, v22
	v_cmp_ne_u32_e64 s[26:27], s66, v18
                                        ; implicit-def: $vgpr18
	s_and_saveexec_b64 s[42:43], s[26:27]
	s_xor_b64 s[26:27], exec, s[42:43]
; %bb.955:                              ;   in Loop: Header=BB14_934 Depth=2
	v_bfe_u32 v18, v22, 16, 1
	v_add3_u32 v18, v22, v18, s67
                                        ; implicit-def: $vgpr22
; %bb.956:                              ;   in Loop: Header=BB14_934 Depth=2
	s_andn2_saveexec_b64 s[42:43], s[26:27]
; %bb.957:                              ;   in Loop: Header=BB14_934 Depth=2
	v_or_b32_e32 v18, 0x10000, v22
	v_cmp_eq_u32_sdwa s[26:27], v22, v3 src0_sel:WORD_0 src1_sel:DWORD
	s_nop 1
	v_cndmask_b32_e64 v18, v18, v22, s[26:27]
; %bb.958:                              ;   in Loop: Header=BB14_934 Depth=2
	s_or_b64 exec, exec, s[42:43]
	v_lshlrev_b32_e32 v22, 16, v19
	v_lshlrev_b32_e32 v61, 16, v23
	v_max_f32_e32 v61, v61, v61
	v_max_f32_e32 v22, v22, v22
	v_min_f32_e32 v79, v22, v61
	v_max_f32_e32 v22, v22, v61
	v_cndmask_b32_e32 v61, v22, v79, vcc
	v_and_b32_e32 v22, 0x7f800000, v61
	v_cmp_ne_u32_e64 s[26:27], s66, v22
                                        ; implicit-def: $vgpr22
	s_and_saveexec_b64 s[42:43], s[26:27]
	s_xor_b64 s[26:27], exec, s[42:43]
; %bb.959:                              ;   in Loop: Header=BB14_934 Depth=2
	v_bfe_u32 v22, v61, 16, 1
	v_add3_u32 v22, v61, v22, s67
                                        ; implicit-def: $vgpr61
; %bb.960:                              ;   in Loop: Header=BB14_934 Depth=2
	s_andn2_saveexec_b64 s[42:43], s[26:27]
; %bb.961:                              ;   in Loop: Header=BB14_934 Depth=2
	v_or_b32_e32 v22, 0x10000, v61
	v_cmp_eq_u32_sdwa s[26:27], v61, v3 src0_sel:WORD_0 src1_sel:DWORD
	s_nop 1
	v_cndmask_b32_e64 v22, v22, v61, s[26:27]
; %bb.962:                              ;   in Loop: Header=BB14_934 Depth=2
	s_or_b64 exec, exec, s[42:43]
	v_and_b32_e32 v19, 0xffff0000, v19
	v_and_b32_e32 v23, 0xffff0000, v23
	v_max_f32_e32 v23, v23, v23
	v_max_f32_e32 v19, v19, v19
	v_min_f32_e32 v61, v19, v23
	v_max_f32_e32 v19, v19, v23
	v_cndmask_b32_e32 v23, v19, v61, vcc
	v_and_b32_e32 v19, 0x7f800000, v23
	v_cmp_ne_u32_e64 s[26:27], s66, v19
                                        ; implicit-def: $vgpr19
	s_and_saveexec_b64 s[42:43], s[26:27]
	s_xor_b64 s[26:27], exec, s[42:43]
; %bb.963:                              ;   in Loop: Header=BB14_934 Depth=2
	v_bfe_u32 v19, v23, 16, 1
	v_add3_u32 v19, v23, v19, s67
                                        ; implicit-def: $vgpr23
; %bb.964:                              ;   in Loop: Header=BB14_934 Depth=2
	s_andn2_saveexec_b64 s[42:43], s[26:27]
; %bb.965:                              ;   in Loop: Header=BB14_934 Depth=2
	v_or_b32_e32 v19, 0x10000, v23
	v_cmp_eq_u32_sdwa s[26:27], v23, v3 src0_sel:WORD_0 src1_sel:DWORD
	s_nop 1
	v_cndmask_b32_e64 v19, v19, v23, s[26:27]
; %bb.966:                              ;   in Loop: Header=BB14_934 Depth=2
	s_or_b64 exec, exec, s[42:43]
	v_lshlrev_b32_e32 v23, 16, v8
	v_lshlrev_b32_e32 v61, 16, v12
	v_max_f32_e32 v61, v61, v61
	v_max_f32_e32 v23, v23, v23
	v_min_f32_e32 v79, v23, v61
	v_max_f32_e32 v23, v23, v61
	v_cndmask_b32_e32 v61, v23, v79, vcc
	v_and_b32_e32 v23, 0x7f800000, v61
	v_cmp_ne_u32_e64 s[26:27], s66, v23
                                        ; implicit-def: $vgpr23
	s_and_saveexec_b64 s[42:43], s[26:27]
	s_xor_b64 s[26:27], exec, s[42:43]
; %bb.967:                              ;   in Loop: Header=BB14_934 Depth=2
	v_bfe_u32 v23, v61, 16, 1
	v_add3_u32 v23, v61, v23, s67
                                        ; implicit-def: $vgpr61
; %bb.968:                              ;   in Loop: Header=BB14_934 Depth=2
	s_andn2_saveexec_b64 s[42:43], s[26:27]
; %bb.969:                              ;   in Loop: Header=BB14_934 Depth=2
	v_or_b32_e32 v23, 0x10000, v61
	v_cmp_eq_u32_sdwa s[26:27], v61, v3 src0_sel:WORD_0 src1_sel:DWORD
	s_nop 1
	v_cndmask_b32_e64 v23, v23, v61, s[26:27]
; %bb.970:                              ;   in Loop: Header=BB14_934 Depth=2
	s_or_b64 exec, exec, s[42:43]
	v_and_b32_e32 v8, 0xffff0000, v8
	v_and_b32_e32 v12, 0xffff0000, v12
	v_max_f32_e32 v12, v12, v12
	v_max_f32_e32 v8, v8, v8
	v_min_f32_e32 v61, v8, v12
	v_max_f32_e32 v8, v8, v12
	v_cndmask_b32_e32 v12, v8, v61, vcc
	v_and_b32_e32 v8, 0x7f800000, v12
	v_cmp_ne_u32_e64 s[26:27], s66, v8
                                        ; implicit-def: $vgpr8
	s_and_saveexec_b64 s[42:43], s[26:27]
	s_xor_b64 s[26:27], exec, s[42:43]
; %bb.971:                              ;   in Loop: Header=BB14_934 Depth=2
	v_bfe_u32 v8, v12, 16, 1
	v_add3_u32 v8, v12, v8, s67
                                        ; implicit-def: $vgpr12
; %bb.972:                              ;   in Loop: Header=BB14_934 Depth=2
	s_andn2_saveexec_b64 s[42:43], s[26:27]
; %bb.973:                              ;   in Loop: Header=BB14_934 Depth=2
	v_or_b32_e32 v8, 0x10000, v12
	v_cmp_eq_u32_sdwa s[26:27], v12, v3 src0_sel:WORD_0 src1_sel:DWORD
	s_nop 1
	v_cndmask_b32_e64 v8, v8, v12, s[26:27]
; %bb.974:                              ;   in Loop: Header=BB14_934 Depth=2
	s_or_b64 exec, exec, s[42:43]
	v_lshlrev_b32_e32 v12, 16, v9
	v_lshlrev_b32_e32 v61, 16, v13
	v_max_f32_e32 v61, v61, v61
	v_max_f32_e32 v12, v12, v12
	v_min_f32_e32 v79, v12, v61
	v_max_f32_e32 v12, v12, v61
	v_cndmask_b32_e32 v61, v12, v79, vcc
	v_and_b32_e32 v12, 0x7f800000, v61
	v_cmp_ne_u32_e64 s[26:27], s66, v12
                                        ; implicit-def: $vgpr12
	s_and_saveexec_b64 s[42:43], s[26:27]
	s_xor_b64 s[26:27], exec, s[42:43]
; %bb.975:                              ;   in Loop: Header=BB14_934 Depth=2
	v_bfe_u32 v12, v61, 16, 1
	v_add3_u32 v12, v61, v12, s67
                                        ; implicit-def: $vgpr61
; %bb.976:                              ;   in Loop: Header=BB14_934 Depth=2
	s_andn2_saveexec_b64 s[42:43], s[26:27]
; %bb.977:                              ;   in Loop: Header=BB14_934 Depth=2
	v_or_b32_e32 v12, 0x10000, v61
	v_cmp_eq_u32_sdwa s[26:27], v61, v3 src0_sel:WORD_0 src1_sel:DWORD
	s_nop 1
	v_cndmask_b32_e64 v12, v12, v61, s[26:27]
; %bb.978:                              ;   in Loop: Header=BB14_934 Depth=2
	s_or_b64 exec, exec, s[42:43]
	v_and_b32_e32 v9, 0xffff0000, v9
	v_and_b32_e32 v13, 0xffff0000, v13
	v_max_f32_e32 v13, v13, v13
	v_max_f32_e32 v9, v9, v9
	v_min_f32_e32 v61, v9, v13
	v_max_f32_e32 v9, v9, v13
	v_cndmask_b32_e32 v13, v9, v61, vcc
	v_and_b32_e32 v9, 0x7f800000, v13
	v_cmp_ne_u32_e64 s[26:27], s66, v9
                                        ; implicit-def: $vgpr9
	s_and_saveexec_b64 s[42:43], s[26:27]
	s_xor_b64 s[26:27], exec, s[42:43]
; %bb.979:                              ;   in Loop: Header=BB14_934 Depth=2
	v_bfe_u32 v9, v13, 16, 1
	v_add3_u32 v9, v13, v9, s67
                                        ; implicit-def: $vgpr13
; %bb.980:                              ;   in Loop: Header=BB14_934 Depth=2
	s_andn2_saveexec_b64 s[42:43], s[26:27]
; %bb.981:                              ;   in Loop: Header=BB14_934 Depth=2
	v_or_b32_e32 v9, 0x10000, v13
	v_cmp_eq_u32_sdwa s[26:27], v13, v3 src0_sel:WORD_0 src1_sel:DWORD
	s_nop 1
	v_cndmask_b32_e64 v9, v9, v13, s[26:27]
; %bb.982:                              ;   in Loop: Header=BB14_934 Depth=2
	s_or_b64 exec, exec, s[42:43]
	v_lshlrev_b32_e32 v13, 16, v10
	v_lshlrev_b32_e32 v61, 16, v14
	v_max_f32_e32 v61, v61, v61
	v_max_f32_e32 v13, v13, v13
	v_min_f32_e32 v79, v13, v61
	v_max_f32_e32 v13, v13, v61
	v_cndmask_b32_e32 v61, v13, v79, vcc
	v_and_b32_e32 v13, 0x7f800000, v61
	v_cmp_ne_u32_e64 s[26:27], s66, v13
                                        ; implicit-def: $vgpr13
	s_and_saveexec_b64 s[42:43], s[26:27]
	s_xor_b64 s[26:27], exec, s[42:43]
; %bb.983:                              ;   in Loop: Header=BB14_934 Depth=2
	v_bfe_u32 v13, v61, 16, 1
	v_add3_u32 v13, v61, v13, s67
                                        ; implicit-def: $vgpr61
; %bb.984:                              ;   in Loop: Header=BB14_934 Depth=2
	s_andn2_saveexec_b64 s[42:43], s[26:27]
; %bb.985:                              ;   in Loop: Header=BB14_934 Depth=2
	v_or_b32_e32 v13, 0x10000, v61
	v_cmp_eq_u32_sdwa s[26:27], v61, v3 src0_sel:WORD_0 src1_sel:DWORD
	s_nop 1
	v_cndmask_b32_e64 v13, v13, v61, s[26:27]
; %bb.986:                              ;   in Loop: Header=BB14_934 Depth=2
	s_or_b64 exec, exec, s[42:43]
	v_and_b32_e32 v10, 0xffff0000, v10
	v_and_b32_e32 v14, 0xffff0000, v14
	v_max_f32_e32 v14, v14, v14
	v_max_f32_e32 v10, v10, v10
	v_min_f32_e32 v61, v10, v14
	v_max_f32_e32 v10, v10, v14
	v_cndmask_b32_e32 v14, v10, v61, vcc
	v_and_b32_e32 v10, 0x7f800000, v14
	v_cmp_ne_u32_e64 s[26:27], s66, v10
                                        ; implicit-def: $vgpr10
	s_and_saveexec_b64 s[42:43], s[26:27]
	s_xor_b64 s[26:27], exec, s[42:43]
; %bb.987:                              ;   in Loop: Header=BB14_934 Depth=2
	v_bfe_u32 v10, v14, 16, 1
	v_add3_u32 v10, v14, v10, s67
                                        ; implicit-def: $vgpr14
; %bb.988:                              ;   in Loop: Header=BB14_934 Depth=2
	s_andn2_saveexec_b64 s[42:43], s[26:27]
; %bb.989:                              ;   in Loop: Header=BB14_934 Depth=2
	v_or_b32_e32 v10, 0x10000, v14
	v_cmp_eq_u32_sdwa s[26:27], v14, v3 src0_sel:WORD_0 src1_sel:DWORD
	s_nop 1
	v_cndmask_b32_e64 v10, v10, v14, s[26:27]
; %bb.990:                              ;   in Loop: Header=BB14_934 Depth=2
	s_or_b64 exec, exec, s[42:43]
	v_lshlrev_b32_e32 v14, 16, v11
	v_lshlrev_b32_e32 v61, 16, v15
	v_max_f32_e32 v61, v61, v61
	v_max_f32_e32 v14, v14, v14
	v_min_f32_e32 v79, v14, v61
	v_max_f32_e32 v14, v14, v61
	v_cndmask_b32_e32 v61, v14, v79, vcc
	v_and_b32_e32 v14, 0x7f800000, v61
	v_cmp_ne_u32_e64 s[26:27], s66, v14
                                        ; implicit-def: $vgpr14
	s_and_saveexec_b64 s[42:43], s[26:27]
	s_xor_b64 s[26:27], exec, s[42:43]
; %bb.991:                              ;   in Loop: Header=BB14_934 Depth=2
	v_bfe_u32 v14, v61, 16, 1
	v_add3_u32 v14, v61, v14, s67
                                        ; implicit-def: $vgpr61
; %bb.992:                              ;   in Loop: Header=BB14_934 Depth=2
	s_andn2_saveexec_b64 s[42:43], s[26:27]
; %bb.993:                              ;   in Loop: Header=BB14_934 Depth=2
	v_or_b32_e32 v14, 0x10000, v61
	v_cmp_eq_u32_sdwa s[26:27], v61, v3 src0_sel:WORD_0 src1_sel:DWORD
	s_nop 1
	v_cndmask_b32_e64 v14, v14, v61, s[26:27]
; %bb.994:                              ;   in Loop: Header=BB14_934 Depth=2
	s_or_b64 exec, exec, s[42:43]
	v_and_b32_e32 v11, 0xffff0000, v11
	v_and_b32_e32 v15, 0xffff0000, v15
	v_max_f32_e32 v15, v15, v15
	v_max_f32_e32 v11, v11, v11
	v_min_f32_e32 v61, v11, v15
	v_max_f32_e32 v11, v11, v15
	v_cndmask_b32_e32 v15, v11, v61, vcc
	v_and_b32_e32 v11, 0x7f800000, v15
	v_cmp_ne_u32_e64 s[26:27], s66, v11
                                        ; implicit-def: $vgpr11
	s_and_saveexec_b64 s[42:43], s[26:27]
	s_xor_b64 s[26:27], exec, s[42:43]
; %bb.995:                              ;   in Loop: Header=BB14_934 Depth=2
	v_bfe_u32 v11, v15, 16, 1
	v_add3_u32 v11, v15, v11, s67
                                        ; implicit-def: $vgpr15
; %bb.996:                              ;   in Loop: Header=BB14_934 Depth=2
	s_andn2_saveexec_b64 s[42:43], s[26:27]
	s_cbranch_execz .LBB14_933
; %bb.997:                              ;   in Loop: Header=BB14_934 Depth=2
	v_or_b32_e32 v11, 0x10000, v15
	v_cmp_eq_u32_sdwa s[26:27], v15, v3 src0_sel:WORD_0 src1_sel:DWORD
	s_nop 1
	v_cndmask_b32_e64 v11, v11, v15, s[26:27]
	s_branch .LBB14_933
.LBB14_998:                             ;   in Loop: Header=BB14_47 Depth=1
	s_or_b64 exec, exec, s[40:41]
.LBB14_999:                             ;   in Loop: Header=BB14_47 Depth=1
	s_or_b64 exec, exec, s[28:29]
	v_lshlrev_b32_e32 v22, 11, v59
	v_cmp_ne_u32_e32 vcc, v119, v22
	s_mov_b64 s[26:27], 0
	v_mov_b32_e32 v14, 0
                                        ; implicit-def: $vgpr15
	s_and_saveexec_b64 s[40:41], vcc
	s_cbranch_execz .LBB14_1037
; %bb.1000:                             ;   in Loop: Header=BB14_47 Depth=1
	v_lshlrev_b32_e32 v8, 6, v58
	v_sub_u32_e32 v8, v63, v8
	v_ashrrev_i32_e32 v10, 31, v8
	v_lshrrev_b32_e32 v10, 26, v10
	v_add_u32_e32 v10, v8, v10
	v_sub_u32_e32 v9, v119, v22
	v_ashrrev_i32_e32 v11, 6, v10
	v_and_b32_e32 v10, 0xffffffc0, v10
	v_sub_u32_e32 v23, v8, v10
	v_ashrrev_i32_e32 v10, 31, v9
	v_lshrrev_b32_e32 v10, 22, v10
	v_add_u32_e32 v10, v9, v10
	v_and_b32_e32 v44, 0xfffffc00, v10
	v_lshlrev_b32_e32 v8, 4, v23
	v_sub_u32_e32 v45, v9, v44
	v_lshl_add_u32 v8, v11, 10, v8
	v_ashrrev_i32_e32 v12, 10, v10
	v_cmp_lt_i32_e32 vcc, 15, v45
	v_sub_u32_e32 v47, v9, v8
	s_nop 0
	v_addc_co_u32_e64 v9, s[26:27], 0, v12, vcc
	v_sub_u32_e32 v46, v9, v11
	v_cmp_lt_i32_e64 s[26:27], 15, v47
	s_and_saveexec_b64 s[42:43], s[26:27]
	s_cbranch_execz .LBB14_1036
; %bb.1001:                             ;   in Loop: Header=BB14_47 Depth=1
	s_trap 2
	ds_read_b64 v[10:11], v0
	v_add_u32_e32 v8, v8, v22
	s_and_b32 s56, s48, 1
	v_ashrrev_i32_e32 v9, 31, v8
	s_cmp_eq_u64 s[56:57], 0
	v_lshl_add_u64 v[16:17], v[8:9], 0, v[40:41]
	s_waitcnt lgkmcnt(0)
	v_lshl_add_u64 v[18:19], v[10:11], 0, v[8:9]
	v_lshl_add_u64 v[20:21], v[8:9], 0, v[42:43]
	s_mov_b64 s[94:95], 0
	s_cselect_b64 s[26:27], -1, 0
	s_branch .LBB14_1003
.LBB14_1002:                            ;   in Loop: Header=BB14_1003 Depth=2
	s_or_b64 exec, exec, s[30:31]
	v_lshrrev_b32_e32 v12, 16, v12
	v_and_or_b32 v9, v9, s68, v12
	v_lshrrev_b32_e32 v12, 16, v56
	v_and_or_b32 v8, v8, s68, v12
	;; [unrolled: 2-line block ×3, first 2 shown]
	v_lshrrev_b32_e32 v12, 16, v14
	v_sub_u32_e32 v47, v47, v68
	v_and_or_b32 v11, v11, s68, v12
	v_cmp_gt_i32_e64 s[28:29], 16, v47
	global_store_dwordx4 v[20:21], v[8:11], off
	v_lshl_add_u64 v[16:17], v[16:17], 0, v[68:69]
	v_lshl_add_u64 v[18:19], v[18:19], 0, v[68:69]
	;; [unrolled: 1-line block ×3, first 2 shown]
	s_or_b64 s[94:95], s[28:29], s[94:95]
	v_sub_u32_e32 v46, v46, v52
	s_andn2_b64 exec, exec, s[94:95]
	s_cbranch_execz .LBB14_1035
.LBB14_1003:                            ;   Parent Loop BB14_47 Depth=1
                                        ; =>  This Inner Loop Header: Depth=2
	global_load_dwordx4 v[8:11], v[18:19], off nt
	global_load_dwordx4 v[12:15], v[16:17], off nt
	s_waitcnt vmcnt(0)
	v_lshlrev_b32_e32 v56, 16, v8
	v_lshlrev_b32_e32 v57, 16, v12
	v_max_f32_e32 v56, v56, v56
	v_max_f32_e32 v57, v57, v57
	v_min_f32_e32 v58, v57, v56
	v_max_f32_e32 v56, v57, v56
	v_cndmask_b32_e64 v57, v56, v58, s[26:27]
	v_and_b32_e32 v56, 0x7f800000, v57
	v_cmp_ne_u32_e64 s[28:29], s66, v56
                                        ; implicit-def: $vgpr56
	s_and_saveexec_b64 s[30:31], s[28:29]
	s_xor_b64 s[28:29], exec, s[30:31]
; %bb.1004:                             ;   in Loop: Header=BB14_1003 Depth=2
	v_bfe_u32 v56, v57, 16, 1
	v_add3_u32 v56, v57, v56, s67
                                        ; implicit-def: $vgpr57
; %bb.1005:                             ;   in Loop: Header=BB14_1003 Depth=2
	s_andn2_saveexec_b64 s[30:31], s[28:29]
; %bb.1006:                             ;   in Loop: Header=BB14_1003 Depth=2
	v_or_b32_e32 v56, 0x10000, v57
	v_cmp_eq_u32_sdwa s[28:29], v57, v3 src0_sel:WORD_0 src1_sel:DWORD
	s_nop 1
	v_cndmask_b32_e64 v56, v56, v57, s[28:29]
; %bb.1007:                             ;   in Loop: Header=BB14_1003 Depth=2
	s_or_b64 exec, exec, s[30:31]
	v_and_b32_e32 v8, 0xffff0000, v8
	v_and_b32_e32 v12, 0xffff0000, v12
	v_max_f32_e32 v8, v8, v8
	v_max_f32_e32 v12, v12, v12
	v_min_f32_e32 v57, v12, v8
	v_max_f32_e32 v8, v12, v8
	v_cndmask_b32_e64 v12, v8, v57, s[26:27]
	v_and_b32_e32 v8, 0x7f800000, v12
	v_cmp_ne_u32_e64 s[28:29], s66, v8
                                        ; implicit-def: $vgpr8
	s_and_saveexec_b64 s[30:31], s[28:29]
	s_xor_b64 s[28:29], exec, s[30:31]
; %bb.1008:                             ;   in Loop: Header=BB14_1003 Depth=2
	v_bfe_u32 v8, v12, 16, 1
	v_add3_u32 v8, v12, v8, s67
                                        ; implicit-def: $vgpr12
; %bb.1009:                             ;   in Loop: Header=BB14_1003 Depth=2
	s_andn2_saveexec_b64 s[30:31], s[28:29]
; %bb.1010:                             ;   in Loop: Header=BB14_1003 Depth=2
	v_or_b32_e32 v8, 0x10000, v12
	v_cmp_eq_u32_sdwa s[28:29], v12, v3 src0_sel:WORD_0 src1_sel:DWORD
	s_nop 1
	v_cndmask_b32_e64 v8, v8, v12, s[28:29]
; %bb.1011:                             ;   in Loop: Header=BB14_1003 Depth=2
	s_or_b64 exec, exec, s[30:31]
	v_lshlrev_b32_e32 v12, 16, v9
	v_lshlrev_b32_e32 v57, 16, v13
	v_max_f32_e32 v12, v12, v12
	v_max_f32_e32 v57, v57, v57
	v_min_f32_e32 v58, v57, v12
	v_max_f32_e32 v12, v57, v12
	v_cndmask_b32_e64 v57, v12, v58, s[26:27]
	v_and_b32_e32 v12, 0x7f800000, v57
	v_cmp_ne_u32_e64 s[28:29], s66, v12
                                        ; implicit-def: $vgpr12
	s_and_saveexec_b64 s[30:31], s[28:29]
	s_xor_b64 s[28:29], exec, s[30:31]
; %bb.1012:                             ;   in Loop: Header=BB14_1003 Depth=2
	v_bfe_u32 v12, v57, 16, 1
	v_add3_u32 v12, v57, v12, s67
                                        ; implicit-def: $vgpr57
; %bb.1013:                             ;   in Loop: Header=BB14_1003 Depth=2
	s_andn2_saveexec_b64 s[30:31], s[28:29]
; %bb.1014:                             ;   in Loop: Header=BB14_1003 Depth=2
	v_or_b32_e32 v12, 0x10000, v57
	v_cmp_eq_u32_sdwa s[28:29], v57, v3 src0_sel:WORD_0 src1_sel:DWORD
	s_nop 1
	v_cndmask_b32_e64 v12, v12, v57, s[28:29]
; %bb.1015:                             ;   in Loop: Header=BB14_1003 Depth=2
	s_or_b64 exec, exec, s[30:31]
	v_and_b32_e32 v13, 0xffff0000, v13
	v_and_b32_e32 v9, 0xffff0000, v9
	v_max_f32_e32 v9, v9, v9
	v_max_f32_e32 v13, v13, v13
	v_min_f32_e32 v57, v13, v9
	v_max_f32_e32 v9, v13, v9
	v_cndmask_b32_e64 v13, v9, v57, s[26:27]
	v_and_b32_e32 v9, 0x7f800000, v13
	v_cmp_ne_u32_e64 s[28:29], s66, v9
                                        ; implicit-def: $vgpr9
	s_and_saveexec_b64 s[30:31], s[28:29]
	s_xor_b64 s[28:29], exec, s[30:31]
; %bb.1016:                             ;   in Loop: Header=BB14_1003 Depth=2
	v_bfe_u32 v9, v13, 16, 1
	v_add3_u32 v9, v13, v9, s67
                                        ; implicit-def: $vgpr13
; %bb.1017:                             ;   in Loop: Header=BB14_1003 Depth=2
	s_andn2_saveexec_b64 s[30:31], s[28:29]
; %bb.1018:                             ;   in Loop: Header=BB14_1003 Depth=2
	v_or_b32_e32 v9, 0x10000, v13
	v_cmp_eq_u32_sdwa s[28:29], v13, v3 src0_sel:WORD_0 src1_sel:DWORD
	s_nop 1
	v_cndmask_b32_e64 v9, v9, v13, s[28:29]
; %bb.1019:                             ;   in Loop: Header=BB14_1003 Depth=2
	s_or_b64 exec, exec, s[30:31]
	v_lshlrev_b32_e32 v13, 16, v10
	v_lshlrev_b32_e32 v57, 16, v14
	v_max_f32_e32 v13, v13, v13
	v_max_f32_e32 v57, v57, v57
	v_min_f32_e32 v58, v57, v13
	v_max_f32_e32 v13, v57, v13
	v_cndmask_b32_e64 v57, v13, v58, s[26:27]
	v_and_b32_e32 v13, 0x7f800000, v57
	v_cmp_ne_u32_e64 s[28:29], s66, v13
                                        ; implicit-def: $vgpr13
	s_and_saveexec_b64 s[30:31], s[28:29]
	s_xor_b64 s[28:29], exec, s[30:31]
; %bb.1020:                             ;   in Loop: Header=BB14_1003 Depth=2
	v_bfe_u32 v13, v57, 16, 1
	v_add3_u32 v13, v57, v13, s67
                                        ; implicit-def: $vgpr57
; %bb.1021:                             ;   in Loop: Header=BB14_1003 Depth=2
	s_andn2_saveexec_b64 s[30:31], s[28:29]
; %bb.1022:                             ;   in Loop: Header=BB14_1003 Depth=2
	v_or_b32_e32 v13, 0x10000, v57
	v_cmp_eq_u32_sdwa s[28:29], v57, v3 src0_sel:WORD_0 src1_sel:DWORD
	s_nop 1
	v_cndmask_b32_e64 v13, v13, v57, s[28:29]
; %bb.1023:                             ;   in Loop: Header=BB14_1003 Depth=2
	s_or_b64 exec, exec, s[30:31]
	v_and_b32_e32 v14, 0xffff0000, v14
	v_and_b32_e32 v10, 0xffff0000, v10
	v_max_f32_e32 v10, v10, v10
	v_max_f32_e32 v14, v14, v14
	v_min_f32_e32 v57, v14, v10
	v_max_f32_e32 v10, v14, v10
	v_cndmask_b32_e64 v14, v10, v57, s[26:27]
	v_and_b32_e32 v10, 0x7f800000, v14
	v_cmp_ne_u32_e64 s[28:29], s66, v10
                                        ; implicit-def: $vgpr10
	s_and_saveexec_b64 s[30:31], s[28:29]
	s_xor_b64 s[28:29], exec, s[30:31]
; %bb.1024:                             ;   in Loop: Header=BB14_1003 Depth=2
	v_bfe_u32 v10, v14, 16, 1
	v_add3_u32 v10, v14, v10, s67
                                        ; implicit-def: $vgpr14
; %bb.1025:                             ;   in Loop: Header=BB14_1003 Depth=2
	s_andn2_saveexec_b64 s[30:31], s[28:29]
; %bb.1026:                             ;   in Loop: Header=BB14_1003 Depth=2
	v_or_b32_e32 v10, 0x10000, v14
	v_cmp_eq_u32_sdwa s[28:29], v14, v3 src0_sel:WORD_0 src1_sel:DWORD
	s_nop 1
	v_cndmask_b32_e64 v10, v10, v14, s[28:29]
; %bb.1027:                             ;   in Loop: Header=BB14_1003 Depth=2
	s_or_b64 exec, exec, s[30:31]
	v_lshlrev_b32_e32 v14, 16, v11
	v_lshlrev_b32_e32 v57, 16, v15
	v_max_f32_e32 v14, v14, v14
	v_max_f32_e32 v57, v57, v57
	v_min_f32_e32 v58, v57, v14
	v_max_f32_e32 v14, v57, v14
	v_cndmask_b32_e64 v57, v14, v58, s[26:27]
	v_and_b32_e32 v14, 0x7f800000, v57
	v_cmp_ne_u32_e64 s[28:29], s66, v14
                                        ; implicit-def: $vgpr14
	s_and_saveexec_b64 s[30:31], s[28:29]
	s_xor_b64 s[28:29], exec, s[30:31]
; %bb.1028:                             ;   in Loop: Header=BB14_1003 Depth=2
	v_bfe_u32 v14, v57, 16, 1
	v_add3_u32 v14, v57, v14, s67
                                        ; implicit-def: $vgpr57
; %bb.1029:                             ;   in Loop: Header=BB14_1003 Depth=2
	s_andn2_saveexec_b64 s[30:31], s[28:29]
; %bb.1030:                             ;   in Loop: Header=BB14_1003 Depth=2
	v_or_b32_e32 v14, 0x10000, v57
	v_cmp_eq_u32_sdwa s[28:29], v57, v3 src0_sel:WORD_0 src1_sel:DWORD
	s_nop 1
	v_cndmask_b32_e64 v14, v14, v57, s[28:29]
; %bb.1031:                             ;   in Loop: Header=BB14_1003 Depth=2
	s_or_b64 exec, exec, s[30:31]
	v_and_b32_e32 v15, 0xffff0000, v15
	v_and_b32_e32 v11, 0xffff0000, v11
	v_max_f32_e32 v11, v11, v11
	v_max_f32_e32 v15, v15, v15
	v_min_f32_e32 v57, v15, v11
	v_max_f32_e32 v11, v15, v11
	v_cndmask_b32_e64 v15, v11, v57, s[26:27]
	v_and_b32_e32 v11, 0x7f800000, v15
	v_cmp_ne_u32_e64 s[28:29], s66, v11
                                        ; implicit-def: $vgpr11
	s_and_saveexec_b64 s[30:31], s[28:29]
	s_xor_b64 s[28:29], exec, s[30:31]
; %bb.1032:                             ;   in Loop: Header=BB14_1003 Depth=2
	v_bfe_u32 v11, v15, 16, 1
	v_add3_u32 v11, v15, v11, s67
                                        ; implicit-def: $vgpr15
; %bb.1033:                             ;   in Loop: Header=BB14_1003 Depth=2
	s_andn2_saveexec_b64 s[30:31], s[28:29]
	s_cbranch_execz .LBB14_1002
; %bb.1034:                             ;   in Loop: Header=BB14_1003 Depth=2
	v_or_b32_e32 v11, 0x10000, v15
	v_cmp_eq_u32_sdwa s[28:29], v15, v3 src0_sel:WORD_0 src1_sel:DWORD
	s_nop 1
	v_cndmask_b32_e64 v11, v11, v15, s[28:29]
	s_branch .LBB14_1002
.LBB14_1035:                            ;   in Loop: Header=BB14_47 Depth=1
	s_or_b64 exec, exec, s[94:95]
.LBB14_1036:                            ;   in Loop: Header=BB14_47 Depth=1
	s_or_b64 exec, exec, s[42:43]
	v_and_b32_e32 v8, 14, v119
	v_sub_u32_e32 v9, v45, v8
	v_cndmask_b32_e32 v9, 0, v9, vcc
	v_cndmask_b32_e32 v119, v45, v8, vcc
	v_cmp_lt_i32_e32 vcc, 0, v46
	v_add3_u32 v14, v44, v22, v9
	s_nop 0
	v_cndmask_b32_e32 v8, 0, v52, vcc
	v_sub_u32_e32 v8, v8, v46
	v_cmp_ne_u32_e32 vcc, 0, v119
	v_lshl_add_u32 v15, v8, 6, v23
	s_and_b64 s[26:27], vcc, exec
.LBB14_1037:                            ;   in Loop: Header=BB14_47 Depth=1
	s_or_b64 exec, exec, s[40:41]
	s_and_saveexec_b64 s[28:29], s[26:27]
	s_cbranch_execz .LBB14_1082
.LBB14_1038:                            ;   in Loop: Header=BB14_47 Depth=1
	v_ashrrev_i32_e32 v8, 31, v15
	v_ashrrev_i32_e32 v9, 31, v119
	v_lshrrev_b32_e32 v8, 26, v8
	v_lshrrev_b32_e32 v9, 22, v9
	v_add_u32_e32 v8, v15, v8
	v_add_u32_e32 v9, v119, v9
	v_ashrrev_i32_e32 v16, 6, v8
	v_ashrrev_i32_e32 v18, 10, v9
	v_sub_u32_e32 v17, v18, v16
	v_cmp_lt_i32_e32 vcc, 0, v17
	s_and_saveexec_b64 s[40:41], vcc
	s_cbranch_execz .LBB14_1074
; %bb.1039:                             ;   in Loop: Header=BB14_47 Depth=1
	v_and_b32_e32 v8, 0x7fffffc0, v8
	s_trap 2
	ds_read_b64 v[10:11], v0
	v_sub_u32_e32 v8, v15, v8
	v_lshlrev_b32_e32 v8, 1, v8
	v_lshlrev_b32_e32 v9, 10, v16
	v_add3_u32 v12, v8, v14, v9
	s_and_b32 s56, s48, 1
	v_ashrrev_i32_e32 v13, 31, v12
	s_cmp_eq_u64 s[56:57], 0
	v_lshl_add_u64 v[20:21], v[42:43], 0, s[74:75]
	v_lshl_add_u64 v[8:9], v[12:13], 0, v[40:41]
	s_waitcnt lgkmcnt(0)
	v_lshl_add_u64 v[10:11], v[10:11], 0, v[12:13]
	s_mov_b64 s[42:43], 0
	s_cselect_b64 s[26:27], -1, 0
	v_lshl_add_u64 v[12:13], v[20:21], 0, v[12:13]
	s_branch .LBB14_1041
.LBB14_1040:                            ;   in Loop: Header=BB14_1041 Depth=2
	s_or_b64 exec, exec, s[94:95]
	v_add_co_u32_e32 v58, vcc, 0xfffffc80, v12
	v_sub_u32_e32 v17, v17, v52
	s_nop 0
	v_addc_co_u32_e32 v59, vcc, -1, v13, vcc
	flat_store_short_d16_hi v[58:59], v19 nt
	v_add_co_u32_e32 v58, vcc, 0xfffffd00, v12
	v_lshl_add_u64 v[8:9], v[8:9], 0, v[68:69]
	s_nop 0
	v_addc_co_u32_e32 v59, vcc, -1, v13, vcc
	flat_store_short_d16_hi v[58:59], v22 nt
	v_add_co_u32_e32 v58, vcc, 0xfffffd80, v12
	v_lshl_add_u64 v[10:11], v[10:11], 0, v[68:69]
	s_nop 0
	v_addc_co_u32_e32 v59, vcc, -1, v13, vcc
	v_add_co_u32_e32 v44, vcc, 0xfffffe00, v12
	flat_store_short_d16_hi v[58:59], v45 nt
	s_nop 0
	v_addc_co_u32_e32 v45, vcc, -1, v13, vcc
	flat_store_short_d16_hi v[44:45], v47 nt
	v_add_co_u32_e32 v44, vcc, 0xfffffe80, v12
	s_nop 1
	v_addc_co_u32_e32 v45, vcc, -1, v13, vcc
	flat_store_short_d16_hi v[44:45], v57 nt
	v_add_co_u32_e32 v44, vcc, 0xffffff00, v12
	;; [unrolled: 4-line block ×3, first 2 shown]
	s_nop 1
	v_addc_co_u32_e32 v45, vcc, -1, v13, vcc
	v_cmp_gt_i32_e32 vcc, 1, v17
	flat_store_short_d16_hi v[44:45], v23 nt
	flat_store_short_d16_hi v[12:13], v20 nt
	s_or_b64 s[42:43], vcc, s[42:43]
	v_lshl_add_u64 v[12:13], v[12:13], 0, v[68:69]
	s_andn2_b64 exec, exec, s[42:43]
	s_cbranch_execz .LBB14_1073
.LBB14_1041:                            ;   Parent Loop BB14_47 Depth=1
                                        ; =>  This Inner Loop Header: Depth=2
	flat_load_ushort v45, v[8:9] offset:256 nt
	flat_load_ushort v47, v[8:9] offset:384 nt
	;; [unrolled: 1-line block ×6, first 2 shown]
	flat_load_ushort v19, v[8:9] nt
	flat_load_ushort v60, v[10:11] offset:256 nt
	flat_load_ushort v59, v[10:11] offset:384 nt
	;; [unrolled: 1-line block ×6, first 2 shown]
	flat_load_ushort v79, v[10:11] nt
	flat_load_ushort v22, v[8:9] offset:128 nt
	flat_load_ushort v61, v[10:11] offset:128 nt
	s_waitcnt vmcnt(0) lgkmcnt(0)
	v_lshlrev_b32_e32 v19, 16, v19
	v_max_f32_e32 v19, v19, v19
	v_lshlrev_b32_e32 v79, 16, v79
	v_max_f32_e32 v79, v79, v79
	v_min_f32_e32 v88, v19, v79
	v_max_f32_e32 v19, v19, v79
	v_cndmask_b32_e64 v79, v19, v88, s[26:27]
	v_and_b32_e32 v19, 0x7f800000, v79
	v_cmp_ne_u32_e32 vcc, s66, v19
                                        ; implicit-def: $vgpr19
	s_and_saveexec_b64 s[94:95], vcc
	s_xor_b64 s[94:95], exec, s[94:95]
; %bb.1042:                             ;   in Loop: Header=BB14_1041 Depth=2
	v_bfe_u32 v19, v79, 16, 1
	v_add3_u32 v19, v79, v19, s67
                                        ; implicit-def: $vgpr79
; %bb.1043:                             ;   in Loop: Header=BB14_1041 Depth=2
	s_andn2_saveexec_b64 s[94:95], s[94:95]
; %bb.1044:                             ;   in Loop: Header=BB14_1041 Depth=2
	v_or_b32_e32 v19, 0x10000, v79
	v_cmp_eq_u32_sdwa vcc, v79, v3 src0_sel:WORD_0 src1_sel:DWORD
	s_nop 1
	v_cndmask_b32_e32 v19, v19, v79, vcc
; %bb.1045:                             ;   in Loop: Header=BB14_1041 Depth=2
	s_or_b64 exec, exec, s[94:95]
	v_lshlrev_b32_e32 v22, 16, v22
	v_lshlrev_b32_e32 v61, 16, v61
	v_max_f32_e32 v61, v61, v61
	v_max_f32_e32 v22, v22, v22
	v_min_f32_e32 v79, v22, v61
	v_max_f32_e32 v22, v22, v61
	v_cndmask_b32_e64 v61, v22, v79, s[26:27]
	v_and_b32_e32 v22, 0x7f800000, v61
	v_cmp_ne_u32_e32 vcc, s66, v22
                                        ; implicit-def: $vgpr22
	s_and_saveexec_b64 s[94:95], vcc
	s_xor_b64 s[94:95], exec, s[94:95]
; %bb.1046:                             ;   in Loop: Header=BB14_1041 Depth=2
	v_bfe_u32 v22, v61, 16, 1
	v_add3_u32 v22, v61, v22, s67
                                        ; implicit-def: $vgpr61
; %bb.1047:                             ;   in Loop: Header=BB14_1041 Depth=2
	s_andn2_saveexec_b64 s[94:95], s[94:95]
; %bb.1048:                             ;   in Loop: Header=BB14_1041 Depth=2
	v_or_b32_e32 v22, 0x10000, v61
	v_cmp_eq_u32_sdwa vcc, v61, v3 src0_sel:WORD_0 src1_sel:DWORD
	s_nop 1
	v_cndmask_b32_e32 v22, v22, v61, vcc
; %bb.1049:                             ;   in Loop: Header=BB14_1041 Depth=2
	s_or_b64 exec, exec, s[94:95]
	v_lshlrev_b32_e32 v45, 16, v45
	v_lshlrev_b32_e32 v60, 16, v60
	v_max_f32_e32 v60, v60, v60
	v_max_f32_e32 v45, v45, v45
	v_min_f32_e32 v61, v45, v60
	v_max_f32_e32 v45, v45, v60
	v_cndmask_b32_e64 v60, v45, v61, s[26:27]
	v_and_b32_e32 v45, 0x7f800000, v60
	v_cmp_ne_u32_e32 vcc, s66, v45
                                        ; implicit-def: $vgpr45
	s_and_saveexec_b64 s[94:95], vcc
	s_xor_b64 s[94:95], exec, s[94:95]
; %bb.1050:                             ;   in Loop: Header=BB14_1041 Depth=2
	v_bfe_u32 v45, v60, 16, 1
	v_add3_u32 v45, v60, v45, s67
                                        ; implicit-def: $vgpr60
; %bb.1051:                             ;   in Loop: Header=BB14_1041 Depth=2
	s_andn2_saveexec_b64 s[94:95], s[94:95]
; %bb.1052:                             ;   in Loop: Header=BB14_1041 Depth=2
	v_or_b32_e32 v45, 0x10000, v60
	v_cmp_eq_u32_sdwa vcc, v60, v3 src0_sel:WORD_0 src1_sel:DWORD
	s_nop 1
	v_cndmask_b32_e32 v45, v45, v60, vcc
; %bb.1053:                             ;   in Loop: Header=BB14_1041 Depth=2
	s_or_b64 exec, exec, s[94:95]
	v_lshlrev_b32_e32 v47, 16, v47
	v_lshlrev_b32_e32 v59, 16, v59
	v_max_f32_e32 v59, v59, v59
	v_max_f32_e32 v47, v47, v47
	v_min_f32_e32 v60, v47, v59
	v_max_f32_e32 v47, v47, v59
	v_cndmask_b32_e64 v59, v47, v60, s[26:27]
	v_and_b32_e32 v47, 0x7f800000, v59
	v_cmp_ne_u32_e32 vcc, s66, v47
                                        ; implicit-def: $vgpr47
	s_and_saveexec_b64 s[94:95], vcc
	s_xor_b64 s[94:95], exec, s[94:95]
; %bb.1054:                             ;   in Loop: Header=BB14_1041 Depth=2
	v_bfe_u32 v47, v59, 16, 1
	v_add3_u32 v47, v59, v47, s67
                                        ; implicit-def: $vgpr59
; %bb.1055:                             ;   in Loop: Header=BB14_1041 Depth=2
	s_andn2_saveexec_b64 s[94:95], s[94:95]
; %bb.1056:                             ;   in Loop: Header=BB14_1041 Depth=2
	v_or_b32_e32 v47, 0x10000, v59
	v_cmp_eq_u32_sdwa vcc, v59, v3 src0_sel:WORD_0 src1_sel:DWORD
	s_nop 1
	v_cndmask_b32_e32 v47, v47, v59, vcc
; %bb.1057:                             ;   in Loop: Header=BB14_1041 Depth=2
	s_or_b64 exec, exec, s[94:95]
	v_lshlrev_b32_e32 v57, 16, v57
	v_lshlrev_b32_e32 v58, 16, v58
	v_max_f32_e32 v58, v58, v58
	v_max_f32_e32 v57, v57, v57
	v_min_f32_e32 v59, v57, v58
	v_max_f32_e32 v57, v57, v58
	v_cndmask_b32_e64 v58, v57, v59, s[26:27]
	v_and_b32_e32 v57, 0x7f800000, v58
	v_cmp_ne_u32_e32 vcc, s66, v57
                                        ; implicit-def: $vgpr57
	s_and_saveexec_b64 s[94:95], vcc
	s_xor_b64 s[94:95], exec, s[94:95]
; %bb.1058:                             ;   in Loop: Header=BB14_1041 Depth=2
	v_bfe_u32 v57, v58, 16, 1
	v_add3_u32 v57, v58, v57, s67
                                        ; implicit-def: $vgpr58
; %bb.1059:                             ;   in Loop: Header=BB14_1041 Depth=2
	s_andn2_saveexec_b64 s[94:95], s[94:95]
; %bb.1060:                             ;   in Loop: Header=BB14_1041 Depth=2
	v_or_b32_e32 v57, 0x10000, v58
	v_cmp_eq_u32_sdwa vcc, v58, v3 src0_sel:WORD_0 src1_sel:DWORD
	s_nop 1
	v_cndmask_b32_e32 v57, v57, v58, vcc
; %bb.1061:                             ;   in Loop: Header=BB14_1041 Depth=2
	s_or_b64 exec, exec, s[94:95]
	v_lshlrev_b32_e32 v46, 16, v46
	v_lshlrev_b32_e32 v56, 16, v56
	v_max_f32_e32 v56, v56, v56
	v_max_f32_e32 v46, v46, v46
	v_min_f32_e32 v58, v46, v56
	v_max_f32_e32 v46, v46, v56
	v_cndmask_b32_e64 v56, v46, v58, s[26:27]
	v_and_b32_e32 v46, 0x7f800000, v56
	v_cmp_ne_u32_e32 vcc, s66, v46
                                        ; implicit-def: $vgpr46
	s_and_saveexec_b64 s[94:95], vcc
	s_xor_b64 s[94:95], exec, s[94:95]
; %bb.1062:                             ;   in Loop: Header=BB14_1041 Depth=2
	v_bfe_u32 v46, v56, 16, 1
	v_add3_u32 v46, v56, v46, s67
                                        ; implicit-def: $vgpr56
; %bb.1063:                             ;   in Loop: Header=BB14_1041 Depth=2
	s_andn2_saveexec_b64 s[94:95], s[94:95]
; %bb.1064:                             ;   in Loop: Header=BB14_1041 Depth=2
	v_or_b32_e32 v46, 0x10000, v56
	v_cmp_eq_u32_sdwa vcc, v56, v3 src0_sel:WORD_0 src1_sel:DWORD
	s_nop 1
	v_cndmask_b32_e32 v46, v46, v56, vcc
; %bb.1065:                             ;   in Loop: Header=BB14_1041 Depth=2
	s_or_b64 exec, exec, s[94:95]
	v_lshlrev_b32_e32 v23, 16, v23
	v_lshlrev_b32_e32 v44, 16, v44
	v_max_f32_e32 v44, v44, v44
	v_max_f32_e32 v23, v23, v23
	v_min_f32_e32 v56, v23, v44
	v_max_f32_e32 v23, v23, v44
	v_cndmask_b32_e64 v44, v23, v56, s[26:27]
	v_and_b32_e32 v23, 0x7f800000, v44
	v_cmp_ne_u32_e32 vcc, s66, v23
                                        ; implicit-def: $vgpr23
	s_and_saveexec_b64 s[94:95], vcc
	s_xor_b64 s[94:95], exec, s[94:95]
; %bb.1066:                             ;   in Loop: Header=BB14_1041 Depth=2
	v_bfe_u32 v23, v44, 16, 1
	v_add3_u32 v23, v44, v23, s67
                                        ; implicit-def: $vgpr44
; %bb.1067:                             ;   in Loop: Header=BB14_1041 Depth=2
	s_andn2_saveexec_b64 s[94:95], s[94:95]
; %bb.1068:                             ;   in Loop: Header=BB14_1041 Depth=2
	v_or_b32_e32 v23, 0x10000, v44
	v_cmp_eq_u32_sdwa vcc, v44, v3 src0_sel:WORD_0 src1_sel:DWORD
	s_nop 1
	v_cndmask_b32_e32 v23, v23, v44, vcc
; %bb.1069:                             ;   in Loop: Header=BB14_1041 Depth=2
	s_or_b64 exec, exec, s[94:95]
	v_lshlrev_b32_e32 v20, 16, v20
	v_lshlrev_b32_e32 v21, 16, v21
	v_max_f32_e32 v21, v21, v21
	v_max_f32_e32 v20, v20, v20
	v_min_f32_e32 v44, v20, v21
	v_max_f32_e32 v20, v20, v21
	v_cndmask_b32_e64 v21, v20, v44, s[26:27]
	v_and_b32_e32 v20, 0x7f800000, v21
	v_cmp_ne_u32_e32 vcc, s66, v20
                                        ; implicit-def: $vgpr20
	s_and_saveexec_b64 s[94:95], vcc
	s_xor_b64 s[94:95], exec, s[94:95]
; %bb.1070:                             ;   in Loop: Header=BB14_1041 Depth=2
	v_bfe_u32 v20, v21, 16, 1
	v_add3_u32 v20, v21, v20, s67
                                        ; implicit-def: $vgpr21
; %bb.1071:                             ;   in Loop: Header=BB14_1041 Depth=2
	s_andn2_saveexec_b64 s[94:95], s[94:95]
	s_cbranch_execz .LBB14_1040
; %bb.1072:                             ;   in Loop: Header=BB14_1041 Depth=2
	v_or_b32_e32 v20, 0x10000, v21
	v_cmp_eq_u32_sdwa vcc, v21, v3 src0_sel:WORD_0 src1_sel:DWORD
	s_nop 1
	v_cndmask_b32_e32 v20, v20, v21, vcc
	s_branch .LBB14_1040
.LBB14_1073:                            ;   in Loop: Header=BB14_47 Depth=1
	s_or_b64 exec, exec, s[42:43]
.LBB14_1074:                            ;   in Loop: Header=BB14_47 Depth=1
	s_or_b64 exec, exec, s[40:41]
	v_lshlrev_b32_e32 v8, 10, v18
	v_cmp_ne_u32_e32 vcc, v119, v8
	s_and_b64 exec, exec, vcc
	s_cbranch_execz .LBB14_1082
; %bb.1075:                             ;   in Loop: Header=BB14_47 Depth=1
	v_lshlrev_b32_e32 v9, 6, v16
	v_sub_u32_e32 v9, v15, v9
	v_lshlrev_b32_e32 v10, 6, v17
	v_sub_u32_e32 v9, v9, v10
	v_ashrrev_i32_e32 v10, 31, v9
	v_lshrrev_b32_e32 v10, 26, v10
	v_add_u32_e32 v10, v9, v10
	v_and_b32_e32 v11, 0x7fffffc0, v10
	v_sub_u32_e32 v9, v9, v11
	v_lshlrev_b32_e32 v10, 1, v10
	v_and_b32_e32 v10, 0xffffff80, v10
	v_lshlrev_b32_e32 v9, 1, v9
	v_add3_u32 v8, v10, v9, v8
	v_sub_u32_e32 v15, v119, v8
	v_cmp_lt_i32_e32 vcc, 1, v15
	s_and_b64 exec, exec, vcc
	s_cbranch_execz .LBB14_1082
; %bb.1076:                             ;   in Loop: Header=BB14_47 Depth=1
	s_trap 2
	ds_read_b64 v[10:11], v0
	v_add_u32_e32 v12, v8, v14
	s_and_b32 s56, s48, 1
	v_ashrrev_i32_e32 v13, 31, v12
	s_cmp_eq_u64 s[56:57], 0
	v_lshl_add_u64 v[8:9], v[12:13], 0, v[40:41]
	s_waitcnt lgkmcnt(0)
	v_lshl_add_u64 v[10:11], v[10:11], 0, v[12:13]
	v_lshl_add_u64 v[12:13], v[12:13], 0, v[42:43]
	s_mov_b64 s[40:41], 0
	s_cselect_b64 vcc, -1, 0
	s_branch .LBB14_1078
.LBB14_1077:                            ;   in Loop: Header=BB14_1078 Depth=2
	s_or_b64 exec, exec, s[42:43]
	v_sub_u32_e32 v15, v15, v70
	v_cmp_gt_i32_e64 s[26:27], 2, v15
	flat_store_short_d16_hi v[12:13], v16 nt
	v_lshl_add_u64 v[8:9], v[8:9], 0, v[70:71]
	v_lshl_add_u64 v[10:11], v[10:11], 0, v[70:71]
	s_or_b64 s[40:41], s[26:27], s[40:41]
	v_lshl_add_u64 v[12:13], v[12:13], 0, v[70:71]
	s_andn2_b64 exec, exec, s[40:41]
	s_cbranch_execz .LBB14_1082
.LBB14_1078:                            ;   Parent Loop BB14_47 Depth=1
                                        ; =>  This Inner Loop Header: Depth=2
	flat_load_ushort v14, v[10:11] nt
	flat_load_ushort v16, v[8:9] nt
	s_waitcnt vmcnt(0) lgkmcnt(0)
	v_lshlrev_b32_e32 v14, 16, v14
	v_lshlrev_b32_e32 v16, 16, v16
	v_max_f32_e32 v14, v14, v14
	v_max_f32_e32 v16, v16, v16
	v_min_f32_e32 v17, v16, v14
	v_max_f32_e32 v14, v16, v14
	v_cndmask_b32_e32 v14, v14, v17, vcc
	v_and_b32_e32 v16, 0x7f800000, v14
	v_cmp_ne_u32_e64 s[26:27], s66, v16
                                        ; implicit-def: $vgpr16
	s_and_saveexec_b64 s[42:43], s[26:27]
	s_xor_b64 s[26:27], exec, s[42:43]
; %bb.1079:                             ;   in Loop: Header=BB14_1078 Depth=2
	v_bfe_u32 v16, v14, 16, 1
	v_add3_u32 v16, v14, v16, s67
                                        ; implicit-def: $vgpr14
; %bb.1080:                             ;   in Loop: Header=BB14_1078 Depth=2
	s_andn2_saveexec_b64 s[42:43], s[26:27]
	s_cbranch_execz .LBB14_1077
; %bb.1081:                             ;   in Loop: Header=BB14_1078 Depth=2
	v_or_b32_e32 v16, 0x10000, v14
	v_cmp_eq_u32_sdwa s[26:27], v14, v3 src0_sel:WORD_0 src1_sel:DWORD
	s_nop 1
	v_cndmask_b32_e64 v16, v16, v14, s[26:27]
	s_branch .LBB14_1077
.LBB14_1082:                            ;   in Loop: Header=BB14_47 Depth=1
	s_or_b64 exec, exec, s[28:29]
	v_cmp_lt_i32_e64 s[26:27], 0, v2
	s_and_saveexec_b64 s[28:29], s[6:7]
	s_cbranch_execz .LBB14_751
.LBB14_1083:                            ;   in Loop: Header=BB14_47 Depth=1
	s_and_saveexec_b64 s[40:41], s[58:59]
	s_xor_b64 s[40:41], exec, s[40:41]
	s_cbranch_execz .LBB14_1098
; %bb.1084:                             ;   in Loop: Header=BB14_47 Depth=1
	s_and_saveexec_b64 s[42:43], s[14:15]
	s_cbranch_execz .LBB14_1097
; %bb.1085:                             ;   in Loop: Header=BB14_47 Depth=1
	s_mov_b64 s[30:31], exec
	v_mbcnt_lo_u32_b32 v2, s30, 0
	v_mbcnt_hi_u32_b32 v2, s31, v2
	v_cmp_eq_u32_e32 vcc, 0, v2
	s_waitcnt lgkmcnt(0)
	s_and_saveexec_b64 s[94:95], vcc
	s_cbranch_execz .LBB14_1087
; %bb.1086:                             ;   in Loop: Header=BB14_47 Depth=1
	s_bcnt1_i32_b64 s56, s[30:31]
	v_mov_b32_e32 v2, s56
	ds_add_u64 v0, v[2:3]
	s_trap 2
.LBB14_1087:                            ;   in Loop: Header=BB14_47 Depth=1
	s_or_b64 exec, exec, s[94:95]
	s_trap 2
	ds_read_b64 v[8:9], v0
	s_waitcnt lgkmcnt(0)
	v_lshl_add_u64 v[38:39], v[38:39], 0, v[52:53]
	v_cmp_lt_u64_e32 vcc, v[8:9], v[38:39]
	s_and_saveexec_b64 s[94:95], vcc
	s_cbranch_execz .LBB14_1096
; %bb.1088:                             ;   in Loop: Header=BB14_47 Depth=1
	s_mov_b32 s56, 0
	s_mov_b64 s[30:31], 0
                                        ; implicit-def: $sgpr34_sgpr35
                                        ; implicit-def: $sgpr36_sgpr37
	s_branch .LBB14_1090
.LBB14_1089:                            ;   in Loop: Header=BB14_1090 Depth=2
	s_or_b64 exec, exec, s[48:49]
	s_and_b64 vcc, exec, vcc
	s_or_b64 s[30:31], vcc, s[30:31]
	s_andn2_b64 vcc, s[34:35], exec
	s_and_b64 s[34:35], s[36:37], exec
	s_or_b64 s[34:35], vcc, s[34:35]
	s_andn2_b64 exec, exec, s[30:31]
	s_cbranch_execz .LBB14_1094
.LBB14_1090:                            ;   Parent Loop BB14_47 Depth=1
                                        ; =>  This Inner Loop Header: Depth=2
	s_add_i32 s56, s56, 1
	s_cmpk_lg_i32 s56, 0x2710
	s_cselect_b64 s[38:39], -1, 0
	s_and_b64 vcc, exec, s[38:39]
	s_cbranch_vccz .LBB14_1092
; %bb.1091:                             ;   in Loop: Header=BB14_1090 Depth=2
	s_mov_b64 vcc, -1
	s_or_b64 s[36:37], s[36:37], exec
	s_and_saveexec_b64 s[48:49], s[38:39]
	s_cbranch_execz .LBB14_1089
	s_branch .LBB14_1093
.LBB14_1092:                            ;   in Loop: Header=BB14_1090 Depth=2
	s_trap 2
	ds_read_b64 v[8:9], v0
	s_andn2_b64 s[38:39], s[38:39], exec
	s_mov_b32 s56, 0
	s_waitcnt vmcnt(0) lgkmcnt(0)
	flat_load_dword v2, v[8:9] sc0 sc1
	s_waitcnt vmcnt(0) lgkmcnt(0)
	buffer_inv sc0 sc1
	v_cmp_eq_u32_e32 vcc, 0, v2
	s_and_b64 vcc, vcc, exec
	s_or_b64 s[38:39], s[38:39], vcc
	s_mov_b64 vcc, -1
	s_or_b64 s[36:37], s[36:37], exec
	s_and_saveexec_b64 s[48:49], s[38:39]
	s_cbranch_execz .LBB14_1089
.LBB14_1093:                            ;   in Loop: Header=BB14_1090 Depth=2
	s_sleep 1
	s_trap 2
	ds_read_b64 v[8:9], v0
	s_waitcnt lgkmcnt(0)
	s_andn2_b64 s[36:37], s[36:37], exec
	v_cmp_ge_u64_e32 vcc, v[8:9], v[38:39]
	s_orn2_b64 vcc, vcc, exec
	s_branch .LBB14_1089
.LBB14_1094:                            ;   in Loop: Header=BB14_47 Depth=1
	s_or_b64 exec, exec, s[30:31]
	s_and_saveexec_b64 vcc, s[34:35]
	s_xor_b64 vcc, exec, vcc
	s_cbranch_execz .LBB14_1096
; %bb.1095:                             ;   in Loop: Header=BB14_47 Depth=1
	ds_write_b32 v0, v73
	s_trap 2
.LBB14_1096:                            ;   in Loop: Header=BB14_47 Depth=1
	s_or_b64 exec, exec, s[94:95]
	;;#ASMSTART
	s_wakeup
	;;#ASMEND
.LBB14_1097:                            ;   in Loop: Header=BB14_47 Depth=1
	s_or_b64 exec, exec, s[42:43]
.LBB14_1098:                            ;   in Loop: Header=BB14_47 Depth=1
	s_andn2_saveexec_b64 s[40:41], s[40:41]
	s_cbranch_execz .LBB14_1100
; %bb.1099:                             ;   in Loop: Header=BB14_47 Depth=1
	s_waitcnt lgkmcnt(0)
	s_barrier
.LBB14_1100:                            ;   in Loop: Header=BB14_47 Depth=1
	s_or_b64 exec, exec, s[40:41]
	s_or_b64 exec, exec, s[28:29]
                                        ; implicit-def: $vgpr2
	s_and_saveexec_b64 s[28:29], s[22:23]
	s_xor_b64 s[28:29], exec, s[28:29]
	s_cbranch_execnz .LBB14_752
.LBB14_1101:                            ;   in Loop: Header=BB14_47 Depth=1
	s_andn2_saveexec_b64 s[26:27], s[28:29]
	s_cbranch_execz .LBB14_1120
.LBB14_1102:                            ;   in Loop: Header=BB14_47 Depth=1
	s_and_saveexec_b64 s[28:29], s[58:59]
	s_xor_b64 s[28:29], exec, s[28:29]
	s_cbranch_execz .LBB14_1117
; %bb.1103:                             ;   in Loop: Header=BB14_47 Depth=1
	s_and_saveexec_b64 s[40:41], s[14:15]
	s_cbranch_execz .LBB14_1116
; %bb.1104:                             ;   in Loop: Header=BB14_47 Depth=1
	s_mov_b64 s[94:95], exec
	v_mbcnt_lo_u32_b32 v2, s94, 0
	v_mbcnt_hi_u32_b32 v2, s95, v2
	v_cmp_eq_u32_e32 vcc, 0, v2
	;;#ASMSTART
	s_waitcnt lgkmcnt(0) vmcnt(0)
	;;#ASMEND
	s_and_saveexec_b64 s[42:43], vcc
	s_cbranch_execz .LBB14_1106
; %bb.1105:                             ;   in Loop: Header=BB14_47 Depth=1
	s_bcnt1_i32_b64 s56, s[94:95]
	v_mov_b32_e32 v2, s56
	s_waitcnt lgkmcnt(0)
	ds_add_u64 v0, v[2:3]
	s_trap 2
.LBB14_1106:                            ;   in Loop: Header=BB14_47 Depth=1
	s_or_b64 exec, exec, s[42:43]
	s_trap 2
	ds_read_b64 v[8:9], v0
	s_waitcnt lgkmcnt(0)
	v_lshl_add_u64 v[38:39], v[38:39], 0, v[52:53]
	v_cmp_lt_u64_e32 vcc, v[8:9], v[38:39]
	s_and_saveexec_b64 s[42:43], vcc
	s_cbranch_execz .LBB14_1115
; %bb.1107:                             ;   in Loop: Header=BB14_47 Depth=1
	s_mov_b32 s56, 0
	s_mov_b64 s[94:95], 0
                                        ; implicit-def: $sgpr30_sgpr31
                                        ; implicit-def: $sgpr34_sgpr35
	s_branch .LBB14_1109
.LBB14_1108:                            ;   in Loop: Header=BB14_1109 Depth=2
	s_or_b64 exec, exec, s[38:39]
	s_and_b64 vcc, exec, vcc
	s_or_b64 s[94:95], vcc, s[94:95]
	s_andn2_b64 vcc, s[30:31], exec
	s_and_b64 s[30:31], s[34:35], exec
	s_or_b64 s[30:31], vcc, s[30:31]
	s_andn2_b64 exec, exec, s[94:95]
	s_cbranch_execz .LBB14_1113
.LBB14_1109:                            ;   Parent Loop BB14_47 Depth=1
                                        ; =>  This Inner Loop Header: Depth=2
	s_add_i32 s56, s56, 1
	s_cmpk_lg_i32 s56, 0x2710
	s_cselect_b64 s[36:37], -1, 0
	s_and_b64 vcc, exec, s[36:37]
	s_cbranch_vccz .LBB14_1111
; %bb.1110:                             ;   in Loop: Header=BB14_1109 Depth=2
	s_mov_b64 vcc, -1
	s_or_b64 s[34:35], s[34:35], exec
	s_and_saveexec_b64 s[38:39], s[36:37]
	s_cbranch_execz .LBB14_1108
	s_branch .LBB14_1112
.LBB14_1111:                            ;   in Loop: Header=BB14_1109 Depth=2
	s_trap 2
	ds_read_b64 v[8:9], v0
	s_andn2_b64 s[36:37], s[36:37], exec
	s_mov_b32 s56, 0
	s_waitcnt vmcnt(0) lgkmcnt(0)
	flat_load_dword v2, v[8:9] sc0 sc1
	s_waitcnt vmcnt(0) lgkmcnt(0)
	buffer_inv sc0 sc1
	v_cmp_eq_u32_e32 vcc, 0, v2
	s_and_b64 vcc, vcc, exec
	s_or_b64 s[36:37], s[36:37], vcc
	s_mov_b64 vcc, -1
	s_or_b64 s[34:35], s[34:35], exec
	s_and_saveexec_b64 s[38:39], s[36:37]
	s_cbranch_execz .LBB14_1108
.LBB14_1112:                            ;   in Loop: Header=BB14_1109 Depth=2
	s_sleep 1
	s_trap 2
	ds_read_b64 v[8:9], v0
	s_waitcnt lgkmcnt(0)
	s_andn2_b64 s[34:35], s[34:35], exec
	v_cmp_ge_u64_e32 vcc, v[8:9], v[38:39]
	s_orn2_b64 vcc, vcc, exec
	s_branch .LBB14_1108
.LBB14_1113:                            ;   in Loop: Header=BB14_47 Depth=1
	s_or_b64 exec, exec, s[94:95]
	s_and_saveexec_b64 s[94:95], s[30:31]
	s_xor_b64 s[94:95], exec, s[94:95]
	s_cbranch_execz .LBB14_1115
; %bb.1114:                             ;   in Loop: Header=BB14_47 Depth=1
	ds_write_b32 v0, v73
	s_trap 2
.LBB14_1115:                            ;   in Loop: Header=BB14_47 Depth=1
	s_or_b64 exec, exec, s[42:43]
	;;#ASMSTART
	s_wakeup
	;;#ASMEND
.LBB14_1116:                            ;   in Loop: Header=BB14_47 Depth=1
	s_or_b64 exec, exec, s[40:41]
.LBB14_1117:                            ;   in Loop: Header=BB14_47 Depth=1
	s_andn2_saveexec_b64 s[28:29], s[28:29]
	s_cbranch_execz .LBB14_1119
; %bb.1118:                             ;   in Loop: Header=BB14_47 Depth=1
	;;#ASMSTART
	s_waitcnt lgkmcnt(0) vmcnt(0)
	;;#ASMEND
	s_barrier
.LBB14_1119:                            ;   in Loop: Header=BB14_47 Depth=1
	s_or_b64 exec, exec, s[28:29]
	v_and_b32_e32 v2, 16, v62
.LBB14_1120:                            ;   in Loop: Header=BB14_47 Depth=1
	s_or_b64 exec, exec, s[26:27]
	v_cmp_ne_u32_e32 vcc, 0, v2
	s_xor_b64 s[26:27], s[10:11], -1
	s_and_b64 s[28:29], vcc, s[26:27]
	s_and_saveexec_b64 s[26:27], s[28:29]
	s_cbranch_execz .LBB14_1122
; %bb.1121:                             ;   in Loop: Header=BB14_47 Depth=1
	flat_store_dword v[36:37], v73 sc0 sc1
.LBB14_1122:                            ;   in Loop: Header=BB14_47 Depth=1
	s_or_b64 exec, exec, s[26:27]
	v_and_b32_e32 v2, 48, v62
	v_cmp_ne_u32_e32 vcc, 0, v2
	s_and_saveexec_b64 s[26:27], vcc
	s_cbranch_execz .LBB14_1124
; %bb.1123:                             ;   in Loop: Header=BB14_47 Depth=1
	v_lshl_add_u64 v[112:113], v[112:113], 0, 4
	flat_store_dwordx2 v[32:33], v[112:113] sc0 sc1
.LBB14_1124:                            ;   in Loop: Header=BB14_47 Depth=1
	s_or_b64 exec, exec, s[26:27]
	v_mov_b32_e32 v2, v118
	s_or_b64 exec, exec, s[92:93]
	s_and_saveexec_b64 s[28:29], s[90:91]
	s_cbranch_execnz .LBB14_619
.LBB14_1125:                            ;   in Loop: Header=BB14_47 Depth=1
	s_or_b64 exec, exec, s[28:29]
	s_and_b64 vcc, exec, s[24:25]
	s_cbranch_vccnz .LBB14_1378
.LBB14_1126:                            ;   in Loop: Header=BB14_47 Depth=1
	s_mov_b32 s56, 1
.LBB14_1127:                            ;   Parent Loop BB14_47 Depth=1
                                        ; =>  This Loop Header: Depth=2
                                        ;       Child Loop BB14_1140 Depth 3
                                        ;       Child Loop BB14_1180 Depth 3
	;; [unrolled: 1-line block ×9, first 2 shown]
                                        ;         Child Loop BB14_1280 Depth 4
                                        ;       Child Loop BB14_1287 Depth 3
                                        ;       Child Loop BB14_1292 Depth 3
                                        ;         Child Loop BB14_1293 Depth 4
                                        ;       Child Loop BB14_1329 Depth 3
                                        ;       Child Loop BB14_1360 Depth 3
	;; [unrolled: 1-line block ×5, first 2 shown]
	s_sub_i32 s24, s69, s56
	s_cmp_ge_i32 s24, s54
	s_cselect_b32 s25, s54, 0
	s_sub_i32 s24, s24, s25
	s_ashr_i32 s25, s24, 31
	v_mul_lo_u32 v2, v102, s25
	v_mul_lo_u32 v10, v103, s24
	v_mad_u64_u32 v[8:9], s[24:25], v102, s24, 0
	v_add3_u32 v9, v9, v2, v10
	v_sub_co_u32_e32 v10, vcc, v114, v8
	s_nop 1
	v_subb_co_u32_e32 v11, vcc, v115, v9, vcc
	v_cmp_lt_i64_e32 vcc, v[102:103], v[10:11]
	s_nop 1
	v_cndmask_b32_e32 v2, v10, v102, vcc
	v_max_i32_e32 v40, 0, v2
	v_add_u32_e32 v10, 15, v40
	v_ashrrev_i32_e32 v11, 31, v10
	v_lshrrev_b32_e32 v11, 28, v11
	v_add_u32_e32 v10, v10, v11
	v_cmp_gt_i32_e32 vcc, 1, v2
	v_and_b32_e32 v10, -16, v10
	s_or_b64 s[40:41], s[2:3], vcc
	v_max_i32_e32 v12, s80, v10
	s_xor_b64 s[24:25], s[40:41], -1
	v_mov_b32_e32 v2, 0
	s_and_saveexec_b64 s[42:43], s[24:25]
	s_cbranch_execz .LBB14_1133
; %bb.1128:                             ;   in Loop: Header=BB14_1127 Depth=2
	s_and_saveexec_b64 s[24:25], s[0:1]
	s_cbranch_execz .LBB14_1130
; %bb.1129:                             ;   in Loop: Header=BB14_1127 Depth=2
	s_trap 2
	ds_read_b128 v[14:17], v0
	v_lshl_add_u64 v[8:9], v[8:9], 0, v[116:117]
	v_lshlrev_b64 v[8:9], 1, v[8:9]
	s_waitcnt lgkmcnt(0)
	v_lshl_add_u64 v[10:11], v[14:15], 0, v[8:9]
	v_lshl_add_u64 v[8:9], v[16:17], 0, v[8:9]
	v_cmp_ne_u64_e32 vcc, 0, v[16:17]
	ds_write_b64 v0, v[10:11]
	s_nop 0
	v_cndmask_b32_e32 v9, 0, v9, vcc
	v_cndmask_b32_e32 v8, 0, v8, vcc
	ds_write_b64 v0, v[8:9]
.LBB14_1130:                            ;   in Loop: Header=BB14_1127 Depth=2
	s_or_b64 exec, exec, s[24:25]
	v_and_b32_e32 v2, 12, v62
	v_min_i32_e32 v12, v12, v40
	v_cmp_ne_u32_e32 vcc, 0, v2
	s_and_saveexec_b64 s[26:27], vcc
	s_cbranch_execz .LBB14_1172
; %bb.1131:                             ;   in Loop: Header=BB14_1127 Depth=2
	v_and_b32_e32 v2, 8, v62
	s_waitcnt vmcnt(0) lgkmcnt(0)
	v_lshl_add_u64 v[10:11], v[48:49], 0, v[2:3]
	v_lshl_add_u64 v[8:9], v[112:113], 0, 4
	v_cmp_lt_u64_e32 vcc, v[10:11], v[8:9]
	s_and_saveexec_b64 s[28:29], vcc
	s_cbranch_execz .LBB14_1159
; %bb.1132:                             ;   in Loop: Header=BB14_1127 Depth=2
	v_and_b32_e32 v10, 64, v62
	s_mov_b32 s52, 0
	v_cmp_eq_u32_e32 vcc, 0, v10
	s_mov_b64 s[90:91], 0
                                        ; implicit-def: $sgpr92_sgpr93
                                        ; implicit-def: $sgpr94_sgpr95
                                        ; implicit-def: $sgpr30_sgpr31
	s_branch .LBB14_1140
.LBB14_1133:                            ;   in Loop: Header=BB14_1127 Depth=2
	s_or_b64 exec, exec, s[42:43]
	s_and_saveexec_b64 s[26:27], s[40:41]
	s_cbranch_execz .LBB14_1376
.LBB14_1134:                            ;   in Loop: Header=BB14_1127 Depth=2
	v_sub_u32_e32 v2, v40, v2
	v_min_i32_e32 v8, v12, v2
	v_and_b32_e32 v2, 12, v62
	v_cmp_ne_u32_e32 vcc, 0, v2
	s_and_saveexec_b64 s[28:29], vcc
	s_cbranch_execz .LBB14_1151
; %bb.1135:                             ;   in Loop: Header=BB14_1127 Depth=2
	v_and_b32_e32 v2, 8, v62
	s_waitcnt vmcnt(0) lgkmcnt(0)
	v_lshl_add_u64 v[12:13], v[48:49], 0, v[2:3]
	v_lshl_add_u64 v[10:11], v[112:113], 0, 4
	v_cmp_lt_u64_e32 vcc, v[12:13], v[10:11]
	s_and_saveexec_b64 s[40:41], vcc
	s_cbranch_execz .LBB14_1187
; %bb.1136:                             ;   in Loop: Header=BB14_1127 Depth=2
	v_and_b32_e32 v9, 64, v62
	s_mov_b32 s50, 0
	v_cmp_eq_u32_e32 vcc, 0, v9
	s_mov_b64 s[42:43], 0
                                        ; implicit-def: $sgpr90_sgpr91
                                        ; implicit-def: $sgpr92_sgpr93
                                        ; implicit-def: $sgpr94_sgpr95
	s_branch .LBB14_1147
.LBB14_1137:                            ;   in Loop: Header=BB14_1140 Depth=3
	s_waitcnt vmcnt(0) lgkmcnt(0)
	v_lshl_add_u64 v[14:15], v[48:49], 0, v[2:3]
	v_cmp_ge_u64_e64 s[24:25], v[14:15], v[8:9]
	s_or_b64 s[38:39], s[38:39], exec
	s_orn2_b64 s[36:37], s[24:25], exec
.LBB14_1138:                            ;   in Loop: Header=BB14_1140 Depth=3
	s_or_b64 exec, exec, s[50:51]
	s_andn2_b64 s[24:25], s[30:31], exec
	s_and_b64 s[30:31], s[38:39], exec
	s_or_b64 s[30:31], s[24:25], s[30:31]
	s_andn2_b64 s[24:25], s[94:95], exec
	s_and_b64 s[94:95], s[36:37], exec
	s_or_b64 s[94:95], s[24:25], s[94:95]
.LBB14_1139:                            ;   in Loop: Header=BB14_1140 Depth=3
	s_or_b64 exec, exec, s[34:35]
	s_and_b64 s[24:25], exec, s[94:95]
	s_or_b64 s[90:91], s[24:25], s[90:91]
	s_andn2_b64 s[24:25], s[92:93], exec
	s_and_b64 s[92:93], s[30:31], exec
	s_or_b64 s[92:93], s[24:25], s[92:93]
	s_andn2_b64 exec, exec, s[90:91]
	s_cbranch_execz .LBB14_1156
.LBB14_1140:                            ;   Parent Loop BB14_47 Depth=1
                                        ;     Parent Loop BB14_1127 Depth=2
                                        ; =>    This Inner Loop Header: Depth=3
	s_sleep 1
	s_waitcnt vmcnt(0) lgkmcnt(0)
	flat_load_dwordx2 v[48:49], v[32:33] sc0 sc1
	s_or_b64 s[30:31], s[30:31], exec
	s_or_b64 s[94:95], s[94:95], exec
                                        ; implicit-def: $vgpr10
	s_and_saveexec_b64 s[34:35], vcc
	s_cbranch_execz .LBB14_1139
; %bb.1141:                             ;   in Loop: Header=BB14_1140 Depth=3
	s_cmpk_lt_i32 s52, 0x270f
	s_cselect_b64 s[48:49], -1, 0
	s_cmpk_gt_i32 s52, 0x270e
	s_mov_b64 s[36:37], -1
	s_cbranch_scc0 .LBB14_1143
; %bb.1142:                             ;   in Loop: Header=BB14_1140 Depth=3
	s_trap 2
	ds_read_b64 v[10:11], v0
	s_andn2_b64 s[48:49], s[48:49], exec
	s_mov_b32 s52, 0
	s_mov_b64 s[38:39], 0
	s_waitcnt vmcnt(0) lgkmcnt(0)
	flat_load_dword v10, v[10:11] sc0 sc1
	s_waitcnt vmcnt(0) lgkmcnt(0)
	buffer_inv sc0 sc1
	v_cmp_eq_u32_e64 s[24:25], 0, v10
	s_and_b64 s[24:25], s[24:25], exec
	s_or_b64 s[48:49], s[48:49], s[24:25]
	s_and_saveexec_b64 s[50:51], s[48:49]
	s_cbranch_execz .LBB14_1138
	s_branch .LBB14_1137
.LBB14_1143:                            ;   in Loop: Header=BB14_1140 Depth=3
	s_add_i32 s52, s52, 1
	s_mov_b64 s[38:39], -1
                                        ; implicit-def: $vgpr10
	s_and_saveexec_b64 s[50:51], s[48:49]
	s_cbranch_execz .LBB14_1138
	s_branch .LBB14_1137
.LBB14_1144:                            ;   in Loop: Header=BB14_1147 Depth=3
	s_waitcnt vmcnt(0) lgkmcnt(0)
	v_lshl_add_u64 v[12:13], v[48:49], 0, v[2:3]
	v_cmp_ge_u64_e64 s[24:25], v[12:13], v[10:11]
	s_or_b64 s[36:37], s[36:37], exec
	s_orn2_b64 s[34:35], s[24:25], exec
.LBB14_1145:                            ;   in Loop: Header=BB14_1147 Depth=3
	s_or_b64 exec, exec, s[48:49]
	s_andn2_b64 s[24:25], s[94:95], exec
	s_and_b64 s[94:95], s[36:37], exec
	s_or_b64 s[94:95], s[24:25], s[94:95]
	s_andn2_b64 s[24:25], s[92:93], exec
	s_and_b64 s[92:93], s[34:35], exec
	s_or_b64 s[92:93], s[24:25], s[92:93]
.LBB14_1146:                            ;   in Loop: Header=BB14_1147 Depth=3
	s_or_b64 exec, exec, s[30:31]
	s_and_b64 s[24:25], exec, s[92:93]
	s_or_b64 s[42:43], s[24:25], s[42:43]
	s_andn2_b64 s[24:25], s[90:91], exec
	s_and_b64 s[90:91], s[94:95], exec
	s_or_b64 s[90:91], s[24:25], s[90:91]
	s_andn2_b64 exec, exec, s[42:43]
	s_cbranch_execz .LBB14_1184
.LBB14_1147:                            ;   Parent Loop BB14_47 Depth=1
                                        ;     Parent Loop BB14_1127 Depth=2
                                        ; =>    This Inner Loop Header: Depth=3
	s_sleep 1
	s_waitcnt vmcnt(0) lgkmcnt(0)
	flat_load_dwordx2 v[48:49], v[32:33] sc0 sc1
	s_or_b64 s[94:95], s[94:95], exec
	s_or_b64 s[92:93], s[92:93], exec
                                        ; implicit-def: $vgpr9
	s_and_saveexec_b64 s[30:31], vcc
	s_cbranch_execz .LBB14_1146
; %bb.1148:                             ;   in Loop: Header=BB14_1147 Depth=3
	s_cmpk_lt_i32 s50, 0x270f
	s_cselect_b64 s[38:39], -1, 0
	s_cmpk_gt_i32 s50, 0x270e
	s_mov_b64 s[34:35], -1
	s_cbranch_scc0 .LBB14_1150
; %bb.1149:                             ;   in Loop: Header=BB14_1147 Depth=3
	s_trap 2
	ds_read_b64 v[12:13], v0
	s_andn2_b64 s[38:39], s[38:39], exec
	s_mov_b32 s50, 0
	s_mov_b64 s[36:37], 0
	s_waitcnt vmcnt(0) lgkmcnt(0)
	flat_load_dword v9, v[12:13] sc0 sc1
	s_waitcnt vmcnt(0) lgkmcnt(0)
	buffer_inv sc0 sc1
	v_cmp_eq_u32_e64 s[24:25], 0, v9
	s_and_b64 s[24:25], s[24:25], exec
	s_or_b64 s[38:39], s[38:39], s[24:25]
	s_and_saveexec_b64 s[48:49], s[38:39]
	s_cbranch_execz .LBB14_1145
	s_branch .LBB14_1144
.LBB14_1150:                            ;   in Loop: Header=BB14_1147 Depth=3
	s_add_i32 s50, s50, 1
	s_mov_b64 s[36:37], -1
                                        ; implicit-def: $vgpr9
	s_and_saveexec_b64 s[48:49], s[38:39]
	s_cbranch_execz .LBB14_1145
	s_branch .LBB14_1144
.LBB14_1151:                            ;   in Loop: Header=BB14_1127 Depth=2
	s_or_b64 exec, exec, s[28:29]
	s_and_saveexec_b64 s[24:25], s[6:7]
	s_cbranch_execnz .LBB14_1200
.LBB14_1152:                            ;   in Loop: Header=BB14_1127 Depth=2
	s_or_b64 exec, exec, s[24:25]
                                        ; implicit-def: $vgpr2
	s_and_saveexec_b64 s[24:25], s[22:23]
	s_xor_b64 s[24:25], exec, s[24:25]
	s_cbranch_execz .LBB14_1237
.LBB14_1153:                            ;   in Loop: Header=BB14_1127 Depth=2
	s_trap 2
	ds_read_b32 v9, v0
	v_cmp_lt_i32_e32 vcc, 0, v8
	v_and_b32_e32 v8, 16, v62
	v_and_b32_e32 v2, 16, v62
	s_waitcnt lgkmcnt(0)
	v_readfirstlane_b32 s28, v9
	s_cmp_eq_u32 s28, 0
	s_cselect_b64 s[28:29], -1, 0
	s_and_b64 s[28:29], vcc, s[28:29]
	v_cmp_ne_u32_e32 vcc, 0, v8
	s_and_b64 s[40:41], vcc, s[28:29]
	s_and_saveexec_b64 s[28:29], s[40:41]
	s_cbranch_execz .LBB14_1155
; %bb.1154:                             ;   in Loop: Header=BB14_1127 Depth=2
	v_mov_b32_e32 v2, 1
	buffer_wbl2 sc1
	s_waitcnt vmcnt(0)
	buffer_inv sc1
.LBB14_1155:                            ;   in Loop: Header=BB14_1127 Depth=2
	s_or_b64 exec, exec, s[28:29]
	s_andn2_saveexec_b64 s[24:25], s[24:25]
	s_cbranch_execz .LBB14_1340
	s_branch .LBB14_1238
.LBB14_1156:                            ;   in Loop: Header=BB14_1127 Depth=2
	s_or_b64 exec, exec, s[90:91]
	s_xor_b64 s[24:25], s[92:93], -1
	s_and_saveexec_b64 s[90:91], s[24:25]
	s_xor_b64 s[24:25], exec, s[90:91]
	s_cbranch_execz .LBB14_1158
; %bb.1157:                             ;   in Loop: Header=BB14_1127 Depth=2
	v_or_b32_e32 v62, 64, v62
	s_waitcnt lgkmcnt(0)
	ds_write_b32 v0, v10
	s_trap 2
.LBB14_1158:                            ;   in Loop: Header=BB14_1127 Depth=2
	s_or_b64 exec, exec, s[24:25]
.LBB14_1159:                            ;   in Loop: Header=BB14_1127 Depth=2
	s_or_b64 exec, exec, s[28:29]
	v_and_b32_e32 v10, 0x108, v62
	v_cmp_ne_u32_e32 vcc, s65, v10
	;;#ASMSTART
	s_wakeup
	;;#ASMEND
                                        ; implicit-def: $vgpr10_vgpr11
	s_and_saveexec_b64 s[24:25], vcc
	s_xor_b64 s[24:25], exec, s[24:25]
; %bb.1160:                             ;   in Loop: Header=BB14_1127 Depth=2
	v_and_b32_e32 v10, 7, v112
	v_mov_b32_e32 v11, v3
                                        ; implicit-def: $vgpr112_vgpr113
; %bb.1161:                             ;   in Loop: Header=BB14_1127 Depth=2
	s_andn2_saveexec_b64 s[24:25], s[24:25]
	s_cbranch_execz .LBB14_1163
; %bb.1162:                             ;   in Loop: Header=BB14_1127 Depth=2
	v_and_b32_e32 v10, 7, v112
	v_ashrrev_i32_e32 v13, 31, v12
	v_mov_b32_e32 v11, v3
	v_mad_u64_u32 v[14:15], s[28:29], v10, 24, v[6:7]
	v_lshlrev_b64 v[16:17], 1, v[12:13]
	flat_store_dwordx2 v[14:15], v[16:17] offset:8
.LBB14_1163:                            ;   in Loop: Header=BB14_1127 Depth=2
	s_or_b64 exec, exec, s[24:25]
	v_and_b32_e32 v13, 0x100, v62
	v_cmp_ne_u32_e32 vcc, 0, v13
	s_mov_b64 s[24:25], -1
                                        ; implicit-def: $vgpr14_vgpr15
	s_and_saveexec_b64 s[28:29], vcc
	s_cbranch_execz .LBB14_1167
; %bb.1164:                             ;   in Loop: Header=BB14_1127 Depth=2
	v_mad_u64_u32 v[16:17], s[24:25], v10, 24, v[6:7]
	v_mov_b32_e32 v14, v17
	v_mad_u64_u32 v[14:15], s[24:25], v11, 24, v[14:15]
	v_mov_b32_e32 v17, v14
	flat_load_dword v13, v[16:17]
                                        ; implicit-def: $vgpr14_vgpr15
	s_waitcnt vmcnt(0) lgkmcnt(0)
	v_cmp_ne_u32_e32 vcc, 1, v13
	v_cmp_eq_u32_e64 s[24:25], 1, v13
	s_and_saveexec_b64 s[90:91], s[24:25]
	s_cbranch_execz .LBB14_1166
; %bb.1165:                             ;   in Loop: Header=BB14_1127 Depth=2
	flat_load_dword v14, v[16:17] offset:4 sc0 sc1
	s_waitcnt vmcnt(0) lgkmcnt(0)
	v_ashrrev_i32_e32 v15, 31, v14
	v_lshrrev_b64 v[14:15], 1, v[14:15]
.LBB14_1166:                            ;   in Loop: Header=BB14_1127 Depth=2
	s_or_b64 exec, exec, s[90:91]
	s_orn2_b64 s[24:25], vcc, exec
.LBB14_1167:                            ;   in Loop: Header=BB14_1127 Depth=2
	s_or_b64 exec, exec, s[28:29]
	s_and_saveexec_b64 s[28:29], s[24:25]
; %bb.1168:                             ;   in Loop: Header=BB14_1127 Depth=2
	v_mul_lo_u32 v11, v11, v30
	v_mul_lo_u32 v13, v10, v51
	v_mad_u64_u32 v[14:15], s[24:25], v10, v30, 0
	v_add3_u32 v15, v15, v13, v11
; %bb.1169:                             ;   in Loop: Header=BB14_1127 Depth=2
	s_or_b64 exec, exec, s[28:29]
	v_cmp_eq_u32_e32 vcc, 0, v2
	v_lshl_add_u64 v[10:11], v[14:15], 1, v[34:35]
	s_nop 0
	v_cndmask_b32_e32 v2, v76, v77, vcc
	v_add_u32_e32 v2, v0, v2
	ds_write_b64 v2, v[10:11] offset:584
	v_and_b32_e32 v2, 0x2000, v62
	v_cmp_ne_u32_e32 vcc, 0, v2
	s_and_saveexec_b64 s[24:25], vcc
	s_cbranch_execz .LBB14_1171
; %bb.1170:                             ;   in Loop: Header=BB14_1127 Depth=2
	ds_read_b64 v[10:11], v0 offset:872
	s_waitcnt lgkmcnt(0)
	v_lshl_add_u64 v[10:11], v[10:11], 0, 1
	ds_write_b64 v0, v[10:11] offset:872
.LBB14_1171:                            ;   in Loop: Header=BB14_1127 Depth=2
	s_or_b64 exec, exec, s[24:25]
	v_mov_b64_e32 v[112:113], v[8:9]
.LBB14_1172:                            ;   in Loop: Header=BB14_1127 Depth=2
	s_or_b64 exec, exec, s[26:27]
	s_and_saveexec_b64 s[24:25], s[6:7]
	s_cbranch_execz .LBB14_1218
; %bb.1173:                             ;   in Loop: Header=BB14_1127 Depth=2
	s_and_saveexec_b64 s[26:27], s[58:59]
	s_xor_b64 s[26:27], exec, s[26:27]
	s_cbranch_execz .LBB14_1215
; %bb.1174:                             ;   in Loop: Header=BB14_1127 Depth=2
	s_and_saveexec_b64 s[28:29], s[14:15]
	s_cbranch_execz .LBB14_1214
; %bb.1175:                             ;   in Loop: Header=BB14_1127 Depth=2
	s_mov_b64 s[92:93], exec
	v_mbcnt_lo_u32_b32 v2, s92, 0
	v_mbcnt_hi_u32_b32 v2, s93, v2
	v_cmp_eq_u32_e32 vcc, 0, v2
	s_waitcnt lgkmcnt(0)
	s_and_saveexec_b64 s[90:91], vcc
	s_cbranch_execz .LBB14_1177
; %bb.1176:                             ;   in Loop: Header=BB14_1127 Depth=2
	s_bcnt1_i32_b64 s92, s[92:93]
	v_mov_b32_e32 v2, s92
	ds_add_u64 v0, v[2:3]
	s_trap 2
.LBB14_1177:                            ;   in Loop: Header=BB14_1127 Depth=2
	s_or_b64 exec, exec, s[90:91]
	s_trap 2
	ds_read_b64 v[8:9], v0
	s_waitcnt lgkmcnt(0)
	v_lshl_add_u64 v[38:39], v[38:39], 0, v[52:53]
	v_cmp_lt_u64_e32 vcc, v[8:9], v[38:39]
	s_and_saveexec_b64 s[90:91], vcc
	s_cbranch_execz .LBB14_1213
; %bb.1178:                             ;   in Loop: Header=BB14_1127 Depth=2
	s_mov_b32 s38, 0
	s_mov_b64 s[92:93], 0
                                        ; implicit-def: $sgpr94_sgpr95
                                        ; implicit-def: $sgpr30_sgpr31
	s_branch .LBB14_1180
.LBB14_1179:                            ;   in Loop: Header=BB14_1180 Depth=3
	s_or_b64 exec, exec, s[36:37]
	s_and_b64 vcc, exec, vcc
	s_or_b64 s[92:93], vcc, s[92:93]
	s_andn2_b64 s[94:95], s[94:95], exec
	s_and_b64 vcc, s[30:31], exec
	s_or_b64 s[94:95], s[94:95], vcc
	s_andn2_b64 exec, exec, s[92:93]
	s_cbranch_execz .LBB14_1211
.LBB14_1180:                            ;   Parent Loop BB14_47 Depth=1
                                        ;     Parent Loop BB14_1127 Depth=2
                                        ; =>    This Inner Loop Header: Depth=3
	s_add_i32 s38, s38, 1
	s_cmpk_lg_i32 s38, 0x2710
	s_cselect_b64 s[34:35], -1, 0
	s_and_b64 vcc, exec, s[34:35]
	s_cbranch_vccz .LBB14_1182
; %bb.1181:                             ;   in Loop: Header=BB14_1180 Depth=3
	s_mov_b64 vcc, -1
	s_or_b64 s[30:31], s[30:31], exec
	s_and_saveexec_b64 s[36:37], s[34:35]
	s_cbranch_execz .LBB14_1179
	s_branch .LBB14_1183
.LBB14_1182:                            ;   in Loop: Header=BB14_1180 Depth=3
	s_trap 2
	ds_read_b64 v[8:9], v0
	s_andn2_b64 s[34:35], s[34:35], exec
	s_mov_b32 s38, 0
	s_waitcnt vmcnt(0) lgkmcnt(0)
	flat_load_dword v2, v[8:9] sc0 sc1
	s_waitcnt vmcnt(0) lgkmcnt(0)
	buffer_inv sc0 sc1
	v_cmp_eq_u32_e32 vcc, 0, v2
	s_and_b64 vcc, vcc, exec
	s_or_b64 s[34:35], s[34:35], vcc
	s_mov_b64 vcc, -1
	s_or_b64 s[30:31], s[30:31], exec
	s_and_saveexec_b64 s[36:37], s[34:35]
	s_cbranch_execz .LBB14_1179
.LBB14_1183:                            ;   in Loop: Header=BB14_1180 Depth=3
	s_sleep 1
	s_trap 2
	ds_read_b64 v[8:9], v0
	s_waitcnt lgkmcnt(0)
	s_andn2_b64 s[30:31], s[30:31], exec
	v_cmp_ge_u64_e32 vcc, v[8:9], v[38:39]
	s_orn2_b64 vcc, vcc, exec
	s_branch .LBB14_1179
.LBB14_1184:                            ;   in Loop: Header=BB14_1127 Depth=2
	s_or_b64 exec, exec, s[42:43]
	s_xor_b64 s[24:25], s[90:91], -1
	s_and_saveexec_b64 s[42:43], s[24:25]
	s_xor_b64 s[24:25], exec, s[42:43]
	s_cbranch_execz .LBB14_1186
; %bb.1185:                             ;   in Loop: Header=BB14_1127 Depth=2
	v_or_b32_e32 v62, 64, v62
	s_waitcnt lgkmcnt(0)
	ds_write_b32 v0, v9
	s_trap 2
.LBB14_1186:                            ;   in Loop: Header=BB14_1127 Depth=2
	s_or_b64 exec, exec, s[24:25]
.LBB14_1187:                            ;   in Loop: Header=BB14_1127 Depth=2
	s_or_b64 exec, exec, s[40:41]
	v_and_b32_e32 v9, 0x108, v62
	v_cmp_ne_u32_e32 vcc, s65, v9
	;;#ASMSTART
	s_wakeup
	;;#ASMEND
                                        ; implicit-def: $vgpr12_vgpr13
	s_and_saveexec_b64 s[24:25], vcc
	s_xor_b64 s[24:25], exec, s[24:25]
; %bb.1188:                             ;   in Loop: Header=BB14_1127 Depth=2
	v_and_b32_e32 v12, 7, v112
	v_mov_b32_e32 v13, v3
                                        ; implicit-def: $vgpr112_vgpr113
; %bb.1189:                             ;   in Loop: Header=BB14_1127 Depth=2
	s_andn2_saveexec_b64 s[24:25], s[24:25]
	s_cbranch_execz .LBB14_1191
; %bb.1190:                             ;   in Loop: Header=BB14_1127 Depth=2
	v_and_b32_e32 v12, 7, v112
	v_ashrrev_i32_e32 v9, 31, v8
	v_mov_b32_e32 v13, v3
	v_mad_u64_u32 v[14:15], s[40:41], v12, 24, v[6:7]
	v_lshlrev_b64 v[16:17], 1, v[8:9]
	flat_store_dwordx2 v[14:15], v[16:17] offset:8
.LBB14_1191:                            ;   in Loop: Header=BB14_1127 Depth=2
	s_or_b64 exec, exec, s[24:25]
	v_and_b32_e32 v9, 0x100, v62
	v_cmp_ne_u32_e32 vcc, 0, v9
	s_mov_b64 s[24:25], -1
                                        ; implicit-def: $vgpr14_vgpr15
	s_and_saveexec_b64 s[40:41], vcc
	s_cbranch_execz .LBB14_1195
; %bb.1192:                             ;   in Loop: Header=BB14_1127 Depth=2
	v_mad_u64_u32 v[16:17], s[24:25], v12, 24, v[6:7]
	v_mov_b32_e32 v14, v17
	v_mad_u64_u32 v[14:15], s[24:25], v13, 24, v[14:15]
	v_mov_b32_e32 v17, v14
	flat_load_dword v9, v[16:17]
                                        ; implicit-def: $vgpr14_vgpr15
	s_waitcnt vmcnt(0) lgkmcnt(0)
	v_cmp_ne_u32_e32 vcc, 1, v9
	v_cmp_eq_u32_e64 s[24:25], 1, v9
	s_and_saveexec_b64 s[42:43], s[24:25]
	s_cbranch_execz .LBB14_1194
; %bb.1193:                             ;   in Loop: Header=BB14_1127 Depth=2
	flat_load_dword v14, v[16:17] offset:4 sc0 sc1
	s_waitcnt vmcnt(0) lgkmcnt(0)
	v_ashrrev_i32_e32 v15, 31, v14
	v_lshrrev_b64 v[14:15], 1, v[14:15]
.LBB14_1194:                            ;   in Loop: Header=BB14_1127 Depth=2
	s_or_b64 exec, exec, s[42:43]
	s_orn2_b64 s[24:25], vcc, exec
.LBB14_1195:                            ;   in Loop: Header=BB14_1127 Depth=2
	s_or_b64 exec, exec, s[40:41]
	s_and_saveexec_b64 s[40:41], s[24:25]
; %bb.1196:                             ;   in Loop: Header=BB14_1127 Depth=2
	v_mul_lo_u32 v9, v13, v30
	v_mul_lo_u32 v13, v12, v51
	v_mad_u64_u32 v[14:15], s[24:25], v12, v30, 0
	v_add3_u32 v15, v15, v13, v9
; %bb.1197:                             ;   in Loop: Header=BB14_1127 Depth=2
	s_or_b64 exec, exec, s[40:41]
	v_cmp_eq_u32_e32 vcc, 0, v2
	v_lshl_add_u64 v[12:13], v[14:15], 1, v[34:35]
	s_nop 0
	v_cndmask_b32_e32 v2, v76, v77, vcc
	v_add_u32_e32 v2, v0, v2
	ds_write_b64 v2, v[12:13] offset:584
	v_and_b32_e32 v2, 0x2000, v62
	v_cmp_ne_u32_e32 vcc, 0, v2
	s_and_saveexec_b64 s[24:25], vcc
	s_cbranch_execz .LBB14_1199
; %bb.1198:                             ;   in Loop: Header=BB14_1127 Depth=2
	ds_read_b64 v[12:13], v0 offset:872
	s_waitcnt lgkmcnt(0)
	v_lshl_add_u64 v[12:13], v[12:13], 0, 1
	ds_write_b64 v0, v[12:13] offset:872
.LBB14_1199:                            ;   in Loop: Header=BB14_1127 Depth=2
	s_or_b64 exec, exec, s[24:25]
	v_mov_b64_e32 v[112:113], v[10:11]
	s_or_b64 exec, exec, s[28:29]
	s_and_saveexec_b64 s[24:25], s[6:7]
	s_cbranch_execz .LBB14_1152
.LBB14_1200:                            ;   in Loop: Header=BB14_1127 Depth=2
	s_and_saveexec_b64 s[28:29], s[58:59]
	s_xor_b64 s[28:29], exec, s[28:29]
	s_cbranch_execz .LBB14_1234
; %bb.1201:                             ;   in Loop: Header=BB14_1127 Depth=2
	s_and_saveexec_b64 s[40:41], s[14:15]
	s_cbranch_execz .LBB14_1233
; %bb.1202:                             ;   in Loop: Header=BB14_1127 Depth=2
	s_mov_b64 s[90:91], exec
	v_mbcnt_lo_u32_b32 v2, s90, 0
	v_mbcnt_hi_u32_b32 v2, s91, v2
	v_cmp_eq_u32_e32 vcc, 0, v2
	s_waitcnt lgkmcnt(0)
	s_and_saveexec_b64 s[42:43], vcc
	s_cbranch_execz .LBB14_1204
; %bb.1203:                             ;   in Loop: Header=BB14_1127 Depth=2
	s_bcnt1_i32_b64 s90, s[90:91]
	v_mov_b32_e32 v2, s90
	ds_add_u64 v0, v[2:3]
	s_trap 2
.LBB14_1204:                            ;   in Loop: Header=BB14_1127 Depth=2
	s_or_b64 exec, exec, s[42:43]
	s_trap 2
	ds_read_b64 v[10:11], v0
	s_waitcnt lgkmcnt(0)
	v_lshl_add_u64 v[38:39], v[38:39], 0, v[52:53]
	v_cmp_lt_u64_e32 vcc, v[10:11], v[38:39]
	s_and_saveexec_b64 s[42:43], vcc
	s_cbranch_execz .LBB14_1232
; %bb.1205:                             ;   in Loop: Header=BB14_1127 Depth=2
	s_mov_b32 s36, 0
	s_mov_b64 s[90:91], 0
                                        ; implicit-def: $sgpr92_sgpr93
                                        ; implicit-def: $sgpr94_sgpr95
	s_branch .LBB14_1207
.LBB14_1206:                            ;   in Loop: Header=BB14_1207 Depth=3
	s_or_b64 exec, exec, s[34:35]
	s_and_b64 vcc, exec, vcc
	s_or_b64 s[90:91], vcc, s[90:91]
	s_andn2_b64 s[92:93], s[92:93], exec
	s_and_b64 vcc, s[94:95], exec
	s_or_b64 s[92:93], s[92:93], vcc
	s_andn2_b64 exec, exec, s[90:91]
	s_cbranch_execz .LBB14_1230
.LBB14_1207:                            ;   Parent Loop BB14_47 Depth=1
                                        ;     Parent Loop BB14_1127 Depth=2
                                        ; =>    This Inner Loop Header: Depth=3
	s_add_i32 s36, s36, 1
	s_cmpk_lg_i32 s36, 0x2710
	s_cselect_b64 s[30:31], -1, 0
	s_and_b64 vcc, exec, s[30:31]
	s_cbranch_vccz .LBB14_1209
; %bb.1208:                             ;   in Loop: Header=BB14_1207 Depth=3
	s_mov_b64 vcc, -1
	s_or_b64 s[94:95], s[94:95], exec
	s_and_saveexec_b64 s[34:35], s[30:31]
	s_cbranch_execz .LBB14_1206
	s_branch .LBB14_1210
.LBB14_1209:                            ;   in Loop: Header=BB14_1207 Depth=3
	s_trap 2
	ds_read_b64 v[10:11], v0
	s_andn2_b64 s[30:31], s[30:31], exec
	s_mov_b32 s36, 0
	s_waitcnt vmcnt(0) lgkmcnt(0)
	flat_load_dword v2, v[10:11] sc0 sc1
	s_waitcnt vmcnt(0) lgkmcnt(0)
	buffer_inv sc0 sc1
	v_cmp_eq_u32_e32 vcc, 0, v2
	s_and_b64 vcc, vcc, exec
	s_or_b64 s[30:31], s[30:31], vcc
	s_mov_b64 vcc, -1
	s_or_b64 s[94:95], s[94:95], exec
	s_and_saveexec_b64 s[34:35], s[30:31]
	s_cbranch_execz .LBB14_1206
.LBB14_1210:                            ;   in Loop: Header=BB14_1207 Depth=3
	s_sleep 1
	s_trap 2
	ds_read_b64 v[10:11], v0
	s_waitcnt lgkmcnt(0)
	s_andn2_b64 s[94:95], s[94:95], exec
	v_cmp_ge_u64_e32 vcc, v[10:11], v[38:39]
	s_orn2_b64 vcc, vcc, exec
	s_branch .LBB14_1206
.LBB14_1211:                            ;   in Loop: Header=BB14_1127 Depth=2
	s_or_b64 exec, exec, s[92:93]
	s_and_saveexec_b64 s[92:93], s[94:95]
	s_xor_b64 s[92:93], exec, s[92:93]
	s_cbranch_execz .LBB14_1213
; %bb.1212:                             ;   in Loop: Header=BB14_1127 Depth=2
	ds_write_b32 v0, v73
	s_trap 2
.LBB14_1213:                            ;   in Loop: Header=BB14_1127 Depth=2
	s_or_b64 exec, exec, s[90:91]
	;;#ASMSTART
	s_wakeup
	;;#ASMEND
.LBB14_1214:                            ;   in Loop: Header=BB14_1127 Depth=2
	s_or_b64 exec, exec, s[28:29]
.LBB14_1215:                            ;   in Loop: Header=BB14_1127 Depth=2
	s_andn2_saveexec_b64 s[26:27], s[26:27]
	s_cbranch_execz .LBB14_1217
; %bb.1216:                             ;   in Loop: Header=BB14_1127 Depth=2
	s_waitcnt lgkmcnt(0)
	s_barrier
.LBB14_1217:                            ;   in Loop: Header=BB14_1127 Depth=2
	s_or_b64 exec, exec, s[26:27]
.LBB14_1218:                            ;   in Loop: Header=BB14_1127 Depth=2
	s_or_b64 exec, exec, s[24:25]
	s_trap 2
	ds_read_b32 v8, v0
	v_and_b32_e32 v2, 0x4000, v62
	v_cmp_ne_u32_e32 vcc, 0, v2
	s_xor_b64 s[24:25], s[4:5], -1
	s_and_b64 s[26:27], s[24:25], vcc
	s_and_saveexec_b64 s[24:25], s[26:27]
	s_cbranch_execz .LBB14_1256
; %bb.1219:                             ;   in Loop: Header=BB14_1127 Depth=2
	s_and_saveexec_b64 s[26:27], s[58:59]
	s_xor_b64 s[26:27], exec, s[26:27]
	s_cbranch_execz .LBB14_1253
; %bb.1220:                             ;   in Loop: Header=BB14_1127 Depth=2
	s_and_saveexec_b64 s[28:29], s[14:15]
	s_cbranch_execz .LBB14_1252
; %bb.1221:                             ;   in Loop: Header=BB14_1127 Depth=2
	s_mov_b64 s[92:93], exec
	v_mbcnt_lo_u32_b32 v2, s92, 0
	v_mbcnt_hi_u32_b32 v2, s93, v2
	v_cmp_eq_u32_e32 vcc, 0, v2
	s_waitcnt lgkmcnt(0)
	s_and_saveexec_b64 s[90:91], vcc
	s_cbranch_execz .LBB14_1223
; %bb.1222:                             ;   in Loop: Header=BB14_1127 Depth=2
	s_bcnt1_i32_b64 s92, s[92:93]
	v_mov_b32_e32 v2, s92
	ds_add_u64 v0, v[2:3]
	s_trap 2
.LBB14_1223:                            ;   in Loop: Header=BB14_1127 Depth=2
	s_or_b64 exec, exec, s[90:91]
	s_trap 2
	ds_read_b64 v[10:11], v0
	s_waitcnt lgkmcnt(0)
	v_lshl_add_u64 v[38:39], v[38:39], 0, v[52:53]
	v_cmp_lt_u64_e32 vcc, v[10:11], v[38:39]
	s_and_saveexec_b64 s[90:91], vcc
	s_cbranch_execz .LBB14_1251
; %bb.1224:                             ;   in Loop: Header=BB14_1127 Depth=2
	s_mov_b32 s38, 0
	s_mov_b64 s[92:93], 0
                                        ; implicit-def: $sgpr94_sgpr95
                                        ; implicit-def: $sgpr30_sgpr31
	s_branch .LBB14_1226
.LBB14_1225:                            ;   in Loop: Header=BB14_1226 Depth=3
	s_or_b64 exec, exec, s[36:37]
	s_and_b64 vcc, exec, vcc
	s_or_b64 s[92:93], vcc, s[92:93]
	s_andn2_b64 s[94:95], s[94:95], exec
	s_and_b64 vcc, s[30:31], exec
	s_or_b64 s[94:95], s[94:95], vcc
	s_andn2_b64 exec, exec, s[92:93]
	s_cbranch_execz .LBB14_1249
.LBB14_1226:                            ;   Parent Loop BB14_47 Depth=1
                                        ;     Parent Loop BB14_1127 Depth=2
                                        ; =>    This Inner Loop Header: Depth=3
	s_add_i32 s38, s38, 1
	s_cmpk_lg_i32 s38, 0x2710
	s_cselect_b64 s[34:35], -1, 0
	s_and_b64 vcc, exec, s[34:35]
	s_cbranch_vccz .LBB14_1228
; %bb.1227:                             ;   in Loop: Header=BB14_1226 Depth=3
	s_mov_b64 vcc, -1
	s_or_b64 s[30:31], s[30:31], exec
	s_and_saveexec_b64 s[36:37], s[34:35]
	s_cbranch_execz .LBB14_1225
	s_branch .LBB14_1229
.LBB14_1228:                            ;   in Loop: Header=BB14_1226 Depth=3
	s_trap 2
	ds_read_b64 v[10:11], v0
	s_andn2_b64 s[34:35], s[34:35], exec
	s_mov_b32 s38, 0
	s_waitcnt vmcnt(0) lgkmcnt(0)
	flat_load_dword v2, v[10:11] sc0 sc1
	s_waitcnt vmcnt(0) lgkmcnt(0)
	buffer_inv sc0 sc1
	v_cmp_eq_u32_e32 vcc, 0, v2
	s_and_b64 vcc, vcc, exec
	s_or_b64 s[34:35], s[34:35], vcc
	s_mov_b64 vcc, -1
	s_or_b64 s[30:31], s[30:31], exec
	s_and_saveexec_b64 s[36:37], s[34:35]
	s_cbranch_execz .LBB14_1225
.LBB14_1229:                            ;   in Loop: Header=BB14_1226 Depth=3
	s_sleep 1
	s_trap 2
	ds_read_b64 v[10:11], v0
	s_waitcnt lgkmcnt(0)
	s_andn2_b64 s[30:31], s[30:31], exec
	v_cmp_ge_u64_e32 vcc, v[10:11], v[38:39]
	s_orn2_b64 vcc, vcc, exec
	s_branch .LBB14_1225
.LBB14_1230:                            ;   in Loop: Header=BB14_1127 Depth=2
	s_or_b64 exec, exec, s[90:91]
	s_and_saveexec_b64 s[90:91], s[92:93]
	s_xor_b64 s[90:91], exec, s[90:91]
	s_cbranch_execz .LBB14_1232
; %bb.1231:                             ;   in Loop: Header=BB14_1127 Depth=2
	ds_write_b32 v0, v73
	s_trap 2
.LBB14_1232:                            ;   in Loop: Header=BB14_1127 Depth=2
	s_or_b64 exec, exec, s[42:43]
	;;#ASMSTART
	s_wakeup
	;;#ASMEND
.LBB14_1233:                            ;   in Loop: Header=BB14_1127 Depth=2
	s_or_b64 exec, exec, s[40:41]
.LBB14_1234:                            ;   in Loop: Header=BB14_1127 Depth=2
	s_andn2_saveexec_b64 s[28:29], s[28:29]
	s_cbranch_execz .LBB14_1236
; %bb.1235:                             ;   in Loop: Header=BB14_1127 Depth=2
	s_waitcnt lgkmcnt(0)
	s_barrier
.LBB14_1236:                            ;   in Loop: Header=BB14_1127 Depth=2
	s_or_b64 exec, exec, s[28:29]
	s_or_b64 exec, exec, s[24:25]
                                        ; implicit-def: $vgpr2
	s_and_saveexec_b64 s[24:25], s[22:23]
	s_xor_b64 s[24:25], exec, s[24:25]
	s_cbranch_execnz .LBB14_1153
.LBB14_1237:                            ;   in Loop: Header=BB14_1127 Depth=2
	s_andn2_saveexec_b64 s[24:25], s[24:25]
	s_cbranch_execz .LBB14_1340
.LBB14_1238:                            ;   in Loop: Header=BB14_1127 Depth=2
	s_and_saveexec_b64 s[28:29], s[58:59]
	s_xor_b64 s[28:29], exec, s[28:29]
	s_cbranch_execz .LBB14_1337
; %bb.1239:                             ;   in Loop: Header=BB14_1127 Depth=2
	s_and_saveexec_b64 s[40:41], s[14:15]
	s_cbranch_execz .LBB14_1336
; %bb.1240:                             ;   in Loop: Header=BB14_1127 Depth=2
	s_mov_b64 s[90:91], exec
	v_mbcnt_lo_u32_b32 v2, s90, 0
	v_mbcnt_hi_u32_b32 v2, s91, v2
	v_cmp_eq_u32_e32 vcc, 0, v2
	;;#ASMSTART
	s_waitcnt lgkmcnt(0) vmcnt(0)
	;;#ASMEND
	s_and_saveexec_b64 s[42:43], vcc
	s_cbranch_execz .LBB14_1242
; %bb.1241:                             ;   in Loop: Header=BB14_1127 Depth=2
	s_bcnt1_i32_b64 s90, s[90:91]
	v_mov_b32_e32 v2, s90
	s_waitcnt lgkmcnt(0)
	ds_add_u64 v0, v[2:3]
	s_trap 2
.LBB14_1242:                            ;   in Loop: Header=BB14_1127 Depth=2
	s_or_b64 exec, exec, s[42:43]
	s_trap 2
	ds_read_b64 v[8:9], v0
	s_waitcnt lgkmcnt(0)
	v_lshl_add_u64 v[38:39], v[38:39], 0, v[52:53]
	v_cmp_lt_u64_e32 vcc, v[8:9], v[38:39]
	s_and_saveexec_b64 s[42:43], vcc
	s_cbranch_execz .LBB14_1335
; %bb.1243:                             ;   in Loop: Header=BB14_1127 Depth=2
	s_mov_b32 s36, 0
	s_mov_b64 s[90:91], 0
                                        ; implicit-def: $sgpr92_sgpr93
                                        ; implicit-def: $sgpr94_sgpr95
	s_branch .LBB14_1245
.LBB14_1244:                            ;   in Loop: Header=BB14_1245 Depth=3
	s_or_b64 exec, exec, s[34:35]
	s_and_b64 vcc, exec, vcc
	s_or_b64 s[90:91], vcc, s[90:91]
	s_andn2_b64 s[92:93], s[92:93], exec
	s_and_b64 vcc, s[94:95], exec
	s_or_b64 s[92:93], s[92:93], vcc
	s_andn2_b64 exec, exec, s[90:91]
	s_cbranch_execz .LBB14_1333
.LBB14_1245:                            ;   Parent Loop BB14_47 Depth=1
                                        ;     Parent Loop BB14_1127 Depth=2
                                        ; =>    This Inner Loop Header: Depth=3
	s_add_i32 s36, s36, 1
	s_cmpk_lg_i32 s36, 0x2710
	s_cselect_b64 s[30:31], -1, 0
	s_and_b64 vcc, exec, s[30:31]
	s_cbranch_vccz .LBB14_1247
; %bb.1246:                             ;   in Loop: Header=BB14_1245 Depth=3
	s_mov_b64 vcc, -1
	s_or_b64 s[94:95], s[94:95], exec
	s_and_saveexec_b64 s[34:35], s[30:31]
	s_cbranch_execz .LBB14_1244
	s_branch .LBB14_1248
.LBB14_1247:                            ;   in Loop: Header=BB14_1245 Depth=3
	s_trap 2
	ds_read_b64 v[8:9], v0
	s_andn2_b64 s[30:31], s[30:31], exec
	s_mov_b32 s36, 0
	s_waitcnt vmcnt(0) lgkmcnt(0)
	flat_load_dword v2, v[8:9] sc0 sc1
	s_waitcnt vmcnt(0) lgkmcnt(0)
	buffer_inv sc0 sc1
	v_cmp_eq_u32_e32 vcc, 0, v2
	s_and_b64 vcc, vcc, exec
	s_or_b64 s[30:31], s[30:31], vcc
	s_mov_b64 vcc, -1
	s_or_b64 s[94:95], s[94:95], exec
	s_and_saveexec_b64 s[34:35], s[30:31]
	s_cbranch_execz .LBB14_1244
.LBB14_1248:                            ;   in Loop: Header=BB14_1245 Depth=3
	s_sleep 1
	s_trap 2
	ds_read_b64 v[8:9], v0
	s_waitcnt lgkmcnt(0)
	s_andn2_b64 s[94:95], s[94:95], exec
	v_cmp_ge_u64_e32 vcc, v[8:9], v[38:39]
	s_orn2_b64 vcc, vcc, exec
	s_branch .LBB14_1244
.LBB14_1249:                            ;   in Loop: Header=BB14_1127 Depth=2
	s_or_b64 exec, exec, s[92:93]
	s_and_saveexec_b64 s[92:93], s[94:95]
	s_xor_b64 s[92:93], exec, s[92:93]
	s_cbranch_execz .LBB14_1251
; %bb.1250:                             ;   in Loop: Header=BB14_1127 Depth=2
	ds_write_b32 v0, v73
	s_trap 2
.LBB14_1251:                            ;   in Loop: Header=BB14_1127 Depth=2
	s_or_b64 exec, exec, s[90:91]
	;;#ASMSTART
	s_wakeup
	;;#ASMEND
.LBB14_1252:                            ;   in Loop: Header=BB14_1127 Depth=2
	s_or_b64 exec, exec, s[28:29]
.LBB14_1253:                            ;   in Loop: Header=BB14_1127 Depth=2
	s_andn2_saveexec_b64 s[26:27], s[26:27]
	s_cbranch_execz .LBB14_1255
; %bb.1254:                             ;   in Loop: Header=BB14_1127 Depth=2
	s_waitcnt lgkmcnt(0)
	s_barrier
.LBB14_1255:                            ;   in Loop: Header=BB14_1127 Depth=2
	s_or_b64 exec, exec, s[26:27]
.LBB14_1256:                            ;   in Loop: Header=BB14_1127 Depth=2
	s_or_b64 exec, exec, s[24:25]
	s_trap 2
	ds_read_b64 v[14:15], v0
	s_waitcnt lgkmcnt(0)
	v_cmp_eq_u64_e32 vcc, 0, v[14:15]
	s_cbranch_vccnz .LBB14_1265
; %bb.1257:                             ;   in Loop: Header=BB14_1127 Depth=2
	s_trap 2
	ds_read_b64 v[16:17], v0
	s_waitcnt lgkmcnt(0)
	v_cmp_eq_u64_e32 vcc, 0, v[16:17]
	s_cbranch_vccnz .LBB14_1265
; %bb.1258:                             ;   in Loop: Header=BB14_1127 Depth=2
	s_trap 2
	ds_read_b64 v[18:19], v0
	v_cmp_eq_u32_e32 vcc, 0, v8
	s_nop 1
	v_cndmask_b32_e32 v2, 0, v12, vcc
	s_waitcnt lgkmcnt(0)
	v_cmp_ne_u64_e32 vcc, 0, v[18:19]
	v_lshlrev_b32_e32 v13, 1, v2
	s_cbranch_vccz .LBB14_1270
; %bb.1259:                             ;   in Loop: Header=BB14_1127 Depth=2
	s_mov_b64 s[26:27], -1
	s_and_saveexec_b64 s[24:25], s[18:19]
	s_cbranch_execz .LBB14_1261
; %bb.1260:                             ;   in Loop: Header=BB14_1127 Depth=2
	ds_read_b32 v8, v0 offset:720
	s_waitcnt lgkmcnt(0)
	v_and_b32_e32 v8, 15, v8
	v_cmp_eq_u32_e32 vcc, 0, v8
	s_orn2_b64 s[26:27], vcc, exec
.LBB14_1261:                            ;   in Loop: Header=BB14_1127 Depth=2
	s_or_b64 exec, exec, s[24:25]
	s_and_saveexec_b64 s[24:25], s[20:21]
	s_cbranch_execz .LBB14_1263
; %bb.1262:                             ;   in Loop: Header=BB14_1127 Depth=2
	ds_read_b32 v8, v0 offset:784
	s_waitcnt lgkmcnt(0)
	v_and_b32_e32 v8, 15, v8
	v_cmp_eq_u32_e32 vcc, 0, v8
	s_and_b64 s[28:29], s[26:27], vcc
	s_andn2_b64 s[26:27], s[26:27], exec
	s_and_b64 s[28:29], s[28:29], exec
	s_or_b64 s[26:27], s[26:27], s[28:29]
.LBB14_1263:                            ;   in Loop: Header=BB14_1127 Depth=2
	s_or_b64 exec, exec, s[24:25]
	s_xor_b64 s[26:27], s[26:27], -1
	v_cndmask_b32_e64 v8, 0, 1, s[26:27]
	s_mov_b64 s[24:25], -1
	v_mov_b32_e32 v22, 0
	v_cmp_ne_u32_e32 vcc, 0, v8
	v_mov_b32_e32 v23, v13
	v_mov_b32_e32 v118, v0
	s_cbranch_vccz .LBB14_1272
; %bb.1264:                             ;   in Loop: Header=BB14_1127 Depth=2
	s_and_saveexec_b64 s[28:29], s[24:25]
	s_cbranch_execnz .LBB14_1285
	s_branch .LBB14_1295
.LBB14_1265:                            ;   in Loop: Header=BB14_1127 Depth=2
	s_mov_b64 s[24:25], 0
	s_and_saveexec_b64 s[26:27], s[6:7]
	s_cbranch_execnz .LBB14_1322
.LBB14_1266:                            ;   in Loop: Header=BB14_1127 Depth=2
	s_or_b64 exec, exec, s[26:27]
                                        ; implicit-def: $vgpr2
	s_and_saveexec_b64 s[26:27], s[22:23]
	s_xor_b64 s[26:27], exec, s[26:27]
	s_cbranch_execz .LBB14_1352
.LBB14_1267:                            ;   in Loop: Header=BB14_1127 Depth=2
	v_and_b32_e32 v8, 16, v62
	v_cmp_ne_u32_e32 vcc, 0, v8
	v_and_b32_e32 v2, 16, v62
	s_and_b64 s[28:29], vcc, s[24:25]
	s_and_saveexec_b64 s[24:25], s[28:29]
	s_cbranch_execz .LBB14_1269
; %bb.1268:                             ;   in Loop: Header=BB14_1127 Depth=2
	v_mov_b32_e32 v2, 1
	buffer_wbl2 sc1
	s_waitcnt vmcnt(0) lgkmcnt(0)
	buffer_inv sc1
.LBB14_1269:                            ;   in Loop: Header=BB14_1127 Depth=2
	s_or_b64 exec, exec, s[24:25]
	s_andn2_saveexec_b64 s[24:25], s[26:27]
	s_cbranch_execz .LBB14_1371
	s_branch .LBB14_1353
.LBB14_1270:                            ;   in Loop: Header=BB14_1127 Depth=2
	s_cbranch_execnz .LBB14_1296
.LBB14_1271:                            ;   in Loop: Header=BB14_1127 Depth=2
	v_cmp_lt_i32_e64 s[24:25], 0, v2
	s_and_saveexec_b64 s[26:27], s[6:7]
	s_cbranch_execnz .LBB14_1322
	s_branch .LBB14_1266
.LBB14_1272:                            ;   in Loop: Header=BB14_1127 Depth=2
	v_ashrrev_i32_e32 v8, 31, v13
	v_lshrrev_b32_e32 v8, 21, v8
	v_add_u32_e32 v8, v13, v8
	v_ashrrev_i32_e32 v22, 11, v8
	v_sub_u32_e32 v119, v22, v72
	v_cmp_lt_i32_e32 vcc, 0, v119
	s_and_saveexec_b64 s[24:25], vcc
	s_cbranch_execz .LBB14_1276
; %bb.1273:                             ;   in Loop: Header=BB14_1127 Depth=2
	v_lshl_add_u64 v[8:9], v[14:15], 0, v[80:81]
	v_lshl_add_u64 v[10:11], v[16:17], 0, v[80:81]
	;; [unrolled: 1-line block ×3, first 2 shown]
	s_mov_b64 s[26:27], 0
.LBB14_1274:                            ;   Parent Loop BB14_47 Depth=1
                                        ;     Parent Loop BB14_1127 Depth=2
                                        ; =>    This Inner Loop Header: Depth=3
	global_load_dwordx4 v[42:45], v[8:9], off nt
	global_load_dwordx4 v[56:59], v[8:9], off offset:1024 nt
	v_sub_u32_e32 v119, v119, v52
	v_cmp_gt_i32_e32 vcc, 1, v119
	v_lshl_add_u64 v[8:9], v[8:9], 0, v[82:83]
	s_or_b64 s[26:27], vcc, s[26:27]
	s_waitcnt vmcnt(0)
	global_store_dwordx4 v[10:11], v[42:45], off
	global_store_dwordx4 v[10:11], v[56:59], off offset:1024
	global_store_dwordx4 v[20:21], v[42:45], off
	global_store_dwordx4 v[20:21], v[56:59], off offset:1024
	v_lshl_add_u64 v[10:11], v[10:11], 0, v[82:83]
	v_lshl_add_u64 v[20:21], v[20:21], 0, v[82:83]
	s_andn2_b64 exec, exec, s[26:27]
	s_cbranch_execnz .LBB14_1274
; %bb.1275:                             ;   in Loop: Header=BB14_1127 Depth=2
	s_or_b64 exec, exec, s[26:27]
.LBB14_1276:                            ;   in Loop: Header=BB14_1127 Depth=2
	s_or_b64 exec, exec, s[24:25]
	v_lshlrev_b32_e32 v41, 11, v22
	v_cmp_ne_u32_e32 vcc, v13, v41
	s_mov_b64 s[24:25], 0
	v_mov_b32_e32 v22, 0
                                        ; implicit-def: $vgpr23
                                        ; implicit-def: $vgpr118
	s_and_saveexec_b64 s[90:91], vcc
	s_cbranch_execz .LBB14_1284
; %bb.1277:                             ;   in Loop: Header=BB14_1127 Depth=2
	v_lshlrev_b32_e32 v8, 6, v119
	v_sub_u32_e32 v8, v63, v8
	v_ashrrev_i32_e32 v10, 31, v8
	v_lshrrev_b32_e32 v10, 26, v10
	v_add_u32_e32 v10, v8, v10
	v_sub_u32_e32 v9, v13, v41
	v_ashrrev_i32_e32 v11, 6, v10
	v_and_b32_e32 v10, 0xffffffc0, v10
	v_sub_u32_e32 v42, v8, v10
	v_ashrrev_i32_e32 v10, 31, v9
	v_lshrrev_b32_e32 v10, 22, v10
	v_add_u32_e32 v10, v9, v10
	v_and_b32_e32 v43, 0xfffffc00, v10
	v_lshlrev_b32_e32 v8, 4, v42
	v_sub_u32_e32 v44, v9, v43
	v_lshl_add_u32 v8, v11, 10, v8
	v_ashrrev_i32_e32 v20, 10, v10
	v_cmp_lt_i32_e64 s[24:25], 15, v44
	v_sub_u32_e32 v46, v9, v8
	s_nop 0
	v_addc_co_u32_e64 v9, vcc, 0, v20, s[24:25]
	v_sub_u32_e32 v45, v9, v11
	v_cmp_lt_i32_e32 vcc, 15, v46
	s_and_saveexec_b64 s[92:93], vcc
	s_cbranch_execz .LBB14_1283
; %bb.1278:                             ;   in Loop: Header=BB14_1127 Depth=2
	v_add_u32_e32 v8, v8, v41
	v_ashrrev_i32_e32 v9, 31, v8
	v_lshl_add_u64 v[20:21], v[8:9], 0, v[14:15]
	v_lshl_add_u64 v[22:23], v[8:9], 0, v[16:17]
	;; [unrolled: 1-line block ×3, first 2 shown]
	s_mov_b64 s[94:95], 0
.LBB14_1279:                            ;   Parent Loop BB14_47 Depth=1
                                        ;     Parent Loop BB14_1127 Depth=2
                                        ; =>    This Loop Header: Depth=3
                                        ;         Child Loop BB14_1280 Depth 4
	global_load_dwordx4 v[8:11], v[20:21], off nt
	s_mov_b64 s[30:31], -1
	s_mov_b64 s[34:35], 0
	s_waitcnt vmcnt(0)
.LBB14_1280:                            ;   Parent Loop BB14_47 Depth=1
                                        ;     Parent Loop BB14_1127 Depth=2
                                        ;       Parent Loop BB14_1279 Depth=3
                                        ; =>      This Inner Loop Header: Depth=4
	s_cmp_eq_u32 s34, 1
	s_cselect_b64 vcc, -1, 0
	v_cndmask_b32_e32 v57, v23, v119, vcc
	s_cmp_eq_u32 s34, 0
	v_cndmask_b32_e32 v56, v22, v118, vcc
	global_store_dwordx4 v[56:57], v[8:11], off
	v_lshl_add_u64 v[56:57], v[56:57], 0, s[62:63]
	s_cselect_b64 s[26:27], -1, 0
	s_and_b64 s[28:29], exec, s[30:31]
	s_mov_b64 s[34:35], 1
	s_mov_b64 s[30:31], 0
	v_cndmask_b32_e32 v119, v119, v57, vcc
	v_cndmask_b32_e32 v118, v118, v56, vcc
	v_cndmask_b32_e64 v23, v23, v57, s[26:27]
	v_cndmask_b32_e64 v22, v22, v56, s[26:27]
	s_mov_b64 vcc, s[28:29]
	s_cbranch_vccnz .LBB14_1280
; %bb.1281:                             ;   in Loop: Header=BB14_1279 Depth=3
	v_sub_u32_e32 v46, v46, v68
	v_cmp_gt_i32_e32 vcc, 16, v46
	v_lshl_add_u64 v[22:23], v[22:23], 0, v[86:87]
	v_lshl_add_u64 v[118:119], v[118:119], 0, v[86:87]
	;; [unrolled: 1-line block ×3, first 2 shown]
	s_or_b64 s[94:95], vcc, s[94:95]
	v_sub_u32_e32 v45, v45, v52
	s_andn2_b64 exec, exec, s[94:95]
	s_cbranch_execnz .LBB14_1279
; %bb.1282:                             ;   in Loop: Header=BB14_1127 Depth=2
	s_or_b64 exec, exec, s[94:95]
.LBB14_1283:                            ;   in Loop: Header=BB14_1127 Depth=2
	s_or_b64 exec, exec, s[92:93]
	v_and_b32_e32 v8, 14, v13
	v_cmp_lt_i32_e32 vcc, 0, v45
	v_sub_u32_e32 v9, v44, v8
	v_cndmask_b32_e64 v23, v44, v8, s[24:25]
	v_cndmask_b32_e32 v8, 0, v52, vcc
	v_cndmask_b32_e64 v9, 0, v9, s[24:25]
	v_sub_u32_e32 v8, v8, v45
	v_cmp_ne_u32_e32 vcc, 0, v23
	v_add3_u32 v22, v43, v41, v9
	v_lshl_add_u32 v118, v8, 6, v42
	s_and_b64 s[24:25], vcc, exec
.LBB14_1284:                            ;   in Loop: Header=BB14_1127 Depth=2
	s_or_b64 exec, exec, s[90:91]
	s_and_saveexec_b64 s[28:29], s[24:25]
	s_cbranch_execz .LBB14_1295
.LBB14_1285:                            ;   in Loop: Header=BB14_1127 Depth=2
	v_ashrrev_i32_e32 v8, 31, v118
	v_ashrrev_i32_e32 v9, 31, v23
	v_lshrrev_b32_e32 v8, 26, v8
	v_lshrrev_b32_e32 v9, 22, v9
	v_add_u32_e32 v8, v118, v8
	v_add_u32_e32 v9, v23, v9
	v_ashrrev_i32_e32 v119, 6, v8
	v_ashrrev_i32_e32 v42, 10, v9
	v_sub_u32_e32 v41, v42, v119
	v_cmp_lt_i32_e32 vcc, 0, v41
	s_and_saveexec_b64 s[24:25], vcc
	s_cbranch_execz .LBB14_1289
; %bb.1286:                             ;   in Loop: Header=BB14_1127 Depth=2
	v_and_b32_e32 v8, 0x7fffffc0, v8
	v_sub_u32_e32 v8, v118, v8
	v_lshlrev_b32_e32 v8, 1, v8
	v_lshlrev_b32_e32 v9, 10, v119
	v_add3_u32 v20, v8, v22, v9
	v_ashrrev_i32_e32 v21, 31, v20
	v_lshl_add_u64 v[44:45], v[14:15], 0, s[74:75]
	v_lshl_add_u64 v[8:9], v[20:21], 0, v[16:17]
	;; [unrolled: 1-line block ×4, first 2 shown]
	s_mov_b64 s[26:27], 0
.LBB14_1287:                            ;   Parent Loop BB14_47 Depth=1
                                        ;     Parent Loop BB14_1127 Depth=2
                                        ; =>    This Inner Loop Header: Depth=3
	v_add_co_u32_e32 v44, vcc, 0xfffffc80, v20
	flat_load_ushort v43, v[20:21] nt
	s_nop 0
	v_addc_co_u32_e32 v45, vcc, -1, v21, vcc
	v_add_co_u32_e32 v46, vcc, 0xfffffd00, v20
	flat_load_ushort v56, v[44:45] nt
	s_nop 0
	v_addc_co_u32_e32 v47, vcc, -1, v21, vcc
	;; [unrolled: 4-line block ×7, first 2 shown]
	flat_load_ushort v44, v[44:45] nt
	v_sub_u32_e32 v41, v41, v52
	v_cmp_gt_i32_e32 vcc, 1, v41
	s_or_b64 s[26:27], vcc, s[26:27]
	v_lshl_add_u64 v[20:21], v[20:21], 0, v[68:69]
	s_waitcnt vmcnt(0) lgkmcnt(0)
	flat_store_short v[8:9], v43 offset:896 nt
	flat_store_short v[8:9], v56 nt
	flat_store_short v[8:9], v57 offset:128 nt
	flat_store_short v[8:9], v58 offset:256 nt
	;; [unrolled: 1-line block ×6, first 2 shown]
	flat_store_short v[10:11], v56 nt
	flat_store_short v[10:11], v57 offset:128 nt
	flat_store_short v[10:11], v58 offset:256 nt
	flat_store_short v[10:11], v59 offset:384 nt
	flat_store_short v[10:11], v60 offset:512 nt
	flat_store_short v[10:11], v46 offset:640 nt
	flat_store_short v[10:11], v44 offset:768 nt
	flat_store_short v[10:11], v43 offset:896 nt
	v_lshl_add_u64 v[8:9], v[8:9], 0, v[68:69]
	v_lshl_add_u64 v[10:11], v[10:11], 0, v[68:69]
	s_andn2_b64 exec, exec, s[26:27]
	s_cbranch_execnz .LBB14_1287
; %bb.1288:                             ;   in Loop: Header=BB14_1127 Depth=2
	s_or_b64 exec, exec, s[26:27]
.LBB14_1289:                            ;   in Loop: Header=BB14_1127 Depth=2
	s_or_b64 exec, exec, s[24:25]
	v_lshlrev_b32_e32 v8, 10, v42
	v_cmp_ne_u32_e32 vcc, v23, v8
	s_and_b64 exec, exec, vcc
	s_cbranch_execz .LBB14_1295
; %bb.1290:                             ;   in Loop: Header=BB14_1127 Depth=2
	v_lshlrev_b32_e32 v9, 6, v119
	v_sub_u32_e32 v9, v118, v9
	v_lshlrev_b32_e32 v10, 6, v41
	v_sub_u32_e32 v9, v9, v10
	v_ashrrev_i32_e32 v10, 31, v9
	v_lshrrev_b32_e32 v10, 26, v10
	v_add_u32_e32 v10, v9, v10
	v_and_b32_e32 v11, 0x7fffffc0, v10
	v_sub_u32_e32 v9, v9, v11
	v_lshlrev_b32_e32 v10, 1, v10
	v_and_b32_e32 v10, 0xffffff80, v10
	v_lshlrev_b32_e32 v9, 1, v9
	v_add3_u32 v8, v10, v9, v8
	v_sub_u32_e32 v20, v23, v8
	v_cmp_lt_i32_e32 vcc, 1, v20
	s_and_b64 exec, exec, vcc
	s_cbranch_execz .LBB14_1295
; %bb.1291:                             ;   in Loop: Header=BB14_1127 Depth=2
	v_add_u32_e32 v22, v8, v22
	v_ashrrev_i32_e32 v23, 31, v22
	v_lshl_add_u64 v[8:9], v[22:23], 0, v[14:15]
	v_lshl_add_u64 v[10:11], v[22:23], 0, v[16:17]
	;; [unrolled: 1-line block ×3, first 2 shown]
	s_mov_b64 s[90:91], 0
.LBB14_1292:                            ;   Parent Loop BB14_47 Depth=1
                                        ;     Parent Loop BB14_1127 Depth=2
                                        ; =>    This Loop Header: Depth=3
                                        ;         Child Loop BB14_1293 Depth 4
	flat_load_ushort v21, v[8:9] nt
	s_mov_b64 s[92:93], -1
	s_mov_b64 s[94:95], 0
	s_waitcnt vmcnt(0)
.LBB14_1293:                            ;   Parent Loop BB14_47 Depth=1
                                        ;     Parent Loop BB14_1127 Depth=2
                                        ;       Parent Loop BB14_1292 Depth=3
                                        ; =>      This Inner Loop Header: Depth=4
	s_cmp_eq_u32 s94, 1
	s_cselect_b64 vcc, -1, 0
	v_cndmask_b32_e32 v23, v11, v19, vcc
	s_cmp_eq_u32 s94, 0
	v_cndmask_b32_e32 v22, v10, v18, vcc
	s_waitcnt lgkmcnt(0)
	flat_store_short v[22:23], v21 nt
	v_lshl_add_u64 v[22:23], v[22:23], 0, s[72:73]
	s_cselect_b64 s[24:25], -1, 0
	s_and_b64 s[26:27], exec, s[92:93]
	s_mov_b64 s[94:95], 1
	s_mov_b64 s[92:93], 0
	v_cndmask_b32_e32 v19, v19, v23, vcc
	v_cndmask_b32_e32 v18, v18, v22, vcc
	v_cndmask_b32_e64 v11, v11, v23, s[24:25]
	v_cndmask_b32_e64 v10, v10, v22, s[24:25]
	s_mov_b64 vcc, s[26:27]
	s_cbranch_vccnz .LBB14_1293
; %bb.1294:                             ;   in Loop: Header=BB14_1292 Depth=3
	v_sub_u32_e32 v20, v20, v70
	v_cmp_gt_i32_e32 vcc, 2, v20
	v_lshl_add_u64 v[10:11], v[10:11], 0, v[96:97]
	v_lshl_add_u64 v[18:19], v[18:19], 0, v[96:97]
	s_or_b64 s[90:91], vcc, s[90:91]
	v_lshl_add_u64 v[8:9], v[100:101], 0, v[8:9]
	s_andn2_b64 exec, exec, s[90:91]
	s_cbranch_execnz .LBB14_1292
.LBB14_1295:                            ;   in Loop: Header=BB14_1127 Depth=2
	s_or_b64 exec, exec, s[28:29]
	s_branch .LBB14_1271
.LBB14_1296:                            ;   in Loop: Header=BB14_1127 Depth=2
	s_mov_b64 s[24:25], -1
	s_and_saveexec_b64 s[26:27], s[18:19]
	s_cbranch_execz .LBB14_1298
; %bb.1297:                             ;   in Loop: Header=BB14_1127 Depth=2
	ds_read_b32 v8, v0 offset:720
	s_waitcnt lgkmcnt(0)
	v_and_b32_e32 v8, 15, v8
	v_cmp_eq_u32_e32 vcc, 0, v8
	s_orn2_b64 s[24:25], vcc, exec
.LBB14_1298:                            ;   in Loop: Header=BB14_1127 Depth=2
	s_or_b64 exec, exec, s[26:27]
	s_and_saveexec_b64 s[26:27], s[16:17]
	s_cbranch_execz .LBB14_1300
; %bb.1299:                             ;   in Loop: Header=BB14_1127 Depth=2
	ds_read_b32 v8, v0 offset:784
	s_waitcnt lgkmcnt(0)
	v_and_b32_e32 v8, 15, v8
	v_cmp_eq_u32_e32 vcc, 0, v8
	s_and_b64 s[28:29], s[24:25], vcc
	s_andn2_b64 s[24:25], s[24:25], exec
	s_and_b64 s[28:29], s[28:29], exec
	s_or_b64 s[24:25], s[24:25], s[28:29]
.LBB14_1300:                            ;   in Loop: Header=BB14_1127 Depth=2
	s_or_b64 exec, exec, s[26:27]
	s_xor_b64 s[24:25], s[24:25], -1
	v_cndmask_b32_e64 v8, 0, 1, s[24:25]
	s_mov_b64 s[28:29], -1
	v_mov_b32_e32 v20, 0
	v_cmp_ne_u32_e32 vcc, 0, v8
	s_cbranch_vccz .LBB14_1302
; %bb.1301:                             ;   in Loop: Header=BB14_1127 Depth=2
	v_mov_b32_e32 v21, v0
	s_and_saveexec_b64 s[24:25], s[28:29]
	s_cbranch_execnz .LBB14_1313
	s_branch .LBB14_1321
.LBB14_1302:                            ;   in Loop: Header=BB14_1127 Depth=2
	v_ashrrev_i32_e32 v8, 31, v13
	v_lshrrev_b32_e32 v8, 20, v8
	v_add_u32_e32 v8, v13, v8
	v_ashrrev_i32_e32 v19, 12, v8
	v_sub_u32_e32 v18, v19, v72
	v_cmp_lt_i32_e32 vcc, 0, v18
	s_and_saveexec_b64 s[24:25], vcc
	s_cbranch_execz .LBB14_1306
; %bb.1303:                             ;   in Loop: Header=BB14_1127 Depth=2
	s_mov_b64 s[26:27], 0
	v_mov_b64_e32 v[8:9], v[16:17]
	v_mov_b64_e32 v[10:11], v[14:15]
.LBB14_1304:                            ;   Parent Loop BB14_47 Depth=1
                                        ;     Parent Loop BB14_1127 Depth=2
                                        ; =>    This Inner Loop Header: Depth=3
	v_lshl_add_u64 v[118:119], v[84:85], 0, v[10:11]
	global_load_dwordx4 v[20:23], v[118:119], off nt
	global_load_dwordx4 v[42:45], v[118:119], off offset:1024 nt
	global_load_dwordx4 v[56:59], v[118:119], off offset:2048 nt
	;; [unrolled: 1-line block ×3, first 2 shown]
	v_sub_u32_e32 v18, v18, v52
	v_cmp_gt_i32_e32 vcc, 1, v18
	v_lshl_add_u64 v[118:119], v[84:85], 0, v[8:9]
	v_lshl_add_u64 v[10:11], v[10:11], 0, v[66:67]
	;; [unrolled: 1-line block ×3, first 2 shown]
	s_or_b64 s[26:27], vcc, s[26:27]
	s_waitcnt vmcnt(0)
	global_store_dwordx4 v[118:119], v[20:23], off
	global_store_dwordx4 v[118:119], v[42:45], off offset:1024
	global_store_dwordx4 v[118:119], v[56:59], off offset:2048
	;; [unrolled: 1-line block ×3, first 2 shown]
	s_andn2_b64 exec, exec, s[26:27]
	s_cbranch_execnz .LBB14_1304
; %bb.1305:                             ;   in Loop: Header=BB14_1127 Depth=2
	s_or_b64 exec, exec, s[26:27]
.LBB14_1306:                            ;   in Loop: Header=BB14_1127 Depth=2
	s_or_b64 exec, exec, s[24:25]
	v_lshlrev_b32_e32 v10, 12, v19
	v_cmp_ne_u32_e32 vcc, v13, v10
	s_mov_b64 s[28:29], 0
	v_mov_b32_e32 v20, 0
                                        ; implicit-def: $vgpr21
	s_and_saveexec_b64 s[26:27], vcc
	s_cbranch_execz .LBB14_1312
; %bb.1307:                             ;   in Loop: Header=BB14_1127 Depth=2
	v_lshlrev_b32_e32 v8, 6, v18
	v_sub_u32_e32 v8, v63, v8
	v_sub_u32_e32 v9, v13, v10
	v_ashrrev_i32_e32 v11, 31, v8
	v_lshrrev_b32_e32 v11, 26, v11
	v_ashrrev_i32_e32 v18, 31, v9
	v_add_u32_e32 v11, v8, v11
	v_lshrrev_b32_e32 v18, 22, v18
	v_ashrrev_i32_e32 v21, 6, v11
	v_and_b32_e32 v11, 0xffffffc0, v11
	v_add_u32_e32 v18, v9, v18
	v_sub_u32_e32 v11, v8, v11
	v_ashrrev_i32_e32 v22, 10, v18
	v_and_b32_e32 v18, 0xfffffc00, v18
	v_lshlrev_b32_e32 v8, 4, v11
	v_sub_u32_e32 v19, v9, v18
	v_lshl_add_u32 v8, v21, 10, v8
	v_cmp_lt_i32_e32 vcc, 15, v19
	v_sub_u32_e32 v20, v9, v8
	s_nop 0
	v_addc_co_u32_e64 v9, s[24:25], 0, v22, vcc
	v_sub_u32_e32 v21, v9, v21
	v_cmp_lt_i32_e64 s[24:25], 15, v20
	s_and_saveexec_b64 s[28:29], s[24:25]
	s_cbranch_execz .LBB14_1311
; %bb.1308:                             ;   in Loop: Header=BB14_1127 Depth=2
	v_add_u32_e32 v8, v8, v10
	v_ashrrev_i32_e32 v9, 31, v8
	s_mov_b64 s[90:91], 0
.LBB14_1309:                            ;   Parent Loop BB14_47 Depth=1
                                        ;     Parent Loop BB14_1127 Depth=2
                                        ; =>    This Inner Loop Header: Depth=3
	v_lshl_add_u64 v[22:23], v[14:15], 0, v[8:9]
	global_load_dwordx4 v[42:45], v[22:23], off nt
	v_sub_u32_e32 v20, v20, v68
	v_cmp_gt_i32_e64 s[24:25], 16, v20
	v_lshl_add_u64 v[22:23], v[16:17], 0, v[8:9]
	v_sub_u32_e32 v21, v21, v52
	v_lshl_add_u64 v[8:9], v[8:9], 0, v[68:69]
	s_or_b64 s[90:91], s[24:25], s[90:91]
	s_waitcnt vmcnt(0)
	global_store_dwordx4 v[22:23], v[42:45], off
	s_andn2_b64 exec, exec, s[90:91]
	s_cbranch_execnz .LBB14_1309
; %bb.1310:                             ;   in Loop: Header=BB14_1127 Depth=2
	s_or_b64 exec, exec, s[90:91]
.LBB14_1311:                            ;   in Loop: Header=BB14_1127 Depth=2
	s_or_b64 exec, exec, s[28:29]
	v_and_b32_e32 v8, 14, v13
	v_sub_u32_e32 v9, v19, v8
	v_cndmask_b32_e32 v9, 0, v9, vcc
	v_cndmask_b32_e32 v13, v19, v8, vcc
	v_cmp_lt_i32_e32 vcc, 0, v21
	v_add3_u32 v20, v18, v10, v9
	s_nop 0
	v_cndmask_b32_e32 v8, 0, v52, vcc
	v_sub_u32_e32 v8, v8, v21
	v_cmp_ne_u32_e32 vcc, 0, v13
	v_lshl_add_u32 v21, v8, 6, v11
	s_and_b64 s[28:29], vcc, exec
.LBB14_1312:                            ;   in Loop: Header=BB14_1127 Depth=2
	s_or_b64 exec, exec, s[26:27]
	s_and_saveexec_b64 s[24:25], s[28:29]
	s_cbranch_execz .LBB14_1321
.LBB14_1313:                            ;   in Loop: Header=BB14_1127 Depth=2
	v_ashrrev_i32_e32 v8, 31, v21
	v_ashrrev_i32_e32 v9, 31, v13
	v_lshrrev_b32_e32 v8, 26, v8
	v_lshrrev_b32_e32 v9, 22, v9
	v_add_u32_e32 v8, v21, v8
	v_add_u32_e32 v9, v13, v9
	v_ashrrev_i32_e32 v22, 6, v8
	v_ashrrev_i32_e32 v118, 10, v9
	v_sub_u32_e32 v23, v118, v22
	v_cmp_lt_i32_e32 vcc, 0, v23
	s_and_saveexec_b64 s[26:27], vcc
	s_cbranch_execz .LBB14_1317
; %bb.1314:                             ;   in Loop: Header=BB14_1127 Depth=2
	v_and_b32_e32 v8, 0x7fffffc0, v8
	v_sub_u32_e32 v8, v21, v8
	v_lshlrev_b32_e32 v8, 1, v8
	v_lshlrev_b32_e32 v9, 10, v22
	v_add3_u32 v8, v8, v20, v9
	v_ashrrev_i32_e32 v9, 31, v8
	s_mov_b64 s[28:29], 0
	v_mov_b64_e32 v[10:11], v[16:17]
	v_mov_b64_e32 v[18:19], v[14:15]
.LBB14_1315:                            ;   Parent Loop BB14_47 Depth=1
                                        ;     Parent Loop BB14_1127 Depth=2
                                        ; =>    This Inner Loop Header: Depth=3
	v_lshl_add_u64 v[42:43], v[8:9], 0, v[18:19]
	flat_load_ushort v119, v[42:43] nt
	flat_load_ushort v41, v[42:43] offset:128 nt
	flat_load_ushort v44, v[42:43] offset:256 nt
	flat_load_ushort v45, v[42:43] offset:384 nt
	flat_load_ushort v46, v[42:43] offset:512 nt
	flat_load_ushort v47, v[42:43] offset:640 nt
	flat_load_ushort v56, v[42:43] offset:768 nt
	flat_load_ushort v57, v[42:43] offset:896 nt
	v_sub_u32_e32 v23, v23, v52
	v_cmp_gt_i32_e32 vcc, 1, v23
	v_lshl_add_u64 v[42:43], v[8:9], 0, v[10:11]
	v_lshl_add_u64 v[18:19], v[18:19], 0, v[68:69]
	;; [unrolled: 1-line block ×3, first 2 shown]
	s_or_b64 s[28:29], vcc, s[28:29]
	s_waitcnt vmcnt(0) lgkmcnt(0)
	flat_store_short v[42:43], v119 nt
	flat_store_short v[42:43], v41 offset:128 nt
	flat_store_short v[42:43], v44 offset:256 nt
	;; [unrolled: 1-line block ×7, first 2 shown]
	s_andn2_b64 exec, exec, s[28:29]
	s_cbranch_execnz .LBB14_1315
; %bb.1316:                             ;   in Loop: Header=BB14_1127 Depth=2
	s_or_b64 exec, exec, s[28:29]
.LBB14_1317:                            ;   in Loop: Header=BB14_1127 Depth=2
	s_or_b64 exec, exec, s[26:27]
	v_lshlrev_b32_e32 v8, 10, v118
	v_cmp_ne_u32_e32 vcc, v13, v8
	s_and_b64 exec, exec, vcc
	s_cbranch_execz .LBB14_1321
; %bb.1318:                             ;   in Loop: Header=BB14_1127 Depth=2
	v_lshlrev_b32_e32 v9, 6, v22
	v_sub_u32_e32 v9, v21, v9
	v_lshlrev_b32_e32 v10, 6, v23
	v_sub_u32_e32 v9, v9, v10
	v_ashrrev_i32_e32 v10, 31, v9
	v_lshrrev_b32_e32 v10, 26, v10
	v_add_u32_e32 v10, v9, v10
	v_and_b32_e32 v11, 0x7fffffc0, v10
	v_sub_u32_e32 v9, v9, v11
	v_lshlrev_b32_e32 v10, 1, v10
	v_and_b32_e32 v10, 0xffffff80, v10
	v_lshlrev_b32_e32 v9, 1, v9
	v_add3_u32 v8, v10, v9, v8
	v_sub_u32_e32 v10, v13, v8
	v_cmp_lt_i32_e32 vcc, 1, v10
	s_and_b64 exec, exec, vcc
	s_cbranch_execz .LBB14_1321
; %bb.1319:                             ;   in Loop: Header=BB14_1127 Depth=2
	v_add_u32_e32 v8, v8, v20
	v_ashrrev_i32_e32 v9, 31, v8
	s_mov_b64 s[26:27], 0
.LBB14_1320:                            ;   Parent Loop BB14_47 Depth=1
                                        ;     Parent Loop BB14_1127 Depth=2
                                        ; =>    This Inner Loop Header: Depth=3
	v_lshl_add_u64 v[18:19], v[14:15], 0, v[8:9]
	flat_load_ushort v11, v[18:19] nt
	v_sub_u32_e32 v10, v10, v70
	v_cmp_gt_i32_e32 vcc, 2, v10
	v_lshl_add_u64 v[18:19], v[16:17], 0, v[8:9]
	v_lshl_add_u64 v[8:9], v[8:9], 0, v[70:71]
	s_or_b64 s[26:27], vcc, s[26:27]
	s_waitcnt vmcnt(0) lgkmcnt(0)
	flat_store_short v[18:19], v11 nt
	s_andn2_b64 exec, exec, s[26:27]
	s_cbranch_execnz .LBB14_1320
.LBB14_1321:                            ;   in Loop: Header=BB14_1127 Depth=2
	s_or_b64 exec, exec, s[24:25]
	v_cmp_lt_i32_e64 s[24:25], 0, v2
	s_and_saveexec_b64 s[26:27], s[6:7]
	s_cbranch_execz .LBB14_1266
.LBB14_1322:                            ;   in Loop: Header=BB14_1127 Depth=2
	s_and_saveexec_b64 s[28:29], s[58:59]
	s_xor_b64 s[28:29], exec, s[28:29]
	s_cbranch_execz .LBB14_1349
; %bb.1323:                             ;   in Loop: Header=BB14_1127 Depth=2
	s_and_saveexec_b64 s[90:91], s[14:15]
	s_cbranch_execz .LBB14_1348
; %bb.1324:                             ;   in Loop: Header=BB14_1127 Depth=2
	s_mov_b64 s[94:95], exec
	v_mbcnt_lo_u32_b32 v2, s94, 0
	v_mbcnt_hi_u32_b32 v2, s95, v2
	v_cmp_eq_u32_e32 vcc, 0, v2
	s_waitcnt lgkmcnt(0)
	s_and_saveexec_b64 s[92:93], vcc
	s_cbranch_execz .LBB14_1326
; %bb.1325:                             ;   in Loop: Header=BB14_1127 Depth=2
	s_bcnt1_i32_b64 s94, s[94:95]
	v_mov_b32_e32 v2, s94
	ds_add_u64 v0, v[2:3]
	s_trap 2
.LBB14_1326:                            ;   in Loop: Header=BB14_1127 Depth=2
	s_or_b64 exec, exec, s[92:93]
	s_trap 2
	ds_read_b64 v[8:9], v0
	s_waitcnt lgkmcnt(0)
	v_lshl_add_u64 v[38:39], v[38:39], 0, v[52:53]
	v_cmp_lt_u64_e32 vcc, v[8:9], v[38:39]
	s_and_saveexec_b64 s[92:93], vcc
	s_cbranch_execz .LBB14_1347
; %bb.1327:                             ;   in Loop: Header=BB14_1127 Depth=2
	s_mov_b32 s48, 0
	s_mov_b64 s[94:95], 0
                                        ; implicit-def: $sgpr30_sgpr31
                                        ; implicit-def: $sgpr34_sgpr35
	s_branch .LBB14_1329
.LBB14_1328:                            ;   in Loop: Header=BB14_1329 Depth=3
	s_or_b64 exec, exec, s[38:39]
	s_and_b64 vcc, exec, vcc
	s_or_b64 s[94:95], vcc, s[94:95]
	s_andn2_b64 vcc, s[30:31], exec
	s_and_b64 s[30:31], s[34:35], exec
	s_or_b64 s[30:31], vcc, s[30:31]
	s_andn2_b64 exec, exec, s[94:95]
	s_cbranch_execz .LBB14_1345
.LBB14_1329:                            ;   Parent Loop BB14_47 Depth=1
                                        ;     Parent Loop BB14_1127 Depth=2
                                        ; =>    This Inner Loop Header: Depth=3
	s_add_i32 s48, s48, 1
	s_cmpk_lg_i32 s48, 0x2710
	s_cselect_b64 s[36:37], -1, 0
	s_and_b64 vcc, exec, s[36:37]
	s_cbranch_vccz .LBB14_1331
; %bb.1330:                             ;   in Loop: Header=BB14_1329 Depth=3
	s_mov_b64 vcc, -1
	s_or_b64 s[34:35], s[34:35], exec
	s_and_saveexec_b64 s[38:39], s[36:37]
	s_cbranch_execz .LBB14_1328
	s_branch .LBB14_1332
.LBB14_1331:                            ;   in Loop: Header=BB14_1329 Depth=3
	s_trap 2
	ds_read_b64 v[8:9], v0
	s_andn2_b64 s[36:37], s[36:37], exec
	s_mov_b32 s48, 0
	s_waitcnt vmcnt(0) lgkmcnt(0)
	flat_load_dword v2, v[8:9] sc0 sc1
	s_waitcnt vmcnt(0) lgkmcnt(0)
	buffer_inv sc0 sc1
	v_cmp_eq_u32_e32 vcc, 0, v2
	s_and_b64 vcc, vcc, exec
	s_or_b64 s[36:37], s[36:37], vcc
	s_mov_b64 vcc, -1
	s_or_b64 s[34:35], s[34:35], exec
	s_and_saveexec_b64 s[38:39], s[36:37]
	s_cbranch_execz .LBB14_1328
.LBB14_1332:                            ;   in Loop: Header=BB14_1329 Depth=3
	s_sleep 1
	s_trap 2
	ds_read_b64 v[8:9], v0
	s_waitcnt lgkmcnt(0)
	s_andn2_b64 s[34:35], s[34:35], exec
	v_cmp_ge_u64_e32 vcc, v[8:9], v[38:39]
	s_orn2_b64 vcc, vcc, exec
	s_branch .LBB14_1328
.LBB14_1333:                            ;   in Loop: Header=BB14_1127 Depth=2
	s_or_b64 exec, exec, s[90:91]
	s_and_saveexec_b64 s[90:91], s[92:93]
	s_xor_b64 s[90:91], exec, s[90:91]
	s_cbranch_execz .LBB14_1335
; %bb.1334:                             ;   in Loop: Header=BB14_1127 Depth=2
	ds_write_b32 v0, v73
	s_trap 2
.LBB14_1335:                            ;   in Loop: Header=BB14_1127 Depth=2
	s_or_b64 exec, exec, s[42:43]
	;;#ASMSTART
	s_wakeup
	;;#ASMEND
.LBB14_1336:                            ;   in Loop: Header=BB14_1127 Depth=2
	s_or_b64 exec, exec, s[40:41]
.LBB14_1337:                            ;   in Loop: Header=BB14_1127 Depth=2
	s_andn2_saveexec_b64 s[28:29], s[28:29]
	s_cbranch_execz .LBB14_1339
; %bb.1338:                             ;   in Loop: Header=BB14_1127 Depth=2
	;;#ASMSTART
	s_waitcnt lgkmcnt(0) vmcnt(0)
	;;#ASMEND
	s_barrier
.LBB14_1339:                            ;   in Loop: Header=BB14_1127 Depth=2
	s_or_b64 exec, exec, s[28:29]
	v_and_b32_e32 v2, 16, v62
.LBB14_1340:                            ;   in Loop: Header=BB14_1127 Depth=2
	s_or_b64 exec, exec, s[24:25]
	v_cmp_ne_u32_e32 vcc, 0, v2
	s_xor_b64 s[24:25], s[10:11], -1
	s_and_b64 s[28:29], vcc, s[24:25]
	s_and_saveexec_b64 s[24:25], s[28:29]
	s_cbranch_execz .LBB14_1342
; %bb.1341:                             ;   in Loop: Header=BB14_1127 Depth=2
	flat_store_dword v[36:37], v73 sc0 sc1
.LBB14_1342:                            ;   in Loop: Header=BB14_1127 Depth=2
	s_or_b64 exec, exec, s[24:25]
	v_and_b32_e32 v2, 48, v62
	v_cmp_ne_u32_e32 vcc, 0, v2
	s_and_saveexec_b64 s[24:25], vcc
	s_cbranch_execz .LBB14_1344
; %bb.1343:                             ;   in Loop: Header=BB14_1127 Depth=2
	v_lshl_add_u64 v[112:113], v[112:113], 0, 4
	flat_store_dwordx2 v[32:33], v[112:113] sc0 sc1
.LBB14_1344:                            ;   in Loop: Header=BB14_1127 Depth=2
	s_or_b64 exec, exec, s[24:25]
	s_or_b64 exec, exec, s[26:27]
	s_add_i32 s24, s56, 1
	s_cmp_eq_u32 s56, s81
	s_cbranch_scc0 .LBB14_1377
	s_branch .LBB14_1378
.LBB14_1345:                            ;   in Loop: Header=BB14_1127 Depth=2
	s_or_b64 exec, exec, s[94:95]
	s_and_saveexec_b64 s[94:95], s[30:31]
	s_xor_b64 s[94:95], exec, s[94:95]
	s_cbranch_execz .LBB14_1347
; %bb.1346:                             ;   in Loop: Header=BB14_1127 Depth=2
	ds_write_b32 v0, v73
	s_trap 2
.LBB14_1347:                            ;   in Loop: Header=BB14_1127 Depth=2
	s_or_b64 exec, exec, s[92:93]
	;;#ASMSTART
	s_wakeup
	;;#ASMEND
.LBB14_1348:                            ;   in Loop: Header=BB14_1127 Depth=2
	s_or_b64 exec, exec, s[90:91]
.LBB14_1349:                            ;   in Loop: Header=BB14_1127 Depth=2
	s_andn2_saveexec_b64 s[28:29], s[28:29]
	s_cbranch_execz .LBB14_1351
; %bb.1350:                             ;   in Loop: Header=BB14_1127 Depth=2
	s_waitcnt lgkmcnt(0)
	s_barrier
.LBB14_1351:                            ;   in Loop: Header=BB14_1127 Depth=2
	s_or_b64 exec, exec, s[28:29]
	s_or_b64 exec, exec, s[26:27]
                                        ; implicit-def: $vgpr2
	s_and_saveexec_b64 s[26:27], s[22:23]
	s_xor_b64 s[26:27], exec, s[26:27]
	s_cbranch_execnz .LBB14_1267
.LBB14_1352:                            ;   in Loop: Header=BB14_1127 Depth=2
	s_andn2_saveexec_b64 s[24:25], s[26:27]
	s_cbranch_execz .LBB14_1371
.LBB14_1353:                            ;   in Loop: Header=BB14_1127 Depth=2
	s_and_saveexec_b64 s[26:27], s[58:59]
	s_xor_b64 s[26:27], exec, s[26:27]
	s_cbranch_execz .LBB14_1368
; %bb.1354:                             ;   in Loop: Header=BB14_1127 Depth=2
	s_and_saveexec_b64 s[28:29], s[14:15]
	s_cbranch_execz .LBB14_1367
; %bb.1355:                             ;   in Loop: Header=BB14_1127 Depth=2
	s_mov_b64 s[92:93], exec
	v_mbcnt_lo_u32_b32 v2, s92, 0
	v_mbcnt_hi_u32_b32 v2, s93, v2
	v_cmp_eq_u32_e32 vcc, 0, v2
	;;#ASMSTART
	s_waitcnt lgkmcnt(0) vmcnt(0)
	;;#ASMEND
	s_and_saveexec_b64 s[90:91], vcc
	s_cbranch_execz .LBB14_1357
; %bb.1356:                             ;   in Loop: Header=BB14_1127 Depth=2
	s_bcnt1_i32_b64 s92, s[92:93]
	v_mov_b32_e32 v2, s92
	s_waitcnt lgkmcnt(0)
	ds_add_u64 v0, v[2:3]
	s_trap 2
.LBB14_1357:                            ;   in Loop: Header=BB14_1127 Depth=2
	s_or_b64 exec, exec, s[90:91]
	s_trap 2
	ds_read_b64 v[8:9], v0
	s_waitcnt lgkmcnt(0)
	v_lshl_add_u64 v[38:39], v[38:39], 0, v[52:53]
	v_cmp_lt_u64_e32 vcc, v[8:9], v[38:39]
	s_and_saveexec_b64 s[90:91], vcc
	s_cbranch_execz .LBB14_1366
; %bb.1358:                             ;   in Loop: Header=BB14_1127 Depth=2
	s_mov_b32 s38, 0
	s_mov_b64 s[92:93], 0
                                        ; implicit-def: $sgpr94_sgpr95
                                        ; implicit-def: $sgpr30_sgpr31
	s_branch .LBB14_1360
.LBB14_1359:                            ;   in Loop: Header=BB14_1360 Depth=3
	s_or_b64 exec, exec, s[36:37]
	s_and_b64 vcc, exec, vcc
	s_or_b64 s[92:93], vcc, s[92:93]
	s_andn2_b64 s[94:95], s[94:95], exec
	s_and_b64 vcc, s[30:31], exec
	s_or_b64 s[94:95], s[94:95], vcc
	s_andn2_b64 exec, exec, s[92:93]
	s_cbranch_execz .LBB14_1364
.LBB14_1360:                            ;   Parent Loop BB14_47 Depth=1
                                        ;     Parent Loop BB14_1127 Depth=2
                                        ; =>    This Inner Loop Header: Depth=3
	s_add_i32 s38, s38, 1
	s_cmpk_lg_i32 s38, 0x2710
	s_cselect_b64 s[34:35], -1, 0
	s_and_b64 vcc, exec, s[34:35]
	s_cbranch_vccz .LBB14_1362
; %bb.1361:                             ;   in Loop: Header=BB14_1360 Depth=3
	s_mov_b64 vcc, -1
	s_or_b64 s[30:31], s[30:31], exec
	s_and_saveexec_b64 s[36:37], s[34:35]
	s_cbranch_execz .LBB14_1359
	s_branch .LBB14_1363
.LBB14_1362:                            ;   in Loop: Header=BB14_1360 Depth=3
	s_trap 2
	ds_read_b64 v[8:9], v0
	s_andn2_b64 s[34:35], s[34:35], exec
	s_mov_b32 s38, 0
	s_waitcnt vmcnt(0) lgkmcnt(0)
	flat_load_dword v2, v[8:9] sc0 sc1
	s_waitcnt vmcnt(0) lgkmcnt(0)
	buffer_inv sc0 sc1
	v_cmp_eq_u32_e32 vcc, 0, v2
	s_and_b64 vcc, vcc, exec
	s_or_b64 s[34:35], s[34:35], vcc
	s_mov_b64 vcc, -1
	s_or_b64 s[30:31], s[30:31], exec
	s_and_saveexec_b64 s[36:37], s[34:35]
	s_cbranch_execz .LBB14_1359
.LBB14_1363:                            ;   in Loop: Header=BB14_1360 Depth=3
	s_sleep 1
	s_trap 2
	ds_read_b64 v[8:9], v0
	s_waitcnt lgkmcnt(0)
	s_andn2_b64 s[30:31], s[30:31], exec
	v_cmp_ge_u64_e32 vcc, v[8:9], v[38:39]
	s_orn2_b64 vcc, vcc, exec
	s_branch .LBB14_1359
.LBB14_1364:                            ;   in Loop: Header=BB14_1127 Depth=2
	s_or_b64 exec, exec, s[92:93]
	s_and_saveexec_b64 s[92:93], s[94:95]
	s_xor_b64 s[92:93], exec, s[92:93]
	s_cbranch_execz .LBB14_1366
; %bb.1365:                             ;   in Loop: Header=BB14_1127 Depth=2
	ds_write_b32 v0, v73
	s_trap 2
.LBB14_1366:                            ;   in Loop: Header=BB14_1127 Depth=2
	s_or_b64 exec, exec, s[90:91]
	;;#ASMSTART
	s_wakeup
	;;#ASMEND
.LBB14_1367:                            ;   in Loop: Header=BB14_1127 Depth=2
	s_or_b64 exec, exec, s[28:29]
.LBB14_1368:                            ;   in Loop: Header=BB14_1127 Depth=2
	s_andn2_saveexec_b64 s[26:27], s[26:27]
	s_cbranch_execz .LBB14_1370
; %bb.1369:                             ;   in Loop: Header=BB14_1127 Depth=2
	;;#ASMSTART
	s_waitcnt lgkmcnt(0) vmcnt(0)
	;;#ASMEND
	s_barrier
.LBB14_1370:                            ;   in Loop: Header=BB14_1127 Depth=2
	s_or_b64 exec, exec, s[26:27]
	v_and_b32_e32 v2, 16, v62
.LBB14_1371:                            ;   in Loop: Header=BB14_1127 Depth=2
	s_or_b64 exec, exec, s[24:25]
	v_cmp_ne_u32_e32 vcc, 0, v2
	s_xor_b64 s[24:25], s[10:11], -1
	s_and_b64 s[26:27], vcc, s[24:25]
	s_and_saveexec_b64 s[24:25], s[26:27]
	s_cbranch_execz .LBB14_1373
; %bb.1372:                             ;   in Loop: Header=BB14_1127 Depth=2
	flat_store_dword v[36:37], v73 sc0 sc1
.LBB14_1373:                            ;   in Loop: Header=BB14_1127 Depth=2
	s_or_b64 exec, exec, s[24:25]
	v_and_b32_e32 v2, 48, v62
	v_cmp_ne_u32_e32 vcc, 0, v2
	s_and_saveexec_b64 s[24:25], vcc
	s_cbranch_execz .LBB14_1375
; %bb.1374:                             ;   in Loop: Header=BB14_1127 Depth=2
	v_lshl_add_u64 v[112:113], v[112:113], 0, 4
	flat_store_dwordx2 v[32:33], v[112:113] sc0 sc1
.LBB14_1375:                            ;   in Loop: Header=BB14_1127 Depth=2
	s_or_b64 exec, exec, s[24:25]
	v_mov_b32_e32 v2, v12
	s_or_b64 exec, exec, s[42:43]
	s_and_saveexec_b64 s[26:27], s[40:41]
	s_cbranch_execnz .LBB14_1134
.LBB14_1376:                            ;   in Loop: Header=BB14_1127 Depth=2
	s_or_b64 exec, exec, s[26:27]
	s_add_i32 s24, s56, 1
	s_cmp_eq_u32 s56, s81
	s_cbranch_scc1 .LBB14_1378
.LBB14_1377:                            ;   in Loop: Header=BB14_1127 Depth=2
	s_mov_b32 s56, s24
	s_branch .LBB14_1127
.LBB14_1378:                            ;   in Loop: Header=BB14_47 Depth=1
	v_mul_lo_u32 v2, v103, s82
	v_mul_lo_u32 v10, v102, s83
	v_mad_u64_u32 v[8:9], s[24:25], v102, s82, 0
	v_add3_u32 v9, v9, v10, v2
	v_sub_co_u32_e32 v10, vcc, v114, v8
	v_mov_b32_e32 v14, 0
	s_nop 0
	v_subb_co_u32_e32 v11, vcc, v115, v9, vcc
	v_cmp_lt_i64_e32 vcc, v[102:103], v[10:11]
	s_nop 1
	v_cndmask_b32_e32 v2, v10, v102, vcc
	v_max_i32_e32 v18, 0, v2
	v_add_u32_e32 v10, 15, v18
	v_ashrrev_i32_e32 v11, 31, v10
	v_lshrrev_b32_e32 v11, 28, v11
	v_add_u32_e32 v10, v10, v11
	v_cmp_gt_i32_e32 vcc, 1, v2
	v_and_b32_e32 v10, -16, v10
	s_or_b64 s[26:27], s[2:3], vcc
	v_max_i32_e32 v19, s80, v10
	s_xor_b64 s[24:25], s[26:27], -1
	s_and_saveexec_b64 s[28:29], s[24:25]
	s_cbranch_execz .LBB14_1514
; %bb.1379:                             ;   in Loop: Header=BB14_47 Depth=1
	s_and_saveexec_b64 s[24:25], s[0:1]
	s_cbranch_execz .LBB14_1381
; %bb.1380:                             ;   in Loop: Header=BB14_47 Depth=1
	s_trap 2
	ds_read_b128 v[10:13], v0
	v_lshl_add_u64 v[8:9], v[8:9], 0, v[116:117]
	v_lshlrev_b64 v[8:9], 1, v[8:9]
	s_waitcnt lgkmcnt(0)
	v_lshl_add_u64 v[10:11], v[10:11], 0, v[8:9]
	v_lshl_add_u64 v[8:9], v[12:13], 0, v[8:9]
	v_cmp_ne_u64_e32 vcc, 0, v[12:13]
	ds_write_b64 v0, v[10:11]
	s_nop 0
	v_cndmask_b32_e32 v9, 0, v9, vcc
	v_cndmask_b32_e32 v8, 0, v8, vcc
	ds_write_b64 v0, v[8:9]
.LBB14_1381:                            ;   in Loop: Header=BB14_47 Depth=1
	s_or_b64 exec, exec, s[24:25]
	v_and_b32_e32 v2, 4, v62
	v_cmp_ne_u32_e32 vcc, 0, v2
	s_and_saveexec_b64 s[40:41], vcc
	s_cbranch_execz .LBB14_1403
; %bb.1382:                             ;   in Loop: Header=BB14_47 Depth=1
	v_lshl_add_u64 v[8:9], v[112:113], 0, 4
	s_waitcnt vmcnt(0) lgkmcnt(0)
	v_cmp_lt_u64_e32 vcc, v[48:49], v[8:9]
	s_and_saveexec_b64 s[42:43], vcc
	s_cbranch_execz .LBB14_1394
; %bb.1383:                             ;   in Loop: Header=BB14_47 Depth=1
	v_and_b32_e32 v2, 64, v62
	s_mov_b32 s56, 0
	v_cmp_eq_u32_e32 vcc, 0, v2
	s_mov_b64 s[90:91], 0
                                        ; implicit-def: $sgpr92_sgpr93
                                        ; implicit-def: $sgpr94_sgpr95
                                        ; implicit-def: $sgpr30_sgpr31
	s_branch .LBB14_1387
.LBB14_1384:                            ;   in Loop: Header=BB14_1387 Depth=2
	s_waitcnt vmcnt(0) lgkmcnt(0)
	v_cmp_ge_u64_e64 s[24:25], v[48:49], v[8:9]
	s_or_b64 s[38:39], s[38:39], exec
	s_orn2_b64 s[36:37], s[24:25], exec
.LBB14_1385:                            ;   in Loop: Header=BB14_1387 Depth=2
	s_or_b64 exec, exec, s[50:51]
	s_andn2_b64 s[24:25], s[30:31], exec
	s_and_b64 s[30:31], s[38:39], exec
	s_or_b64 s[30:31], s[24:25], s[30:31]
	s_andn2_b64 s[24:25], s[94:95], exec
	s_and_b64 s[94:95], s[36:37], exec
	s_or_b64 s[94:95], s[24:25], s[94:95]
.LBB14_1386:                            ;   in Loop: Header=BB14_1387 Depth=2
	s_or_b64 exec, exec, s[34:35]
	s_and_b64 s[24:25], exec, s[94:95]
	s_or_b64 s[90:91], s[24:25], s[90:91]
	s_andn2_b64 s[24:25], s[92:93], exec
	s_and_b64 s[92:93], s[30:31], exec
	s_or_b64 s[92:93], s[24:25], s[92:93]
	s_andn2_b64 exec, exec, s[90:91]
	s_cbranch_execz .LBB14_1391
.LBB14_1387:                            ;   Parent Loop BB14_47 Depth=1
                                        ; =>  This Inner Loop Header: Depth=2
	s_sleep 1
	s_waitcnt vmcnt(0) lgkmcnt(0)
	flat_load_dwordx2 v[48:49], v[32:33] sc0 sc1
	s_or_b64 s[30:31], s[30:31], exec
	s_or_b64 s[94:95], s[94:95], exec
                                        ; implicit-def: $vgpr2
	s_and_saveexec_b64 s[34:35], vcc
	s_cbranch_execz .LBB14_1386
; %bb.1388:                             ;   in Loop: Header=BB14_1387 Depth=2
	s_cmpk_lt_i32 s56, 0x270f
	s_cselect_b64 s[48:49], -1, 0
	s_cmpk_gt_i32 s56, 0x270e
	s_mov_b64 s[36:37], -1
	s_cbranch_scc0 .LBB14_1390
; %bb.1389:                             ;   in Loop: Header=BB14_1387 Depth=2
	s_trap 2
	ds_read_b64 v[10:11], v0
	s_andn2_b64 s[48:49], s[48:49], exec
	s_mov_b32 s56, 0
	s_mov_b64 s[38:39], 0
	s_waitcnt vmcnt(0) lgkmcnt(0)
	flat_load_dword v2, v[10:11] sc0 sc1
	s_waitcnt vmcnt(0) lgkmcnt(0)
	buffer_inv sc0 sc1
	v_cmp_eq_u32_e64 s[24:25], 0, v2
	s_and_b64 s[24:25], s[24:25], exec
	s_or_b64 s[48:49], s[48:49], s[24:25]
	s_and_saveexec_b64 s[50:51], s[48:49]
	s_cbranch_execz .LBB14_1385
	s_branch .LBB14_1384
.LBB14_1390:                            ;   in Loop: Header=BB14_1387 Depth=2
	s_add_i32 s56, s56, 1
	s_mov_b64 s[38:39], -1
                                        ; implicit-def: $vgpr2
	s_and_saveexec_b64 s[50:51], s[48:49]
	s_cbranch_execz .LBB14_1385
	s_branch .LBB14_1384
.LBB14_1391:                            ;   in Loop: Header=BB14_47 Depth=1
	s_or_b64 exec, exec, s[90:91]
	s_xor_b64 s[24:25], s[92:93], -1
	s_and_saveexec_b64 s[90:91], s[24:25]
	s_xor_b64 s[24:25], exec, s[90:91]
	s_cbranch_execz .LBB14_1393
; %bb.1392:                             ;   in Loop: Header=BB14_47 Depth=1
	v_or_b32_e32 v62, 64, v62
	s_waitcnt lgkmcnt(0)
	ds_write_b32 v0, v2
	s_trap 2
.LBB14_1393:                            ;   in Loop: Header=BB14_47 Depth=1
	s_or_b64 exec, exec, s[24:25]
.LBB14_1394:                            ;   in Loop: Header=BB14_47 Depth=1
	s_or_b64 exec, exec, s[42:43]
	v_and_b32_e32 v2, 0x100, v62
	v_cmp_ne_u32_e32 vcc, 0, v2
	v_and_b32_e32 v2, 7, v112
	s_mov_b64 s[24:25], -1
	;;#ASMSTART
	s_wakeup
	;;#ASMEND
                                        ; implicit-def: $vgpr10_vgpr11
	s_and_saveexec_b64 s[42:43], vcc
	s_cbranch_execz .LBB14_1398
; %bb.1395:                             ;   in Loop: Header=BB14_47 Depth=1
	v_mad_u64_u32 v[12:13], s[24:25], v2, 24, v[6:7]
	flat_load_dword v10, v[12:13]
	s_waitcnt vmcnt(0) lgkmcnt(0)
	v_cmp_ne_u32_e32 vcc, 1, v10
	v_cmp_eq_u32_e64 s[24:25], 1, v10
                                        ; implicit-def: $vgpr10_vgpr11
	s_and_saveexec_b64 s[90:91], s[24:25]
	s_cbranch_execz .LBB14_1397
; %bb.1396:                             ;   in Loop: Header=BB14_47 Depth=1
	flat_load_dword v10, v[12:13] offset:4 sc0 sc1
	s_waitcnt vmcnt(0) lgkmcnt(0)
	v_ashrrev_i32_e32 v11, 31, v10
	v_lshrrev_b64 v[10:11], 1, v[10:11]
.LBB14_1397:                            ;   in Loop: Header=BB14_47 Depth=1
	s_or_b64 exec, exec, s[90:91]
	s_orn2_b64 s[24:25], vcc, exec
.LBB14_1398:                            ;   in Loop: Header=BB14_47 Depth=1
	s_or_b64 exec, exec, s[42:43]
	s_and_saveexec_b64 s[42:43], s[24:25]
; %bb.1399:                             ;   in Loop: Header=BB14_47 Depth=1
	v_mad_i64_i32 v[10:11], s[24:25], v2, v30, 0
; %bb.1400:                             ;   in Loop: Header=BB14_47 Depth=1
	s_or_b64 exec, exec, s[42:43]
	v_and_b32_e32 v2, 0x2000, v62
	v_lshl_add_u64 v[10:11], v[10:11], 1, v[34:35]
	v_cmp_ne_u32_e32 vcc, 0, v2
	ds_write_b64 v0, v[10:11] offset:720
	s_and_saveexec_b64 s[24:25], vcc
	s_cbranch_execz .LBB14_1402
; %bb.1401:                             ;   in Loop: Header=BB14_47 Depth=1
	ds_read_b64 v[10:11], v0 offset:872
	s_waitcnt lgkmcnt(0)
	v_lshl_add_u64 v[10:11], v[10:11], 0, 1
	ds_write_b64 v0, v[10:11] offset:872
.LBB14_1402:                            ;   in Loop: Header=BB14_47 Depth=1
	s_or_b64 exec, exec, s[24:25]
	v_mov_b64_e32 v[112:113], v[8:9]
.LBB14_1403:                            ;   in Loop: Header=BB14_47 Depth=1
	s_or_b64 exec, exec, s[40:41]
	s_and_saveexec_b64 s[24:25], s[6:7]
	s_cbranch_execz .LBB14_1422
; %bb.1404:                             ;   in Loop: Header=BB14_47 Depth=1
	s_and_saveexec_b64 s[40:41], s[58:59]
	s_xor_b64 s[40:41], exec, s[40:41]
	s_cbranch_execz .LBB14_1419
; %bb.1405:                             ;   in Loop: Header=BB14_47 Depth=1
	s_and_saveexec_b64 s[42:43], s[14:15]
	s_cbranch_execz .LBB14_1418
; %bb.1406:                             ;   in Loop: Header=BB14_47 Depth=1
	s_mov_b64 s[92:93], exec
	v_mbcnt_lo_u32_b32 v2, s92, 0
	v_mbcnt_hi_u32_b32 v2, s93, v2
	v_cmp_eq_u32_e32 vcc, 0, v2
	s_waitcnt lgkmcnt(0)
	s_and_saveexec_b64 s[90:91], vcc
	s_cbranch_execz .LBB14_1408
; %bb.1407:                             ;   in Loop: Header=BB14_47 Depth=1
	s_bcnt1_i32_b64 s56, s[92:93]
	v_mov_b32_e32 v2, s56
	ds_add_u64 v0, v[2:3]
	s_trap 2
.LBB14_1408:                            ;   in Loop: Header=BB14_47 Depth=1
	s_or_b64 exec, exec, s[90:91]
	s_trap 2
	ds_read_b64 v[8:9], v0
	s_waitcnt lgkmcnt(0)
	v_lshl_add_u64 v[38:39], v[38:39], 0, v[52:53]
	v_cmp_lt_u64_e32 vcc, v[8:9], v[38:39]
	s_and_saveexec_b64 s[90:91], vcc
	s_cbranch_execz .LBB14_1417
; %bb.1409:                             ;   in Loop: Header=BB14_47 Depth=1
	s_mov_b32 s56, 0
	s_mov_b64 s[92:93], 0
                                        ; implicit-def: $sgpr94_sgpr95
                                        ; implicit-def: $sgpr30_sgpr31
	s_branch .LBB14_1411
.LBB14_1410:                            ;   in Loop: Header=BB14_1411 Depth=2
	s_or_b64 exec, exec, s[36:37]
	s_and_b64 vcc, exec, vcc
	s_or_b64 s[92:93], vcc, s[92:93]
	s_andn2_b64 s[94:95], s[94:95], exec
	s_and_b64 vcc, s[30:31], exec
	s_or_b64 s[94:95], s[94:95], vcc
	s_andn2_b64 exec, exec, s[92:93]
	s_cbranch_execz .LBB14_1415
.LBB14_1411:                            ;   Parent Loop BB14_47 Depth=1
                                        ; =>  This Inner Loop Header: Depth=2
	s_add_i32 s56, s56, 1
	s_cmpk_lg_i32 s56, 0x2710
	s_cselect_b64 s[34:35], -1, 0
	s_and_b64 vcc, exec, s[34:35]
	s_cbranch_vccz .LBB14_1413
; %bb.1412:                             ;   in Loop: Header=BB14_1411 Depth=2
	s_mov_b64 vcc, -1
	s_or_b64 s[30:31], s[30:31], exec
	s_and_saveexec_b64 s[36:37], s[34:35]
	s_cbranch_execz .LBB14_1410
	s_branch .LBB14_1414
.LBB14_1413:                            ;   in Loop: Header=BB14_1411 Depth=2
	s_trap 2
	ds_read_b64 v[8:9], v0
	s_andn2_b64 s[34:35], s[34:35], exec
	s_mov_b32 s56, 0
	s_waitcnt vmcnt(0) lgkmcnt(0)
	flat_load_dword v2, v[8:9] sc0 sc1
	s_waitcnt vmcnt(0) lgkmcnt(0)
	buffer_inv sc0 sc1
	v_cmp_eq_u32_e32 vcc, 0, v2
	s_and_b64 vcc, vcc, exec
	s_or_b64 s[34:35], s[34:35], vcc
	s_mov_b64 vcc, -1
	s_or_b64 s[30:31], s[30:31], exec
	s_and_saveexec_b64 s[36:37], s[34:35]
	s_cbranch_execz .LBB14_1410
.LBB14_1414:                            ;   in Loop: Header=BB14_1411 Depth=2
	s_sleep 1
	s_trap 2
	ds_read_b64 v[8:9], v0
	s_waitcnt lgkmcnt(0)
	s_andn2_b64 s[30:31], s[30:31], exec
	v_cmp_ge_u64_e32 vcc, v[8:9], v[38:39]
	s_orn2_b64 vcc, vcc, exec
	s_branch .LBB14_1410
.LBB14_1415:                            ;   in Loop: Header=BB14_47 Depth=1
	s_or_b64 exec, exec, s[92:93]
	s_and_saveexec_b64 s[92:93], s[94:95]
	s_xor_b64 s[92:93], exec, s[92:93]
	s_cbranch_execz .LBB14_1417
; %bb.1416:                             ;   in Loop: Header=BB14_47 Depth=1
	ds_write_b32 v0, v73
	s_trap 2
.LBB14_1417:                            ;   in Loop: Header=BB14_47 Depth=1
	s_or_b64 exec, exec, s[90:91]
	;;#ASMSTART
	s_wakeup
	;;#ASMEND
.LBB14_1418:                            ;   in Loop: Header=BB14_47 Depth=1
	s_or_b64 exec, exec, s[42:43]
.LBB14_1419:                            ;   in Loop: Header=BB14_47 Depth=1
	s_andn2_saveexec_b64 s[40:41], s[40:41]
	s_cbranch_execz .LBB14_1421
; %bb.1420:                             ;   in Loop: Header=BB14_47 Depth=1
	s_waitcnt lgkmcnt(0)
	s_barrier
.LBB14_1421:                            ;   in Loop: Header=BB14_47 Depth=1
	s_or_b64 exec, exec, s[40:41]
.LBB14_1422:                            ;   in Loop: Header=BB14_47 Depth=1
	s_or_b64 exec, exec, s[24:25]
	s_trap 2
	ds_read_b32 v12, v0
	v_and_b32_e32 v2, 0x4000, v62
	v_cmp_ne_u32_e32 vcc, 0, v2
	s_xor_b64 s[24:25], s[4:5], -1
	s_and_b64 s[40:41], s[24:25], vcc
	s_and_saveexec_b64 s[24:25], s[40:41]
	s_cbranch_execz .LBB14_1441
; %bb.1423:                             ;   in Loop: Header=BB14_47 Depth=1
	s_and_saveexec_b64 s[40:41], s[58:59]
	s_xor_b64 s[40:41], exec, s[40:41]
	s_cbranch_execz .LBB14_1438
; %bb.1424:                             ;   in Loop: Header=BB14_47 Depth=1
	s_and_saveexec_b64 s[42:43], s[14:15]
	s_cbranch_execz .LBB14_1437
; %bb.1425:                             ;   in Loop: Header=BB14_47 Depth=1
	s_mov_b64 s[92:93], exec
	v_mbcnt_lo_u32_b32 v2, s92, 0
	v_mbcnt_hi_u32_b32 v2, s93, v2
	v_cmp_eq_u32_e32 vcc, 0, v2
	s_waitcnt lgkmcnt(0)
	s_and_saveexec_b64 s[90:91], vcc
	s_cbranch_execz .LBB14_1427
; %bb.1426:                             ;   in Loop: Header=BB14_47 Depth=1
	s_bcnt1_i32_b64 s56, s[92:93]
	v_mov_b32_e32 v2, s56
	ds_add_u64 v0, v[2:3]
	s_trap 2
.LBB14_1427:                            ;   in Loop: Header=BB14_47 Depth=1
	s_or_b64 exec, exec, s[90:91]
	s_trap 2
	ds_read_b64 v[8:9], v0
	s_waitcnt lgkmcnt(0)
	v_lshl_add_u64 v[38:39], v[38:39], 0, v[52:53]
	v_cmp_lt_u64_e32 vcc, v[8:9], v[38:39]
	s_and_saveexec_b64 s[90:91], vcc
	s_cbranch_execz .LBB14_1436
; %bb.1428:                             ;   in Loop: Header=BB14_47 Depth=1
	s_mov_b32 s56, 0
	s_mov_b64 s[92:93], 0
                                        ; implicit-def: $sgpr94_sgpr95
                                        ; implicit-def: $sgpr30_sgpr31
	s_branch .LBB14_1430
.LBB14_1429:                            ;   in Loop: Header=BB14_1430 Depth=2
	s_or_b64 exec, exec, s[36:37]
	s_and_b64 vcc, exec, vcc
	s_or_b64 s[92:93], vcc, s[92:93]
	s_andn2_b64 s[94:95], s[94:95], exec
	s_and_b64 vcc, s[30:31], exec
	s_or_b64 s[94:95], s[94:95], vcc
	s_andn2_b64 exec, exec, s[92:93]
	s_cbranch_execz .LBB14_1434
.LBB14_1430:                            ;   Parent Loop BB14_47 Depth=1
                                        ; =>  This Inner Loop Header: Depth=2
	s_add_i32 s56, s56, 1
	s_cmpk_lg_i32 s56, 0x2710
	s_cselect_b64 s[34:35], -1, 0
	s_and_b64 vcc, exec, s[34:35]
	s_cbranch_vccz .LBB14_1432
; %bb.1431:                             ;   in Loop: Header=BB14_1430 Depth=2
	s_mov_b64 vcc, -1
	s_or_b64 s[30:31], s[30:31], exec
	s_and_saveexec_b64 s[36:37], s[34:35]
	s_cbranch_execz .LBB14_1429
	s_branch .LBB14_1433
.LBB14_1432:                            ;   in Loop: Header=BB14_1430 Depth=2
	s_trap 2
	ds_read_b64 v[8:9], v0
	s_andn2_b64 s[34:35], s[34:35], exec
	s_mov_b32 s56, 0
	s_waitcnt vmcnt(0) lgkmcnt(0)
	flat_load_dword v2, v[8:9] sc0 sc1
	s_waitcnt vmcnt(0) lgkmcnt(0)
	buffer_inv sc0 sc1
	v_cmp_eq_u32_e32 vcc, 0, v2
	s_and_b64 vcc, vcc, exec
	s_or_b64 s[34:35], s[34:35], vcc
	s_mov_b64 vcc, -1
	s_or_b64 s[30:31], s[30:31], exec
	s_and_saveexec_b64 s[36:37], s[34:35]
	s_cbranch_execz .LBB14_1429
.LBB14_1433:                            ;   in Loop: Header=BB14_1430 Depth=2
	s_sleep 1
	s_trap 2
	ds_read_b64 v[8:9], v0
	s_waitcnt lgkmcnt(0)
	s_andn2_b64 s[30:31], s[30:31], exec
	v_cmp_ge_u64_e32 vcc, v[8:9], v[38:39]
	s_orn2_b64 vcc, vcc, exec
	s_branch .LBB14_1429
.LBB14_1434:                            ;   in Loop: Header=BB14_47 Depth=1
	s_or_b64 exec, exec, s[92:93]
	s_and_saveexec_b64 s[92:93], s[94:95]
	s_xor_b64 s[92:93], exec, s[92:93]
	s_cbranch_execz .LBB14_1436
; %bb.1435:                             ;   in Loop: Header=BB14_47 Depth=1
	ds_write_b32 v0, v73
	s_trap 2
.LBB14_1436:                            ;   in Loop: Header=BB14_47 Depth=1
	s_or_b64 exec, exec, s[90:91]
	;;#ASMSTART
	s_wakeup
	;;#ASMEND
.LBB14_1437:                            ;   in Loop: Header=BB14_47 Depth=1
	s_or_b64 exec, exec, s[42:43]
.LBB14_1438:                            ;   in Loop: Header=BB14_47 Depth=1
	s_andn2_saveexec_b64 s[40:41], s[40:41]
	s_cbranch_execz .LBB14_1440
; %bb.1439:                             ;   in Loop: Header=BB14_47 Depth=1
	s_waitcnt lgkmcnt(0)
	s_barrier
.LBB14_1440:                            ;   in Loop: Header=BB14_47 Depth=1
	s_or_b64 exec, exec, s[40:41]
.LBB14_1441:                            ;   in Loop: Header=BB14_47 Depth=1
	s_or_b64 exec, exec, s[24:25]
	s_trap 2
	ds_read_b64 v[8:9], v0
	v_min_i32_e32 v19, v19, v18
	s_waitcnt lgkmcnt(0)
	v_cmp_eq_u64_e32 vcc, 0, v[8:9]
	s_cbranch_vccnz .LBB14_1449
; %bb.1442:                             ;   in Loop: Header=BB14_47 Depth=1
	s_trap 2
	ds_read_b64 v[10:11], v0
	s_waitcnt lgkmcnt(0)
	v_cmp_eq_u64_e32 vcc, 0, v[10:11]
	s_cbranch_vccnz .LBB14_1449
; %bb.1443:                             ;   in Loop: Header=BB14_47 Depth=1
	s_mov_b64 s[24:25], -1
	s_and_saveexec_b64 s[40:41], s[18:19]
	s_cbranch_execz .LBB14_1445
; %bb.1444:                             ;   in Loop: Header=BB14_47 Depth=1
	ds_read_b32 v2, v0 offset:720
	s_waitcnt lgkmcnt(0)
	v_and_b32_e32 v2, 15, v2
	v_cmp_eq_u32_e32 vcc, 0, v2
	s_orn2_b64 s[24:25], vcc, exec
.LBB14_1445:                            ;   in Loop: Header=BB14_47 Depth=1
	s_or_b64 exec, exec, s[40:41]
	s_and_saveexec_b64 s[40:41], s[16:17]
	s_cbranch_execz .LBB14_1447
; %bb.1446:                             ;   in Loop: Header=BB14_47 Depth=1
	ds_read_b32 v2, v0 offset:784
	s_waitcnt lgkmcnt(0)
	v_and_b32_e32 v2, 15, v2
	v_cmp_eq_u32_e32 vcc, 0, v2
	s_and_b64 s[42:43], s[24:25], vcc
	s_andn2_b64 s[24:25], s[24:25], exec
	s_and_b64 s[42:43], s[42:43], exec
	s_or_b64 s[24:25], s[24:25], s[42:43]
.LBB14_1447:                            ;   in Loop: Header=BB14_47 Depth=1
	s_or_b64 exec, exec, s[40:41]
	v_cmp_eq_u32_e32 vcc, 0, v12
	s_xor_b64 s[24:25], s[24:25], -1
	v_cndmask_b32_e64 v12, 0, 1, s[24:25]
	v_cndmask_b32_e32 v2, 0, v19, vcc
	v_lshlrev_b32_e32 v20, 1, v2
	s_mov_b64 s[42:43], -1
	v_cmp_ne_u32_e32 vcc, 0, v12
	v_mov_b32_e32 v21, 0
	s_cbranch_vccz .LBB14_1454
; %bb.1448:                             ;   in Loop: Header=BB14_47 Depth=1
	v_mov_b32_e32 v22, v0
	s_and_saveexec_b64 s[24:25], s[42:43]
	s_cbranch_execnz .LBB14_1465
	s_branch .LBB14_1473
.LBB14_1449:                            ;   in Loop: Header=BB14_47 Depth=1
	s_mov_b64 s[24:25], 0
	s_and_saveexec_b64 s[40:41], s[6:7]
	s_cbranch_execnz .LBB14_1474
.LBB14_1450:                            ;   in Loop: Header=BB14_47 Depth=1
	s_or_b64 exec, exec, s[40:41]
	s_and_saveexec_b64 s[40:41], s[22:23]
	s_xor_b64 s[40:41], exec, s[40:41]
	s_cbranch_execz .LBB14_1492
.LBB14_1451:                            ;   in Loop: Header=BB14_47 Depth=1
	v_and_b32_e32 v2, 16, v62
	v_cmp_ne_u32_e32 vcc, 0, v2
	s_and_b64 s[42:43], vcc, s[24:25]
	s_and_saveexec_b64 s[24:25], s[42:43]
	s_cbranch_execz .LBB14_1453
; %bb.1452:                             ;   in Loop: Header=BB14_47 Depth=1
	buffer_wbl2 sc1
	s_waitcnt vmcnt(0) lgkmcnt(0)
	buffer_inv sc1
.LBB14_1453:                            ;   in Loop: Header=BB14_47 Depth=1
	s_or_b64 exec, exec, s[24:25]
	s_andn2_saveexec_b64 s[24:25], s[40:41]
	s_cbranch_execz .LBB14_1511
	s_branch .LBB14_1493
.LBB14_1454:                            ;   in Loop: Header=BB14_47 Depth=1
	v_ashrrev_i32_e32 v12, 31, v20
	v_lshrrev_b32_e32 v12, 20, v12
	v_add_u32_e32 v12, v20, v12
	v_ashrrev_i32_e32 v17, 12, v12
	v_sub_u32_e32 v16, v17, v72
	v_cmp_lt_i32_e32 vcc, 0, v16
	s_and_saveexec_b64 s[24:25], vcc
	s_cbranch_execz .LBB14_1458
; %bb.1455:                             ;   in Loop: Header=BB14_47 Depth=1
	s_mov_b64 s[40:41], 0
	v_mov_b64_e32 v[12:13], v[10:11]
	v_mov_b64_e32 v[14:15], v[8:9]
.LBB14_1456:                            ;   Parent Loop BB14_47 Depth=1
                                        ; =>  This Inner Loop Header: Depth=2
	v_lshl_add_u64 v[22:23], v[84:85], 0, v[14:15]
	global_load_dwordx4 v[114:117], v[22:23], off nt
	global_load_dwordx4 v[40:43], v[22:23], off offset:1024 nt
	global_load_dwordx4 v[44:47], v[22:23], off offset:2048 nt
	;; [unrolled: 1-line block ×3, first 2 shown]
	v_sub_u32_e32 v16, v16, v52
	v_cmp_gt_i32_e32 vcc, 1, v16
	v_lshl_add_u64 v[22:23], v[84:85], 0, v[12:13]
	v_lshl_add_u64 v[14:15], v[14:15], 0, v[66:67]
	;; [unrolled: 1-line block ×3, first 2 shown]
	s_or_b64 s[40:41], vcc, s[40:41]
	s_waitcnt vmcnt(0)
	global_store_dwordx4 v[22:23], v[114:117], off
	global_store_dwordx4 v[22:23], v[40:43], off offset:1024
	global_store_dwordx4 v[22:23], v[44:47], off offset:2048
	;; [unrolled: 1-line block ×3, first 2 shown]
	s_andn2_b64 exec, exec, s[40:41]
	s_cbranch_execnz .LBB14_1456
; %bb.1457:                             ;   in Loop: Header=BB14_47 Depth=1
	s_or_b64 exec, exec, s[40:41]
.LBB14_1458:                            ;   in Loop: Header=BB14_47 Depth=1
	s_or_b64 exec, exec, s[24:25]
	v_lshlrev_b32_e32 v14, 12, v17
	v_cmp_ne_u32_e32 vcc, v20, v14
	s_mov_b64 s[42:43], 0
	v_mov_b32_e32 v21, 0
                                        ; implicit-def: $vgpr22
	s_and_saveexec_b64 s[40:41], vcc
	s_cbranch_execz .LBB14_1464
; %bb.1459:                             ;   in Loop: Header=BB14_47 Depth=1
	v_lshlrev_b32_e32 v12, 6, v16
	v_sub_u32_e32 v12, v63, v12
	v_sub_u32_e32 v13, v20, v14
	v_ashrrev_i32_e32 v15, 31, v12
	v_lshrrev_b32_e32 v15, 26, v15
	v_ashrrev_i32_e32 v16, 31, v13
	v_add_u32_e32 v15, v12, v15
	v_lshrrev_b32_e32 v16, 22, v16
	v_ashrrev_i32_e32 v22, 6, v15
	v_and_b32_e32 v15, 0xffffffc0, v15
	v_add_u32_e32 v16, v13, v16
	v_sub_u32_e32 v15, v12, v15
	v_ashrrev_i32_e32 v23, 10, v16
	v_and_b32_e32 v16, 0xfffffc00, v16
	v_lshlrev_b32_e32 v12, 4, v15
	v_sub_u32_e32 v17, v13, v16
	v_lshl_add_u32 v12, v22, 10, v12
	v_cmp_lt_i32_e32 vcc, 15, v17
	v_sub_u32_e32 v21, v13, v12
	s_nop 0
	v_addc_co_u32_e64 v13, s[24:25], 0, v23, vcc
	v_sub_u32_e32 v22, v13, v22
	v_cmp_lt_i32_e64 s[24:25], 15, v21
	s_and_saveexec_b64 s[42:43], s[24:25]
	s_cbranch_execz .LBB14_1463
; %bb.1460:                             ;   in Loop: Header=BB14_47 Depth=1
	v_add_u32_e32 v12, v12, v14
	v_ashrrev_i32_e32 v13, 31, v12
	s_mov_b64 s[90:91], 0
.LBB14_1461:                            ;   Parent Loop BB14_47 Depth=1
                                        ; =>  This Inner Loop Header: Depth=2
	v_lshl_add_u64 v[114:115], v[8:9], 0, v[12:13]
	global_load_dwordx4 v[114:117], v[114:115], off nt
	v_sub_u32_e32 v21, v21, v68
	v_cmp_gt_i32_e64 s[24:25], 16, v21
	v_lshl_add_u64 v[118:119], v[10:11], 0, v[12:13]
	v_sub_u32_e32 v22, v22, v52
	v_lshl_add_u64 v[12:13], v[12:13], 0, v[68:69]
	s_or_b64 s[90:91], s[24:25], s[90:91]
	s_waitcnt vmcnt(0)
	global_store_dwordx4 v[118:119], v[114:117], off
	s_andn2_b64 exec, exec, s[90:91]
	s_cbranch_execnz .LBB14_1461
; %bb.1462:                             ;   in Loop: Header=BB14_47 Depth=1
	s_or_b64 exec, exec, s[90:91]
.LBB14_1463:                            ;   in Loop: Header=BB14_47 Depth=1
	s_or_b64 exec, exec, s[42:43]
	v_and_b32_e32 v12, 14, v20
	v_sub_u32_e32 v13, v17, v12
	v_cndmask_b32_e32 v13, 0, v13, vcc
	v_cndmask_b32_e32 v20, v17, v12, vcc
	v_cmp_lt_i32_e32 vcc, 0, v22
	v_add3_u32 v21, v16, v14, v13
	s_nop 0
	v_cndmask_b32_e32 v12, 0, v52, vcc
	v_sub_u32_e32 v12, v12, v22
	v_cmp_ne_u32_e32 vcc, 0, v20
	v_lshl_add_u32 v22, v12, 6, v15
	s_and_b64 s[42:43], vcc, exec
.LBB14_1464:                            ;   in Loop: Header=BB14_47 Depth=1
	s_or_b64 exec, exec, s[40:41]
	s_and_saveexec_b64 s[24:25], s[42:43]
	s_cbranch_execz .LBB14_1473
.LBB14_1465:                            ;   in Loop: Header=BB14_47 Depth=1
	v_ashrrev_i32_e32 v12, 31, v22
	v_ashrrev_i32_e32 v13, 31, v20
	v_lshrrev_b32_e32 v12, 26, v12
	v_lshrrev_b32_e32 v13, 22, v13
	v_add_u32_e32 v12, v22, v12
	v_add_u32_e32 v13, v20, v13
	v_ashrrev_i32_e32 v23, 6, v12
	v_ashrrev_i32_e32 v115, 10, v13
	v_sub_u32_e32 v114, v115, v23
	v_cmp_lt_i32_e32 vcc, 0, v114
	s_and_saveexec_b64 s[40:41], vcc
	s_cbranch_execz .LBB14_1469
; %bb.1466:                             ;   in Loop: Header=BB14_47 Depth=1
	v_and_b32_e32 v12, 0x7fffffc0, v12
	v_sub_u32_e32 v12, v22, v12
	v_lshlrev_b32_e32 v12, 1, v12
	v_lshlrev_b32_e32 v13, 10, v23
	v_add3_u32 v12, v12, v21, v13
	v_ashrrev_i32_e32 v13, 31, v12
	s_mov_b64 s[42:43], 0
	v_mov_b64_e32 v[14:15], v[10:11]
	v_mov_b64_e32 v[16:17], v[8:9]
.LBB14_1467:                            ;   Parent Loop BB14_47 Depth=1
                                        ; =>  This Inner Loop Header: Depth=2
	v_lshl_add_u64 v[116:117], v[12:13], 0, v[16:17]
	flat_load_ushort v118, v[116:117] nt
	flat_load_ushort v119, v[116:117] offset:128 nt
	flat_load_ushort v40, v[116:117] offset:256 nt
	;; [unrolled: 1-line block ×7, first 2 shown]
	v_sub_u32_e32 v114, v114, v52
	v_cmp_gt_i32_e32 vcc, 1, v114
	v_lshl_add_u64 v[116:117], v[12:13], 0, v[14:15]
	v_lshl_add_u64 v[16:17], v[16:17], 0, v[68:69]
	;; [unrolled: 1-line block ×3, first 2 shown]
	s_or_b64 s[42:43], vcc, s[42:43]
	s_waitcnt vmcnt(0) lgkmcnt(0)
	flat_store_short v[116:117], v118 nt
	flat_store_short v[116:117], v119 offset:128 nt
	flat_store_short v[116:117], v40 offset:256 nt
	;; [unrolled: 1-line block ×7, first 2 shown]
	s_andn2_b64 exec, exec, s[42:43]
	s_cbranch_execnz .LBB14_1467
; %bb.1468:                             ;   in Loop: Header=BB14_47 Depth=1
	s_or_b64 exec, exec, s[42:43]
.LBB14_1469:                            ;   in Loop: Header=BB14_47 Depth=1
	s_or_b64 exec, exec, s[40:41]
	v_lshlrev_b32_e32 v12, 10, v115
	v_cmp_ne_u32_e32 vcc, v20, v12
	s_and_b64 exec, exec, vcc
	s_cbranch_execz .LBB14_1473
; %bb.1470:                             ;   in Loop: Header=BB14_47 Depth=1
	v_lshlrev_b32_e32 v13, 6, v23
	v_sub_u32_e32 v13, v22, v13
	v_lshlrev_b32_e32 v14, 6, v114
	v_sub_u32_e32 v13, v13, v14
	v_ashrrev_i32_e32 v14, 31, v13
	v_lshrrev_b32_e32 v14, 26, v14
	v_add_u32_e32 v14, v13, v14
	v_and_b32_e32 v15, 0x7fffffc0, v14
	v_sub_u32_e32 v13, v13, v15
	v_lshlrev_b32_e32 v14, 1, v14
	v_and_b32_e32 v14, 0xffffff80, v14
	v_lshlrev_b32_e32 v13, 1, v13
	v_add3_u32 v12, v14, v13, v12
	v_sub_u32_e32 v14, v20, v12
	v_cmp_lt_i32_e32 vcc, 1, v14
	s_and_b64 exec, exec, vcc
	s_cbranch_execz .LBB14_1473
; %bb.1471:                             ;   in Loop: Header=BB14_47 Depth=1
	v_add_u32_e32 v12, v12, v21
	v_ashrrev_i32_e32 v13, 31, v12
	s_mov_b64 s[40:41], 0
.LBB14_1472:                            ;   Parent Loop BB14_47 Depth=1
                                        ; =>  This Inner Loop Header: Depth=2
	v_lshl_add_u64 v[16:17], v[8:9], 0, v[12:13]
	flat_load_ushort v15, v[16:17] nt
	v_sub_u32_e32 v14, v14, v70
	v_cmp_gt_i32_e32 vcc, 2, v14
	v_lshl_add_u64 v[16:17], v[10:11], 0, v[12:13]
	v_lshl_add_u64 v[12:13], v[12:13], 0, v[70:71]
	s_or_b64 s[40:41], vcc, s[40:41]
	s_waitcnt vmcnt(0) lgkmcnt(0)
	flat_store_short v[16:17], v15 nt
	s_andn2_b64 exec, exec, s[40:41]
	s_cbranch_execnz .LBB14_1472
.LBB14_1473:                            ;   in Loop: Header=BB14_47 Depth=1
	s_or_b64 exec, exec, s[24:25]
	v_cmp_lt_i32_e64 s[24:25], 0, v2
	s_and_saveexec_b64 s[40:41], s[6:7]
	s_cbranch_execz .LBB14_1450
.LBB14_1474:                            ;   in Loop: Header=BB14_47 Depth=1
	s_and_saveexec_b64 s[42:43], s[58:59]
	s_xor_b64 s[42:43], exec, s[42:43]
	s_cbranch_execz .LBB14_1489
; %bb.1475:                             ;   in Loop: Header=BB14_47 Depth=1
	s_and_saveexec_b64 s[90:91], s[14:15]
	s_cbranch_execz .LBB14_1488
; %bb.1476:                             ;   in Loop: Header=BB14_47 Depth=1
	s_mov_b64 s[94:95], exec
	v_mbcnt_lo_u32_b32 v2, s94, 0
	v_mbcnt_hi_u32_b32 v2, s95, v2
	v_cmp_eq_u32_e32 vcc, 0, v2
	s_waitcnt lgkmcnt(0)
	s_and_saveexec_b64 s[92:93], vcc
	s_cbranch_execz .LBB14_1478
; %bb.1477:                             ;   in Loop: Header=BB14_47 Depth=1
	s_bcnt1_i32_b64 s56, s[94:95]
	v_mov_b32_e32 v2, s56
	ds_add_u64 v0, v[2:3]
	s_trap 2
.LBB14_1478:                            ;   in Loop: Header=BB14_47 Depth=1
	s_or_b64 exec, exec, s[92:93]
	s_trap 2
	ds_read_b64 v[8:9], v0
	s_waitcnt lgkmcnt(0)
	v_lshl_add_u64 v[38:39], v[38:39], 0, v[52:53]
	v_cmp_lt_u64_e32 vcc, v[8:9], v[38:39]
	s_and_saveexec_b64 s[92:93], vcc
	s_cbranch_execz .LBB14_1487
; %bb.1479:                             ;   in Loop: Header=BB14_47 Depth=1
	s_mov_b32 s56, 0
	s_mov_b64 s[94:95], 0
                                        ; implicit-def: $sgpr30_sgpr31
                                        ; implicit-def: $sgpr34_sgpr35
	s_branch .LBB14_1481
.LBB14_1480:                            ;   in Loop: Header=BB14_1481 Depth=2
	s_or_b64 exec, exec, s[38:39]
	s_and_b64 vcc, exec, vcc
	s_or_b64 s[94:95], vcc, s[94:95]
	s_andn2_b64 vcc, s[30:31], exec
	s_and_b64 s[30:31], s[34:35], exec
	s_or_b64 s[30:31], vcc, s[30:31]
	s_andn2_b64 exec, exec, s[94:95]
	s_cbranch_execz .LBB14_1485
.LBB14_1481:                            ;   Parent Loop BB14_47 Depth=1
                                        ; =>  This Inner Loop Header: Depth=2
	s_add_i32 s56, s56, 1
	s_cmpk_lg_i32 s56, 0x2710
	s_cselect_b64 s[36:37], -1, 0
	s_and_b64 vcc, exec, s[36:37]
	s_cbranch_vccz .LBB14_1483
; %bb.1482:                             ;   in Loop: Header=BB14_1481 Depth=2
	s_mov_b64 vcc, -1
	s_or_b64 s[34:35], s[34:35], exec
	s_and_saveexec_b64 s[38:39], s[36:37]
	s_cbranch_execz .LBB14_1480
	s_branch .LBB14_1484
.LBB14_1483:                            ;   in Loop: Header=BB14_1481 Depth=2
	s_trap 2
	ds_read_b64 v[8:9], v0
	s_andn2_b64 s[36:37], s[36:37], exec
	s_mov_b32 s56, 0
	s_waitcnt vmcnt(0) lgkmcnt(0)
	flat_load_dword v2, v[8:9] sc0 sc1
	s_waitcnt vmcnt(0) lgkmcnt(0)
	buffer_inv sc0 sc1
	v_cmp_eq_u32_e32 vcc, 0, v2
	s_and_b64 vcc, vcc, exec
	s_or_b64 s[36:37], s[36:37], vcc
	s_mov_b64 vcc, -1
	s_or_b64 s[34:35], s[34:35], exec
	s_and_saveexec_b64 s[38:39], s[36:37]
	s_cbranch_execz .LBB14_1480
.LBB14_1484:                            ;   in Loop: Header=BB14_1481 Depth=2
	s_sleep 1
	s_trap 2
	ds_read_b64 v[8:9], v0
	s_waitcnt lgkmcnt(0)
	s_andn2_b64 s[34:35], s[34:35], exec
	v_cmp_ge_u64_e32 vcc, v[8:9], v[38:39]
	s_orn2_b64 vcc, vcc, exec
	s_branch .LBB14_1480
.LBB14_1485:                            ;   in Loop: Header=BB14_47 Depth=1
	s_or_b64 exec, exec, s[94:95]
	s_and_saveexec_b64 s[94:95], s[30:31]
	s_xor_b64 s[94:95], exec, s[94:95]
	s_cbranch_execz .LBB14_1487
; %bb.1486:                             ;   in Loop: Header=BB14_47 Depth=1
	ds_write_b32 v0, v73
	s_trap 2
.LBB14_1487:                            ;   in Loop: Header=BB14_47 Depth=1
	s_or_b64 exec, exec, s[92:93]
	;;#ASMSTART
	s_wakeup
	;;#ASMEND
.LBB14_1488:                            ;   in Loop: Header=BB14_47 Depth=1
	s_or_b64 exec, exec, s[90:91]
.LBB14_1489:                            ;   in Loop: Header=BB14_47 Depth=1
	s_andn2_saveexec_b64 s[42:43], s[42:43]
	s_cbranch_execz .LBB14_1491
; %bb.1490:                             ;   in Loop: Header=BB14_47 Depth=1
	s_waitcnt lgkmcnt(0)
	s_barrier
.LBB14_1491:                            ;   in Loop: Header=BB14_47 Depth=1
	s_or_b64 exec, exec, s[42:43]
	s_or_b64 exec, exec, s[40:41]
	s_and_saveexec_b64 s[40:41], s[22:23]
	s_xor_b64 s[40:41], exec, s[40:41]
	s_cbranch_execnz .LBB14_1451
.LBB14_1492:                            ;   in Loop: Header=BB14_47 Depth=1
	s_andn2_saveexec_b64 s[24:25], s[40:41]
	s_cbranch_execz .LBB14_1511
.LBB14_1493:                            ;   in Loop: Header=BB14_47 Depth=1
	s_and_saveexec_b64 s[40:41], s[58:59]
	s_xor_b64 s[40:41], exec, s[40:41]
	s_cbranch_execz .LBB14_1508
; %bb.1494:                             ;   in Loop: Header=BB14_47 Depth=1
	s_and_saveexec_b64 s[42:43], s[14:15]
	s_cbranch_execz .LBB14_1507
; %bb.1495:                             ;   in Loop: Header=BB14_47 Depth=1
	s_mov_b64 s[92:93], exec
	v_mbcnt_lo_u32_b32 v2, s92, 0
	v_mbcnt_hi_u32_b32 v2, s93, v2
	v_cmp_eq_u32_e32 vcc, 0, v2
	;;#ASMSTART
	s_waitcnt lgkmcnt(0) vmcnt(0)
	;;#ASMEND
	s_and_saveexec_b64 s[90:91], vcc
	s_cbranch_execz .LBB14_1497
; %bb.1496:                             ;   in Loop: Header=BB14_47 Depth=1
	s_bcnt1_i32_b64 s56, s[92:93]
	v_mov_b32_e32 v2, s56
	s_waitcnt lgkmcnt(0)
	ds_add_u64 v0, v[2:3]
	s_trap 2
.LBB14_1497:                            ;   in Loop: Header=BB14_47 Depth=1
	s_or_b64 exec, exec, s[90:91]
	s_trap 2
	ds_read_b64 v[8:9], v0
	s_waitcnt lgkmcnt(0)
	v_lshl_add_u64 v[38:39], v[38:39], 0, v[52:53]
	v_cmp_lt_u64_e32 vcc, v[8:9], v[38:39]
	s_and_saveexec_b64 s[90:91], vcc
	s_cbranch_execz .LBB14_1506
; %bb.1498:                             ;   in Loop: Header=BB14_47 Depth=1
	s_mov_b32 s56, 0
	s_mov_b64 s[92:93], 0
                                        ; implicit-def: $sgpr94_sgpr95
                                        ; implicit-def: $sgpr30_sgpr31
	s_branch .LBB14_1500
.LBB14_1499:                            ;   in Loop: Header=BB14_1500 Depth=2
	s_or_b64 exec, exec, s[36:37]
	s_and_b64 vcc, exec, vcc
	s_or_b64 s[92:93], vcc, s[92:93]
	s_andn2_b64 s[94:95], s[94:95], exec
	s_and_b64 vcc, s[30:31], exec
	s_or_b64 s[94:95], s[94:95], vcc
	s_andn2_b64 exec, exec, s[92:93]
	s_cbranch_execz .LBB14_1504
.LBB14_1500:                            ;   Parent Loop BB14_47 Depth=1
                                        ; =>  This Inner Loop Header: Depth=2
	s_add_i32 s56, s56, 1
	s_cmpk_lg_i32 s56, 0x2710
	s_cselect_b64 s[34:35], -1, 0
	s_and_b64 vcc, exec, s[34:35]
	s_cbranch_vccz .LBB14_1502
; %bb.1501:                             ;   in Loop: Header=BB14_1500 Depth=2
	s_mov_b64 vcc, -1
	s_or_b64 s[30:31], s[30:31], exec
	s_and_saveexec_b64 s[36:37], s[34:35]
	s_cbranch_execz .LBB14_1499
	s_branch .LBB14_1503
.LBB14_1502:                            ;   in Loop: Header=BB14_1500 Depth=2
	s_trap 2
	ds_read_b64 v[8:9], v0
	s_andn2_b64 s[34:35], s[34:35], exec
	s_mov_b32 s56, 0
	s_waitcnt vmcnt(0) lgkmcnt(0)
	flat_load_dword v2, v[8:9] sc0 sc1
	s_waitcnt vmcnt(0) lgkmcnt(0)
	buffer_inv sc0 sc1
	v_cmp_eq_u32_e32 vcc, 0, v2
	s_and_b64 vcc, vcc, exec
	s_or_b64 s[34:35], s[34:35], vcc
	s_mov_b64 vcc, -1
	s_or_b64 s[30:31], s[30:31], exec
	s_and_saveexec_b64 s[36:37], s[34:35]
	s_cbranch_execz .LBB14_1499
.LBB14_1503:                            ;   in Loop: Header=BB14_1500 Depth=2
	s_sleep 1
	s_trap 2
	ds_read_b64 v[8:9], v0
	s_waitcnt lgkmcnt(0)
	s_andn2_b64 s[30:31], s[30:31], exec
	v_cmp_ge_u64_e32 vcc, v[8:9], v[38:39]
	s_orn2_b64 vcc, vcc, exec
	s_branch .LBB14_1499
.LBB14_1504:                            ;   in Loop: Header=BB14_47 Depth=1
	s_or_b64 exec, exec, s[92:93]
	s_and_saveexec_b64 s[92:93], s[94:95]
	s_xor_b64 s[92:93], exec, s[92:93]
	s_cbranch_execz .LBB14_1506
; %bb.1505:                             ;   in Loop: Header=BB14_47 Depth=1
	ds_write_b32 v0, v73
	s_trap 2
.LBB14_1506:                            ;   in Loop: Header=BB14_47 Depth=1
	s_or_b64 exec, exec, s[90:91]
	;;#ASMSTART
	s_wakeup
	;;#ASMEND
.LBB14_1507:                            ;   in Loop: Header=BB14_47 Depth=1
	s_or_b64 exec, exec, s[42:43]
.LBB14_1508:                            ;   in Loop: Header=BB14_47 Depth=1
	s_andn2_saveexec_b64 s[40:41], s[40:41]
	s_cbranch_execz .LBB14_1510
; %bb.1509:                             ;   in Loop: Header=BB14_47 Depth=1
	;;#ASMSTART
	s_waitcnt lgkmcnt(0) vmcnt(0)
	;;#ASMEND
	s_barrier
.LBB14_1510:                            ;   in Loop: Header=BB14_47 Depth=1
	s_or_b64 exec, exec, s[40:41]
.LBB14_1511:                            ;   in Loop: Header=BB14_47 Depth=1
	s_or_b64 exec, exec, s[24:25]
	v_and_b32_e32 v2, 32, v62
	v_cmp_ne_u32_e32 vcc, 0, v2
	s_and_saveexec_b64 s[24:25], vcc
	s_cbranch_execz .LBB14_1513
; %bb.1512:                             ;   in Loop: Header=BB14_47 Depth=1
	v_lshl_add_u64 v[112:113], v[112:113], 0, 4
	flat_store_dwordx2 v[32:33], v[112:113] sc0 sc1
.LBB14_1513:                            ;   in Loop: Header=BB14_47 Depth=1
	s_or_b64 exec, exec, s[24:25]
	v_mov_b32_e32 v14, v19
.LBB14_1514:                            ;   in Loop: Header=BB14_47 Depth=1
	s_or_b64 exec, exec, s[28:29]
	s_and_saveexec_b64 s[28:29], s[26:27]
	s_cbranch_execz .LBB14_46
; %bb.1515:                             ;   in Loop: Header=BB14_47 Depth=1
	v_and_b32_e32 v2, 4, v62
	v_cmp_ne_u32_e32 vcc, 0, v2
	s_and_saveexec_b64 s[26:27], vcc
	s_cbranch_execz .LBB14_1525
; %bb.1516:                             ;   in Loop: Header=BB14_47 Depth=1
	v_lshl_add_u64 v[8:9], v[112:113], 0, 4
	s_waitcnt vmcnt(0) lgkmcnt(0)
	v_cmp_lt_u64_e32 vcc, v[48:49], v[8:9]
	s_and_saveexec_b64 s[40:41], vcc
	s_cbranch_execz .LBB14_1540
; %bb.1517:                             ;   in Loop: Header=BB14_47 Depth=1
	v_and_b32_e32 v2, 64, v62
	s_mov_b32 s56, 0
	v_cmp_eq_u32_e32 vcc, 0, v2
	s_mov_b64 s[42:43], 0
                                        ; implicit-def: $sgpr90_sgpr91
                                        ; implicit-def: $sgpr92_sgpr93
                                        ; implicit-def: $sgpr94_sgpr95
	s_branch .LBB14_1521
.LBB14_1518:                            ;   in Loop: Header=BB14_1521 Depth=2
	s_waitcnt vmcnt(0) lgkmcnt(0)
	v_cmp_ge_u64_e64 s[24:25], v[48:49], v[8:9]
	s_or_b64 s[36:37], s[36:37], exec
	s_orn2_b64 s[34:35], s[24:25], exec
.LBB14_1519:                            ;   in Loop: Header=BB14_1521 Depth=2
	s_or_b64 exec, exec, s[48:49]
	s_andn2_b64 s[24:25], s[94:95], exec
	s_and_b64 s[94:95], s[36:37], exec
	s_or_b64 s[94:95], s[24:25], s[94:95]
	s_andn2_b64 s[24:25], s[92:93], exec
	s_and_b64 s[92:93], s[34:35], exec
	s_or_b64 s[92:93], s[24:25], s[92:93]
.LBB14_1520:                            ;   in Loop: Header=BB14_1521 Depth=2
	s_or_b64 exec, exec, s[30:31]
	s_and_b64 s[24:25], exec, s[92:93]
	s_or_b64 s[42:43], s[24:25], s[42:43]
	s_andn2_b64 s[24:25], s[90:91], exec
	s_and_b64 s[90:91], s[94:95], exec
	s_or_b64 s[90:91], s[24:25], s[90:91]
	s_andn2_b64 exec, exec, s[42:43]
	s_cbranch_execz .LBB14_1537
.LBB14_1521:                            ;   Parent Loop BB14_47 Depth=1
                                        ; =>  This Inner Loop Header: Depth=2
	s_sleep 1
	s_waitcnt vmcnt(0) lgkmcnt(0)
	flat_load_dwordx2 v[48:49], v[32:33] sc0 sc1
	s_or_b64 s[94:95], s[94:95], exec
	s_or_b64 s[92:93], s[92:93], exec
                                        ; implicit-def: $vgpr2
	s_and_saveexec_b64 s[30:31], vcc
	s_cbranch_execz .LBB14_1520
; %bb.1522:                             ;   in Loop: Header=BB14_1521 Depth=2
	s_cmpk_lt_i32 s56, 0x270f
	s_cselect_b64 s[38:39], -1, 0
	s_cmpk_gt_i32 s56, 0x270e
	s_mov_b64 s[34:35], -1
	s_cbranch_scc0 .LBB14_1524
; %bb.1523:                             ;   in Loop: Header=BB14_1521 Depth=2
	s_trap 2
	ds_read_b64 v[10:11], v0
	s_andn2_b64 s[38:39], s[38:39], exec
	s_mov_b32 s56, 0
	s_mov_b64 s[36:37], 0
	s_waitcnt vmcnt(0) lgkmcnt(0)
	flat_load_dword v2, v[10:11] sc0 sc1
	s_waitcnt vmcnt(0) lgkmcnt(0)
	buffer_inv sc0 sc1
	v_cmp_eq_u32_e64 s[24:25], 0, v2
	s_and_b64 s[24:25], s[24:25], exec
	s_or_b64 s[38:39], s[38:39], s[24:25]
	s_and_saveexec_b64 s[48:49], s[38:39]
	s_cbranch_execz .LBB14_1519
	s_branch .LBB14_1518
.LBB14_1524:                            ;   in Loop: Header=BB14_1521 Depth=2
	s_add_i32 s56, s56, 1
	s_mov_b64 s[36:37], -1
                                        ; implicit-def: $vgpr2
	s_and_saveexec_b64 s[48:49], s[38:39]
	s_cbranch_execz .LBB14_1519
	s_branch .LBB14_1518
.LBB14_1525:                            ;   in Loop: Header=BB14_47 Depth=1
	s_or_b64 exec, exec, s[26:27]
	s_and_saveexec_b64 s[24:25], s[6:7]
	s_cbranch_execz .LBB14_1549
.LBB14_1526:                            ;   in Loop: Header=BB14_47 Depth=1
	s_and_saveexec_b64 s[26:27], s[58:59]
	s_xor_b64 s[26:27], exec, s[26:27]
	s_cbranch_execz .LBB14_1557
; %bb.1527:                             ;   in Loop: Header=BB14_47 Depth=1
	s_and_saveexec_b64 s[40:41], s[14:15]
	s_cbranch_execz .LBB14_1556
; %bb.1528:                             ;   in Loop: Header=BB14_47 Depth=1
	s_mov_b64 s[90:91], exec
	v_mbcnt_lo_u32_b32 v2, s90, 0
	v_mbcnt_hi_u32_b32 v2, s91, v2
	v_cmp_eq_u32_e32 vcc, 0, v2
	s_waitcnt lgkmcnt(0)
	s_and_saveexec_b64 s[42:43], vcc
	s_cbranch_execz .LBB14_1530
; %bb.1529:                             ;   in Loop: Header=BB14_47 Depth=1
	s_bcnt1_i32_b64 s56, s[90:91]
	v_mov_b32_e32 v2, s56
	ds_add_u64 v0, v[2:3]
	s_trap 2
.LBB14_1530:                            ;   in Loop: Header=BB14_47 Depth=1
	s_or_b64 exec, exec, s[42:43]
	s_trap 2
	ds_read_b64 v[8:9], v0
	s_waitcnt lgkmcnt(0)
	v_lshl_add_u64 v[38:39], v[38:39], 0, v[52:53]
	v_cmp_lt_u64_e32 vcc, v[8:9], v[38:39]
	s_and_saveexec_b64 s[42:43], vcc
	s_cbranch_execz .LBB14_1555
; %bb.1531:                             ;   in Loop: Header=BB14_47 Depth=1
	s_mov_b32 s56, 0
	s_mov_b64 s[90:91], 0
                                        ; implicit-def: $sgpr92_sgpr93
                                        ; implicit-def: $sgpr94_sgpr95
	s_branch .LBB14_1533
.LBB14_1532:                            ;   in Loop: Header=BB14_1533 Depth=2
	s_or_b64 exec, exec, s[34:35]
	s_and_b64 vcc, exec, vcc
	s_or_b64 s[90:91], vcc, s[90:91]
	s_andn2_b64 s[92:93], s[92:93], exec
	s_and_b64 vcc, s[94:95], exec
	s_or_b64 s[92:93], s[92:93], vcc
	s_andn2_b64 exec, exec, s[90:91]
	s_cbranch_execz .LBB14_1553
.LBB14_1533:                            ;   Parent Loop BB14_47 Depth=1
                                        ; =>  This Inner Loop Header: Depth=2
	s_add_i32 s56, s56, 1
	s_cmpk_lg_i32 s56, 0x2710
	s_cselect_b64 s[30:31], -1, 0
	s_and_b64 vcc, exec, s[30:31]
	s_cbranch_vccz .LBB14_1535
; %bb.1534:                             ;   in Loop: Header=BB14_1533 Depth=2
	s_mov_b64 vcc, -1
	s_or_b64 s[94:95], s[94:95], exec
	s_and_saveexec_b64 s[34:35], s[30:31]
	s_cbranch_execz .LBB14_1532
	s_branch .LBB14_1536
.LBB14_1535:                            ;   in Loop: Header=BB14_1533 Depth=2
	s_trap 2
	ds_read_b64 v[8:9], v0
	s_andn2_b64 s[30:31], s[30:31], exec
	s_mov_b32 s56, 0
	s_waitcnt vmcnt(0) lgkmcnt(0)
	flat_load_dword v2, v[8:9] sc0 sc1
	s_waitcnt vmcnt(0) lgkmcnt(0)
	buffer_inv sc0 sc1
	v_cmp_eq_u32_e32 vcc, 0, v2
	s_and_b64 vcc, vcc, exec
	s_or_b64 s[30:31], s[30:31], vcc
	s_mov_b64 vcc, -1
	s_or_b64 s[94:95], s[94:95], exec
	s_and_saveexec_b64 s[34:35], s[30:31]
	s_cbranch_execz .LBB14_1532
.LBB14_1536:                            ;   in Loop: Header=BB14_1533 Depth=2
	s_sleep 1
	s_trap 2
	ds_read_b64 v[8:9], v0
	s_waitcnt lgkmcnt(0)
	s_andn2_b64 s[94:95], s[94:95], exec
	v_cmp_ge_u64_e32 vcc, v[8:9], v[38:39]
	s_orn2_b64 vcc, vcc, exec
	s_branch .LBB14_1532
.LBB14_1537:                            ;   in Loop: Header=BB14_47 Depth=1
	s_or_b64 exec, exec, s[42:43]
	s_xor_b64 s[24:25], s[90:91], -1
	s_and_saveexec_b64 s[42:43], s[24:25]
	s_xor_b64 s[24:25], exec, s[42:43]
	s_cbranch_execz .LBB14_1539
; %bb.1538:                             ;   in Loop: Header=BB14_47 Depth=1
	v_or_b32_e32 v62, 64, v62
	s_waitcnt lgkmcnt(0)
	ds_write_b32 v0, v2
	s_trap 2
.LBB14_1539:                            ;   in Loop: Header=BB14_47 Depth=1
	s_or_b64 exec, exec, s[24:25]
.LBB14_1540:                            ;   in Loop: Header=BB14_47 Depth=1
	s_or_b64 exec, exec, s[40:41]
	v_and_b32_e32 v2, 0x100, v62
	v_cmp_ne_u32_e32 vcc, 0, v2
	v_and_b32_e32 v2, 7, v112
	s_mov_b64 s[24:25], -1
	;;#ASMSTART
	s_wakeup
	;;#ASMEND
                                        ; implicit-def: $vgpr10_vgpr11
	s_and_saveexec_b64 s[40:41], vcc
	s_cbranch_execz .LBB14_1544
; %bb.1541:                             ;   in Loop: Header=BB14_47 Depth=1
	v_mad_u64_u32 v[12:13], s[24:25], v2, 24, v[6:7]
	flat_load_dword v10, v[12:13]
	s_waitcnt vmcnt(0) lgkmcnt(0)
	v_cmp_ne_u32_e32 vcc, 1, v10
	v_cmp_eq_u32_e64 s[24:25], 1, v10
                                        ; implicit-def: $vgpr10_vgpr11
	s_and_saveexec_b64 s[42:43], s[24:25]
	s_cbranch_execz .LBB14_1543
; %bb.1542:                             ;   in Loop: Header=BB14_47 Depth=1
	flat_load_dword v10, v[12:13] offset:4 sc0 sc1
	s_waitcnt vmcnt(0) lgkmcnt(0)
	v_ashrrev_i32_e32 v11, 31, v10
	v_lshrrev_b64 v[10:11], 1, v[10:11]
.LBB14_1543:                            ;   in Loop: Header=BB14_47 Depth=1
	s_or_b64 exec, exec, s[42:43]
	s_orn2_b64 s[24:25], vcc, exec
.LBB14_1544:                            ;   in Loop: Header=BB14_47 Depth=1
	s_or_b64 exec, exec, s[40:41]
	s_and_saveexec_b64 s[40:41], s[24:25]
; %bb.1545:                             ;   in Loop: Header=BB14_47 Depth=1
	v_mad_i64_i32 v[10:11], s[24:25], v2, v30, 0
; %bb.1546:                             ;   in Loop: Header=BB14_47 Depth=1
	s_or_b64 exec, exec, s[40:41]
	v_and_b32_e32 v2, 0x2000, v62
	v_lshl_add_u64 v[10:11], v[10:11], 1, v[34:35]
	v_cmp_ne_u32_e32 vcc, 0, v2
	ds_write_b64 v0, v[10:11] offset:720
	s_and_saveexec_b64 s[24:25], vcc
	s_cbranch_execz .LBB14_1548
; %bb.1547:                             ;   in Loop: Header=BB14_47 Depth=1
	ds_read_b64 v[10:11], v0 offset:872
	s_waitcnt lgkmcnt(0)
	v_lshl_add_u64 v[10:11], v[10:11], 0, 1
	ds_write_b64 v0, v[10:11] offset:872
.LBB14_1548:                            ;   in Loop: Header=BB14_47 Depth=1
	s_or_b64 exec, exec, s[24:25]
	v_mov_b64_e32 v[112:113], v[8:9]
	s_or_b64 exec, exec, s[26:27]
	s_and_saveexec_b64 s[24:25], s[6:7]
	s_cbranch_execnz .LBB14_1526
.LBB14_1549:                            ;   in Loop: Header=BB14_47 Depth=1
	s_or_b64 exec, exec, s[24:25]
	s_and_saveexec_b64 s[24:25], s[22:23]
	s_xor_b64 s[24:25], exec, s[24:25]
	s_cbranch_execz .LBB14_1560
.LBB14_1550:                            ;   in Loop: Header=BB14_47 Depth=1
	s_trap 2
	ds_read_b32 v2, v0
	v_sub_u32_e32 v8, v18, v14
	v_min_i32_e32 v8, v19, v8
	v_cmp_lt_i32_e32 vcc, 0, v8
	s_waitcnt lgkmcnt(0)
	v_readfirstlane_b32 s26, v2
	s_cmp_eq_u32 s26, 0
	s_cselect_b64 s[26:27], -1, 0
	v_and_b32_e32 v2, 16, v62
	s_and_b64 s[26:27], vcc, s[26:27]
	v_cmp_ne_u32_e32 vcc, 0, v2
	s_and_b64 s[40:41], vcc, s[26:27]
	s_and_saveexec_b64 s[26:27], s[40:41]
	s_cbranch_execz .LBB14_1552
; %bb.1551:                             ;   in Loop: Header=BB14_47 Depth=1
	buffer_wbl2 sc1
	s_waitcnt vmcnt(0)
	buffer_inv sc1
.LBB14_1552:                            ;   in Loop: Header=BB14_47 Depth=1
	s_or_b64 exec, exec, s[26:27]
	s_andn2_saveexec_b64 s[24:25], s[24:25]
	s_cbranch_execz .LBB14_1579
	s_branch .LBB14_1561
.LBB14_1553:                            ;   in Loop: Header=BB14_47 Depth=1
	s_or_b64 exec, exec, s[90:91]
	s_and_saveexec_b64 s[90:91], s[92:93]
	s_xor_b64 s[90:91], exec, s[90:91]
	s_cbranch_execz .LBB14_1555
; %bb.1554:                             ;   in Loop: Header=BB14_47 Depth=1
	ds_write_b32 v0, v73
	s_trap 2
.LBB14_1555:                            ;   in Loop: Header=BB14_47 Depth=1
	s_or_b64 exec, exec, s[42:43]
	;;#ASMSTART
	s_wakeup
	;;#ASMEND
.LBB14_1556:                            ;   in Loop: Header=BB14_47 Depth=1
	s_or_b64 exec, exec, s[40:41]
.LBB14_1557:                            ;   in Loop: Header=BB14_47 Depth=1
	s_andn2_saveexec_b64 s[26:27], s[26:27]
	s_cbranch_execz .LBB14_1559
; %bb.1558:                             ;   in Loop: Header=BB14_47 Depth=1
	s_waitcnt lgkmcnt(0)
	s_barrier
.LBB14_1559:                            ;   in Loop: Header=BB14_47 Depth=1
	s_or_b64 exec, exec, s[26:27]
	s_or_b64 exec, exec, s[24:25]
	s_and_saveexec_b64 s[24:25], s[22:23]
	s_xor_b64 s[24:25], exec, s[24:25]
	s_cbranch_execnz .LBB14_1550
.LBB14_1560:                            ;   in Loop: Header=BB14_47 Depth=1
	s_andn2_saveexec_b64 s[24:25], s[24:25]
	s_cbranch_execz .LBB14_1579
.LBB14_1561:                            ;   in Loop: Header=BB14_47 Depth=1
	s_and_saveexec_b64 s[26:27], s[58:59]
	s_xor_b64 s[26:27], exec, s[26:27]
	s_cbranch_execz .LBB14_1576
; %bb.1562:                             ;   in Loop: Header=BB14_47 Depth=1
	s_and_saveexec_b64 s[40:41], s[14:15]
	s_cbranch_execz .LBB14_1575
; %bb.1563:                             ;   in Loop: Header=BB14_47 Depth=1
	s_mov_b64 s[90:91], exec
	v_mbcnt_lo_u32_b32 v2, s90, 0
	v_mbcnt_hi_u32_b32 v2, s91, v2
	v_cmp_eq_u32_e32 vcc, 0, v2
	;;#ASMSTART
	s_waitcnt lgkmcnt(0) vmcnt(0)
	;;#ASMEND
	s_and_saveexec_b64 s[42:43], vcc
	s_cbranch_execz .LBB14_1565
; %bb.1564:                             ;   in Loop: Header=BB14_47 Depth=1
	s_bcnt1_i32_b64 s56, s[90:91]
	v_mov_b32_e32 v2, s56
	s_waitcnt lgkmcnt(0)
	ds_add_u64 v0, v[2:3]
	s_trap 2
.LBB14_1565:                            ;   in Loop: Header=BB14_47 Depth=1
	s_or_b64 exec, exec, s[42:43]
	s_trap 2
	ds_read_b64 v[8:9], v0
	s_waitcnt lgkmcnt(0)
	v_lshl_add_u64 v[38:39], v[38:39], 0, v[52:53]
	v_cmp_lt_u64_e32 vcc, v[8:9], v[38:39]
	s_and_saveexec_b64 s[42:43], vcc
	s_cbranch_execz .LBB14_1574
; %bb.1566:                             ;   in Loop: Header=BB14_47 Depth=1
	s_mov_b32 s56, 0
	s_mov_b64 s[90:91], 0
                                        ; implicit-def: $sgpr92_sgpr93
                                        ; implicit-def: $sgpr94_sgpr95
	s_branch .LBB14_1568
.LBB14_1567:                            ;   in Loop: Header=BB14_1568 Depth=2
	s_or_b64 exec, exec, s[34:35]
	s_and_b64 vcc, exec, vcc
	s_or_b64 s[90:91], vcc, s[90:91]
	s_andn2_b64 s[92:93], s[92:93], exec
	s_and_b64 vcc, s[94:95], exec
	s_or_b64 s[92:93], s[92:93], vcc
	s_andn2_b64 exec, exec, s[90:91]
	s_cbranch_execz .LBB14_1572
.LBB14_1568:                            ;   Parent Loop BB14_47 Depth=1
                                        ; =>  This Inner Loop Header: Depth=2
	s_add_i32 s56, s56, 1
	s_cmpk_lg_i32 s56, 0x2710
	s_cselect_b64 s[30:31], -1, 0
	s_and_b64 vcc, exec, s[30:31]
	s_cbranch_vccz .LBB14_1570
; %bb.1569:                             ;   in Loop: Header=BB14_1568 Depth=2
	s_mov_b64 vcc, -1
	s_or_b64 s[94:95], s[94:95], exec
	s_and_saveexec_b64 s[34:35], s[30:31]
	s_cbranch_execz .LBB14_1567
	s_branch .LBB14_1571
.LBB14_1570:                            ;   in Loop: Header=BB14_1568 Depth=2
	s_trap 2
	ds_read_b64 v[8:9], v0
	s_andn2_b64 s[30:31], s[30:31], exec
	s_mov_b32 s56, 0
	s_waitcnt vmcnt(0) lgkmcnt(0)
	flat_load_dword v2, v[8:9] sc0 sc1
	s_waitcnt vmcnt(0) lgkmcnt(0)
	buffer_inv sc0 sc1
	v_cmp_eq_u32_e32 vcc, 0, v2
	s_and_b64 vcc, vcc, exec
	s_or_b64 s[30:31], s[30:31], vcc
	s_mov_b64 vcc, -1
	s_or_b64 s[94:95], s[94:95], exec
	s_and_saveexec_b64 s[34:35], s[30:31]
	s_cbranch_execz .LBB14_1567
.LBB14_1571:                            ;   in Loop: Header=BB14_1568 Depth=2
	s_sleep 1
	s_trap 2
	ds_read_b64 v[8:9], v0
	s_waitcnt lgkmcnt(0)
	s_andn2_b64 s[94:95], s[94:95], exec
	v_cmp_ge_u64_e32 vcc, v[8:9], v[38:39]
	s_orn2_b64 vcc, vcc, exec
	s_branch .LBB14_1567
.LBB14_1572:                            ;   in Loop: Header=BB14_47 Depth=1
	s_or_b64 exec, exec, s[90:91]
	s_and_saveexec_b64 s[90:91], s[92:93]
	s_xor_b64 s[90:91], exec, s[90:91]
	s_cbranch_execz .LBB14_1574
; %bb.1573:                             ;   in Loop: Header=BB14_47 Depth=1
	ds_write_b32 v0, v73
	s_trap 2
.LBB14_1574:                            ;   in Loop: Header=BB14_47 Depth=1
	s_or_b64 exec, exec, s[42:43]
	;;#ASMSTART
	s_wakeup
	;;#ASMEND
.LBB14_1575:                            ;   in Loop: Header=BB14_47 Depth=1
	s_or_b64 exec, exec, s[40:41]
.LBB14_1576:                            ;   in Loop: Header=BB14_47 Depth=1
	s_andn2_saveexec_b64 s[26:27], s[26:27]
	s_cbranch_execz .LBB14_1578
; %bb.1577:                             ;   in Loop: Header=BB14_47 Depth=1
	;;#ASMSTART
	s_waitcnt lgkmcnt(0) vmcnt(0)
	;;#ASMEND
	s_barrier
.LBB14_1578:                            ;   in Loop: Header=BB14_47 Depth=1
	s_or_b64 exec, exec, s[26:27]
.LBB14_1579:                            ;   in Loop: Header=BB14_47 Depth=1
	s_or_b64 exec, exec, s[24:25]
	v_and_b32_e32 v2, 32, v62
	v_cmp_ne_u32_e32 vcc, 0, v2
	s_and_saveexec_b64 s[24:25], vcc
	s_cbranch_execz .LBB14_45
; %bb.1580:                             ;   in Loop: Header=BB14_47 Depth=1
	v_lshl_add_u64 v[112:113], v[112:113], 0, 4
	flat_store_dwordx2 v[32:33], v[112:113] sc0 sc1
	s_branch .LBB14_45
.LBB14_1581:
	s_or_b64 exec, exec, s[60:61]
.LBB14_1582:
	s_or_b64 exec, exec, s[46:47]
	v_and_b32_e32 v0, 0x800, v62
	v_cmp_eq_u32_e32 vcc, 0, v0
	s_and_saveexec_b64 s[2:3], vcc
	s_cbranch_execz .LBB14_1615
; %bb.1583:
	v_and_b32_e32 v0, 48, v62
	v_cmp_ne_u32_e32 vcc, 0, v0
	s_and_saveexec_b64 s[0:1], vcc
	s_cbranch_execz .LBB14_1585
; %bb.1584:
	flat_store_dwordx2 v[28:29], v[112:113] offset:104
.LBB14_1585:
	s_or_b64 exec, exec, s[0:1]
	s_movk_i32 s0, 0x88
	v_and_b32_e32 v0, 0x88, v62
	v_cmp_eq_u32_e32 vcc, s0, v0
	s_and_saveexec_b64 s[4:5], vcc
	s_cbranch_execz .LBB14_1595
; %bb.1586:
	v_bitop3_b32 v0, v112, 4, 7 bitop3:0x6c
	v_mad_u64_u32 v[2:3], s[0:1], v0, 24, v[6:7]
	flat_load_dwordx2 v[4:5], v[2:3] offset:8 sc0 sc1
	s_waitcnt vmcnt(0)
	v_and_b32_e32 v0, 64, v62
	v_cmp_eq_u32_e64 s[0:1], 0, v0
	s_mov_b32 s18, 0
	s_waitcnt lgkmcnt(0)
	v_cmp_ne_u64_e32 vcc, -1, v[4:5]
	s_and_b64 s[0:1], vcc, s[0:1]
	s_and_b64 exec, exec, s[0:1]
	s_cbranch_execz .LBB14_1595
; %bb.1587:
	s_mov_b64 s[0:1], 0
                                        ; implicit-def: $sgpr6_sgpr7
                                        ; implicit-def: $sgpr10_sgpr11
	s_branch .LBB14_1590
.LBB14_1588:                            ;   in Loop: Header=BB14_1590 Depth=1
	flat_load_dwordx2 v[4:5], v[2:3] offset:8 sc0 sc1
	s_waitcnt vmcnt(0)
	s_andn2_b64 s[10:11], s[10:11], exec
	s_waitcnt lgkmcnt(0)
	v_cmp_eq_u64_e32 vcc, -1, v[4:5]
	s_orn2_b64 s[14:15], vcc, exec
.LBB14_1589:                            ;   in Loop: Header=BB14_1590 Depth=1
	s_or_b64 exec, exec, s[16:17]
	s_and_b64 s[12:13], exec, s[14:15]
	s_or_b64 s[0:1], s[12:13], s[0:1]
	s_andn2_b64 s[6:7], s[6:7], exec
	s_and_b64 s[12:13], s[10:11], exec
	s_or_b64 s[6:7], s[6:7], s[12:13]
	s_andn2_b64 exec, exec, s[0:1]
	s_cbranch_execz .LBB14_1593
.LBB14_1590:                            ; =>This Inner Loop Header: Depth=1
	s_cmpk_lt_i32 s18, 0x270f
	s_cselect_b64 s[12:13], -1, 0
	s_and_b64 vcc, exec, s[12:13]
	s_cbranch_vccnz .LBB14_1592
; %bb.1591:                             ;   in Loop: Header=BB14_1590 Depth=1
	s_trap 2
	ds_read_b64 v[4:5], v0
	s_andn2_b64 s[12:13], s[12:13], exec
	s_mov_b32 s18, 0
	s_waitcnt lgkmcnt(0)
	flat_load_dword v0, v[4:5] sc0 sc1
	s_waitcnt vmcnt(0) lgkmcnt(0)
	buffer_inv sc0 sc1
	v_cmp_eq_u32_e32 vcc, 0, v0
	s_and_b64 s[14:15], vcc, exec
	s_or_b64 s[12:13], s[12:13], s[14:15]
	s_mov_b64 s[14:15], -1
	s_or_b64 s[10:11], s[10:11], exec
	s_and_saveexec_b64 s[16:17], s[12:13]
	s_cbranch_execz .LBB14_1589
	s_branch .LBB14_1588
.LBB14_1592:                            ;   in Loop: Header=BB14_1590 Depth=1
	s_add_i32 s18, s18, 1
                                        ; implicit-def: $vgpr0
	s_mov_b64 s[14:15], -1
	s_or_b64 s[10:11], s[10:11], exec
	s_and_saveexec_b64 s[16:17], s[12:13]
	s_cbranch_execz .LBB14_1589
	s_branch .LBB14_1588
.LBB14_1593:
	s_or_b64 exec, exec, s[0:1]
	s_and_saveexec_b64 s[0:1], s[6:7]
	s_xor_b64 s[0:1], exec, s[0:1]
	s_cbranch_execz .LBB14_1595
; %bb.1594:
	ds_write_b32 v0, v0
	s_trap 2
.LBB14_1595:
	s_or_b64 exec, exec, s[4:5]
	v_and_b32_e32 v0, 0x2000, v62
	v_cmp_ne_u32_e32 vcc, 0, v0
	s_and_saveexec_b64 s[0:1], vcc
	s_cbranch_execz .LBB14_1597
; %bb.1596:
	ds_read_b64 v[2:3], v0 offset:872
	s_waitcnt lgkmcnt(0)
	flat_store_dwordx2 v[26:27], v[2:3] offset:16
.LBB14_1597:
	s_or_b64 exec, exec, s[0:1]
	v_cmp_ne_u32_e32 vcc, 64, v1
	s_and_b64 exec, exec, vcc
	s_cbranch_execz .LBB14_1615
; %bb.1598:
	v_cmp_ne_u32_sdwa s[0:1], v1, v50 src0_sel:DWORD src1_sel:WORD_0
	s_and_saveexec_b64 s[4:5], s[0:1]
	s_xor_b64 s[0:1], exec, s[4:5]
	s_cbranch_execz .LBB14_1613
; %bb.1599:
	v_and_b32_e32 v0, 63, v31
	v_cmp_eq_u32_e32 vcc, 0, v0
	s_and_saveexec_b64 s[4:5], vcc
	s_cbranch_execz .LBB14_1612
; %bb.1600:
	s_mov_b64 s[10:11], exec
	v_mbcnt_lo_u32_b32 v0, s10, 0
	v_mbcnt_hi_u32_b32 v0, s11, v0
	v_cmp_eq_u32_e32 vcc, 0, v0
	s_waitcnt lgkmcnt(0)
	s_and_saveexec_b64 s[6:7], vcc
	s_cbranch_execz .LBB14_1602
; %bb.1601:
	s_bcnt1_i32_b64 s10, s[10:11]
	v_mov_b32_e32 v2, s10
	v_mov_b32_e32 v3, 0
	ds_add_u64 v0, v[2:3]
	s_trap 2
.LBB14_1602:
	s_or_b64 exec, exec, s[6:7]
	s_trap 2
	ds_read_b64 v[2:3], v0
	s_waitcnt lgkmcnt(0)
	v_lshrrev_b32_e32 v0, 6, v1
	v_mov_b32_e32 v1, 0
	v_lshl_add_u64 v[0:1], v[38:39], 0, v[0:1]
	v_cmp_lt_u64_e32 vcc, v[2:3], v[0:1]
	s_and_saveexec_b64 s[6:7], vcc
	s_cbranch_execz .LBB14_1611
; %bb.1603:
	s_mov_b32 s22, 0
	s_mov_b64 s[10:11], 0
                                        ; implicit-def: $sgpr12_sgpr13
                                        ; implicit-def: $sgpr14_sgpr15
	s_branch .LBB14_1605
.LBB14_1604:                            ;   in Loop: Header=BB14_1605 Depth=1
	s_or_b64 exec, exec, s[18:19]
	s_and_b64 s[16:17], exec, s[20:21]
	s_or_b64 s[10:11], s[16:17], s[10:11]
	s_andn2_b64 s[12:13], s[12:13], exec
	s_and_b64 s[16:17], s[14:15], exec
	s_or_b64 s[12:13], s[12:13], s[16:17]
	s_andn2_b64 exec, exec, s[10:11]
	s_cbranch_execz .LBB14_1609
.LBB14_1605:                            ; =>This Inner Loop Header: Depth=1
	s_add_i32 s22, s22, 1
	s_cmpk_lg_i32 s22, 0x2710
	s_cselect_b64 s[16:17], -1, 0
	s_and_b64 vcc, exec, s[16:17]
	s_cbranch_vccz .LBB14_1607
; %bb.1606:                             ;   in Loop: Header=BB14_1605 Depth=1
	s_mov_b64 s[20:21], -1
	s_or_b64 s[14:15], s[14:15], exec
	s_and_saveexec_b64 s[18:19], s[16:17]
	s_cbranch_execz .LBB14_1604
	s_branch .LBB14_1608
.LBB14_1607:                            ;   in Loop: Header=BB14_1605 Depth=1
	s_trap 2
	ds_read_b64 v[2:3], v0
	s_andn2_b64 s[16:17], s[16:17], exec
	s_mov_b32 s22, 0
	s_waitcnt vmcnt(0) lgkmcnt(0)
	flat_load_dword v2, v[2:3] sc0 sc1
	s_waitcnt vmcnt(0) lgkmcnt(0)
	buffer_inv sc0 sc1
	v_cmp_eq_u32_e32 vcc, 0, v2
	s_and_b64 s[18:19], vcc, exec
	s_or_b64 s[16:17], s[16:17], s[18:19]
	s_mov_b64 s[20:21], -1
	s_or_b64 s[14:15], s[14:15], exec
	s_and_saveexec_b64 s[18:19], s[16:17]
	s_cbranch_execz .LBB14_1604
.LBB14_1608:                            ;   in Loop: Header=BB14_1605 Depth=1
	s_sleep 1
	s_trap 2
	ds_read_b64 v[2:3], v0
	s_waitcnt lgkmcnt(0)
	s_andn2_b64 s[14:15], s[14:15], exec
	v_cmp_ge_u64_e32 vcc, v[2:3], v[0:1]
	s_orn2_b64 s[20:21], vcc, exec
	s_branch .LBB14_1604
.LBB14_1609:
	s_or_b64 exec, exec, s[10:11]
	s_and_saveexec_b64 s[10:11], s[12:13]
	s_xor_b64 s[10:11], exec, s[10:11]
	s_cbranch_execz .LBB14_1611
; %bb.1610:
	v_mov_b32_e32 v0, 1
	ds_write_b32 v0, v0
	s_trap 2
.LBB14_1611:
	s_or_b64 exec, exec, s[6:7]
	;;#ASMSTART
	s_wakeup
	;;#ASMEND
.LBB14_1612:
	s_or_b64 exec, exec, s[4:5]
.LBB14_1613:
	s_andn2_saveexec_b64 s[0:1], s[0:1]
	s_cbranch_execz .LBB14_1615
; %bb.1614:
	s_waitcnt lgkmcnt(0)
	s_barrier
.LBB14_1615:
	s_or_b64 exec, exec, s[2:3]
.LBB14_1616:
	s_andn2_saveexec_b64 s[22:23], s[44:45]
	s_cbranch_execz .LBB14_1618
; %bb.1617:
	s_getpc_b64 s[0:1]
	s_add_u32 s0, s0, __PRETTY_FUNCTION__._ZN10PrimitivesI12hip_bfloat1610FuncMinMaxIS0_E12FanSymmetricILi1EELi0E11ProtoSimpleILi1ELi4ELi0ELi2ELi0ELi0EELi0ELb0ELi0ELi0ELi0EEC2EiiPKiS9_PKvPvmhhhP15ncclDevWorkCollP14ncclDevWorkP2pii@rel32@lo+4
	s_addc_u32 s1, s1, __PRETTY_FUNCTION__._ZN10PrimitivesI12hip_bfloat1610FuncMinMaxIS0_E12FanSymmetricILi1EELi0E11ProtoSimpleILi1ELi4ELi0ELi2ELi0ELi0EELi0ELb0ELi0ELi0ELi0EEC2EiiPKiS9_PKvPvmhhhP15ncclDevWorkCollP14ncclDevWorkP2pii@rel32@hi+12
	s_getpc_b64 s[2:3]
	s_add_u32 s2, s2, __assert_fail@rel32@lo+4
	s_addc_u32 s3, s3, __assert_fail@rel32@hi+12
	v_mov_b32_e32 v0, s0
	v_mov_b32_e32 v1, s1
	s_swappc_b64 s[30:31], s[2:3]
	; divergent unreachable
.LBB14_1618:
	s_or_b64 exec, exec, s[22:23]
	scratch_load_dword v95, off, s33        ; 4-byte Folded Reload
	scratch_load_dword v94, off, s33 offset:4 ; 4-byte Folded Reload
	scratch_load_dword v93, off, s33 offset:8 ; 4-byte Folded Reload
	;; [unrolled: 1-line block ×31, first 2 shown]
	v_readlane_b32 s30, v104, 27
	v_readlane_b32 s31, v104, 28
	;; [unrolled: 1-line block ×29, first 2 shown]
	s_mov_b32 s32, s33
	v_readlane_b32 s0, v104, 29
	s_or_saveexec_b64 s[2:3], -1
	scratch_load_dword v104, off, s33 offset:128 ; 4-byte Folded Reload
	s_mov_b64 exec, s[2:3]
	s_mov_b32 s33, s0
	s_waitcnt vmcnt(0) lgkmcnt(0)
	s_setpc_b64 s[30:31]
.Lfunc_end14:
	.size	_ZN12_GLOBAL__N_17runRingI12hip_bfloat1610FuncMinMaxIS1_E11ProtoSimpleILi1ELi4ELi0ELi2ELi0ELi0EELi0ELi0ELi2ELi0EEEviiP15ncclDevWorkColl, .Lfunc_end14-_ZN12_GLOBAL__N_17runRingI12hip_bfloat1610FuncMinMaxIS1_E11ProtoSimpleILi1ELi4ELi0ELi2ELi0ELi0EELi0ELi0ELi2ELi0EEEviiP15ncclDevWorkColl
                                        ; -- End function
	.set .L_ZN12_GLOBAL__N_17runRingI12hip_bfloat1610FuncMinMaxIS1_E11ProtoSimpleILi1ELi4ELi0ELi2ELi0ELi0EELi0ELi0ELi2ELi0EEEviiP15ncclDevWorkColl.num_vgpr, max(120, .L__assert_fail.num_vgpr)
	.set .L_ZN12_GLOBAL__N_17runRingI12hip_bfloat1610FuncMinMaxIS1_E11ProtoSimpleILi1ELi4ELi0ELi2ELi0ELi0EELi0ELi0ELi2ELi0EEEviiP15ncclDevWorkColl.num_agpr, max(0, .L__assert_fail.num_agpr)
	.set .L_ZN12_GLOBAL__N_17runRingI12hip_bfloat1610FuncMinMaxIS1_E11ProtoSimpleILi1ELi4ELi0ELi2ELi0ELi0EELi0ELi0ELi2ELi0EEEviiP15ncclDevWorkColl.numbered_sgpr, max(96, .L__assert_fail.numbered_sgpr)
	.set .L_ZN12_GLOBAL__N_17runRingI12hip_bfloat1610FuncMinMaxIS1_E11ProtoSimpleILi1ELi4ELi0ELi2ELi0ELi0EELi0ELi0ELi2ELi0EEEviiP15ncclDevWorkColl.num_named_barrier, max(0, .L__assert_fail.num_named_barrier)
	.set .L_ZN12_GLOBAL__N_17runRingI12hip_bfloat1610FuncMinMaxIS1_E11ProtoSimpleILi1ELi4ELi0ELi2ELi0ELi0EELi0ELi0ELi2ELi0EEEviiP15ncclDevWorkColl.private_seg_size, 144+max(.L__assert_fail.private_seg_size)
	.set .L_ZN12_GLOBAL__N_17runRingI12hip_bfloat1610FuncMinMaxIS1_E11ProtoSimpleILi1ELi4ELi0ELi2ELi0ELi0EELi0ELi0ELi2ELi0EEEviiP15ncclDevWorkColl.uses_vcc, or(1, .L__assert_fail.uses_vcc)
	.set .L_ZN12_GLOBAL__N_17runRingI12hip_bfloat1610FuncMinMaxIS1_E11ProtoSimpleILi1ELi4ELi0ELi2ELi0ELi0EELi0ELi0ELi2ELi0EEEviiP15ncclDevWorkColl.uses_flat_scratch, or(0, .L__assert_fail.uses_flat_scratch)
	.set .L_ZN12_GLOBAL__N_17runRingI12hip_bfloat1610FuncMinMaxIS1_E11ProtoSimpleILi1ELi4ELi0ELi2ELi0ELi0EELi0ELi0ELi2ELi0EEEviiP15ncclDevWorkColl.has_dyn_sized_stack, or(0, .L__assert_fail.has_dyn_sized_stack)
	.set .L_ZN12_GLOBAL__N_17runRingI12hip_bfloat1610FuncMinMaxIS1_E11ProtoSimpleILi1ELi4ELi0ELi2ELi0ELi0EELi0ELi0ELi2ELi0EEEviiP15ncclDevWorkColl.has_recursion, or(1, .L__assert_fail.has_recursion)
	.set .L_ZN12_GLOBAL__N_17runRingI12hip_bfloat1610FuncMinMaxIS1_E11ProtoSimpleILi1ELi4ELi0ELi2ELi0ELi0EELi0ELi0ELi2ELi0EEEviiP15ncclDevWorkColl.has_indirect_call, or(0, .L__assert_fail.has_indirect_call)
	.section	.AMDGPU.csdata,"",@progbits
; Function info:
; codeLenInByte = 47288
; TotalNumSgprs: 102
; NumVgprs: 120
; NumAgprs: 0
; TotalNumVgprs: 120
; ScratchSize: 208
; MemoryBound: 1
	.text
	.p2align	2                               ; -- Begin function _ZN12_GLOBAL__N_17runRingI12hip_bfloat1610FuncMinMaxIS1_E11ProtoSimpleILi2ELi2ELi0ELi2ELi0ELi0EELi0ELi0ELi2ELi0EEEviiP15ncclDevWorkColl
	.type	_ZN12_GLOBAL__N_17runRingI12hip_bfloat1610FuncMinMaxIS1_E11ProtoSimpleILi2ELi2ELi0ELi2ELi0ELi0EELi0ELi0ELi2ELi0EEEviiP15ncclDevWorkColl,@function
_ZN12_GLOBAL__N_17runRingI12hip_bfloat1610FuncMinMaxIS1_E11ProtoSimpleILi2ELi2ELi0ELi2ELi0ELi0EELi0ELi0ELi2ELi0EEEviiP15ncclDevWorkColl: ; @_ZN12_GLOBAL__N_17runRingI12hip_bfloat1610FuncMinMaxIS1_E11ProtoSimpleILi2ELi2ELi0ELi2ELi0ELi0EELi0ELi0ELi2ELi0EEEviiP15ncclDevWorkColl
; %bb.0:
	s_waitcnt vmcnt(0) expcnt(0) lgkmcnt(0)
	s_mov_b32 s0, s33
	s_mov_b32 s33, s32
	s_or_saveexec_b64 s[2:3], -1
	scratch_store_dword off, v107, s33 offset:140 ; 4-byte Folded Spill
	s_mov_b64 exec, s[2:3]
	v_writelane_b32 v107, s0, 32
	s_addk_i32 s32, 0xa0
	scratch_store_dword off, v40, s33 offset:136 ; 4-byte Folded Spill
	scratch_store_dword off, v41, s33 offset:132 ; 4-byte Folded Spill
	scratch_store_dword off, v42, s33 offset:128 ; 4-byte Folded Spill
	scratch_store_dword off, v43, s33 offset:124 ; 4-byte Folded Spill
	scratch_store_dword off, v44, s33 offset:120 ; 4-byte Folded Spill
	scratch_store_dword off, v45, s33 offset:116 ; 4-byte Folded Spill
	scratch_store_dword off, v46, s33 offset:112 ; 4-byte Folded Spill
	scratch_store_dword off, v47, s33 offset:108 ; 4-byte Folded Spill
	scratch_store_dword off, v56, s33 offset:104 ; 4-byte Folded Spill
	scratch_store_dword off, v57, s33 offset:100 ; 4-byte Folded Spill
	scratch_store_dword off, v58, s33 offset:96 ; 4-byte Folded Spill
	scratch_store_dword off, v59, s33 offset:92 ; 4-byte Folded Spill
	scratch_store_dword off, v60, s33 offset:88 ; 4-byte Folded Spill
	scratch_store_dword off, v61, s33 offset:84 ; 4-byte Folded Spill
	scratch_store_dword off, v62, s33 offset:80 ; 4-byte Folded Spill
	scratch_store_dword off, v63, s33 offset:76 ; 4-byte Folded Spill
	scratch_store_dword off, v72, s33 offset:72 ; 4-byte Folded Spill
	scratch_store_dword off, v73, s33 offset:68 ; 4-byte Folded Spill
	scratch_store_dword off, v74, s33 offset:64 ; 4-byte Folded Spill
	scratch_store_dword off, v75, s33 offset:60 ; 4-byte Folded Spill
	scratch_store_dword off, v76, s33 offset:56 ; 4-byte Folded Spill
	scratch_store_dword off, v77, s33 offset:52 ; 4-byte Folded Spill
	scratch_store_dword off, v78, s33 offset:48 ; 4-byte Folded Spill
	scratch_store_dword off, v79, s33 offset:44 ; 4-byte Folded Spill
	scratch_store_dword off, v88, s33 offset:40 ; 4-byte Folded Spill
	scratch_store_dword off, v89, s33 offset:36 ; 4-byte Folded Spill
	scratch_store_dword off, v90, s33 offset:32 ; 4-byte Folded Spill
	scratch_store_dword off, v91, s33 offset:28 ; 4-byte Folded Spill
	scratch_store_dword off, v92, s33 offset:24 ; 4-byte Folded Spill
	scratch_store_dword off, v93, s33 offset:20 ; 4-byte Folded Spill
	scratch_store_dword off, v94, s33 offset:16 ; 4-byte Folded Spill
	scratch_store_dword off, v95, s33 offset:12 ; 4-byte Folded Spill
	scratch_store_dword off, v104, s33 offset:8 ; 4-byte Folded Spill
	scratch_store_dword off, v105, s33 offset:4 ; 4-byte Folded Spill
	scratch_store_dword off, v106, s33      ; 4-byte Folded Spill
	v_writelane_b32 v107, s34, 0
	v_writelane_b32 v107, s35, 1
	;; [unrolled: 1-line block ×31, first 2 shown]
	s_nop 1
	v_writelane_b32 v107, s31, 31
	s_trap 2
	flat_load_dword v9, v[2:3]
	ds_read_b32 v6, v0
                                        ; implicit-def: $vgpr14_vgpr15
                                        ; implicit-def: $vgpr24_vgpr25
                                        ; implicit-def: $vgpr4_vgpr5
	s_waitcnt lgkmcnt(0)
	v_readfirstlane_b32 s64, v6
	s_waitcnt vmcnt(0)
	v_cmp_ne_u32_sdwa s[0:1], v6, v9 src0_sel:DWORD src1_sel:BYTE_0
	s_and_saveexec_b64 s[2:3], s[0:1]
	s_xor_b64 s[0:1], exec, s[2:3]
	s_cbranch_execz .LBB15_6
; %bb.1:
	v_not_b32_sdwa v8, v9 dst_sel:DWORD dst_unused:UNUSED_PAD src0_sel:BYTE_0
	v_cmp_ne_u32_sdwa s[2:3], v6, v9 src0_sel:DWORD src1_sel:BYTE_1
                                        ; implicit-def: $vgpr14_vgpr15
                                        ; implicit-def: $vgpr24_vgpr25
                                        ; implicit-def: $vgpr4_vgpr5
	s_and_saveexec_b64 s[4:5], s[2:3]
	s_xor_b64 s[2:3], exec, s[4:5]
	s_cbranch_execz .LBB15_3
; %bb.2:
	flat_load_dwordx4 v[10:13], v[2:3] offset:72
	flat_load_dwordx2 v[4:5], v[2:3] offset:96
	v_add_u32_e32 v6, v6, v8
	v_ashrrev_i32_e32 v7, 31, v6
                                        ; implicit-def: $vgpr9
                                        ; implicit-def: $vgpr8
	s_waitcnt vmcnt(0) lgkmcnt(0)
	v_mul_lo_u32 v7, v12, v7
	v_mad_u64_u32 v[24:25], s[4:5], v12, v6, v[10:11]
	v_mul_lo_u32 v6, v13, v6
	v_lshrrev_b64 v[14:15], 13, v[4:5]
	v_add3_u32 v25, v6, v25, v7
	v_mov_b64_e32 v[4:5], v[12:13]
.LBB15_3:
	s_andn2_saveexec_b64 s[2:3], s[2:3]
	s_cbranch_execz .LBB15_5
; %bb.4:
	flat_load_dwordx4 v[10:13], v[2:3] offset:72
	flat_load_dwordx4 v[4:7], v[2:3] offset:88
	s_waitcnt vmcnt(0) lgkmcnt(0)
	v_add_u32_sdwa v6, v9, v8 dst_sel:DWORD dst_unused:UNUSED_PAD src0_sel:BYTE_1 src1_sel:DWORD
	v_ashrrev_i32_e32 v8, 31, v6
	v_mul_lo_u32 v8, v12, v8
	v_mad_u64_u32 v[24:25], s[4:5], v12, v6, v[10:11]
	v_mul_lo_u32 v6, v13, v6
	v_add3_u32 v25, v6, v25, v8
	v_lshrrev_b32_e32 v14, 2, v7
.LBB15_5:
	s_or_b64 exec, exec, s[2:3]
.LBB15_6:
	s_andn2_saveexec_b64 s[0:1], s[0:1]
	s_cbranch_execz .LBB15_8
; %bb.7:
	flat_load_dwordx2 v[6:7], v[2:3] offset:96
	flat_load_dwordx2 v[4:5], v[2:3] offset:72
	v_mov_b64_e32 v[24:25], 0
	s_waitcnt vmcnt(0) lgkmcnt(0)
	v_lshlrev_b64 v[14:15], 8, v[6:7]
.LBB15_8:
	s_or_b64 exec, exec, s[0:1]
	s_trap 2
	ds_read_b64 v[6:7], v0
	s_waitcnt lgkmcnt(0)
	v_cmp_ne_u32_e32 vcc, -1, v6
	s_nop 1
	v_cndmask_b32_e64 v15, 0, 1, vcc
	v_cmp_ne_u32_e32 vcc, -1, v7
	s_nop 1
	v_addc_co_u32_e64 v8, s[0:1], 0, v15, vcc
	v_lshlrev_b32_e32 v6, 1, v8
	v_cmp_le_u32_e64 s[0:1], v6, v1
	s_and_saveexec_b64 s[2:3], s[0:1]
	s_xor_b64 s[42:43], exec, s[2:3]
	s_cbranch_execz .LBB15_1636
; %bb.9:
	flat_load_dwordx4 v[10:13], v[2:3] offset:16
	flat_load_dwordx2 v[16:17], v[2:3] offset:104
	flat_load_ushort v7, v[2:3] offset:8
	flat_load_dword v6, v[2:3] offset:4
	s_trap 2
	s_load_dword s0, s[8:9], 0x0
	v_mov_b32_e32 v9, 0
	v_mov_b32_e32 v74, 4
	s_waitcnt lgkmcnt(0)
	s_cmp_lt_u32 s12, s0
	s_cselect_b32 s0, 12, 18
	s_add_u32 s0, s8, s0
	s_addc_u32 s1, s9, 0
	global_load_ushort v50, v9, s[0:1]
	ds_read_b32 v9, v0
	v_cmp_ge_u32_e64 s[0:1], v0, v15
	s_waitcnt lgkmcnt(0)
	v_readfirstlane_b32 s20, v9
	s_and_saveexec_b64 s[2:3], s[0:1]
	s_cbranch_execz .LBB15_19
; %bb.10:
	v_cmp_ge_u32_e64 s[0:1], v0, v8
                                        ; implicit-def: $vgpr74
	s_and_saveexec_b64 s[4:5], s[0:1]
	s_xor_b64 s[0:1], exec, s[4:5]
	s_cbranch_execz .LBB15_16
; %bb.11:
	v_cndmask_b32_e64 v9, 0, 1, vcc
	v_sub_u32_e32 v9, v1, v9
	v_cmp_ge_u32_e32 vcc, v0, v9
	s_and_saveexec_b64 s[4:5], vcc
	s_xor_b64 s[4:5], exec, s[4:5]
; %bb.12:
                                        ; implicit-def: $vgpr8
; %bb.13:
	s_or_saveexec_b64 s[4:5], s[4:5]
	v_mov_b32_e32 v74, 16
	s_xor_b64 exec, exec, s[4:5]
; %bb.14:
	v_sub_u32_e32 v8, v1, v8
	v_cmp_lt_i32_e32 vcc, v0, v8
	s_nop 1
	v_cndmask_b32_e64 v74, 32, 0, vcc
; %bb.15:
	s_or_b64 exec, exec, s[4:5]
.LBB15_16:
	s_andn2_saveexec_b64 s[0:1], s[0:1]
; %bb.17:
	v_mov_b32_e32 v74, 8
; %bb.18:
	s_or_b64 exec, exec, s[0:1]
.LBB15_19:
	s_or_b64 exec, exec, s[2:3]
	v_and_b32_e32 v8, 36, v74
	v_cmp_ne_u32_e32 vcc, 0, v8
	v_mov_b32_e32 v8, -1
	s_and_saveexec_b64 s[0:1], vcc
	s_cbranch_execz .LBB15_21
; %bb.20:
	s_trap 2
	ds_read_b32 v8, v0
.LBB15_21:
	s_or_b64 exec, exec, s[0:1]
	v_and_b32_e32 v9, 24, v74
	v_cmp_ne_u32_e64 s[0:1], 0, v9
	s_and_saveexec_b64 s[2:3], s[0:1]
	s_cbranch_execz .LBB15_23
; %bb.22:
	s_trap 2
	s_waitcnt lgkmcnt(0)
	ds_read_b32 v8, v0
.LBB15_23:
	s_or_b64 exec, exec, s[2:3]
	s_waitcnt vmcnt(0)
	v_lshrrev_b64 v[6:7], 31, v[6:7]
	v_and_b32_e32 v20, 3, v6
	v_mov_b64_e32 v[28:29], 0
	v_mov_b64_e32 v[6:7], 0
                                        ; implicit-def: $vgpr26_vgpr27
                                        ; implicit-def: $vgpr30
                                        ; implicit-def: $vgpr112_vgpr113
                                        ; implicit-def: $vgpr34_vgpr35
                                        ; implicit-def: $vgpr48_vgpr49
                                        ; implicit-def: $vgpr32_vgpr33
	s_and_saveexec_b64 s[0:1], vcc
	s_cbranch_execz .LBB15_33
; %bb.24:
	s_trap 2
	ds_read_b64 v[6:7], v0
	s_waitcnt lgkmcnt(1)
	v_ashrrev_i32_e32 v9, 31, v8
	s_movk_i32 s2, 0xa8
                                        ; implicit-def: $vgpr26_vgpr27
	s_waitcnt lgkmcnt(0)
	v_lshl_add_u64 v[6:7], v[8:9], 3, v[6:7]
	flat_load_dwordx2 v[6:7], v[6:7]
	v_and_b32_e32 v9, 0xffff, v20
	s_waitcnt vmcnt(0) lgkmcnt(0)
	v_mad_u64_u32 v[18:19], s[2:3], v9, s2, v[6:7]
	flat_load_dword v6, v[18:19] offset:640
	s_waitcnt vmcnt(0) lgkmcnt(0)
	v_cmp_eq_u32_e32 vcc, 1, v6
	s_and_saveexec_b64 s[2:3], vcc
	s_cbranch_execz .LBB15_26
; %bb.25:
	flat_load_dwordx2 v[26:27], v[18:19] offset:648
	v_or_b32_e32 v74, 0x2000, v74
	s_waitcnt vmcnt(0) lgkmcnt(0)
	flat_load_dwordx2 v[6:7], v[26:27]
	s_trap 2
	s_waitcnt vmcnt(0) lgkmcnt(0)
	ds_write_b64 v0, v[6:7]
	flat_load_dwordx2 v[6:7], v[26:27] offset:8
	s_waitcnt vmcnt(0) lgkmcnt(0)
	ds_write_b64 v0, v[6:7]
	flat_load_dwordx2 v[6:7], v[26:27] offset:16
	s_waitcnt vmcnt(0) lgkmcnt(0)
	ds_write_b64 v0, v[6:7]
.LBB15_26:
	s_or_b64 exec, exec, s[2:3]
	flat_load_dwordx2 v[6:7], v[18:19] offset:608
	v_and_b32_e32 v9, 32, v74
	v_cmp_ne_u32_e32 vcc, 0, v9
                                        ; implicit-def: $vgpr32_vgpr33
	s_waitcnt vmcnt(0) lgkmcnt(0)
	v_lshl_add_u64 v[112:113], v[6:7], 0, 3
	v_and_b32_e32 v112, -4, v112
	s_and_saveexec_b64 s[2:3], vcc
	s_cbranch_execz .LBB15_28
; %bb.27:
	flat_load_dwordx2 v[32:33], v[18:19] offset:560
	s_waitcnt vmcnt(0) lgkmcnt(0)
	flat_store_dwordx2 v[32:33], v[112:113] sc0 sc1
.LBB15_28:
	s_or_b64 exec, exec, s[2:3]
	s_mov_b64 s[2:3], 0x1f8
	v_and_b32_e32 v6, 4, v74
	v_lshl_add_u64 v[28:29], v[18:19], 0, s[2:3]
	v_cmp_ne_u32_e32 vcc, 0, v6
	v_mov_b64_e32 v[6:7], 0
                                        ; implicit-def: $vgpr30
                                        ; implicit-def: $vgpr34_vgpr35
                                        ; implicit-def: $vgpr48_vgpr49
	s_and_saveexec_b64 s[2:3], vcc
	s_cbranch_execz .LBB15_32
; %bb.29:
	v_and_b32_e32 v6, 0x800, v74
	v_cmp_eq_u32_e32 vcc, 0, v6
	s_and_saveexec_b64 s[4:5], vcc
	s_cbranch_execz .LBB15_31
; %bb.30:
	s_trap 2
	ds_write_b64 v0, v[28:29]
.LBB15_31:
	s_or_b64 exec, exec, s[4:5]
	flat_load_dwordx2 v[32:33], v[18:19] offset:552
	s_waitcnt vmcnt(0) lgkmcnt(0)
	flat_load_dwordx2 v[48:49], v[32:33] sc0 sc1
	flat_load_dword v9, v[18:19] offset:576
	flat_load_dwordx2 v[6:7], v[18:19] offset:600
	flat_load_dwordx2 v[34:35], v[18:19] offset:520
	v_or_b32_e32 v18, 0x100, v74
	s_waitcnt vmcnt(0) lgkmcnt(0)
	v_ashrrev_i32_e32 v30, 1, v9
	v_cmp_eq_u64_e32 vcc, 0, v[6:7]
	s_nop 1
	v_cndmask_b32_e32 v74, v18, v74, vcc
.LBB15_32:
	s_or_b64 exec, exec, s[2:3]
.LBB15_33:
	s_or_b64 exec, exec, s[0:1]
	v_and_b32_e32 v9, 24, v74
	v_cmp_ne_u32_e32 vcc, 0, v9
                                        ; implicit-def: $vgpr36_vgpr37
	s_and_saveexec_b64 s[0:1], vcc
	s_cbranch_execz .LBB15_41
; %bb.34:
	s_trap 2
	ds_read_b64 v[6:7], v0
	s_waitcnt lgkmcnt(0)
	v_ashrrev_i32_e32 v9, 31, v8
	s_movk_i32 s2, 0xa8
	v_or_b32_e32 v18, 0x100, v74
                                        ; implicit-def: $vgpr36_vgpr37
	v_lshl_add_u64 v[6:7], v[8:9], 3, v[6:7]
	flat_load_dwordx2 v[6:7], v[6:7]
	v_and_b32_e32 v8, 0xffff, v20
	s_waitcnt vmcnt(0) lgkmcnt(0)
	v_mad_u64_u32 v[28:29], s[2:3], v8, s2, v[6:7]
	flat_load_dwordx4 v[6:9], v[28:29] offset:96
	s_waitcnt vmcnt(0) lgkmcnt(0)
	v_cmp_eq_u64_e32 vcc, 0, v[6:7]
	s_nop 1
	v_cndmask_b32_e32 v74, v18, v74, vcc
	v_and_b32_e32 v18, 16, v74
	v_cmp_ne_u32_e32 vcc, 0, v18
	s_and_saveexec_b64 s[2:3], vcc
	s_cbranch_execz .LBB15_36
; %bb.35:
	flat_load_dwordx2 v[32:33], v[28:29] offset:48
	flat_load_dwordx2 v[36:37], v[28:29] offset:120
	;; [unrolled: 1-line block ×3, first 2 shown]
.LBB15_36:
	s_or_b64 exec, exec, s[2:3]
	v_lshl_add_u64 v[112:113], v[8:9], 0, 3
	v_and_b32_e32 v8, 8, v74
	v_and_b32_e32 v112, -4, v112
	v_cmp_ne_u32_e32 vcc, 0, v8
	s_and_saveexec_b64 s[2:3], vcc
	s_cbranch_execz .LBB15_40
; %bb.37:
	v_and_b32_e32 v8, 0x800, v74
	v_cmp_eq_u32_e32 vcc, 0, v8
	s_and_saveexec_b64 s[4:5], vcc
	s_cbranch_execz .LBB15_39
; %bb.38:
	s_trap 2
	ds_write_b64 v0, v[28:29]
.LBB15_39:
	s_or_b64 exec, exec, s[4:5]
	s_waitcnt vmcnt(0) lgkmcnt(0)
	flat_load_dwordx2 v[32:33], v[28:29] offset:56
	s_waitcnt vmcnt(0) lgkmcnt(0)
	flat_load_dwordx2 v[48:49], v[32:33] sc0 sc1
	flat_load_dword v8, v[28:29] offset:72
	flat_load_dwordx2 v[34:35], v[28:29] offset:16
	s_waitcnt vmcnt(0) lgkmcnt(0)
	v_ashrrev_i32_e32 v30, 1, v8
.LBB15_40:
	s_or_b64 exec, exec, s[2:3]
.LBB15_41:
	s_or_b64 exec, exec, s[0:1]
	v_cmp_eq_u32_e64 s[0:1], 0, v0
	s_and_saveexec_b64 s[2:3], s[0:1]
	s_cbranch_execz .LBB15_43
; %bb.42:
	s_waitcnt lgkmcnt(0)
	flat_load_dwordx2 v[8:9], v[2:3] offset:32
	ds_write2_b64 v0, v[12:13], v[10:11] offset1:1
	s_trap 2
	s_waitcnt vmcnt(0) lgkmcnt(0)
	ds_write_b64 v0, v[8:9]
	ds_write_b64 v0, v[16:17]
.LBB15_43:
	s_or_b64 exec, exec, s[2:3]
	v_mov_b64_e32 v[38:39], 0
	v_cmp_lt_i64_e32 vcc, 0, v[4:5]
	s_and_saveexec_b64 s[44:45], vcc
	s_cbranch_execz .LBB15_1602
; %bb.44:
	s_waitcnt lgkmcnt(0)
	flat_load_dword v8, v[2:3] offset:4
	s_ashr_i32 s14, s20, 31
	s_lshr_b32 s21, s14, 29
	s_add_i32 s20, s20, s21
	s_ashr_i32 s65, s64, 31
	s_ashr_i32 s21, s20, 4
	s_add_u32 s74, s64, -1
	s_addc_u32 s75, s65, -1
	s_add_i32 s71, s64, s64
	s_not_b32 s22, s64
	s_cmp_gt_i32 s64, 0
	s_cselect_b32 s22, s22, -1
	s_ashr_i32 s20, s20, 31
	s_lshr_b32 s20, s20, 28
	s_add_i32 s80, s22, s71
	s_add_i32 s21, s21, s20
	s_ashr_i32 s81, s80, 31
	s_ashr_i32 s82, s21, 4
	s_cmp_gt_i32 s64, 2
	v_lshrrev_b32_e32 v52, 6, v1
	v_lshlrev_b32_e32 v10, 1, v1
	s_cselect_b64 s[76:77], -1, 0
	s_add_i32 s22, s64, 1
	v_and_b32_e32 v2, 0x1fffff00, v14
	v_lshlrev_b32_e32 v68, 10, v52
	v_and_b32_e32 v70, 0x7f80, v10
	v_and_b32_e32 v9, 63, v31
	;; [unrolled: 1-line block ×3, first 2 shown]
	v_mad_i64_i32 v[64:65], s[12:13], v2, s64, 0
	v_add_u32_e32 v86, 0xfffffc00, v68
	v_add_u32_e32 v96, 0xffffff80, v70
	v_mov_b32_e32 v3, 0
	v_cmp_ge_u32_e32 vcc, v0, v1
	v_lshrrev_b32_e32 v76, 6, v0
	s_mov_b64 s[60:61], 0x400
	s_mov_b64 s[62:63], 0x80
	v_cmp_eq_u32_e64 s[12:13], 0, v9
	v_lshlrev_b32_e32 v9, 4, v75
	v_ashrrev_i32_e32 v87, 31, v86
	v_ashrrev_i32_e32 v97, 31, v96
	s_mov_b32 s47, 0
	v_ashrrev_i32_e32 v51, 31, v30
	v_cmp_eq_u32_e64 s[2:3], 64, v1
	v_cmp_ne_u32_e64 s[4:5], 64, v1
	v_cmp_ne_u32_sdwa s[56:57], v1, v50 src0_sel:DWORD src1_sel:WORD_0
	s_mov_b64 s[58:59], 0
	s_waitcnt vmcnt(0)
	v_cmp_eq_u64_e64 s[6:7], 0, v[36:37]
	v_cmp_ne_u64_e64 s[10:11], 0, v[36:37]
	s_movk_i32 s66, 0xff80
	v_mov_b64_e32 v[54:55], 0
	v_mov_b64_e32 v[38:39], 0
	v_mov_b32_e32 v77, 1
	s_movk_i32 s67, 0x108
	s_mov_b32 s68, 0x7f800000
	s_movk_i32 s69, 0x7fff
	s_mov_b32 s70, 0xffff0000
	s_mov_b64 s[72:73], 0x380
	v_mov_b32_e32 v53, v3
	v_cmp_eq_u32_e64 s[14:15], 0, v75
	v_cmp_lt_u32_e64 s[16:17], v75, v15
	v_lshlrev_b32_e32 v66, 12, v52
	v_mov_b32_e32 v67, v3
	v_mov_b32_e32 v69, v3
	;; [unrolled: 1-line block ×3, first 2 shown]
	v_cmp_le_u32_e64 s[18:19], v75, v15
	v_mov_b32_e32 v81, v3
	v_lshlrev_b32_e32 v82, 11, v52
	v_mov_b32_e32 v83, v3
	v_mov_b32_e32 v85, v3
	v_lshl_or_b32 v80, v76, 11, v9
	v_lshl_or_b32 v84, v76, 12, v9
	v_lshl_add_u64 v[98:99], v[86:87], 0, s[60:61]
	v_lshl_add_u64 v[100:101], v[96:97], 0, s[62:63]
	v_mov_b32_e32 v104, v3
	v_mov_b32_e32 v105, v3
	;; [unrolled: 1-line block ×6, first 2 shown]
	s_waitcnt lgkmcnt(0)
	v_and_b32_e32 v8, 1, v8
	v_cmp_eq_u32_e64 s[20:21], 1, v8
	s_xor_b64 s[78:79], s[20:21], -1
	s_cmp_ge_i32 s22, s64
	s_cselect_b32 s23, s64, 0
	s_sub_i32 s84, s22, s23
	s_add_i32 s83, s64, -2
	s_xor_b64 s[88:89], vcc, -1
	s_ashr_i32 s85, s84, 31
	v_mov_b64_e32 v[102:103], v[2:3]
	s_trap 2
	s_branch .LBB15_47
.LBB15_45:                              ;   in Loop: Header=BB15_47 Depth=1
	s_or_b64 exec, exec, s[26:27]
.LBB15_46:                              ;   in Loop: Header=BB15_47 Depth=1
	s_or_b64 exec, exec, s[24:25]
	v_lshl_add_u64 v[54:55], v[54:55], 0, v[64:65]
	v_cmp_ge_i64_e32 vcc, v[54:55], v[4:5]
	s_or_b64 s[58:59], vcc, s[58:59]
	s_andn2_b64 exec, exec, s[58:59]
	s_cbranch_execz .LBB15_1601
.LBB15_47:                              ; =>This Loop Header: Depth=1
                                        ;     Child Loop BB15_57 Depth 2
                                        ;       Child Loop BB15_65 Depth 3
                                        ;       Child Loop BB15_89 Depth 3
                                        ;       Child Loop BB15_108 Depth 3
                                        ;       Child Loop BB15_135 Depth 3
                                        ;       Child Loop BB15_140 Depth 3
                                        ;       Child Loop BB15_146 Depth 3
                                        ;       Child Loop BB15_151 Depth 3
                                        ;       Child Loop BB15_160 Depth 3
                                        ;       Child Loop BB15_179 Depth 3
                                        ;     Child Loop BB15_197 Depth 2
                                        ;       Child Loop BB15_203 Depth 3
                                        ;       Child Loop BB15_227 Depth 3
	;; [unrolled: 1-line block ×3, first 2 shown]
                                        ;     Child Loop BB15_269 Depth 2
                                        ;       Child Loop BB15_272 Depth 3
                                        ;         Child Loop BB15_280 Depth 4
                                        ;         Child Loop BB15_308 Depth 4
	;; [unrolled: 1-line block ×9, first 2 shown]
                                        ;       Child Loop BB15_548 Depth 3
                                        ;         Child Loop BB15_554 Depth 4
                                        ;         Child Loop BB15_582 Depth 4
	;; [unrolled: 1-line block ×3, first 2 shown]
                                        ;     Child Loop BB15_623 Depth 2
                                        ;       Child Loop BB15_631 Depth 3
                                        ;       Child Loop BB15_659 Depth 3
	;; [unrolled: 1-line block ×9, first 2 shown]
                                        ;         Child Loop BB15_809 Depth 4
                                        ;       Child Loop BB15_817 Depth 3
                                        ;       Child Loop BB15_853 Depth 3
                                        ;         Child Loop BB15_858 Depth 4
                                        ;       Child Loop BB15_1026 Depth 3
                                        ;       Child Loop BB15_1045 Depth 3
                                        ;     Child Loop BB15_1063 Depth 2
                                        ;       Child Loop BB15_1069 Depth 3
                                        ;       Child Loop BB15_1097 Depth 3
	;; [unrolled: 1-line block ×3, first 2 shown]
                                        ;     Child Loop BB15_1139 Depth 2
                                        ;       Child Loop BB15_1142 Depth 3
                                        ;         Child Loop BB15_1150 Depth 4
                                        ;         Child Loop BB15_1178 Depth 4
	;; [unrolled: 1-line block ×9, first 2 shown]
                                        ;           Child Loop BB15_1232 Depth 5
                                        ;         Child Loop BB15_1239 Depth 4
                                        ;         Child Loop BB15_1244 Depth 4
                                        ;           Child Loop BB15_1245 Depth 5
                                        ;         Child Loop BB15_1281 Depth 4
                                        ;         Child Loop BB15_1300 Depth 4
                                        ;       Child Loop BB15_1318 Depth 3
                                        ;         Child Loop BB15_1324 Depth 4
                                        ;         Child Loop BB15_1352 Depth 4
	;; [unrolled: 1-line block ×3, first 2 shown]
                                        ;     Child Loop BB15_1397 Depth 2
                                        ;       Child Loop BB15_1405 Depth 3
                                        ;       Child Loop BB15_1429 Depth 3
	;; [unrolled: 1-line block ×9, first 2 shown]
                                        ;     Child Loop BB15_1535 Depth 2
                                        ;       Child Loop BB15_1541 Depth 3
                                        ;       Child Loop BB15_1565 Depth 3
	;; [unrolled: 1-line block ×3, first 2 shown]
	v_sub_co_u32_e32 v114, vcc, v4, v54
	s_nop 1
	v_subb_co_u32_e32 v115, vcc, v5, v55, vcc
	v_cmp_lt_i64_e32 vcc, v[114:115], v[64:65]
	s_and_saveexec_b64 s[24:25], vcc
	s_cbranch_execz .LBB15_53
; %bb.48:                               ;   in Loop: Header=BB15_47 Depth=1
	v_lshl_add_u64 v[8:9], s[74:75], 0, v[114:115]
	v_or_b32_e32 v11, s65, v9
	v_mov_b32_e32 v10, v3
	v_cmp_ne_u64_e32 vcc, 0, v[10:11]
                                        ; implicit-def: $vgpr10_vgpr11
	s_and_saveexec_b64 s[22:23], vcc
	s_xor_b64 s[26:27], exec, s[22:23]
	s_cbranch_execz .LBB15_50
; %bb.49:                               ;   in Loop: Header=BB15_47 Depth=1
	s_ashr_i32 s28, s65, 31
	s_add_u32 s22, s64, s28
	s_mov_b32 s29, s28
	s_addc_u32 s23, s65, s28
	s_xor_b64 s[40:41], s[22:23], s[28:29]
	v_cvt_f32_u32_e32 v2, s40
	v_cvt_f32_u32_e32 v10, s41
	s_sub_u32 s29, 0, s40
	s_subb_u32 s46, 0, s41
	v_fmac_f32_e32 v2, 0x4f800000, v10
	v_rcp_f32_e32 v2, v2
	s_nop 0
	v_mul_f32_e32 v2, 0x5f7ffffc, v2
	v_mul_f32_e32 v10, 0x2f800000, v2
	v_trunc_f32_e32 v10, v10
	v_fmac_f32_e32 v2, 0xcf800000, v10
	v_cvt_u32_f32_e32 v10, v10
	v_cvt_u32_f32_e32 v2, v2
	v_readfirstlane_b32 s90, v10
	v_readfirstlane_b32 s22, v2
	s_mul_i32 s23, s29, s90
	s_mul_hi_u32 s92, s29, s22
	s_mul_i32 s91, s46, s22
	s_add_i32 s23, s92, s23
	s_add_i32 s23, s23, s91
	s_mul_i32 s93, s29, s22
	s_mul_i32 s92, s22, s23
	s_mul_hi_u32 s94, s22, s93
	s_mul_hi_u32 s91, s22, s23
	s_add_u32 s92, s94, s92
	s_addc_u32 s91, 0, s91
	s_mul_hi_u32 s95, s90, s93
	s_mul_i32 s93, s90, s93
	s_add_u32 s92, s92, s93
	s_mul_hi_u32 s94, s90, s23
	s_addc_u32 s91, s91, s95
	s_addc_u32 s92, s94, 0
	s_mul_i32 s23, s90, s23
	s_add_u32 s23, s91, s23
	s_addc_u32 s91, 0, s92
	s_add_u32 s92, s22, s23
	s_cselect_b64 s[22:23], -1, 0
	s_cmp_lg_u64 s[22:23], 0
	s_addc_u32 s90, s90, s91
	s_mul_i32 s22, s29, s90
	s_mul_hi_u32 s23, s29, s92
	s_add_i32 s22, s23, s22
	s_mul_i32 s46, s46, s92
	s_add_i32 s22, s22, s46
	s_mul_i32 s29, s29, s92
	s_mul_hi_u32 s46, s90, s29
	s_mul_i32 s91, s90, s29
	s_mul_i32 s94, s92, s22
	s_mul_hi_u32 s29, s92, s29
	s_mul_hi_u32 s93, s92, s22
	s_add_u32 s29, s29, s94
	s_addc_u32 s93, 0, s93
	s_add_u32 s29, s29, s91
	s_mul_hi_u32 s23, s90, s22
	s_addc_u32 s29, s93, s46
	s_addc_u32 s23, s23, 0
	s_mul_i32 s22, s90, s22
	s_add_u32 s22, s29, s22
	s_addc_u32 s29, 0, s23
	s_add_u32 s46, s92, s22
	v_ashrrev_i32_e32 v10, 31, v9
	s_cselect_b64 s[22:23], -1, 0
	v_mov_b32_e32 v11, v10
	s_cmp_lg_u64 s[22:23], 0
	v_lshl_add_u64 v[8:9], v[8:9], 0, v[10:11]
	s_addc_u32 s29, s90, s29
	v_xor_b32_e32 v16, v8, v10
	v_xor_b32_e32 v11, v9, v10
	v_mad_u64_u32 v[8:9], s[22:23], v16, s29, 0
	v_mul_hi_u32 v2, v16, s46
	v_lshl_add_u64 v[8:9], v[2:3], 0, v[8:9]
	v_mad_u64_u32 v[14:15], s[22:23], v11, s46, 0
	v_add_co_u32_e32 v2, vcc, v8, v14
	v_mad_u64_u32 v[12:13], s[22:23], v11, s29, 0
	s_nop 0
	v_addc_co_u32_e32 v2, vcc, v9, v15, vcc
	s_nop 1
	v_addc_co_u32_e32 v13, vcc, 0, v13, vcc
	v_lshl_add_u64 v[8:9], v[2:3], 0, v[12:13]
	v_mul_lo_u32 v2, s41, v8
	v_mul_lo_u32 v14, s40, v9
	v_mad_u64_u32 v[12:13], s[22:23], s40, v8, 0
	v_add3_u32 v2, v13, v14, v2
	v_sub_u32_e32 v13, v11, v2
	v_mov_b32_e32 v14, s41
	v_sub_co_u32_e32 v16, vcc, v16, v12
	s_nop 1
	v_subb_co_u32_e64 v12, s[22:23], v13, v14, vcc
	v_subrev_co_u32_e64 v13, s[22:23], s40, v16
	v_subb_co_u32_e32 v2, vcc, v11, v2, vcc
	s_nop 0
	v_subbrev_co_u32_e64 v12, s[22:23], 0, v12, s[22:23]
	v_cmp_le_u32_e64 s[22:23], s41, v12
	v_cmp_le_u32_e32 vcc, s41, v2
	s_nop 0
	v_cndmask_b32_e64 v14, 0, -1, s[22:23]
	v_cmp_le_u32_e64 s[22:23], s40, v13
	v_cndmask_b32_e64 v11, 0, -1, vcc
	v_cmp_le_u32_e32 vcc, s40, v16
	v_cndmask_b32_e64 v13, 0, -1, s[22:23]
	v_cmp_eq_u32_e64 s[22:23], s41, v12
	s_nop 1
	v_cndmask_b32_e64 v17, v14, v13, s[22:23]
	v_lshl_add_u64 v[12:13], v[8:9], 0, 2
	v_lshl_add_u64 v[14:15], v[8:9], 0, 1
	v_cmp_ne_u32_e64 s[22:23], 0, v17
	s_nop 1
	v_cndmask_b32_e64 v13, v15, v13, s[22:23]
	v_cndmask_b32_e64 v15, 0, -1, vcc
	v_cmp_eq_u32_e32 vcc, s41, v2
	s_nop 1
	v_cndmask_b32_e32 v2, v11, v15, vcc
	v_cmp_ne_u32_e32 vcc, 0, v2
	s_nop 1
	v_cndmask_b32_e32 v2, v9, v13, vcc
	v_cndmask_b32_e64 v9, v14, v12, s[22:23]
	v_cndmask_b32_e32 v8, v8, v9, vcc
	v_xor_b32_e32 v9, s28, v10
	v_xor_b32_e32 v8, v8, v9
	v_xor_b32_e32 v2, v2, v9
	v_sub_co_u32_e32 v10, vcc, v8, v9
	s_nop 1
	v_subb_co_u32_e32 v11, vcc, v2, v9, vcc
                                        ; implicit-def: $vgpr8_vgpr9
.LBB15_50:                              ;   in Loop: Header=BB15_47 Depth=1
	s_andn2_saveexec_b64 s[22:23], s[26:27]
	s_cbranch_execz .LBB15_52
; %bb.51:                               ;   in Loop: Header=BB15_47 Depth=1
	v_cvt_f32_u32_e32 v2, s64
	s_sub_i32 s26, 0, s64
	v_rcp_iflag_f32_e32 v2, v2
	s_nop 0
	v_mul_f32_e32 v2, 0x4f7ffffe, v2
	v_cvt_u32_f32_e32 v2, v2
	v_mul_lo_u32 v9, s26, v2
	v_mul_hi_u32 v9, v2, v9
	v_add_u32_e32 v2, v2, v9
	v_mul_hi_u32 v2, v8, v2
	v_mul_lo_u32 v9, v2, s64
	v_sub_u32_e32 v8, v8, v9
	v_add_u32_e32 v10, 1, v2
	v_subrev_u32_e32 v9, s64, v8
	v_cmp_le_u32_e32 vcc, s64, v8
	s_nop 1
	v_cndmask_b32_e32 v8, v8, v9, vcc
	v_cndmask_b32_e32 v2, v2, v10, vcc
	v_add_u32_e32 v9, 1, v2
	v_cmp_le_u32_e32 vcc, s64, v8
	s_nop 1
	v_cndmask_b32_e32 v2, v2, v9, vcc
	v_mov_b64_e32 v[10:11], v[2:3]
.LBB15_52:                              ;   in Loop: Header=BB15_47 Depth=1
	s_or_b64 exec, exec, s[22:23]
	v_lshl_add_u64 v[102:103], v[10:11], 0, 7
	v_and_b32_e32 v102, -8, v102
.LBB15_53:                              ;   in Loop: Header=BB15_47 Depth=1
	s_or_b64 exec, exec, s[24:25]
	v_mul_lo_u32 v2, v103, s80
	v_mul_lo_u32 v8, v102, s81
	v_mad_u64_u32 v[12:13], s[22:23], v102, s80, 0
	v_add3_u32 v13, v13, v8, v2
	v_sub_co_u32_e32 v8, vcc, v114, v12
	v_lshl_add_u64 v[116:117], v[54:55], 0, v[24:25]
	s_nop 0
	v_subb_co_u32_e32 v9, vcc, v115, v13, vcc
	v_cmp_lt_i64_e32 vcc, v[102:103], v[8:9]
	v_mov_b32_e32 v2, 0
	s_nop 0
	v_cndmask_b32_e32 v9, v8, v102, vcc
	v_max_i32_e32 v118, 0, v9
	v_add_u32_e32 v8, 31, v118
	v_ashrrev_i32_e32 v10, 31, v8
	v_lshrrev_b32_e32 v10, 27, v10
	v_add_u32_e32 v8, v8, v10
	v_ashrrev_i32_e32 v8, 5, v8
	v_lshlrev_b32_e32 v8, 4, v8
	v_cmp_lt_i32_e32 vcc, 0, v9
	v_max_i32_e32 v8, s82, v8
	s_and_b64 s[22:23], s[88:89], vcc
	v_mov_b32_e32 v10, 0
	s_and_saveexec_b64 s[24:25], s[22:23]
	s_cbranch_execz .LBB15_193
; %bb.54:                               ;   in Loop: Header=BB15_47 Depth=1
	s_mov_b32 s46, 1
	s_mov_b64 s[28:29], -1
	v_mov_b32_e32 v10, 0
	s_mov_b64 s[26:27], 0
	s_branch .LBB15_57
.LBB15_55:                              ;   in Loop: Header=BB15_57 Depth=2
	s_or_b64 exec, exec, s[40:41]
	v_lshl_add_u64 v[112:113], v[112:113], 0, 2
	flat_store_dwordx2 v[32:33], v[112:113] sc0 sc1
.LBB15_56:                              ;   in Loop: Header=BB15_57 Depth=2
	s_or_b64 exec, exec, s[22:23]
	v_add_u32_e32 v10, v8, v10
	v_cmp_ge_i32_e32 vcc, v10, v118
	s_xor_b64 s[22:23], s[28:29], -1
	s_or_b64 s[22:23], s[22:23], vcc
	s_and_b64 s[22:23], exec, s[22:23]
	s_or_b64 s[26:27], s[22:23], s[26:27]
	s_mov_b64 s[28:29], 0
	v_mov_b32_e32 v2, s46
	s_mov_b32 s46, 2
	s_andn2_b64 exec, exec, s[26:27]
	s_cbranch_execz .LBB15_192
.LBB15_57:                              ;   Parent Loop BB15_47 Depth=1
                                        ; =>  This Loop Header: Depth=2
                                        ;       Child Loop BB15_65 Depth 3
                                        ;       Child Loop BB15_89 Depth 3
	;; [unrolled: 1-line block ×9, first 2 shown]
	s_and_saveexec_b64 s[22:23], s[0:1]
	s_cbranch_execz .LBB15_59
; %bb.58:                               ;   in Loop: Header=BB15_57 Depth=2
	s_trap 2
	ds_read_b64 v[14:15], v0
	v_ashrrev_i32_e32 v11, 31, v10
	s_waitcnt lgkmcnt(0)
	v_lshl_add_u64 v[14:15], v[116:117], 1, v[14:15]
	v_lshl_add_u64 v[14:15], v[12:13], 1, v[14:15]
	;; [unrolled: 1-line block ×3, first 2 shown]
	ds_write_b64 v0, v[14:15]
	ds_write_b64 v0, v[104:105]
.LBB15_59:                              ;   in Loop: Header=BB15_57 Depth=2
	s_or_b64 exec, exec, s[22:23]
	v_sub_u32_e32 v2, v118, v10
	v_min_i32_e32 v8, v8, v2
	v_and_b32_e32 v2, 8, v74
	v_cmp_ne_u32_e32 vcc, 0, v2
	s_and_saveexec_b64 s[40:41], vcc
	s_cbranch_execz .LBB15_81
; %bb.60:                               ;   in Loop: Header=BB15_57 Depth=2
	s_waitcnt vmcnt(0) lgkmcnt(0)
	v_lshl_add_u64 v[16:17], v[48:49], 0, 8
	v_lshl_add_u64 v[14:15], v[112:113], 0, 2
	v_cmp_lt_u64_e32 vcc, v[16:17], v[14:15]
	s_and_saveexec_b64 s[90:91], vcc
	s_cbranch_execz .LBB15_72
; %bb.61:                               ;   in Loop: Header=BB15_57 Depth=2
	v_and_b32_e32 v2, 64, v74
	s_mov_b32 s54, 0
	v_cmp_eq_u32_e32 vcc, 0, v2
	s_mov_b64 s[92:93], 0
                                        ; implicit-def: $sgpr94_sgpr95
                                        ; implicit-def: $sgpr30_sgpr31
                                        ; implicit-def: $sgpr34_sgpr35
	s_branch .LBB15_65
.LBB15_62:                              ;   in Loop: Header=BB15_65 Depth=3
	s_waitcnt vmcnt(0) lgkmcnt(0)
	v_lshl_add_u64 v[16:17], v[48:49], 0, 8
	v_cmp_ge_u64_e64 s[22:23], v[16:17], v[14:15]
	s_or_b64 s[48:49], s[48:49], exec
	s_orn2_b64 s[38:39], s[22:23], exec
.LBB15_63:                              ;   in Loop: Header=BB15_65 Depth=3
	s_or_b64 exec, exec, s[52:53]
	s_andn2_b64 s[22:23], s[34:35], exec
	s_and_b64 s[34:35], s[48:49], exec
	s_or_b64 s[34:35], s[22:23], s[34:35]
	s_andn2_b64 s[22:23], s[30:31], exec
	s_and_b64 s[30:31], s[38:39], exec
	s_or_b64 s[30:31], s[22:23], s[30:31]
.LBB15_64:                              ;   in Loop: Header=BB15_65 Depth=3
	s_or_b64 exec, exec, s[36:37]
	s_and_b64 s[22:23], exec, s[30:31]
	s_or_b64 s[92:93], s[22:23], s[92:93]
	s_andn2_b64 s[22:23], s[94:95], exec
	s_and_b64 s[94:95], s[34:35], exec
	s_or_b64 s[94:95], s[22:23], s[94:95]
	s_andn2_b64 exec, exec, s[92:93]
	s_cbranch_execz .LBB15_69
.LBB15_65:                              ;   Parent Loop BB15_47 Depth=1
                                        ;     Parent Loop BB15_57 Depth=2
                                        ; =>    This Inner Loop Header: Depth=3
	s_sleep 1
	s_waitcnt vmcnt(0) lgkmcnt(0)
	flat_load_dwordx2 v[48:49], v[32:33] sc0 sc1
	s_or_b64 s[34:35], s[34:35], exec
	s_or_b64 s[30:31], s[30:31], exec
                                        ; implicit-def: $vgpr2
	s_and_saveexec_b64 s[36:37], vcc
	s_cbranch_execz .LBB15_64
; %bb.66:                               ;   in Loop: Header=BB15_65 Depth=3
	s_cmpk_lt_i32 s54, 0x270f
	s_cselect_b64 s[50:51], -1, 0
	s_cmpk_gt_i32 s54, 0x270e
	s_mov_b64 s[38:39], -1
	s_cbranch_scc0 .LBB15_68
; %bb.67:                               ;   in Loop: Header=BB15_65 Depth=3
	s_trap 2
	ds_read_b64 v[16:17], v0
	s_andn2_b64 s[50:51], s[50:51], exec
	s_mov_b32 s54, 0
	s_mov_b64 s[48:49], 0
	s_waitcnt vmcnt(0) lgkmcnt(0)
	flat_load_dword v2, v[16:17] sc0 sc1
	s_waitcnt vmcnt(0) lgkmcnt(0)
	buffer_inv sc0 sc1
	v_cmp_eq_u32_e64 s[22:23], 0, v2
	s_and_b64 s[22:23], s[22:23], exec
	s_or_b64 s[50:51], s[50:51], s[22:23]
	s_and_saveexec_b64 s[52:53], s[50:51]
	s_cbranch_execz .LBB15_63
	s_branch .LBB15_62
.LBB15_68:                              ;   in Loop: Header=BB15_65 Depth=3
	s_add_i32 s54, s54, 1
	s_mov_b64 s[48:49], -1
                                        ; implicit-def: $vgpr2
	s_and_saveexec_b64 s[52:53], s[50:51]
	s_cbranch_execz .LBB15_63
	s_branch .LBB15_62
.LBB15_69:                              ;   in Loop: Header=BB15_57 Depth=2
	s_or_b64 exec, exec, s[92:93]
	s_xor_b64 s[22:23], s[94:95], -1
	s_and_saveexec_b64 s[92:93], s[22:23]
	s_xor_b64 s[22:23], exec, s[92:93]
	s_cbranch_execz .LBB15_71
; %bb.70:                               ;   in Loop: Header=BB15_57 Depth=2
	v_or_b32_e32 v74, 64, v74
	s_waitcnt lgkmcnt(0)
	ds_write_b32 v0, v2
	s_trap 2
.LBB15_71:                              ;   in Loop: Header=BB15_57 Depth=2
	s_or_b64 exec, exec, s[22:23]
.LBB15_72:                              ;   in Loop: Header=BB15_57 Depth=2
	s_or_b64 exec, exec, s[90:91]
	v_and_b32_e32 v2, 0x100, v74
	v_cmp_ne_u32_e32 vcc, 0, v2
	v_and_b32_e32 v2, 7, v112
	s_mov_b64 s[22:23], -1
	;;#ASMSTART
	s_wakeup
	;;#ASMEND
                                        ; implicit-def: $vgpr16_vgpr17
	s_and_saveexec_b64 s[90:91], vcc
	s_cbranch_execz .LBB15_76
; %bb.73:                               ;   in Loop: Header=BB15_57 Depth=2
	v_mad_u64_u32 v[18:19], s[22:23], v2, 24, v[6:7]
	flat_load_dword v11, v[18:19]
	v_ashrrev_i32_e32 v9, 31, v8
	v_lshlrev_b64 v[16:17], 1, v[8:9]
	flat_store_dwordx2 v[18:19], v[16:17] offset:8
                                        ; implicit-def: $vgpr16_vgpr17
	s_waitcnt vmcnt(0) lgkmcnt(0)
	v_cmp_ne_u32_e32 vcc, 1, v11
	v_cmp_eq_u32_e64 s[22:23], 1, v11
	s_and_saveexec_b64 s[92:93], s[22:23]
	s_cbranch_execz .LBB15_75
; %bb.74:                               ;   in Loop: Header=BB15_57 Depth=2
	flat_load_dword v16, v[18:19] offset:4 sc0 sc1
	s_waitcnt vmcnt(0) lgkmcnt(0)
	v_ashrrev_i32_e32 v17, 31, v16
	v_lshrrev_b64 v[16:17], 1, v[16:17]
.LBB15_75:                              ;   in Loop: Header=BB15_57 Depth=2
	s_or_b64 exec, exec, s[92:93]
	s_orn2_b64 s[22:23], vcc, exec
.LBB15_76:                              ;   in Loop: Header=BB15_57 Depth=2
	s_or_b64 exec, exec, s[90:91]
	s_and_saveexec_b64 s[90:91], s[22:23]
; %bb.77:                               ;   in Loop: Header=BB15_57 Depth=2
	v_mad_i64_i32 v[16:17], s[22:23], v2, v30, 0
; %bb.78:                               ;   in Loop: Header=BB15_57 Depth=2
	s_or_b64 exec, exec, s[90:91]
	v_and_b32_e32 v2, 0x2000, v74
	v_lshl_add_u64 v[16:17], v[16:17], 1, v[34:35]
	v_cmp_ne_u32_e32 vcc, 0, v2
	ds_write_b64 v0, v[16:17] offset:784
	s_and_saveexec_b64 s[22:23], vcc
	s_cbranch_execz .LBB15_80
; %bb.79:                               ;   in Loop: Header=BB15_57 Depth=2
	ds_read_b64 v[16:17], v0 offset:872
	s_waitcnt lgkmcnt(0)
	v_lshl_add_u64 v[16:17], v[16:17], 0, 1
	ds_write_b64 v0, v[16:17] offset:872
.LBB15_80:                              ;   in Loop: Header=BB15_57 Depth=2
	s_or_b64 exec, exec, s[22:23]
	v_mov_b64_e32 v[112:113], v[14:15]
.LBB15_81:                              ;   in Loop: Header=BB15_57 Depth=2
	s_or_b64 exec, exec, s[40:41]
	s_and_saveexec_b64 s[22:23], s[4:5]
	s_cbranch_execz .LBB15_100
; %bb.82:                               ;   in Loop: Header=BB15_57 Depth=2
	s_and_saveexec_b64 s[40:41], s[56:57]
	s_xor_b64 s[40:41], exec, s[40:41]
	s_cbranch_execz .LBB15_97
; %bb.83:                               ;   in Loop: Header=BB15_57 Depth=2
	s_and_saveexec_b64 s[90:91], s[12:13]
	s_cbranch_execz .LBB15_96
; %bb.84:                               ;   in Loop: Header=BB15_57 Depth=2
	s_mov_b64 s[94:95], exec
	v_mbcnt_lo_u32_b32 v2, s94, 0
	v_mbcnt_hi_u32_b32 v2, s95, v2
	v_cmp_eq_u32_e32 vcc, 0, v2
	s_waitcnt lgkmcnt(0)
	s_and_saveexec_b64 s[92:93], vcc
	s_cbranch_execz .LBB15_86
; %bb.85:                               ;   in Loop: Header=BB15_57 Depth=2
	s_bcnt1_i32_b64 s94, s[94:95]
	v_mov_b32_e32 v2, s94
	ds_add_u64 v0, v[2:3]
	s_trap 2
.LBB15_86:                              ;   in Loop: Header=BB15_57 Depth=2
	s_or_b64 exec, exec, s[92:93]
	s_trap 2
	ds_read_b64 v[14:15], v0
	s_waitcnt lgkmcnt(0)
	v_lshl_add_u64 v[38:39], v[38:39], 0, v[52:53]
	v_cmp_lt_u64_e32 vcc, v[14:15], v[38:39]
	s_and_saveexec_b64 s[92:93], vcc
	s_cbranch_execz .LBB15_95
; %bb.87:                               ;   in Loop: Header=BB15_57 Depth=2
	s_mov_b32 s48, 0
	s_mov_b64 s[94:95], 0
                                        ; implicit-def: $sgpr30_sgpr31
                                        ; implicit-def: $sgpr34_sgpr35
	s_branch .LBB15_89
.LBB15_88:                              ;   in Loop: Header=BB15_89 Depth=3
	s_or_b64 exec, exec, s[38:39]
	s_and_b64 vcc, exec, vcc
	s_or_b64 s[94:95], vcc, s[94:95]
	s_andn2_b64 vcc, s[30:31], exec
	s_and_b64 s[30:31], s[34:35], exec
	s_or_b64 s[30:31], vcc, s[30:31]
	s_andn2_b64 exec, exec, s[94:95]
	s_cbranch_execz .LBB15_93
.LBB15_89:                              ;   Parent Loop BB15_47 Depth=1
                                        ;     Parent Loop BB15_57 Depth=2
                                        ; =>    This Inner Loop Header: Depth=3
	s_add_i32 s48, s48, 1
	s_cmpk_lg_i32 s48, 0x2710
	s_cselect_b64 s[36:37], -1, 0
	s_and_b64 vcc, exec, s[36:37]
	s_cbranch_vccz .LBB15_91
; %bb.90:                               ;   in Loop: Header=BB15_89 Depth=3
	s_mov_b64 vcc, -1
	s_or_b64 s[34:35], s[34:35], exec
	s_and_saveexec_b64 s[38:39], s[36:37]
	s_cbranch_execz .LBB15_88
	s_branch .LBB15_92
.LBB15_91:                              ;   in Loop: Header=BB15_89 Depth=3
	s_trap 2
	ds_read_b64 v[14:15], v0
	s_andn2_b64 s[36:37], s[36:37], exec
	s_mov_b32 s48, 0
	s_waitcnt vmcnt(0) lgkmcnt(0)
	flat_load_dword v2, v[14:15] sc0 sc1
	s_waitcnt vmcnt(0) lgkmcnt(0)
	buffer_inv sc0 sc1
	v_cmp_eq_u32_e32 vcc, 0, v2
	s_and_b64 vcc, vcc, exec
	s_or_b64 s[36:37], s[36:37], vcc
	s_mov_b64 vcc, -1
	s_or_b64 s[34:35], s[34:35], exec
	s_and_saveexec_b64 s[38:39], s[36:37]
	s_cbranch_execz .LBB15_88
.LBB15_92:                              ;   in Loop: Header=BB15_89 Depth=3
	s_sleep 1
	s_trap 2
	ds_read_b64 v[14:15], v0
	s_waitcnt lgkmcnt(0)
	s_andn2_b64 s[34:35], s[34:35], exec
	v_cmp_ge_u64_e32 vcc, v[14:15], v[38:39]
	s_orn2_b64 vcc, vcc, exec
	s_branch .LBB15_88
.LBB15_93:                              ;   in Loop: Header=BB15_57 Depth=2
	s_or_b64 exec, exec, s[94:95]
	s_and_saveexec_b64 s[94:95], s[30:31]
	s_xor_b64 s[94:95], exec, s[94:95]
	s_cbranch_execz .LBB15_95
; %bb.94:                               ;   in Loop: Header=BB15_57 Depth=2
	ds_write_b32 v0, v77
	s_trap 2
.LBB15_95:                              ;   in Loop: Header=BB15_57 Depth=2
	s_or_b64 exec, exec, s[92:93]
	;;#ASMSTART
	s_wakeup
	;;#ASMEND
.LBB15_96:                              ;   in Loop: Header=BB15_57 Depth=2
	s_or_b64 exec, exec, s[90:91]
.LBB15_97:                              ;   in Loop: Header=BB15_57 Depth=2
	s_andn2_saveexec_b64 s[40:41], s[40:41]
	s_cbranch_execz .LBB15_99
; %bb.98:                               ;   in Loop: Header=BB15_57 Depth=2
	s_waitcnt lgkmcnt(0)
	s_barrier
.LBB15_99:                              ;   in Loop: Header=BB15_57 Depth=2
	s_or_b64 exec, exec, s[40:41]
.LBB15_100:                             ;   in Loop: Header=BB15_57 Depth=2
	s_or_b64 exec, exec, s[22:23]
	s_trap 2
	ds_read_b32 v9, v0
	v_and_b32_e32 v2, 0x4000, v74
	v_cmp_ne_u32_e32 vcc, 0, v2
	s_xor_b64 s[22:23], s[2:3], -1
	s_and_b64 s[40:41], s[22:23], vcc
	s_and_saveexec_b64 s[22:23], s[40:41]
	s_cbranch_execz .LBB15_119
; %bb.101:                              ;   in Loop: Header=BB15_57 Depth=2
	s_and_saveexec_b64 s[40:41], s[56:57]
	s_xor_b64 s[40:41], exec, s[40:41]
	s_cbranch_execz .LBB15_116
; %bb.102:                              ;   in Loop: Header=BB15_57 Depth=2
	s_and_saveexec_b64 s[90:91], s[12:13]
	s_cbranch_execz .LBB15_115
; %bb.103:                              ;   in Loop: Header=BB15_57 Depth=2
	s_mov_b64 s[94:95], exec
	v_mbcnt_lo_u32_b32 v2, s94, 0
	v_mbcnt_hi_u32_b32 v2, s95, v2
	v_cmp_eq_u32_e32 vcc, 0, v2
	s_waitcnt lgkmcnt(0)
	s_and_saveexec_b64 s[92:93], vcc
	s_cbranch_execz .LBB15_105
; %bb.104:                              ;   in Loop: Header=BB15_57 Depth=2
	s_bcnt1_i32_b64 s94, s[94:95]
	v_mov_b32_e32 v2, s94
	ds_add_u64 v0, v[2:3]
	s_trap 2
.LBB15_105:                             ;   in Loop: Header=BB15_57 Depth=2
	s_or_b64 exec, exec, s[92:93]
	s_trap 2
	ds_read_b64 v[14:15], v0
	s_waitcnt lgkmcnt(0)
	v_lshl_add_u64 v[38:39], v[38:39], 0, v[52:53]
	v_cmp_lt_u64_e32 vcc, v[14:15], v[38:39]
	s_and_saveexec_b64 s[92:93], vcc
	s_cbranch_execz .LBB15_114
; %bb.106:                              ;   in Loop: Header=BB15_57 Depth=2
	s_mov_b32 s48, 0
	s_mov_b64 s[94:95], 0
                                        ; implicit-def: $sgpr30_sgpr31
                                        ; implicit-def: $sgpr34_sgpr35
	s_branch .LBB15_108
.LBB15_107:                             ;   in Loop: Header=BB15_108 Depth=3
	s_or_b64 exec, exec, s[38:39]
	s_and_b64 vcc, exec, vcc
	s_or_b64 s[94:95], vcc, s[94:95]
	s_andn2_b64 vcc, s[30:31], exec
	s_and_b64 s[30:31], s[34:35], exec
	s_or_b64 s[30:31], vcc, s[30:31]
	s_andn2_b64 exec, exec, s[94:95]
	s_cbranch_execz .LBB15_112
.LBB15_108:                             ;   Parent Loop BB15_47 Depth=1
                                        ;     Parent Loop BB15_57 Depth=2
                                        ; =>    This Inner Loop Header: Depth=3
	s_add_i32 s48, s48, 1
	s_cmpk_lg_i32 s48, 0x2710
	s_cselect_b64 s[36:37], -1, 0
	s_and_b64 vcc, exec, s[36:37]
	s_cbranch_vccz .LBB15_110
; %bb.109:                              ;   in Loop: Header=BB15_108 Depth=3
	s_mov_b64 vcc, -1
	s_or_b64 s[34:35], s[34:35], exec
	s_and_saveexec_b64 s[38:39], s[36:37]
	s_cbranch_execz .LBB15_107
	s_branch .LBB15_111
.LBB15_110:                             ;   in Loop: Header=BB15_108 Depth=3
	s_trap 2
	ds_read_b64 v[14:15], v0
	s_andn2_b64 s[36:37], s[36:37], exec
	s_mov_b32 s48, 0
	s_waitcnt vmcnt(0) lgkmcnt(0)
	flat_load_dword v2, v[14:15] sc0 sc1
	s_waitcnt vmcnt(0) lgkmcnt(0)
	buffer_inv sc0 sc1
	v_cmp_eq_u32_e32 vcc, 0, v2
	s_and_b64 vcc, vcc, exec
	s_or_b64 s[36:37], s[36:37], vcc
	s_mov_b64 vcc, -1
	s_or_b64 s[34:35], s[34:35], exec
	s_and_saveexec_b64 s[38:39], s[36:37]
	s_cbranch_execz .LBB15_107
.LBB15_111:                             ;   in Loop: Header=BB15_108 Depth=3
	s_sleep 1
	s_trap 2
	ds_read_b64 v[14:15], v0
	s_waitcnt lgkmcnt(0)
	s_andn2_b64 s[34:35], s[34:35], exec
	v_cmp_ge_u64_e32 vcc, v[14:15], v[38:39]
	s_orn2_b64 vcc, vcc, exec
	s_branch .LBB15_107
.LBB15_112:                             ;   in Loop: Header=BB15_57 Depth=2
	s_or_b64 exec, exec, s[94:95]
	s_and_saveexec_b64 s[94:95], s[30:31]
	s_xor_b64 s[94:95], exec, s[94:95]
	s_cbranch_execz .LBB15_114
; %bb.113:                              ;   in Loop: Header=BB15_57 Depth=2
	ds_write_b32 v0, v77
	s_trap 2
.LBB15_114:                             ;   in Loop: Header=BB15_57 Depth=2
	s_or_b64 exec, exec, s[92:93]
	;;#ASMSTART
	s_wakeup
	;;#ASMEND
.LBB15_115:                             ;   in Loop: Header=BB15_57 Depth=2
	s_or_b64 exec, exec, s[90:91]
.LBB15_116:                             ;   in Loop: Header=BB15_57 Depth=2
	s_andn2_saveexec_b64 s[40:41], s[40:41]
	s_cbranch_execz .LBB15_118
; %bb.117:                              ;   in Loop: Header=BB15_57 Depth=2
	s_waitcnt lgkmcnt(0)
	s_barrier
.LBB15_118:                             ;   in Loop: Header=BB15_57 Depth=2
	s_or_b64 exec, exec, s[40:41]
.LBB15_119:                             ;   in Loop: Header=BB15_57 Depth=2
	s_or_b64 exec, exec, s[22:23]
	s_trap 2
	ds_read_b64 v[14:15], v0
	s_waitcnt lgkmcnt(0)
	v_cmp_eq_u64_e32 vcc, 0, v[14:15]
	s_cbranch_vccnz .LBB15_127
; %bb.120:                              ;   in Loop: Header=BB15_57 Depth=2
	s_trap 2
	ds_read_b64 v[16:17], v0
	s_waitcnt lgkmcnt(0)
	v_cmp_eq_u64_e32 vcc, 0, v[16:17]
	s_cbranch_vccnz .LBB15_127
; %bb.121:                              ;   in Loop: Header=BB15_57 Depth=2
	s_mov_b64 s[22:23], -1
	s_and_saveexec_b64 s[40:41], s[14:15]
	s_cbranch_execz .LBB15_123
; %bb.122:                              ;   in Loop: Header=BB15_57 Depth=2
	ds_read_b32 v2, v0 offset:720
	s_waitcnt lgkmcnt(0)
	v_and_b32_e32 v2, 15, v2
	v_cmp_eq_u32_e32 vcc, 0, v2
	s_orn2_b64 s[22:23], vcc, exec
.LBB15_123:                             ;   in Loop: Header=BB15_57 Depth=2
	s_or_b64 exec, exec, s[40:41]
	s_and_saveexec_b64 s[40:41], s[16:17]
	s_cbranch_execz .LBB15_125
; %bb.124:                              ;   in Loop: Header=BB15_57 Depth=2
	ds_read_b32 v2, v0 offset:784
	s_waitcnt lgkmcnt(0)
	v_and_b32_e32 v2, 15, v2
	v_cmp_eq_u32_e32 vcc, 0, v2
	s_and_b64 s[90:91], s[22:23], vcc
	s_andn2_b64 s[22:23], s[22:23], exec
	s_and_b64 s[90:91], s[90:91], exec
	s_or_b64 s[22:23], s[22:23], s[90:91]
.LBB15_125:                             ;   in Loop: Header=BB15_57 Depth=2
	s_or_b64 exec, exec, s[40:41]
	v_cmp_eq_u32_e32 vcc, 0, v9
	s_xor_b64 s[22:23], s[22:23], -1
	v_cndmask_b32_e64 v11, 0, 1, s[22:23]
	v_cndmask_b32_e32 v2, 0, v8, vcc
	v_lshlrev_b32_e32 v9, 1, v2
	s_mov_b64 s[90:91], -1
	v_cmp_ne_u32_e32 vcc, 0, v11
	v_mov_b32_e32 v11, 0
	s_cbranch_vccz .LBB15_133
; %bb.126:                              ;   in Loop: Header=BB15_57 Depth=2
	v_mov_b32_e32 v119, v0
	s_and_saveexec_b64 s[22:23], s[90:91]
	s_cbranch_execnz .LBB15_144
	s_branch .LBB15_152
.LBB15_127:                             ;   in Loop: Header=BB15_57 Depth=2
	s_mov_b64 s[22:23], 0
	s_and_saveexec_b64 s[40:41], s[4:5]
	s_cbranch_execnz .LBB15_153
.LBB15_128:                             ;   in Loop: Header=BB15_57 Depth=2
	s_or_b64 exec, exec, s[40:41]
                                        ; implicit-def: $vgpr2
	s_and_saveexec_b64 s[40:41], s[20:21]
	s_xor_b64 s[40:41], exec, s[40:41]
	s_cbranch_execz .LBB15_171
.LBB15_129:                             ;   in Loop: Header=BB15_57 Depth=2
	v_and_b32_e32 v9, 16, v74
	v_cmp_ne_u32_e32 vcc, 0, v9
	v_and_b32_e32 v2, 16, v74
	s_and_b64 s[90:91], vcc, s[22:23]
	s_and_saveexec_b64 s[22:23], s[90:91]
	s_cbranch_execz .LBB15_131
; %bb.130:                              ;   in Loop: Header=BB15_57 Depth=2
	v_mov_b32_e32 v2, 1
	buffer_wbl2 sc1
	s_waitcnt vmcnt(0) lgkmcnt(0)
	buffer_inv sc1
.LBB15_131:                             ;   in Loop: Header=BB15_57 Depth=2
	s_or_b64 exec, exec, s[22:23]
	s_andn2_saveexec_b64 s[22:23], s[40:41]
	s_cbranch_execnz .LBB15_172
.LBB15_132:                             ;   in Loop: Header=BB15_57 Depth=2
	s_or_b64 exec, exec, s[22:23]
	v_cmp_ne_u32_e32 vcc, 0, v2
	s_and_saveexec_b64 s[22:23], vcc
	s_cbranch_execz .LBB15_56
	s_branch .LBB15_190
.LBB15_133:                             ;   in Loop: Header=BB15_57 Depth=2
	v_ashrrev_i32_e32 v11, 31, v9
	v_lshrrev_b32_e32 v11, 20, v11
	v_add_u32_e32 v11, v9, v11
	v_ashrrev_i32_e32 v11, 12, v11
	v_sub_u32_e32 v22, v11, v76
	v_cmp_lt_i32_e32 vcc, 0, v22
	s_and_saveexec_b64 s[22:23], vcc
	s_cbranch_execz .LBB15_137
; %bb.134:                              ;   in Loop: Header=BB15_57 Depth=2
	s_mov_b64 s[40:41], 0
	v_mov_b64_e32 v[18:19], v[16:17]
	v_mov_b64_e32 v[20:21], v[14:15]
.LBB15_135:                             ;   Parent Loop BB15_47 Depth=1
                                        ;     Parent Loop BB15_57 Depth=2
                                        ; =>    This Inner Loop Header: Depth=3
	v_lshl_add_u64 v[60:61], v[84:85], 0, v[20:21]
	global_load_dwordx4 v[40:43], v[60:61], off nt
	global_load_dwordx4 v[44:47], v[60:61], off offset:1024 nt
	global_load_dwordx4 v[56:59], v[60:61], off offset:2048 nt
	s_nop 0
	global_load_dwordx4 v[60:63], v[60:61], off offset:3072 nt
	v_sub_u32_e32 v22, v22, v52
	v_cmp_gt_i32_e32 vcc, 1, v22
	v_lshl_add_u64 v[72:73], v[84:85], 0, v[18:19]
	v_lshl_add_u64 v[20:21], v[20:21], 0, v[66:67]
	;; [unrolled: 1-line block ×3, first 2 shown]
	s_or_b64 s[40:41], vcc, s[40:41]
	s_waitcnt vmcnt(0)
	global_store_dwordx4 v[72:73], v[40:43], off
	global_store_dwordx4 v[72:73], v[44:47], off offset:1024
	global_store_dwordx4 v[72:73], v[56:59], off offset:2048
	;; [unrolled: 1-line block ×3, first 2 shown]
	s_andn2_b64 exec, exec, s[40:41]
	s_cbranch_execnz .LBB15_135
; %bb.136:                              ;   in Loop: Header=BB15_57 Depth=2
	s_or_b64 exec, exec, s[40:41]
.LBB15_137:                             ;   in Loop: Header=BB15_57 Depth=2
	s_or_b64 exec, exec, s[22:23]
	v_lshlrev_b32_e32 v20, 12, v11
	v_cmp_ne_u32_e32 vcc, v9, v20
	s_mov_b64 s[90:91], 0
	v_mov_b32_e32 v11, 0
                                        ; implicit-def: $vgpr119
	s_and_saveexec_b64 s[40:41], vcc
	s_cbranch_execz .LBB15_143
; %bb.138:                              ;   in Loop: Header=BB15_57 Depth=2
	v_lshlrev_b32_e32 v11, 6, v22
	v_sub_u32_e32 v11, v75, v11
	v_ashrrev_i32_e32 v18, 31, v11
	v_lshrrev_b32_e32 v18, 26, v18
	v_add_u32_e32 v18, v11, v18
	v_ashrrev_i32_e32 v23, 6, v18
	v_and_b32_e32 v18, 0xffffffc0, v18
	v_sub_u32_e32 v21, v11, v18
	v_sub_u32_e32 v19, v9, v20
	v_lshlrev_b32_e32 v11, 4, v21
	v_lshl_add_u32 v18, v23, 10, v11
	v_ashrrev_i32_e32 v11, 31, v19
	v_lshrrev_b32_e32 v11, 22, v11
	v_add_u32_e32 v11, v19, v11
	v_ashrrev_i32_e32 v40, 10, v11
	v_and_b32_e32 v11, 0xfffffc00, v11
	v_sub_u32_e32 v22, v19, v11
	v_cmp_lt_i32_e32 vcc, 15, v22
	v_sub_u32_e32 v119, v19, v18
	s_nop 0
	v_addc_co_u32_e64 v19, s[22:23], 0, v40, vcc
	v_sub_u32_e32 v23, v19, v23
	v_cmp_lt_i32_e64 s[22:23], 15, v119
	s_and_saveexec_b64 s[90:91], s[22:23]
	s_cbranch_execz .LBB15_142
; %bb.139:                              ;   in Loop: Header=BB15_57 Depth=2
	v_add_u32_e32 v18, v18, v20
	v_ashrrev_i32_e32 v19, 31, v18
	s_mov_b64 s[92:93], 0
.LBB15_140:                             ;   Parent Loop BB15_47 Depth=1
                                        ;     Parent Loop BB15_57 Depth=2
                                        ; =>    This Inner Loop Header: Depth=3
	v_lshl_add_u64 v[40:41], v[14:15], 0, v[18:19]
	global_load_dwordx4 v[40:43], v[40:41], off nt
	v_sub_u32_e32 v119, v119, v68
	v_cmp_gt_i32_e64 s[22:23], 16, v119
	v_lshl_add_u64 v[44:45], v[16:17], 0, v[18:19]
	v_sub_u32_e32 v23, v23, v52
	v_lshl_add_u64 v[18:19], v[18:19], 0, v[68:69]
	s_or_b64 s[92:93], s[22:23], s[92:93]
	s_waitcnt vmcnt(0)
	global_store_dwordx4 v[44:45], v[40:43], off
	s_andn2_b64 exec, exec, s[92:93]
	s_cbranch_execnz .LBB15_140
; %bb.141:                              ;   in Loop: Header=BB15_57 Depth=2
	s_or_b64 exec, exec, s[92:93]
.LBB15_142:                             ;   in Loop: Header=BB15_57 Depth=2
	s_or_b64 exec, exec, s[90:91]
	v_and_b32_e32 v9, 14, v9
	v_sub_u32_e32 v18, v22, v9
	v_cndmask_b32_e32 v18, 0, v18, vcc
	v_cndmask_b32_e32 v9, v22, v9, vcc
	v_cmp_lt_i32_e32 vcc, 0, v23
	v_add3_u32 v11, v11, v20, v18
	s_nop 0
	v_cndmask_b32_e32 v18, 0, v52, vcc
	v_sub_u32_e32 v18, v18, v23
	v_cmp_ne_u32_e32 vcc, 0, v9
	v_lshl_add_u32 v119, v18, 6, v21
	s_and_b64 s[90:91], vcc, exec
.LBB15_143:                             ;   in Loop: Header=BB15_57 Depth=2
	s_or_b64 exec, exec, s[40:41]
	s_and_saveexec_b64 s[22:23], s[90:91]
	s_cbranch_execz .LBB15_152
.LBB15_144:                             ;   in Loop: Header=BB15_57 Depth=2
	v_ashrrev_i32_e32 v18, 31, v119
	v_ashrrev_i32_e32 v19, 31, v9
	v_lshrrev_b32_e32 v18, 26, v18
	v_lshrrev_b32_e32 v19, 22, v19
	v_add_u32_e32 v18, v119, v18
	v_add_u32_e32 v19, v9, v19
	v_ashrrev_i32_e32 v40, 6, v18
	v_ashrrev_i32_e32 v42, 10, v19
	v_sub_u32_e32 v41, v42, v40
	v_cmp_lt_i32_e32 vcc, 0, v41
	s_and_saveexec_b64 s[40:41], vcc
	s_cbranch_execz .LBB15_148
; %bb.145:                              ;   in Loop: Header=BB15_57 Depth=2
	v_and_b32_e32 v18, 0x7fffffc0, v18
	v_sub_u32_e32 v18, v119, v18
	v_lshlrev_b32_e32 v18, 1, v18
	v_lshlrev_b32_e32 v19, 10, v40
	v_add3_u32 v18, v18, v11, v19
	v_ashrrev_i32_e32 v19, 31, v18
	s_mov_b64 s[90:91], 0
	v_mov_b64_e32 v[20:21], v[16:17]
	v_mov_b64_e32 v[22:23], v[14:15]
.LBB15_146:                             ;   Parent Loop BB15_47 Depth=1
                                        ;     Parent Loop BB15_57 Depth=2
                                        ; =>    This Inner Loop Header: Depth=3
	v_lshl_add_u64 v[44:45], v[18:19], 0, v[22:23]
	flat_load_ushort v43, v[44:45] nt
	flat_load_ushort v46, v[44:45] offset:128 nt
	flat_load_ushort v47, v[44:45] offset:256 nt
	;; [unrolled: 1-line block ×7, first 2 shown]
	v_sub_u32_e32 v41, v41, v52
	v_cmp_gt_i32_e32 vcc, 1, v41
	v_lshl_add_u64 v[44:45], v[18:19], 0, v[20:21]
	v_lshl_add_u64 v[22:23], v[22:23], 0, v[68:69]
	;; [unrolled: 1-line block ×3, first 2 shown]
	s_or_b64 s[90:91], vcc, s[90:91]
	s_waitcnt vmcnt(0) lgkmcnt(0)
	flat_store_short v[44:45], v43 nt
	flat_store_short v[44:45], v46 offset:128 nt
	flat_store_short v[44:45], v47 offset:256 nt
	flat_store_short v[44:45], v56 offset:384 nt
	flat_store_short v[44:45], v57 offset:512 nt
	flat_store_short v[44:45], v58 offset:640 nt
	flat_store_short v[44:45], v59 offset:768 nt
	flat_store_short v[44:45], v60 offset:896 nt
	s_andn2_b64 exec, exec, s[90:91]
	s_cbranch_execnz .LBB15_146
; %bb.147:                              ;   in Loop: Header=BB15_57 Depth=2
	s_or_b64 exec, exec, s[90:91]
.LBB15_148:                             ;   in Loop: Header=BB15_57 Depth=2
	s_or_b64 exec, exec, s[40:41]
	v_lshlrev_b32_e32 v18, 10, v42
	v_cmp_ne_u32_e32 vcc, v9, v18
	s_and_b64 exec, exec, vcc
	s_cbranch_execz .LBB15_152
; %bb.149:                              ;   in Loop: Header=BB15_57 Depth=2
	v_lshlrev_b32_e32 v19, 6, v40
	v_sub_u32_e32 v19, v119, v19
	v_lshlrev_b32_e32 v20, 6, v41
	v_sub_u32_e32 v19, v19, v20
	v_ashrrev_i32_e32 v20, 31, v19
	v_lshrrev_b32_e32 v20, 26, v20
	v_add_u32_e32 v20, v19, v20
	v_and_b32_e32 v21, 0x7fffffc0, v20
	v_sub_u32_e32 v19, v19, v21
	v_lshlrev_b32_e32 v20, 1, v20
	v_and_b32_e32 v20, 0xffffff80, v20
	v_lshlrev_b32_e32 v19, 1, v19
	v_add3_u32 v18, v20, v19, v18
	v_sub_u32_e32 v9, v9, v18
	v_cmp_lt_i32_e32 vcc, 1, v9
	s_and_b64 exec, exec, vcc
	s_cbranch_execz .LBB15_152
; %bb.150:                              ;   in Loop: Header=BB15_57 Depth=2
	v_add_u32_e32 v18, v18, v11
	v_ashrrev_i32_e32 v19, 31, v18
	s_mov_b64 s[40:41], 0
.LBB15_151:                             ;   Parent Loop BB15_47 Depth=1
                                        ;     Parent Loop BB15_57 Depth=2
                                        ; =>    This Inner Loop Header: Depth=3
	v_lshl_add_u64 v[20:21], v[14:15], 0, v[18:19]
	flat_load_ushort v11, v[20:21] nt
	v_sub_u32_e32 v9, v9, v70
	v_cmp_gt_i32_e32 vcc, 2, v9
	v_lshl_add_u64 v[20:21], v[16:17], 0, v[18:19]
	v_lshl_add_u64 v[18:19], v[18:19], 0, v[70:71]
	s_or_b64 s[40:41], vcc, s[40:41]
	s_waitcnt vmcnt(0) lgkmcnt(0)
	flat_store_short v[20:21], v11 nt
	s_andn2_b64 exec, exec, s[40:41]
	s_cbranch_execnz .LBB15_151
.LBB15_152:                             ;   in Loop: Header=BB15_57 Depth=2
	s_or_b64 exec, exec, s[22:23]
	v_cmp_lt_i32_e64 s[22:23], 0, v2
	s_and_saveexec_b64 s[40:41], s[4:5]
	s_cbranch_execz .LBB15_128
.LBB15_153:                             ;   in Loop: Header=BB15_57 Depth=2
	s_and_saveexec_b64 s[90:91], s[56:57]
	s_xor_b64 s[90:91], exec, s[90:91]
	s_cbranch_execz .LBB15_168
; %bb.154:                              ;   in Loop: Header=BB15_57 Depth=2
	s_and_saveexec_b64 s[92:93], s[12:13]
	s_cbranch_execz .LBB15_167
; %bb.155:                              ;   in Loop: Header=BB15_57 Depth=2
	s_mov_b64 s[30:31], exec
	v_mbcnt_lo_u32_b32 v2, s30, 0
	v_mbcnt_hi_u32_b32 v2, s31, v2
	v_cmp_eq_u32_e32 vcc, 0, v2
	s_waitcnt lgkmcnt(0)
	s_and_saveexec_b64 s[94:95], vcc
	s_cbranch_execz .LBB15_157
; %bb.156:                              ;   in Loop: Header=BB15_57 Depth=2
	s_bcnt1_i32_b64 vcc_lo, s[30:31]
	v_mov_b32_e32 v2, vcc_lo
	ds_add_u64 v0, v[2:3]
	s_trap 2
.LBB15_157:                             ;   in Loop: Header=BB15_57 Depth=2
	s_or_b64 exec, exec, s[94:95]
	s_trap 2
	ds_read_b64 v[14:15], v0
	s_waitcnt lgkmcnt(0)
	v_lshl_add_u64 v[38:39], v[38:39], 0, v[52:53]
	v_cmp_lt_u64_e32 vcc, v[14:15], v[38:39]
	s_and_saveexec_b64 s[94:95], vcc
	s_cbranch_execz .LBB15_166
; %bb.158:                              ;   in Loop: Header=BB15_57 Depth=2
	s_mov_b32 s50, 0
	s_mov_b64 s[30:31], 0
                                        ; implicit-def: $sgpr34_sgpr35
                                        ; implicit-def: $sgpr36_sgpr37
	s_branch .LBB15_160
.LBB15_159:                             ;   in Loop: Header=BB15_160 Depth=3
	s_or_b64 exec, exec, s[48:49]
	s_and_b64 vcc, exec, vcc
	s_or_b64 s[30:31], vcc, s[30:31]
	s_andn2_b64 vcc, s[34:35], exec
	s_and_b64 s[34:35], s[36:37], exec
	s_or_b64 s[34:35], vcc, s[34:35]
	s_andn2_b64 exec, exec, s[30:31]
	s_cbranch_execz .LBB15_164
.LBB15_160:                             ;   Parent Loop BB15_47 Depth=1
                                        ;     Parent Loop BB15_57 Depth=2
                                        ; =>    This Inner Loop Header: Depth=3
	s_add_i32 s50, s50, 1
	s_cmpk_lg_i32 s50, 0x2710
	s_cselect_b64 s[38:39], -1, 0
	s_and_b64 vcc, exec, s[38:39]
	s_cbranch_vccz .LBB15_162
; %bb.161:                              ;   in Loop: Header=BB15_160 Depth=3
	s_mov_b64 vcc, -1
	s_or_b64 s[36:37], s[36:37], exec
	s_and_saveexec_b64 s[48:49], s[38:39]
	s_cbranch_execz .LBB15_159
	s_branch .LBB15_163
.LBB15_162:                             ;   in Loop: Header=BB15_160 Depth=3
	s_trap 2
	ds_read_b64 v[14:15], v0
	s_andn2_b64 s[38:39], s[38:39], exec
	s_mov_b32 s50, 0
	s_waitcnt vmcnt(0) lgkmcnt(0)
	flat_load_dword v2, v[14:15] sc0 sc1
	s_waitcnt vmcnt(0) lgkmcnt(0)
	buffer_inv sc0 sc1
	v_cmp_eq_u32_e32 vcc, 0, v2
	s_and_b64 vcc, vcc, exec
	s_or_b64 s[38:39], s[38:39], vcc
	s_mov_b64 vcc, -1
	s_or_b64 s[36:37], s[36:37], exec
	s_and_saveexec_b64 s[48:49], s[38:39]
	s_cbranch_execz .LBB15_159
.LBB15_163:                             ;   in Loop: Header=BB15_160 Depth=3
	s_sleep 1
	s_trap 2
	ds_read_b64 v[14:15], v0
	s_waitcnt lgkmcnt(0)
	s_andn2_b64 s[36:37], s[36:37], exec
	v_cmp_ge_u64_e32 vcc, v[14:15], v[38:39]
	s_orn2_b64 vcc, vcc, exec
	s_branch .LBB15_159
.LBB15_164:                             ;   in Loop: Header=BB15_57 Depth=2
	s_or_b64 exec, exec, s[30:31]
	s_and_saveexec_b64 vcc, s[34:35]
	s_xor_b64 vcc, exec, vcc
	s_cbranch_execz .LBB15_166
; %bb.165:                              ;   in Loop: Header=BB15_57 Depth=2
	ds_write_b32 v0, v77
	s_trap 2
.LBB15_166:                             ;   in Loop: Header=BB15_57 Depth=2
	s_or_b64 exec, exec, s[94:95]
	;;#ASMSTART
	s_wakeup
	;;#ASMEND
.LBB15_167:                             ;   in Loop: Header=BB15_57 Depth=2
	s_or_b64 exec, exec, s[92:93]
.LBB15_168:                             ;   in Loop: Header=BB15_57 Depth=2
	s_andn2_saveexec_b64 s[90:91], s[90:91]
	s_cbranch_execz .LBB15_170
; %bb.169:                              ;   in Loop: Header=BB15_57 Depth=2
	s_waitcnt lgkmcnt(0)
	s_barrier
.LBB15_170:                             ;   in Loop: Header=BB15_57 Depth=2
	s_or_b64 exec, exec, s[90:91]
	s_or_b64 exec, exec, s[40:41]
                                        ; implicit-def: $vgpr2
	s_and_saveexec_b64 s[40:41], s[20:21]
	s_xor_b64 s[40:41], exec, s[40:41]
	s_cbranch_execnz .LBB15_129
.LBB15_171:                             ;   in Loop: Header=BB15_57 Depth=2
	s_andn2_saveexec_b64 s[22:23], s[40:41]
	s_cbranch_execz .LBB15_132
.LBB15_172:                             ;   in Loop: Header=BB15_57 Depth=2
	s_and_saveexec_b64 s[40:41], s[56:57]
	s_xor_b64 s[40:41], exec, s[40:41]
	s_cbranch_execz .LBB15_187
; %bb.173:                              ;   in Loop: Header=BB15_57 Depth=2
	s_and_saveexec_b64 s[90:91], s[12:13]
	s_cbranch_execz .LBB15_186
; %bb.174:                              ;   in Loop: Header=BB15_57 Depth=2
	s_mov_b64 s[94:95], exec
	v_mbcnt_lo_u32_b32 v2, s94, 0
	v_mbcnt_hi_u32_b32 v2, s95, v2
	v_cmp_eq_u32_e32 vcc, 0, v2
	;;#ASMSTART
	s_waitcnt lgkmcnt(0) vmcnt(0)
	;;#ASMEND
	s_and_saveexec_b64 s[92:93], vcc
	s_cbranch_execz .LBB15_176
; %bb.175:                              ;   in Loop: Header=BB15_57 Depth=2
	s_bcnt1_i32_b64 s94, s[94:95]
	v_mov_b32_e32 v2, s94
	s_waitcnt lgkmcnt(0)
	ds_add_u64 v0, v[2:3]
	s_trap 2
.LBB15_176:                             ;   in Loop: Header=BB15_57 Depth=2
	s_or_b64 exec, exec, s[92:93]
	s_trap 2
	ds_read_b64 v[14:15], v0
	s_waitcnt lgkmcnt(0)
	v_lshl_add_u64 v[38:39], v[38:39], 0, v[52:53]
	v_cmp_lt_u64_e32 vcc, v[14:15], v[38:39]
	s_and_saveexec_b64 s[92:93], vcc
	s_cbranch_execz .LBB15_185
; %bb.177:                              ;   in Loop: Header=BB15_57 Depth=2
	s_mov_b32 s48, 0
	s_mov_b64 s[94:95], 0
                                        ; implicit-def: $sgpr30_sgpr31
                                        ; implicit-def: $sgpr34_sgpr35
	s_branch .LBB15_179
.LBB15_178:                             ;   in Loop: Header=BB15_179 Depth=3
	s_or_b64 exec, exec, s[38:39]
	s_and_b64 vcc, exec, vcc
	s_or_b64 s[94:95], vcc, s[94:95]
	s_andn2_b64 vcc, s[30:31], exec
	s_and_b64 s[30:31], s[34:35], exec
	s_or_b64 s[30:31], vcc, s[30:31]
	s_andn2_b64 exec, exec, s[94:95]
	s_cbranch_execz .LBB15_183
.LBB15_179:                             ;   Parent Loop BB15_47 Depth=1
                                        ;     Parent Loop BB15_57 Depth=2
                                        ; =>    This Inner Loop Header: Depth=3
	s_add_i32 s48, s48, 1
	s_cmpk_lg_i32 s48, 0x2710
	s_cselect_b64 s[36:37], -1, 0
	s_and_b64 vcc, exec, s[36:37]
	s_cbranch_vccz .LBB15_181
; %bb.180:                              ;   in Loop: Header=BB15_179 Depth=3
	s_mov_b64 vcc, -1
	s_or_b64 s[34:35], s[34:35], exec
	s_and_saveexec_b64 s[38:39], s[36:37]
	s_cbranch_execz .LBB15_178
	s_branch .LBB15_182
.LBB15_181:                             ;   in Loop: Header=BB15_179 Depth=3
	s_trap 2
	ds_read_b64 v[14:15], v0
	s_andn2_b64 s[36:37], s[36:37], exec
	s_mov_b32 s48, 0
	s_waitcnt vmcnt(0) lgkmcnt(0)
	flat_load_dword v2, v[14:15] sc0 sc1
	s_waitcnt vmcnt(0) lgkmcnt(0)
	buffer_inv sc0 sc1
	v_cmp_eq_u32_e32 vcc, 0, v2
	s_and_b64 vcc, vcc, exec
	s_or_b64 s[36:37], s[36:37], vcc
	s_mov_b64 vcc, -1
	s_or_b64 s[34:35], s[34:35], exec
	s_and_saveexec_b64 s[38:39], s[36:37]
	s_cbranch_execz .LBB15_178
.LBB15_182:                             ;   in Loop: Header=BB15_179 Depth=3
	s_sleep 1
	s_trap 2
	ds_read_b64 v[14:15], v0
	s_waitcnt lgkmcnt(0)
	s_andn2_b64 s[34:35], s[34:35], exec
	v_cmp_ge_u64_e32 vcc, v[14:15], v[38:39]
	s_orn2_b64 vcc, vcc, exec
	s_branch .LBB15_178
.LBB15_183:                             ;   in Loop: Header=BB15_57 Depth=2
	s_or_b64 exec, exec, s[94:95]
	s_and_saveexec_b64 s[94:95], s[30:31]
	s_xor_b64 s[94:95], exec, s[94:95]
	s_cbranch_execz .LBB15_185
; %bb.184:                              ;   in Loop: Header=BB15_57 Depth=2
	ds_write_b32 v0, v77
	s_trap 2
.LBB15_185:                             ;   in Loop: Header=BB15_57 Depth=2
	s_or_b64 exec, exec, s[92:93]
	;;#ASMSTART
	s_wakeup
	;;#ASMEND
.LBB15_186:                             ;   in Loop: Header=BB15_57 Depth=2
	s_or_b64 exec, exec, s[90:91]
.LBB15_187:                             ;   in Loop: Header=BB15_57 Depth=2
	s_andn2_saveexec_b64 s[40:41], s[40:41]
	s_cbranch_execz .LBB15_189
; %bb.188:                              ;   in Loop: Header=BB15_57 Depth=2
	;;#ASMSTART
	s_waitcnt lgkmcnt(0) vmcnt(0)
	;;#ASMEND
	s_barrier
.LBB15_189:                             ;   in Loop: Header=BB15_57 Depth=2
	s_or_b64 exec, exec, s[40:41]
	v_and_b32_e32 v2, 16, v74
	s_or_b64 exec, exec, s[22:23]
	v_cmp_ne_u32_e32 vcc, 0, v2
	s_and_saveexec_b64 s[22:23], vcc
	s_cbranch_execz .LBB15_56
.LBB15_190:                             ;   in Loop: Header=BB15_57 Depth=2
	s_and_saveexec_b64 s[40:41], s[10:11]
	s_cbranch_execz .LBB15_55
; %bb.191:                              ;   in Loop: Header=BB15_57 Depth=2
	flat_store_dword v[36:37], v77 sc0 sc1
	s_branch .LBB15_55
.LBB15_192:                             ;   in Loop: Header=BB15_47 Depth=1
	s_or_b64 exec, exec, s[26:27]
.LBB15_193:                             ;   in Loop: Header=BB15_47 Depth=1
	s_or_b64 exec, exec, s[24:25]
	v_cmp_gt_i32_e32 vcc, 2, v2
	s_and_saveexec_b64 s[24:25], vcc
	s_cbranch_execz .LBB15_265
; %bb.194:                              ;   in Loop: Header=BB15_47 Depth=1
	v_cmp_eq_u32_e64 s[28:29], 0, v2
	s_mov_b64 s[26:27], 0
	s_branch .LBB15_197
.LBB15_195:                             ;   in Loop: Header=BB15_197 Depth=2
	s_or_b64 exec, exec, s[28:29]
	v_lshl_add_u64 v[112:113], v[112:113], 0, 2
	flat_store_dwordx2 v[32:33], v[112:113] sc0 sc1
.LBB15_196:                             ;   in Loop: Header=BB15_197 Depth=2
	s_or_b64 exec, exec, s[22:23]
	v_add_u32_e32 v10, v8, v10
	s_mov_b64 s[28:29], 0
	s_andn2_b64 exec, exec, s[26:27]
	s_cbranch_execz .LBB15_264
.LBB15_197:                             ;   Parent Loop BB15_47 Depth=1
                                        ; =>  This Loop Header: Depth=2
                                        ;       Child Loop BB15_203 Depth 3
                                        ;       Child Loop BB15_227 Depth 3
	;; [unrolled: 1-line block ×3, first 2 shown]
	v_sub_u32_e32 v2, v118, v10
	v_min_i32_e32 v8, v8, v2
	v_and_b32_e32 v2, 8, v74
	v_cmp_ne_u32_e32 vcc, 0, v2
	s_and_saveexec_b64 s[40:41], vcc
	s_cbranch_execz .LBB15_219
; %bb.198:                              ;   in Loop: Header=BB15_197 Depth=2
	s_waitcnt vmcnt(0) lgkmcnt(0)
	v_lshl_add_u64 v[14:15], v[48:49], 0, 8
	v_lshl_add_u64 v[12:13], v[112:113], 0, 2
	v_cmp_lt_u64_e32 vcc, v[14:15], v[12:13]
	s_and_saveexec_b64 s[90:91], vcc
	s_cbranch_execz .LBB15_210
; %bb.199:                              ;   in Loop: Header=BB15_197 Depth=2
	v_and_b32_e32 v2, 64, v74
	s_mov_b32 s46, 0
	v_cmp_eq_u32_e32 vcc, 0, v2
	s_mov_b64 s[92:93], 0
                                        ; implicit-def: $sgpr94_sgpr95
                                        ; implicit-def: $sgpr30_sgpr31
                                        ; implicit-def: $sgpr34_sgpr35
	s_branch .LBB15_203
.LBB15_200:                             ;   in Loop: Header=BB15_203 Depth=3
	s_waitcnt vmcnt(0) lgkmcnt(0)
	v_lshl_add_u64 v[14:15], v[48:49], 0, 8
	v_cmp_ge_u64_e64 s[22:23], v[14:15], v[12:13]
	s_or_b64 s[48:49], s[48:49], exec
	s_orn2_b64 s[38:39], s[22:23], exec
.LBB15_201:                             ;   in Loop: Header=BB15_203 Depth=3
	s_or_b64 exec, exec, s[52:53]
	s_andn2_b64 s[22:23], s[34:35], exec
	s_and_b64 s[34:35], s[48:49], exec
	s_or_b64 s[34:35], s[22:23], s[34:35]
	s_andn2_b64 s[22:23], s[30:31], exec
	s_and_b64 s[30:31], s[38:39], exec
	s_or_b64 s[30:31], s[22:23], s[30:31]
.LBB15_202:                             ;   in Loop: Header=BB15_203 Depth=3
	s_or_b64 exec, exec, s[36:37]
	s_and_b64 s[22:23], exec, s[30:31]
	s_or_b64 s[92:93], s[22:23], s[92:93]
	s_andn2_b64 s[22:23], s[94:95], exec
	s_and_b64 s[94:95], s[34:35], exec
	s_or_b64 s[94:95], s[22:23], s[94:95]
	s_andn2_b64 exec, exec, s[92:93]
	s_cbranch_execz .LBB15_207
.LBB15_203:                             ;   Parent Loop BB15_47 Depth=1
                                        ;     Parent Loop BB15_197 Depth=2
                                        ; =>    This Inner Loop Header: Depth=3
	s_sleep 1
	s_waitcnt vmcnt(0) lgkmcnt(0)
	flat_load_dwordx2 v[48:49], v[32:33] sc0 sc1
	s_or_b64 s[34:35], s[34:35], exec
	s_or_b64 s[30:31], s[30:31], exec
                                        ; implicit-def: $vgpr2
	s_and_saveexec_b64 s[36:37], vcc
	s_cbranch_execz .LBB15_202
; %bb.204:                              ;   in Loop: Header=BB15_203 Depth=3
	s_cmpk_lt_i32 s46, 0x270f
	s_cselect_b64 s[50:51], -1, 0
	s_cmpk_gt_i32 s46, 0x270e
	s_mov_b64 s[38:39], -1
	s_cbranch_scc0 .LBB15_206
; %bb.205:                              ;   in Loop: Header=BB15_203 Depth=3
	s_trap 2
	ds_read_b64 v[14:15], v0
	s_andn2_b64 s[50:51], s[50:51], exec
	s_mov_b32 s46, 0
	s_mov_b64 s[48:49], 0
	s_waitcnt vmcnt(0) lgkmcnt(0)
	flat_load_dword v2, v[14:15] sc0 sc1
	s_waitcnt vmcnt(0) lgkmcnt(0)
	buffer_inv sc0 sc1
	v_cmp_eq_u32_e64 s[22:23], 0, v2
	s_and_b64 s[22:23], s[22:23], exec
	s_or_b64 s[50:51], s[50:51], s[22:23]
	s_and_saveexec_b64 s[52:53], s[50:51]
	s_cbranch_execz .LBB15_201
	s_branch .LBB15_200
.LBB15_206:                             ;   in Loop: Header=BB15_203 Depth=3
	s_add_i32 s46, s46, 1
	s_mov_b64 s[48:49], -1
                                        ; implicit-def: $vgpr2
	s_and_saveexec_b64 s[52:53], s[50:51]
	s_cbranch_execz .LBB15_201
	s_branch .LBB15_200
.LBB15_207:                             ;   in Loop: Header=BB15_197 Depth=2
	s_or_b64 exec, exec, s[92:93]
	s_xor_b64 s[22:23], s[94:95], -1
	s_and_saveexec_b64 s[92:93], s[22:23]
	s_xor_b64 s[22:23], exec, s[92:93]
	s_cbranch_execz .LBB15_209
; %bb.208:                              ;   in Loop: Header=BB15_197 Depth=2
	v_or_b32_e32 v74, 64, v74
	s_waitcnt lgkmcnt(0)
	ds_write_b32 v0, v2
	s_trap 2
.LBB15_209:                             ;   in Loop: Header=BB15_197 Depth=2
	s_or_b64 exec, exec, s[22:23]
.LBB15_210:                             ;   in Loop: Header=BB15_197 Depth=2
	s_or_b64 exec, exec, s[90:91]
	v_and_b32_e32 v2, 0x100, v74
	v_cmp_ne_u32_e32 vcc, 0, v2
	v_and_b32_e32 v2, 7, v112
	s_mov_b64 s[22:23], -1
	;;#ASMSTART
	s_wakeup
	;;#ASMEND
                                        ; implicit-def: $vgpr14_vgpr15
	s_and_saveexec_b64 s[90:91], vcc
	s_cbranch_execz .LBB15_214
; %bb.211:                              ;   in Loop: Header=BB15_197 Depth=2
	v_mad_u64_u32 v[16:17], s[22:23], v2, 24, v[6:7]
	flat_load_dword v11, v[16:17]
	v_ashrrev_i32_e32 v9, 31, v8
	v_lshlrev_b64 v[14:15], 1, v[8:9]
	flat_store_dwordx2 v[16:17], v[14:15] offset:8
                                        ; implicit-def: $vgpr14_vgpr15
	s_waitcnt vmcnt(0) lgkmcnt(0)
	v_cmp_ne_u32_e32 vcc, 1, v11
	v_cmp_eq_u32_e64 s[22:23], 1, v11
	s_and_saveexec_b64 s[92:93], s[22:23]
	s_cbranch_execz .LBB15_213
; %bb.212:                              ;   in Loop: Header=BB15_197 Depth=2
	flat_load_dword v14, v[16:17] offset:4 sc0 sc1
	s_waitcnt vmcnt(0) lgkmcnt(0)
	v_ashrrev_i32_e32 v15, 31, v14
	v_lshrrev_b64 v[14:15], 1, v[14:15]
.LBB15_213:                             ;   in Loop: Header=BB15_197 Depth=2
	s_or_b64 exec, exec, s[92:93]
	s_orn2_b64 s[22:23], vcc, exec
.LBB15_214:                             ;   in Loop: Header=BB15_197 Depth=2
	s_or_b64 exec, exec, s[90:91]
	s_and_saveexec_b64 s[90:91], s[22:23]
; %bb.215:                              ;   in Loop: Header=BB15_197 Depth=2
	v_mad_i64_i32 v[14:15], s[22:23], v2, v30, 0
; %bb.216:                              ;   in Loop: Header=BB15_197 Depth=2
	s_or_b64 exec, exec, s[90:91]
	v_and_b32_e32 v2, 0x2000, v74
	v_lshl_add_u64 v[14:15], v[14:15], 1, v[34:35]
	v_cmp_ne_u32_e32 vcc, 0, v2
	ds_write_b64 v0, v[14:15] offset:784
	s_and_saveexec_b64 s[22:23], vcc
	s_cbranch_execz .LBB15_218
; %bb.217:                              ;   in Loop: Header=BB15_197 Depth=2
	ds_read_b64 v[14:15], v0 offset:872
	s_waitcnt lgkmcnt(0)
	v_lshl_add_u64 v[14:15], v[14:15], 0, 1
	ds_write_b64 v0, v[14:15] offset:872
.LBB15_218:                             ;   in Loop: Header=BB15_197 Depth=2
	s_or_b64 exec, exec, s[22:23]
	v_mov_b64_e32 v[112:113], v[12:13]
.LBB15_219:                             ;   in Loop: Header=BB15_197 Depth=2
	s_or_b64 exec, exec, s[40:41]
	s_xor_b64 s[22:23], s[28:29], -1
	s_and_b64 s[22:23], exec, s[22:23]
	s_or_b64 s[26:27], s[22:23], s[26:27]
	s_and_saveexec_b64 s[22:23], s[4:5]
	s_cbranch_execz .LBB15_238
; %bb.220:                              ;   in Loop: Header=BB15_197 Depth=2
	s_and_saveexec_b64 s[28:29], s[56:57]
	s_xor_b64 s[28:29], exec, s[28:29]
	s_cbranch_execz .LBB15_235
; %bb.221:                              ;   in Loop: Header=BB15_197 Depth=2
	s_and_saveexec_b64 s[40:41], s[12:13]
	s_cbranch_execz .LBB15_234
; %bb.222:                              ;   in Loop: Header=BB15_197 Depth=2
	s_mov_b64 s[92:93], exec
	v_mbcnt_lo_u32_b32 v2, s92, 0
	v_mbcnt_hi_u32_b32 v2, s93, v2
	v_cmp_eq_u32_e32 vcc, 0, v2
	s_waitcnt lgkmcnt(0)
	s_and_saveexec_b64 s[90:91], vcc
	s_cbranch_execz .LBB15_224
; %bb.223:                              ;   in Loop: Header=BB15_197 Depth=2
	s_bcnt1_i32_b64 s46, s[92:93]
	v_mov_b32_e32 v2, s46
	ds_add_u64 v0, v[2:3]
	s_trap 2
.LBB15_224:                             ;   in Loop: Header=BB15_197 Depth=2
	s_or_b64 exec, exec, s[90:91]
	s_trap 2
	ds_read_b64 v[12:13], v0
	s_waitcnt lgkmcnt(0)
	v_lshl_add_u64 v[38:39], v[38:39], 0, v[52:53]
	v_cmp_lt_u64_e32 vcc, v[12:13], v[38:39]
	s_and_saveexec_b64 s[90:91], vcc
	s_cbranch_execz .LBB15_233
; %bb.225:                              ;   in Loop: Header=BB15_197 Depth=2
	s_mov_b32 s46, 0
	s_mov_b64 s[92:93], 0
                                        ; implicit-def: $sgpr94_sgpr95
                                        ; implicit-def: $sgpr30_sgpr31
	s_branch .LBB15_227
.LBB15_226:                             ;   in Loop: Header=BB15_227 Depth=3
	s_or_b64 exec, exec, s[36:37]
	s_and_b64 vcc, exec, vcc
	s_or_b64 s[92:93], vcc, s[92:93]
	s_andn2_b64 s[94:95], s[94:95], exec
	s_and_b64 vcc, s[30:31], exec
	s_or_b64 s[94:95], s[94:95], vcc
	s_andn2_b64 exec, exec, s[92:93]
	s_cbranch_execz .LBB15_231
.LBB15_227:                             ;   Parent Loop BB15_47 Depth=1
                                        ;     Parent Loop BB15_197 Depth=2
                                        ; =>    This Inner Loop Header: Depth=3
	s_add_i32 s46, s46, 1
	s_cmpk_lg_i32 s46, 0x2710
	s_cselect_b64 s[34:35], -1, 0
	s_and_b64 vcc, exec, s[34:35]
	s_cbranch_vccz .LBB15_229
; %bb.228:                              ;   in Loop: Header=BB15_227 Depth=3
	s_mov_b64 vcc, -1
	s_or_b64 s[30:31], s[30:31], exec
	s_and_saveexec_b64 s[36:37], s[34:35]
	s_cbranch_execz .LBB15_226
	s_branch .LBB15_230
.LBB15_229:                             ;   in Loop: Header=BB15_227 Depth=3
	s_trap 2
	ds_read_b64 v[12:13], v0
	s_andn2_b64 s[34:35], s[34:35], exec
	s_mov_b32 s46, 0
	s_waitcnt vmcnt(0) lgkmcnt(0)
	flat_load_dword v2, v[12:13] sc0 sc1
	s_waitcnt vmcnt(0) lgkmcnt(0)
	buffer_inv sc0 sc1
	v_cmp_eq_u32_e32 vcc, 0, v2
	s_and_b64 vcc, vcc, exec
	s_or_b64 s[34:35], s[34:35], vcc
	s_mov_b64 vcc, -1
	s_or_b64 s[30:31], s[30:31], exec
	s_and_saveexec_b64 s[36:37], s[34:35]
	s_cbranch_execz .LBB15_226
.LBB15_230:                             ;   in Loop: Header=BB15_227 Depth=3
	s_sleep 1
	s_trap 2
	ds_read_b64 v[12:13], v0
	s_waitcnt lgkmcnt(0)
	s_andn2_b64 s[30:31], s[30:31], exec
	v_cmp_ge_u64_e32 vcc, v[12:13], v[38:39]
	s_orn2_b64 vcc, vcc, exec
	s_branch .LBB15_226
.LBB15_231:                             ;   in Loop: Header=BB15_197 Depth=2
	s_or_b64 exec, exec, s[92:93]
	s_and_saveexec_b64 s[92:93], s[94:95]
	s_xor_b64 s[92:93], exec, s[92:93]
	s_cbranch_execz .LBB15_233
; %bb.232:                              ;   in Loop: Header=BB15_197 Depth=2
	ds_write_b32 v0, v77
	s_trap 2
.LBB15_233:                             ;   in Loop: Header=BB15_197 Depth=2
	s_or_b64 exec, exec, s[90:91]
	;;#ASMSTART
	s_wakeup
	;;#ASMEND
.LBB15_234:                             ;   in Loop: Header=BB15_197 Depth=2
	s_or_b64 exec, exec, s[40:41]
.LBB15_235:                             ;   in Loop: Header=BB15_197 Depth=2
	s_andn2_saveexec_b64 s[28:29], s[28:29]
	s_cbranch_execz .LBB15_237
; %bb.236:                              ;   in Loop: Header=BB15_197 Depth=2
	s_waitcnt lgkmcnt(0)
	s_barrier
.LBB15_237:                             ;   in Loop: Header=BB15_197 Depth=2
	s_or_b64 exec, exec, s[28:29]
.LBB15_238:                             ;   in Loop: Header=BB15_197 Depth=2
	s_or_b64 exec, exec, s[22:23]
                                        ; implicit-def: $vgpr2
	s_and_saveexec_b64 s[22:23], s[20:21]
	s_xor_b64 s[22:23], exec, s[22:23]
	s_cbranch_execz .LBB15_243
; %bb.239:                              ;   in Loop: Header=BB15_197 Depth=2
	s_trap 2
	ds_read_b32 v9, v0
	v_cmp_lt_i32_e32 vcc, 0, v8
	v_and_b32_e32 v11, 16, v74
	v_and_b32_e32 v2, 16, v74
	s_waitcnt lgkmcnt(0)
	v_readfirstlane_b32 s28, v9
	s_cmp_eq_u32 s28, 0
	s_cselect_b64 s[28:29], -1, 0
	s_and_b64 s[28:29], vcc, s[28:29]
	v_cmp_ne_u32_e32 vcc, 0, v11
	s_and_b64 s[40:41], vcc, s[28:29]
	s_and_saveexec_b64 s[28:29], s[40:41]
	s_cbranch_execz .LBB15_241
; %bb.240:                              ;   in Loop: Header=BB15_197 Depth=2
	v_mov_b32_e32 v2, 1
	buffer_wbl2 sc1
	s_waitcnt vmcnt(0)
	buffer_inv sc1
.LBB15_241:                             ;   in Loop: Header=BB15_197 Depth=2
	s_or_b64 exec, exec, s[28:29]
	s_andn2_saveexec_b64 s[22:23], s[22:23]
	s_cbranch_execnz .LBB15_244
.LBB15_242:                             ;   in Loop: Header=BB15_197 Depth=2
	s_or_b64 exec, exec, s[22:23]
	v_cmp_ne_u32_e32 vcc, 0, v2
	s_and_saveexec_b64 s[22:23], vcc
	s_cbranch_execz .LBB15_196
	s_branch .LBB15_262
.LBB15_243:                             ;   in Loop: Header=BB15_197 Depth=2
	s_andn2_saveexec_b64 s[22:23], s[22:23]
	s_cbranch_execz .LBB15_242
.LBB15_244:                             ;   in Loop: Header=BB15_197 Depth=2
	s_and_saveexec_b64 s[28:29], s[56:57]
	s_xor_b64 s[28:29], exec, s[28:29]
	s_cbranch_execz .LBB15_259
; %bb.245:                              ;   in Loop: Header=BB15_197 Depth=2
	s_and_saveexec_b64 s[40:41], s[12:13]
	s_cbranch_execz .LBB15_258
; %bb.246:                              ;   in Loop: Header=BB15_197 Depth=2
	s_mov_b64 s[92:93], exec
	v_mbcnt_lo_u32_b32 v2, s92, 0
	v_mbcnt_hi_u32_b32 v2, s93, v2
	v_cmp_eq_u32_e32 vcc, 0, v2
	;;#ASMSTART
	s_waitcnt lgkmcnt(0) vmcnt(0)
	;;#ASMEND
	s_and_saveexec_b64 s[90:91], vcc
	s_cbranch_execz .LBB15_248
; %bb.247:                              ;   in Loop: Header=BB15_197 Depth=2
	s_bcnt1_i32_b64 s46, s[92:93]
	v_mov_b32_e32 v2, s46
	s_waitcnt lgkmcnt(0)
	ds_add_u64 v0, v[2:3]
	s_trap 2
.LBB15_248:                             ;   in Loop: Header=BB15_197 Depth=2
	s_or_b64 exec, exec, s[90:91]
	s_trap 2
	ds_read_b64 v[12:13], v0
	s_waitcnt lgkmcnt(0)
	v_lshl_add_u64 v[38:39], v[38:39], 0, v[52:53]
	v_cmp_lt_u64_e32 vcc, v[12:13], v[38:39]
	s_and_saveexec_b64 s[90:91], vcc
	s_cbranch_execz .LBB15_257
; %bb.249:                              ;   in Loop: Header=BB15_197 Depth=2
	s_mov_b32 s46, 0
	s_mov_b64 s[92:93], 0
                                        ; implicit-def: $sgpr94_sgpr95
                                        ; implicit-def: $sgpr30_sgpr31
	s_branch .LBB15_251
.LBB15_250:                             ;   in Loop: Header=BB15_251 Depth=3
	s_or_b64 exec, exec, s[36:37]
	s_and_b64 vcc, exec, vcc
	s_or_b64 s[92:93], vcc, s[92:93]
	s_andn2_b64 s[94:95], s[94:95], exec
	s_and_b64 vcc, s[30:31], exec
	s_or_b64 s[94:95], s[94:95], vcc
	s_andn2_b64 exec, exec, s[92:93]
	s_cbranch_execz .LBB15_255
.LBB15_251:                             ;   Parent Loop BB15_47 Depth=1
                                        ;     Parent Loop BB15_197 Depth=2
                                        ; =>    This Inner Loop Header: Depth=3
	s_add_i32 s46, s46, 1
	s_cmpk_lg_i32 s46, 0x2710
	s_cselect_b64 s[34:35], -1, 0
	s_and_b64 vcc, exec, s[34:35]
	s_cbranch_vccz .LBB15_253
; %bb.252:                              ;   in Loop: Header=BB15_251 Depth=3
	s_mov_b64 vcc, -1
	s_or_b64 s[30:31], s[30:31], exec
	s_and_saveexec_b64 s[36:37], s[34:35]
	s_cbranch_execz .LBB15_250
	s_branch .LBB15_254
.LBB15_253:                             ;   in Loop: Header=BB15_251 Depth=3
	s_trap 2
	ds_read_b64 v[12:13], v0
	s_andn2_b64 s[34:35], s[34:35], exec
	s_mov_b32 s46, 0
	s_waitcnt vmcnt(0) lgkmcnt(0)
	flat_load_dword v2, v[12:13] sc0 sc1
	s_waitcnt vmcnt(0) lgkmcnt(0)
	buffer_inv sc0 sc1
	v_cmp_eq_u32_e32 vcc, 0, v2
	s_and_b64 vcc, vcc, exec
	s_or_b64 s[34:35], s[34:35], vcc
	s_mov_b64 vcc, -1
	s_or_b64 s[30:31], s[30:31], exec
	s_and_saveexec_b64 s[36:37], s[34:35]
	s_cbranch_execz .LBB15_250
.LBB15_254:                             ;   in Loop: Header=BB15_251 Depth=3
	s_sleep 1
	s_trap 2
	ds_read_b64 v[12:13], v0
	s_waitcnt lgkmcnt(0)
	s_andn2_b64 s[30:31], s[30:31], exec
	v_cmp_ge_u64_e32 vcc, v[12:13], v[38:39]
	s_orn2_b64 vcc, vcc, exec
	s_branch .LBB15_250
.LBB15_255:                             ;   in Loop: Header=BB15_197 Depth=2
	s_or_b64 exec, exec, s[92:93]
	s_and_saveexec_b64 s[92:93], s[94:95]
	s_xor_b64 s[92:93], exec, s[92:93]
	s_cbranch_execz .LBB15_257
; %bb.256:                              ;   in Loop: Header=BB15_197 Depth=2
	ds_write_b32 v0, v77
	s_trap 2
.LBB15_257:                             ;   in Loop: Header=BB15_197 Depth=2
	s_or_b64 exec, exec, s[90:91]
	;;#ASMSTART
	s_wakeup
	;;#ASMEND
.LBB15_258:                             ;   in Loop: Header=BB15_197 Depth=2
	s_or_b64 exec, exec, s[40:41]
.LBB15_259:                             ;   in Loop: Header=BB15_197 Depth=2
	s_andn2_saveexec_b64 s[28:29], s[28:29]
	s_cbranch_execz .LBB15_261
; %bb.260:                              ;   in Loop: Header=BB15_197 Depth=2
	;;#ASMSTART
	s_waitcnt lgkmcnt(0) vmcnt(0)
	;;#ASMEND
	s_barrier
.LBB15_261:                             ;   in Loop: Header=BB15_197 Depth=2
	s_or_b64 exec, exec, s[28:29]
	v_and_b32_e32 v2, 16, v74
	s_or_b64 exec, exec, s[22:23]
	v_cmp_ne_u32_e32 vcc, 0, v2
	s_and_saveexec_b64 s[22:23], vcc
	s_cbranch_execz .LBB15_196
.LBB15_262:                             ;   in Loop: Header=BB15_197 Depth=2
	s_and_saveexec_b64 s[28:29], s[10:11]
	s_cbranch_execz .LBB15_195
; %bb.263:                              ;   in Loop: Header=BB15_197 Depth=2
	flat_store_dword v[36:37], v77 sc0 sc1
	s_branch .LBB15_195
.LBB15_264:                             ;   in Loop: Header=BB15_47 Depth=1
	s_or_b64 exec, exec, s[26:27]
.LBB15_265:                             ;   in Loop: Header=BB15_47 Depth=1
	s_or_b64 exec, exec, s[24:25]
	v_cndmask_b32_e64 v2, 0, 1, s[76:77]
	v_cmp_ne_u32_e64 s[22:23], 1, v2
	s_andn2_b64 vcc, exec, s[76:77]
	s_cbranch_vccnz .LBB15_620
; %bb.266:                              ;   in Loop: Header=BB15_47 Depth=1
	s_mov_b32 s86, 2
	s_branch .LBB15_269
.LBB15_267:                             ;   in Loop: Header=BB15_269 Depth=2
	s_or_b64 exec, exec, s[28:29]
.LBB15_268:                             ;   in Loop: Header=BB15_269 Depth=2
	s_or_b64 exec, exec, s[26:27]
	s_add_i32 s86, s86, 1
	s_cmp_eq_u32 s86, s64
	s_cbranch_scc1 .LBB15_620
.LBB15_269:                             ;   Parent Loop BB15_47 Depth=1
                                        ; =>  This Loop Header: Depth=2
                                        ;       Child Loop BB15_272 Depth 3
                                        ;         Child Loop BB15_280 Depth 4
                                        ;         Child Loop BB15_308 Depth 4
	;; [unrolled: 1-line block ×9, first 2 shown]
                                        ;       Child Loop BB15_548 Depth 3
                                        ;         Child Loop BB15_554 Depth 4
                                        ;         Child Loop BB15_582 Depth 4
	;; [unrolled: 1-line block ×3, first 2 shown]
	s_sub_i32 s24, s71, s86
	s_cmp_ge_i32 s24, s64
	s_cselect_b32 s25, s64, 0
	s_sub_i32 s24, s24, s25
	s_ashr_i32 s25, s24, 31
	v_mul_lo_u32 v2, v102, s25
	v_mul_lo_u32 v8, v103, s24
	v_mad_u64_u32 v[42:43], s[24:25], v102, s24, 0
	v_add3_u32 v43, v43, v2, v8
	v_sub_co_u32_e32 v8, vcc, v114, v42
	v_mov_b32_e32 v40, 0
	s_nop 0
	v_subb_co_u32_e32 v9, vcc, v115, v43, vcc
	v_cmp_lt_i64_e32 vcc, v[102:103], v[8:9]
	s_nop 1
	v_cndmask_b32_e32 v2, v8, v102, vcc
	v_max_i32_e32 v62, 0, v2
	v_add_u32_e32 v8, 31, v62
	v_ashrrev_i32_e32 v9, 31, v8
	v_lshrrev_b32_e32 v9, 27, v9
	v_add_u32_e32 v8, v8, v9
	v_ashrrev_i32_e32 v8, 5, v8
	v_lshlrev_b32_e32 v8, 4, v8
	v_cmp_lt_i32_e32 vcc, 0, v2
	v_max_i32_e32 v118, s82, v8
	s_and_b64 s[24:25], s[88:89], vcc
	v_mov_b32_e32 v2, 0
	s_and_saveexec_b64 s[28:29], s[24:25]
	s_cbranch_execz .LBB15_545
; %bb.270:                              ;   in Loop: Header=BB15_269 Depth=2
	s_mov_b32 s87, 1
	s_mov_b64 s[90:91], -1
	v_mov_b32_e32 v40, 0
	s_mov_b64 s[40:41], 0
	s_branch .LBB15_272
.LBB15_271:                             ;   in Loop: Header=BB15_272 Depth=3
	s_or_b64 exec, exec, s[24:25]
	v_add_u32_e32 v40, v118, v40
	v_cmp_ge_i32_e32 vcc, v40, v62
	s_xor_b64 s[24:25], s[90:91], -1
	s_or_b64 s[24:25], s[24:25], vcc
	s_and_b64 s[24:25], exec, s[24:25]
	s_or_b64 s[40:41], s[24:25], s[40:41]
	s_mov_b64 s[90:91], 0
	v_mov_b32_e32 v2, s87
	s_mov_b32 s87, 2
	s_andn2_b64 exec, exec, s[40:41]
	s_cbranch_execz .LBB15_544
.LBB15_272:                             ;   Parent Loop BB15_47 Depth=1
                                        ;     Parent Loop BB15_269 Depth=2
                                        ; =>    This Loop Header: Depth=3
                                        ;         Child Loop BB15_280 Depth 4
                                        ;         Child Loop BB15_308 Depth 4
	;; [unrolled: 1-line block ×9, first 2 shown]
	s_and_saveexec_b64 s[24:25], s[0:1]
	s_cbranch_execz .LBB15_274
; %bb.273:                              ;   in Loop: Header=BB15_272 Depth=3
	s_trap 2
	ds_read_b64 v[8:9], v0
	v_ashrrev_i32_e32 v41, 31, v40
	s_waitcnt lgkmcnt(0)
	v_lshl_add_u64 v[8:9], v[116:117], 1, v[8:9]
	v_lshl_add_u64 v[8:9], v[42:43], 1, v[8:9]
	;; [unrolled: 1-line block ×3, first 2 shown]
	ds_write_b64 v0, v[8:9]
	ds_write_b64 v0, v[104:105]
.LBB15_274:                             ;   in Loop: Header=BB15_272 Depth=3
	s_or_b64 exec, exec, s[24:25]
	v_sub_u32_e32 v2, v62, v40
	v_min_i32_e32 v118, v118, v2
	v_and_b32_e32 v2, 12, v74
	v_cmp_ne_u32_e32 vcc, 0, v2
	s_and_saveexec_b64 s[26:27], vcc
	s_cbranch_execz .LBB15_300
; %bb.275:                              ;   in Loop: Header=BB15_272 Depth=3
	v_and_b32_e32 v2, 8, v74
	s_waitcnt vmcnt(0) lgkmcnt(0)
	v_lshl_add_u64 v[10:11], v[48:49], 0, v[2:3]
	v_lshl_add_u64 v[8:9], v[112:113], 0, 2
	v_cmp_lt_u64_e32 vcc, v[10:11], v[8:9]
	s_and_saveexec_b64 s[92:93], vcc
	s_cbranch_execz .LBB15_287
; %bb.276:                              ;   in Loop: Header=BB15_272 Depth=3
	v_and_b32_e32 v10, 64, v74
	s_mov_b32 s46, 0
	v_cmp_eq_u32_e32 vcc, 0, v10
	s_mov_b64 s[94:95], 0
                                        ; implicit-def: $sgpr30_sgpr31
                                        ; implicit-def: $sgpr34_sgpr35
                                        ; implicit-def: $sgpr36_sgpr37
	s_branch .LBB15_280
.LBB15_277:                             ;   in Loop: Header=BB15_280 Depth=4
	s_waitcnt vmcnt(0) lgkmcnt(0)
	v_lshl_add_u64 v[12:13], v[48:49], 0, v[2:3]
	v_cmp_ge_u64_e64 s[24:25], v[12:13], v[8:9]
	s_or_b64 s[50:51], s[50:51], exec
	s_orn2_b64 s[48:49], s[24:25], exec
.LBB15_278:                             ;   in Loop: Header=BB15_280 Depth=4
	s_or_b64 exec, exec, s[54:55]
	s_andn2_b64 s[24:25], s[36:37], exec
	s_and_b64 s[36:37], s[50:51], exec
	s_or_b64 s[36:37], s[24:25], s[36:37]
	s_andn2_b64 s[24:25], s[34:35], exec
	s_and_b64 s[34:35], s[48:49], exec
	s_or_b64 s[34:35], s[24:25], s[34:35]
.LBB15_279:                             ;   in Loop: Header=BB15_280 Depth=4
	s_or_b64 exec, exec, s[38:39]
	s_and_b64 s[24:25], exec, s[34:35]
	s_or_b64 s[94:95], s[24:25], s[94:95]
	s_andn2_b64 s[24:25], s[30:31], exec
	s_and_b64 s[30:31], s[36:37], exec
	s_or_b64 s[30:31], s[24:25], s[30:31]
	s_andn2_b64 exec, exec, s[94:95]
	s_cbranch_execz .LBB15_284
.LBB15_280:                             ;   Parent Loop BB15_47 Depth=1
                                        ;     Parent Loop BB15_269 Depth=2
                                        ;       Parent Loop BB15_272 Depth=3
                                        ; =>      This Inner Loop Header: Depth=4
	s_sleep 1
	s_waitcnt vmcnt(0) lgkmcnt(0)
	flat_load_dwordx2 v[48:49], v[32:33] sc0 sc1
	s_or_b64 s[36:37], s[36:37], exec
	s_or_b64 s[34:35], s[34:35], exec
                                        ; implicit-def: $vgpr10
	s_and_saveexec_b64 s[38:39], vcc
	s_cbranch_execz .LBB15_279
; %bb.281:                              ;   in Loop: Header=BB15_280 Depth=4
	s_cmpk_lt_i32 s46, 0x270f
	s_cselect_b64 s[52:53], -1, 0
	s_cmpk_gt_i32 s46, 0x270e
	s_mov_b64 s[48:49], -1
	s_cbranch_scc0 .LBB15_283
; %bb.282:                              ;   in Loop: Header=BB15_280 Depth=4
	s_trap 2
	ds_read_b64 v[10:11], v0
	s_andn2_b64 s[52:53], s[52:53], exec
	s_mov_b32 s46, 0
	s_mov_b64 s[50:51], 0
	s_waitcnt vmcnt(0) lgkmcnt(0)
	flat_load_dword v10, v[10:11] sc0 sc1
	s_waitcnt vmcnt(0) lgkmcnt(0)
	buffer_inv sc0 sc1
	v_cmp_eq_u32_e64 s[24:25], 0, v10
	s_and_b64 s[24:25], s[24:25], exec
	s_or_b64 s[52:53], s[52:53], s[24:25]
	s_and_saveexec_b64 s[54:55], s[52:53]
	s_cbranch_execz .LBB15_278
	s_branch .LBB15_277
.LBB15_283:                             ;   in Loop: Header=BB15_280 Depth=4
	s_add_i32 s46, s46, 1
	s_mov_b64 s[50:51], -1
                                        ; implicit-def: $vgpr10
	s_and_saveexec_b64 s[54:55], s[52:53]
	s_cbranch_execz .LBB15_278
	s_branch .LBB15_277
.LBB15_284:                             ;   in Loop: Header=BB15_272 Depth=3
	s_or_b64 exec, exec, s[94:95]
	s_xor_b64 s[24:25], s[30:31], -1
	s_and_saveexec_b64 s[94:95], s[24:25]
	s_xor_b64 s[24:25], exec, s[94:95]
	s_cbranch_execz .LBB15_286
; %bb.285:                              ;   in Loop: Header=BB15_272 Depth=3
	v_or_b32_e32 v74, 64, v74
	s_waitcnt lgkmcnt(0)
	ds_write_b32 v0, v10
	s_trap 2
.LBB15_286:                             ;   in Loop: Header=BB15_272 Depth=3
	s_or_b64 exec, exec, s[24:25]
.LBB15_287:                             ;   in Loop: Header=BB15_272 Depth=3
	s_or_b64 exec, exec, s[92:93]
	v_and_b32_e32 v10, 0x108, v74
	v_cmp_ne_u32_e32 vcc, s67, v10
	;;#ASMSTART
	s_wakeup
	;;#ASMEND
                                        ; implicit-def: $vgpr10_vgpr11
	s_and_saveexec_b64 s[24:25], vcc
	s_xor_b64 s[24:25], exec, s[24:25]
; %bb.288:                              ;   in Loop: Header=BB15_272 Depth=3
	v_and_b32_e32 v10, 7, v112
	v_mov_b32_e32 v11, v3
                                        ; implicit-def: $vgpr112_vgpr113
; %bb.289:                              ;   in Loop: Header=BB15_272 Depth=3
	s_andn2_saveexec_b64 s[24:25], s[24:25]
	s_cbranch_execz .LBB15_291
; %bb.290:                              ;   in Loop: Header=BB15_272 Depth=3
	v_and_b32_e32 v10, 7, v112
	v_ashrrev_i32_e32 v119, 31, v118
	v_mov_b32_e32 v11, v3
	v_mad_u64_u32 v[12:13], s[92:93], v10, 24, v[6:7]
	v_lshlrev_b64 v[14:15], 1, v[118:119]
	flat_store_dwordx2 v[12:13], v[14:15] offset:8
.LBB15_291:                             ;   in Loop: Header=BB15_272 Depth=3
	s_or_b64 exec, exec, s[24:25]
	v_and_b32_e32 v12, 0x100, v74
	v_cmp_ne_u32_e32 vcc, 0, v12
	s_mov_b64 s[24:25], -1
                                        ; implicit-def: $vgpr12_vgpr13
	s_and_saveexec_b64 s[92:93], vcc
	s_cbranch_execz .LBB15_295
; %bb.292:                              ;   in Loop: Header=BB15_272 Depth=3
	v_mad_u64_u32 v[14:15], s[24:25], v10, 24, v[6:7]
	v_mov_b32_e32 v12, v15
	v_mad_u64_u32 v[12:13], s[24:25], v11, 24, v[12:13]
	v_mov_b32_e32 v15, v12
	flat_load_dword v12, v[14:15]
	s_waitcnt vmcnt(0) lgkmcnt(0)
	v_cmp_ne_u32_e32 vcc, 1, v12
	v_cmp_eq_u32_e64 s[24:25], 1, v12
                                        ; implicit-def: $vgpr12_vgpr13
	s_and_saveexec_b64 s[94:95], s[24:25]
	s_cbranch_execz .LBB15_294
; %bb.293:                              ;   in Loop: Header=BB15_272 Depth=3
	flat_load_dword v12, v[14:15] offset:4 sc0 sc1
	s_waitcnt vmcnt(0) lgkmcnt(0)
	v_ashrrev_i32_e32 v13, 31, v12
	v_lshrrev_b64 v[12:13], 1, v[12:13]
.LBB15_294:                             ;   in Loop: Header=BB15_272 Depth=3
	s_or_b64 exec, exec, s[94:95]
	s_orn2_b64 s[24:25], vcc, exec
.LBB15_295:                             ;   in Loop: Header=BB15_272 Depth=3
	s_or_b64 exec, exec, s[92:93]
	s_and_saveexec_b64 s[92:93], s[24:25]
; %bb.296:                              ;   in Loop: Header=BB15_272 Depth=3
	v_mul_lo_u32 v11, v11, v30
	v_mul_lo_u32 v14, v10, v51
	v_mad_u64_u32 v[12:13], s[24:25], v10, v30, 0
	v_add3_u32 v13, v13, v14, v11
; %bb.297:                              ;   in Loop: Header=BB15_272 Depth=3
	s_or_b64 exec, exec, s[92:93]
	v_cmp_eq_u32_e32 vcc, 0, v2
	v_lshl_add_u64 v[10:11], v[12:13], 1, v[34:35]
	s_nop 0
	v_cndmask_b32_e32 v2, v78, v79, vcc
	v_add_u32_e32 v2, v0, v2
	ds_write_b64 v2, v[10:11] offset:584
	v_and_b32_e32 v2, 0x2000, v74
	v_cmp_ne_u32_e32 vcc, 0, v2
	s_and_saveexec_b64 s[24:25], vcc
	s_cbranch_execz .LBB15_299
; %bb.298:                              ;   in Loop: Header=BB15_272 Depth=3
	ds_read_b64 v[10:11], v0 offset:872
	s_waitcnt lgkmcnt(0)
	v_lshl_add_u64 v[10:11], v[10:11], 0, 1
	ds_write_b64 v0, v[10:11] offset:872
.LBB15_299:                             ;   in Loop: Header=BB15_272 Depth=3
	s_or_b64 exec, exec, s[24:25]
	v_mov_b64_e32 v[112:113], v[8:9]
.LBB15_300:                             ;   in Loop: Header=BB15_272 Depth=3
	s_or_b64 exec, exec, s[26:27]
	s_and_saveexec_b64 s[24:25], s[4:5]
	s_cbranch_execz .LBB15_319
; %bb.301:                              ;   in Loop: Header=BB15_272 Depth=3
	s_and_saveexec_b64 s[26:27], s[56:57]
	s_xor_b64 s[26:27], exec, s[26:27]
	s_cbranch_execz .LBB15_316
; %bb.302:                              ;   in Loop: Header=BB15_272 Depth=3
	s_and_saveexec_b64 s[92:93], s[12:13]
	s_cbranch_execz .LBB15_315
; %bb.303:                              ;   in Loop: Header=BB15_272 Depth=3
	s_mov_b64 s[30:31], exec
	v_mbcnt_lo_u32_b32 v2, s30, 0
	v_mbcnt_hi_u32_b32 v2, s31, v2
	v_cmp_eq_u32_e32 vcc, 0, v2
	s_waitcnt lgkmcnt(0)
	s_and_saveexec_b64 s[94:95], vcc
	s_cbranch_execz .LBB15_305
; %bb.304:                              ;   in Loop: Header=BB15_272 Depth=3
	s_bcnt1_i32_b64 s46, s[30:31]
	v_mov_b32_e32 v2, s46
	ds_add_u64 v0, v[2:3]
	s_trap 2
.LBB15_305:                             ;   in Loop: Header=BB15_272 Depth=3
	s_or_b64 exec, exec, s[94:95]
	s_trap 2
	ds_read_b64 v[8:9], v0
	s_waitcnt lgkmcnt(0)
	v_lshl_add_u64 v[38:39], v[38:39], 0, v[52:53]
	v_cmp_lt_u64_e32 vcc, v[8:9], v[38:39]
	s_and_saveexec_b64 s[94:95], vcc
	s_cbranch_execz .LBB15_314
; %bb.306:                              ;   in Loop: Header=BB15_272 Depth=3
	s_mov_b32 s46, 0
	s_mov_b64 s[30:31], 0
                                        ; implicit-def: $sgpr34_sgpr35
                                        ; implicit-def: $sgpr36_sgpr37
	s_branch .LBB15_308
.LBB15_307:                             ;   in Loop: Header=BB15_308 Depth=4
	s_or_b64 exec, exec, s[48:49]
	s_and_b64 vcc, exec, vcc
	s_or_b64 s[30:31], vcc, s[30:31]
	s_andn2_b64 vcc, s[34:35], exec
	s_and_b64 s[34:35], s[36:37], exec
	s_or_b64 s[34:35], vcc, s[34:35]
	s_andn2_b64 exec, exec, s[30:31]
	s_cbranch_execz .LBB15_312
.LBB15_308:                             ;   Parent Loop BB15_47 Depth=1
                                        ;     Parent Loop BB15_269 Depth=2
                                        ;       Parent Loop BB15_272 Depth=3
                                        ; =>      This Inner Loop Header: Depth=4
	s_add_i32 s46, s46, 1
	s_cmpk_lg_i32 s46, 0x2710
	s_cselect_b64 s[38:39], -1, 0
	s_and_b64 vcc, exec, s[38:39]
	s_cbranch_vccz .LBB15_310
; %bb.309:                              ;   in Loop: Header=BB15_308 Depth=4
	s_mov_b64 vcc, -1
	s_or_b64 s[36:37], s[36:37], exec
	s_and_saveexec_b64 s[48:49], s[38:39]
	s_cbranch_execz .LBB15_307
	s_branch .LBB15_311
.LBB15_310:                             ;   in Loop: Header=BB15_308 Depth=4
	s_trap 2
	ds_read_b64 v[8:9], v0
	s_andn2_b64 s[38:39], s[38:39], exec
	s_mov_b32 s46, 0
	s_waitcnt vmcnt(0) lgkmcnt(0)
	flat_load_dword v2, v[8:9] sc0 sc1
	s_waitcnt vmcnt(0) lgkmcnt(0)
	buffer_inv sc0 sc1
	v_cmp_eq_u32_e32 vcc, 0, v2
	s_and_b64 vcc, vcc, exec
	s_or_b64 s[38:39], s[38:39], vcc
	s_mov_b64 vcc, -1
	s_or_b64 s[36:37], s[36:37], exec
	s_and_saveexec_b64 s[48:49], s[38:39]
	s_cbranch_execz .LBB15_307
.LBB15_311:                             ;   in Loop: Header=BB15_308 Depth=4
	s_sleep 1
	s_trap 2
	ds_read_b64 v[8:9], v0
	s_waitcnt lgkmcnt(0)
	s_andn2_b64 s[36:37], s[36:37], exec
	v_cmp_ge_u64_e32 vcc, v[8:9], v[38:39]
	s_orn2_b64 vcc, vcc, exec
	s_branch .LBB15_307
.LBB15_312:                             ;   in Loop: Header=BB15_272 Depth=3
	s_or_b64 exec, exec, s[30:31]
	s_and_saveexec_b64 vcc, s[34:35]
	s_xor_b64 vcc, exec, vcc
	s_cbranch_execz .LBB15_314
; %bb.313:                              ;   in Loop: Header=BB15_272 Depth=3
	ds_write_b32 v0, v77
	s_trap 2
.LBB15_314:                             ;   in Loop: Header=BB15_272 Depth=3
	s_or_b64 exec, exec, s[94:95]
	;;#ASMSTART
	s_wakeup
	;;#ASMEND
.LBB15_315:                             ;   in Loop: Header=BB15_272 Depth=3
	s_or_b64 exec, exec, s[92:93]
.LBB15_316:                             ;   in Loop: Header=BB15_272 Depth=3
	s_andn2_saveexec_b64 s[26:27], s[26:27]
	s_cbranch_execz .LBB15_318
; %bb.317:                              ;   in Loop: Header=BB15_272 Depth=3
	s_waitcnt lgkmcnt(0)
	s_barrier
.LBB15_318:                             ;   in Loop: Header=BB15_272 Depth=3
	s_or_b64 exec, exec, s[26:27]
.LBB15_319:                             ;   in Loop: Header=BB15_272 Depth=3
	s_or_b64 exec, exec, s[24:25]
	s_trap 2
	ds_read_b32 v8, v0
	v_and_b32_e32 v2, 0x4000, v74
	v_cmp_ne_u32_e32 vcc, 0, v2
	s_xor_b64 s[24:25], s[2:3], -1
	s_and_b64 s[26:27], s[24:25], vcc
	s_and_saveexec_b64 s[24:25], s[26:27]
	s_cbranch_execz .LBB15_338
; %bb.320:                              ;   in Loop: Header=BB15_272 Depth=3
	s_and_saveexec_b64 s[26:27], s[56:57]
	s_xor_b64 s[26:27], exec, s[26:27]
	s_cbranch_execz .LBB15_335
; %bb.321:                              ;   in Loop: Header=BB15_272 Depth=3
	s_and_saveexec_b64 s[92:93], s[12:13]
	s_cbranch_execz .LBB15_334
; %bb.322:                              ;   in Loop: Header=BB15_272 Depth=3
	s_mov_b64 s[30:31], exec
	v_mbcnt_lo_u32_b32 v2, s30, 0
	v_mbcnt_hi_u32_b32 v2, s31, v2
	v_cmp_eq_u32_e32 vcc, 0, v2
	s_waitcnt lgkmcnt(0)
	s_and_saveexec_b64 s[94:95], vcc
	s_cbranch_execz .LBB15_324
; %bb.323:                              ;   in Loop: Header=BB15_272 Depth=3
	s_bcnt1_i32_b64 s46, s[30:31]
	v_mov_b32_e32 v2, s46
	ds_add_u64 v0, v[2:3]
	s_trap 2
.LBB15_324:                             ;   in Loop: Header=BB15_272 Depth=3
	s_or_b64 exec, exec, s[94:95]
	s_trap 2
	ds_read_b64 v[10:11], v0
	s_waitcnt lgkmcnt(0)
	v_lshl_add_u64 v[38:39], v[38:39], 0, v[52:53]
	v_cmp_lt_u64_e32 vcc, v[10:11], v[38:39]
	s_and_saveexec_b64 s[94:95], vcc
	s_cbranch_execz .LBB15_333
; %bb.325:                              ;   in Loop: Header=BB15_272 Depth=3
	s_mov_b32 s46, 0
	s_mov_b64 s[30:31], 0
                                        ; implicit-def: $sgpr34_sgpr35
                                        ; implicit-def: $sgpr36_sgpr37
	s_branch .LBB15_327
.LBB15_326:                             ;   in Loop: Header=BB15_327 Depth=4
	s_or_b64 exec, exec, s[48:49]
	s_and_b64 vcc, exec, vcc
	s_or_b64 s[30:31], vcc, s[30:31]
	s_andn2_b64 vcc, s[34:35], exec
	s_and_b64 s[34:35], s[36:37], exec
	s_or_b64 s[34:35], vcc, s[34:35]
	s_andn2_b64 exec, exec, s[30:31]
	s_cbranch_execz .LBB15_331
.LBB15_327:                             ;   Parent Loop BB15_47 Depth=1
                                        ;     Parent Loop BB15_269 Depth=2
                                        ;       Parent Loop BB15_272 Depth=3
                                        ; =>      This Inner Loop Header: Depth=4
	s_add_i32 s46, s46, 1
	s_cmpk_lg_i32 s46, 0x2710
	s_cselect_b64 s[38:39], -1, 0
	s_and_b64 vcc, exec, s[38:39]
	s_cbranch_vccz .LBB15_329
; %bb.328:                              ;   in Loop: Header=BB15_327 Depth=4
	s_mov_b64 vcc, -1
	s_or_b64 s[36:37], s[36:37], exec
	s_and_saveexec_b64 s[48:49], s[38:39]
	s_cbranch_execz .LBB15_326
	s_branch .LBB15_330
.LBB15_329:                             ;   in Loop: Header=BB15_327 Depth=4
	s_trap 2
	ds_read_b64 v[10:11], v0
	s_andn2_b64 s[38:39], s[38:39], exec
	s_mov_b32 s46, 0
	s_waitcnt vmcnt(0) lgkmcnt(0)
	flat_load_dword v2, v[10:11] sc0 sc1
	s_waitcnt vmcnt(0) lgkmcnt(0)
	buffer_inv sc0 sc1
	v_cmp_eq_u32_e32 vcc, 0, v2
	s_and_b64 vcc, vcc, exec
	s_or_b64 s[38:39], s[38:39], vcc
	s_mov_b64 vcc, -1
	s_or_b64 s[36:37], s[36:37], exec
	s_and_saveexec_b64 s[48:49], s[38:39]
	s_cbranch_execz .LBB15_326
.LBB15_330:                             ;   in Loop: Header=BB15_327 Depth=4
	s_sleep 1
	s_trap 2
	ds_read_b64 v[10:11], v0
	s_waitcnt lgkmcnt(0)
	s_andn2_b64 s[36:37], s[36:37], exec
	v_cmp_ge_u64_e32 vcc, v[10:11], v[38:39]
	s_orn2_b64 vcc, vcc, exec
	s_branch .LBB15_326
.LBB15_331:                             ;   in Loop: Header=BB15_272 Depth=3
	s_or_b64 exec, exec, s[30:31]
	s_and_saveexec_b64 vcc, s[34:35]
	s_xor_b64 vcc, exec, vcc
	s_cbranch_execz .LBB15_333
; %bb.332:                              ;   in Loop: Header=BB15_272 Depth=3
	ds_write_b32 v0, v77
	s_trap 2
.LBB15_333:                             ;   in Loop: Header=BB15_272 Depth=3
	s_or_b64 exec, exec, s[94:95]
	;;#ASMSTART
	s_wakeup
	;;#ASMEND
.LBB15_334:                             ;   in Loop: Header=BB15_272 Depth=3
	s_or_b64 exec, exec, s[92:93]
.LBB15_335:                             ;   in Loop: Header=BB15_272 Depth=3
	s_andn2_saveexec_b64 s[26:27], s[26:27]
	s_cbranch_execz .LBB15_337
; %bb.336:                              ;   in Loop: Header=BB15_272 Depth=3
	s_waitcnt lgkmcnt(0)
	s_barrier
.LBB15_337:                             ;   in Loop: Header=BB15_272 Depth=3
	s_or_b64 exec, exec, s[26:27]
.LBB15_338:                             ;   in Loop: Header=BB15_272 Depth=3
	s_or_b64 exec, exec, s[24:25]
	s_trap 2
	ds_read_b64 v[44:45], v0
	s_waitcnt lgkmcnt(0)
	v_cmp_eq_u64_e32 vcc, 0, v[44:45]
	s_cbranch_vccnz .LBB15_346
; %bb.339:                              ;   in Loop: Header=BB15_272 Depth=3
	s_trap 2
	ds_read_b64 v[46:47], v0
	s_waitcnt lgkmcnt(0)
	v_cmp_eq_u64_e32 vcc, 0, v[46:47]
	s_cbranch_vccnz .LBB15_346
; %bb.340:                              ;   in Loop: Header=BB15_272 Depth=3
	s_trap 2
	ds_read_b64 v[10:11], v0
	s_mov_b64 s[26:27], -1
	s_waitcnt lgkmcnt(0)
	v_readfirstlane_b32 s36, v10
	s_and_saveexec_b64 s[24:25], s[18:19]
	s_cbranch_execz .LBB15_342
; %bb.341:                              ;   in Loop: Header=BB15_272 Depth=3
	ds_read_b32 v2, v0 offset:720
	s_waitcnt lgkmcnt(0)
	v_and_b32_e32 v2, 15, v2
	v_cmp_eq_u32_e32 vcc, 0, v2
	s_orn2_b64 s[26:27], vcc, exec
.LBB15_342:                             ;   in Loop: Header=BB15_272 Depth=3
	s_or_b64 exec, exec, s[24:25]
	s_and_saveexec_b64 s[24:25], s[16:17]
	s_cbranch_execz .LBB15_344
; %bb.343:                              ;   in Loop: Header=BB15_272 Depth=3
	ds_read_b32 v2, v0 offset:784
	s_waitcnt lgkmcnt(0)
	v_and_b32_e32 v2, 15, v2
	v_cmp_eq_u32_e32 vcc, 0, v2
	s_and_b64 s[92:93], s[26:27], vcc
	s_andn2_b64 s[26:27], s[26:27], exec
	s_and_b64 s[92:93], s[92:93], exec
	s_or_b64 s[26:27], s[26:27], s[92:93]
.LBB15_344:                             ;   in Loop: Header=BB15_272 Depth=3
	s_or_b64 exec, exec, s[24:25]
	v_cmp_eq_u32_e32 vcc, 0, v8
	s_xor_b64 s[26:27], s[26:27], -1
	v_cndmask_b32_e64 v8, 0, 1, s[26:27]
	v_cndmask_b32_e32 v2, 0, v118, vcc
	v_lshlrev_b32_e32 v119, 1, v2
	s_mov_b64 s[24:25], -1
	v_cmp_ne_u32_e32 vcc, 0, v8
	v_mov_b32_e32 v14, 0
	s_cbranch_vccz .LBB15_351
; %bb.345:                              ;   in Loop: Header=BB15_272 Depth=3
	v_mov_b32_e32 v15, v0
	s_and_saveexec_b64 s[26:27], s[24:25]
	s_cbranch_execnz .LBB15_458
	s_branch .LBB15_502
.LBB15_346:                             ;   in Loop: Header=BB15_272 Depth=3
	s_mov_b64 s[24:25], 0
	s_and_saveexec_b64 s[26:27], s[4:5]
	s_cbranch_execnz .LBB15_503
.LBB15_347:                             ;   in Loop: Header=BB15_272 Depth=3
	s_or_b64 exec, exec, s[26:27]
                                        ; implicit-def: $vgpr2
	s_and_saveexec_b64 s[26:27], s[20:21]
	s_xor_b64 s[26:27], exec, s[26:27]
	s_cbranch_execz .LBB15_521
.LBB15_348:                             ;   in Loop: Header=BB15_272 Depth=3
	v_and_b32_e32 v8, 16, v74
	v_cmp_ne_u32_e32 vcc, 0, v8
	v_and_b32_e32 v2, 16, v74
	s_and_b64 s[92:93], vcc, s[24:25]
	s_and_saveexec_b64 s[24:25], s[92:93]
	s_cbranch_execz .LBB15_350
; %bb.349:                              ;   in Loop: Header=BB15_272 Depth=3
	v_mov_b32_e32 v2, 1
	buffer_wbl2 sc1
	s_waitcnt vmcnt(0) lgkmcnt(0)
	buffer_inv sc1
.LBB15_350:                             ;   in Loop: Header=BB15_272 Depth=3
	s_or_b64 exec, exec, s[24:25]
	s_andn2_saveexec_b64 s[24:25], s[26:27]
	s_cbranch_execz .LBB15_540
	s_branch .LBB15_522
.LBB15_351:                             ;   in Loop: Header=BB15_272 Depth=3
	v_ashrrev_i32_e32 v8, 31, v119
	v_lshrrev_b32_e32 v8, 21, v8
	v_add_u32_e32 v8, v119, v8
	v_ashrrev_i32_e32 v63, 11, v8
	v_sub_u32_e32 v41, v63, v76
	v_cmp_lt_i32_e32 vcc, 0, v41
	s_and_saveexec_b64 s[26:27], vcc
	s_cbranch_execz .LBB15_419
; %bb.352:                              ;   in Loop: Header=BB15_272 Depth=3
	s_trap 2
	ds_read_b64 v[8:9], v0
	s_and_b32 s46, s36, 1
	s_cmp_eq_u64 s[46:47], 0
	v_lshl_add_u64 v[56:57], v[44:45], 0, v[80:81]
	v_lshl_add_u64 v[58:59], v[46:47], 0, v[80:81]
	s_waitcnt lgkmcnt(0)
	v_lshl_add_u64 v[60:61], v[8:9], 0, v[80:81]
	s_mov_b64 s[92:93], 0
	s_cselect_b64 vcc, -1, 0
	s_branch .LBB15_354
.LBB15_353:                             ;   in Loop: Header=BB15_354 Depth=4
	s_or_b64 exec, exec, s[94:95]
	v_lshrrev_b32_e32 v15, 16, v20
	v_and_or_b32 v17, v17, s70, v15
	v_lshrrev_b32_e32 v15, 16, v72
	v_lshrrev_b32_e32 v12, 16, v12
	v_and_or_b32 v16, v16, s70, v15
	v_lshrrev_b32_e32 v15, 16, v21
	v_and_or_b32 v9, v9, s70, v12
	;; [unrolled: 2-line block ×4, first 2 shown]
	v_lshrrev_b32_e32 v12, 16, v13
	v_sub_u32_e32 v41, v41, v52
	v_and_or_b32 v19, v19, s70, v15
	v_and_or_b32 v10, v10, s70, v12
	v_lshrrev_b32_e32 v12, 16, v14
	v_cmp_gt_i32_e64 s[24:25], 1, v41
	v_and_or_b32 v11, v11, s70, v12
	global_store_dwordx4 v[58:59], v[16:19], off
	global_store_dwordx4 v[58:59], v[8:11], off offset:1024
	v_lshl_add_u64 v[56:57], v[56:57], 0, v[82:83]
	v_lshl_add_u64 v[60:61], v[60:61], 0, v[82:83]
	s_or_b64 s[92:93], s[24:25], s[92:93]
	v_lshl_add_u64 v[58:59], v[58:59], 0, v[82:83]
	s_andn2_b64 exec, exec, s[92:93]
	s_cbranch_execz .LBB15_418
.LBB15_354:                             ;   Parent Loop BB15_47 Depth=1
                                        ;     Parent Loop BB15_269 Depth=2
                                        ;       Parent Loop BB15_272 Depth=3
                                        ; =>      This Inner Loop Header: Depth=4
	global_load_dwordx4 v[16:19], v[56:57], off nt
	global_load_dwordx4 v[20:23], v[60:61], off nt
	global_load_dwordx4 v[8:11], v[56:57], off offset:1024 nt
	global_load_dwordx4 v[12:15], v[60:61], off offset:1024 nt
	s_waitcnt vmcnt(0)
	v_lshlrev_b32_e32 v72, 16, v16
	v_lshlrev_b32_e32 v73, 16, v20
	v_max_f32_e32 v73, v73, v73
	v_max_f32_e32 v72, v72, v72
	v_min_f32_e32 v90, v72, v73
	v_max_f32_e32 v72, v72, v73
	v_cndmask_b32_e32 v73, v72, v90, vcc
	v_and_b32_e32 v72, 0x7f800000, v73
	v_cmp_ne_u32_e64 s[24:25], s68, v72
                                        ; implicit-def: $vgpr72
	s_and_saveexec_b64 s[94:95], s[24:25]
	s_xor_b64 s[24:25], exec, s[94:95]
; %bb.355:                              ;   in Loop: Header=BB15_354 Depth=4
	v_bfe_u32 v72, v73, 16, 1
	v_add3_u32 v72, v73, v72, s69
                                        ; implicit-def: $vgpr73
; %bb.356:                              ;   in Loop: Header=BB15_354 Depth=4
	s_andn2_saveexec_b64 s[94:95], s[24:25]
; %bb.357:                              ;   in Loop: Header=BB15_354 Depth=4
	v_or_b32_e32 v72, 0x10000, v73
	v_cmp_eq_u32_sdwa s[24:25], v73, v3 src0_sel:WORD_0 src1_sel:DWORD
	s_nop 1
	v_cndmask_b32_e64 v72, v72, v73, s[24:25]
; %bb.358:                              ;   in Loop: Header=BB15_354 Depth=4
	s_or_b64 exec, exec, s[94:95]
	v_and_b32_e32 v16, 0xffff0000, v16
	v_and_b32_e32 v20, 0xffff0000, v20
	v_max_f32_e32 v20, v20, v20
	v_max_f32_e32 v16, v16, v16
	v_min_f32_e32 v73, v16, v20
	v_max_f32_e32 v16, v16, v20
	v_cndmask_b32_e32 v20, v16, v73, vcc
	v_and_b32_e32 v16, 0x7f800000, v20
	v_cmp_ne_u32_e64 s[24:25], s68, v16
                                        ; implicit-def: $vgpr16
	s_and_saveexec_b64 s[94:95], s[24:25]
	s_xor_b64 s[24:25], exec, s[94:95]
; %bb.359:                              ;   in Loop: Header=BB15_354 Depth=4
	v_bfe_u32 v16, v20, 16, 1
	v_add3_u32 v16, v20, v16, s69
                                        ; implicit-def: $vgpr20
; %bb.360:                              ;   in Loop: Header=BB15_354 Depth=4
	s_andn2_saveexec_b64 s[94:95], s[24:25]
; %bb.361:                              ;   in Loop: Header=BB15_354 Depth=4
	v_or_b32_e32 v16, 0x10000, v20
	v_cmp_eq_u32_sdwa s[24:25], v20, v3 src0_sel:WORD_0 src1_sel:DWORD
	s_nop 1
	v_cndmask_b32_e64 v16, v16, v20, s[24:25]
; %bb.362:                              ;   in Loop: Header=BB15_354 Depth=4
	s_or_b64 exec, exec, s[94:95]
	v_lshlrev_b32_e32 v20, 16, v17
	v_lshlrev_b32_e32 v73, 16, v21
	v_max_f32_e32 v73, v73, v73
	v_max_f32_e32 v20, v20, v20
	v_min_f32_e32 v90, v20, v73
	v_max_f32_e32 v20, v20, v73
	v_cndmask_b32_e32 v73, v20, v90, vcc
	v_and_b32_e32 v20, 0x7f800000, v73
	v_cmp_ne_u32_e64 s[24:25], s68, v20
                                        ; implicit-def: $vgpr20
	s_and_saveexec_b64 s[94:95], s[24:25]
	s_xor_b64 s[24:25], exec, s[94:95]
; %bb.363:                              ;   in Loop: Header=BB15_354 Depth=4
	v_bfe_u32 v20, v73, 16, 1
	v_add3_u32 v20, v73, v20, s69
                                        ; implicit-def: $vgpr73
; %bb.364:                              ;   in Loop: Header=BB15_354 Depth=4
	s_andn2_saveexec_b64 s[94:95], s[24:25]
; %bb.365:                              ;   in Loop: Header=BB15_354 Depth=4
	v_or_b32_e32 v20, 0x10000, v73
	v_cmp_eq_u32_sdwa s[24:25], v73, v3 src0_sel:WORD_0 src1_sel:DWORD
	s_nop 1
	v_cndmask_b32_e64 v20, v20, v73, s[24:25]
; %bb.366:                              ;   in Loop: Header=BB15_354 Depth=4
	s_or_b64 exec, exec, s[94:95]
	v_and_b32_e32 v17, 0xffff0000, v17
	v_and_b32_e32 v21, 0xffff0000, v21
	v_max_f32_e32 v21, v21, v21
	v_max_f32_e32 v17, v17, v17
	v_min_f32_e32 v73, v17, v21
	v_max_f32_e32 v17, v17, v21
	v_cndmask_b32_e32 v21, v17, v73, vcc
	v_and_b32_e32 v17, 0x7f800000, v21
	v_cmp_ne_u32_e64 s[24:25], s68, v17
                                        ; implicit-def: $vgpr17
	s_and_saveexec_b64 s[94:95], s[24:25]
	s_xor_b64 s[24:25], exec, s[94:95]
; %bb.367:                              ;   in Loop: Header=BB15_354 Depth=4
	v_bfe_u32 v17, v21, 16, 1
	v_add3_u32 v17, v21, v17, s69
                                        ; implicit-def: $vgpr21
; %bb.368:                              ;   in Loop: Header=BB15_354 Depth=4
	s_andn2_saveexec_b64 s[94:95], s[24:25]
; %bb.369:                              ;   in Loop: Header=BB15_354 Depth=4
	v_or_b32_e32 v17, 0x10000, v21
	v_cmp_eq_u32_sdwa s[24:25], v21, v3 src0_sel:WORD_0 src1_sel:DWORD
	s_nop 1
	v_cndmask_b32_e64 v17, v17, v21, s[24:25]
; %bb.370:                              ;   in Loop: Header=BB15_354 Depth=4
	s_or_b64 exec, exec, s[94:95]
	v_lshlrev_b32_e32 v21, 16, v18
	v_lshlrev_b32_e32 v73, 16, v22
	v_max_f32_e32 v73, v73, v73
	v_max_f32_e32 v21, v21, v21
	v_min_f32_e32 v90, v21, v73
	v_max_f32_e32 v21, v21, v73
	v_cndmask_b32_e32 v73, v21, v90, vcc
	v_and_b32_e32 v21, 0x7f800000, v73
	v_cmp_ne_u32_e64 s[24:25], s68, v21
                                        ; implicit-def: $vgpr21
	s_and_saveexec_b64 s[94:95], s[24:25]
	s_xor_b64 s[24:25], exec, s[94:95]
; %bb.371:                              ;   in Loop: Header=BB15_354 Depth=4
	v_bfe_u32 v21, v73, 16, 1
	v_add3_u32 v21, v73, v21, s69
                                        ; implicit-def: $vgpr73
; %bb.372:                              ;   in Loop: Header=BB15_354 Depth=4
	s_andn2_saveexec_b64 s[94:95], s[24:25]
; %bb.373:                              ;   in Loop: Header=BB15_354 Depth=4
	v_or_b32_e32 v21, 0x10000, v73
	v_cmp_eq_u32_sdwa s[24:25], v73, v3 src0_sel:WORD_0 src1_sel:DWORD
	s_nop 1
	v_cndmask_b32_e64 v21, v21, v73, s[24:25]
; %bb.374:                              ;   in Loop: Header=BB15_354 Depth=4
	s_or_b64 exec, exec, s[94:95]
	v_and_b32_e32 v18, 0xffff0000, v18
	v_and_b32_e32 v22, 0xffff0000, v22
	v_max_f32_e32 v22, v22, v22
	v_max_f32_e32 v18, v18, v18
	v_min_f32_e32 v73, v18, v22
	v_max_f32_e32 v18, v18, v22
	v_cndmask_b32_e32 v22, v18, v73, vcc
	v_and_b32_e32 v18, 0x7f800000, v22
	v_cmp_ne_u32_e64 s[24:25], s68, v18
                                        ; implicit-def: $vgpr18
	s_and_saveexec_b64 s[94:95], s[24:25]
	s_xor_b64 s[24:25], exec, s[94:95]
; %bb.375:                              ;   in Loop: Header=BB15_354 Depth=4
	v_bfe_u32 v18, v22, 16, 1
	v_add3_u32 v18, v22, v18, s69
                                        ; implicit-def: $vgpr22
; %bb.376:                              ;   in Loop: Header=BB15_354 Depth=4
	s_andn2_saveexec_b64 s[94:95], s[24:25]
; %bb.377:                              ;   in Loop: Header=BB15_354 Depth=4
	v_or_b32_e32 v18, 0x10000, v22
	v_cmp_eq_u32_sdwa s[24:25], v22, v3 src0_sel:WORD_0 src1_sel:DWORD
	s_nop 1
	v_cndmask_b32_e64 v18, v18, v22, s[24:25]
; %bb.378:                              ;   in Loop: Header=BB15_354 Depth=4
	s_or_b64 exec, exec, s[94:95]
	v_lshlrev_b32_e32 v22, 16, v19
	v_lshlrev_b32_e32 v73, 16, v23
	v_max_f32_e32 v73, v73, v73
	v_max_f32_e32 v22, v22, v22
	v_min_f32_e32 v90, v22, v73
	v_max_f32_e32 v22, v22, v73
	v_cndmask_b32_e32 v73, v22, v90, vcc
	v_and_b32_e32 v22, 0x7f800000, v73
	v_cmp_ne_u32_e64 s[24:25], s68, v22
                                        ; implicit-def: $vgpr22
	s_and_saveexec_b64 s[94:95], s[24:25]
	s_xor_b64 s[24:25], exec, s[94:95]
; %bb.379:                              ;   in Loop: Header=BB15_354 Depth=4
	v_bfe_u32 v22, v73, 16, 1
	v_add3_u32 v22, v73, v22, s69
                                        ; implicit-def: $vgpr73
; %bb.380:                              ;   in Loop: Header=BB15_354 Depth=4
	s_andn2_saveexec_b64 s[94:95], s[24:25]
; %bb.381:                              ;   in Loop: Header=BB15_354 Depth=4
	v_or_b32_e32 v22, 0x10000, v73
	v_cmp_eq_u32_sdwa s[24:25], v73, v3 src0_sel:WORD_0 src1_sel:DWORD
	s_nop 1
	v_cndmask_b32_e64 v22, v22, v73, s[24:25]
; %bb.382:                              ;   in Loop: Header=BB15_354 Depth=4
	s_or_b64 exec, exec, s[94:95]
	v_and_b32_e32 v19, 0xffff0000, v19
	v_and_b32_e32 v23, 0xffff0000, v23
	v_max_f32_e32 v23, v23, v23
	v_max_f32_e32 v19, v19, v19
	v_min_f32_e32 v73, v19, v23
	v_max_f32_e32 v19, v19, v23
	v_cndmask_b32_e32 v23, v19, v73, vcc
	v_and_b32_e32 v19, 0x7f800000, v23
	v_cmp_ne_u32_e64 s[24:25], s68, v19
                                        ; implicit-def: $vgpr19
	s_and_saveexec_b64 s[94:95], s[24:25]
	s_xor_b64 s[24:25], exec, s[94:95]
; %bb.383:                              ;   in Loop: Header=BB15_354 Depth=4
	v_bfe_u32 v19, v23, 16, 1
	v_add3_u32 v19, v23, v19, s69
                                        ; implicit-def: $vgpr23
; %bb.384:                              ;   in Loop: Header=BB15_354 Depth=4
	s_andn2_saveexec_b64 s[94:95], s[24:25]
; %bb.385:                              ;   in Loop: Header=BB15_354 Depth=4
	v_or_b32_e32 v19, 0x10000, v23
	v_cmp_eq_u32_sdwa s[24:25], v23, v3 src0_sel:WORD_0 src1_sel:DWORD
	s_nop 1
	v_cndmask_b32_e64 v19, v19, v23, s[24:25]
; %bb.386:                              ;   in Loop: Header=BB15_354 Depth=4
	s_or_b64 exec, exec, s[94:95]
	v_lshlrev_b32_e32 v23, 16, v8
	v_lshlrev_b32_e32 v73, 16, v12
	v_max_f32_e32 v73, v73, v73
	v_max_f32_e32 v23, v23, v23
	v_min_f32_e32 v90, v23, v73
	v_max_f32_e32 v23, v23, v73
	v_cndmask_b32_e32 v73, v23, v90, vcc
	v_and_b32_e32 v23, 0x7f800000, v73
	v_cmp_ne_u32_e64 s[24:25], s68, v23
                                        ; implicit-def: $vgpr23
	s_and_saveexec_b64 s[94:95], s[24:25]
	s_xor_b64 s[24:25], exec, s[94:95]
; %bb.387:                              ;   in Loop: Header=BB15_354 Depth=4
	v_bfe_u32 v23, v73, 16, 1
	v_add3_u32 v23, v73, v23, s69
                                        ; implicit-def: $vgpr73
; %bb.388:                              ;   in Loop: Header=BB15_354 Depth=4
	s_andn2_saveexec_b64 s[94:95], s[24:25]
; %bb.389:                              ;   in Loop: Header=BB15_354 Depth=4
	v_or_b32_e32 v23, 0x10000, v73
	v_cmp_eq_u32_sdwa s[24:25], v73, v3 src0_sel:WORD_0 src1_sel:DWORD
	s_nop 1
	v_cndmask_b32_e64 v23, v23, v73, s[24:25]
; %bb.390:                              ;   in Loop: Header=BB15_354 Depth=4
	s_or_b64 exec, exec, s[94:95]
	v_and_b32_e32 v8, 0xffff0000, v8
	v_and_b32_e32 v12, 0xffff0000, v12
	v_max_f32_e32 v12, v12, v12
	v_max_f32_e32 v8, v8, v8
	v_min_f32_e32 v73, v8, v12
	v_max_f32_e32 v8, v8, v12
	v_cndmask_b32_e32 v12, v8, v73, vcc
	v_and_b32_e32 v8, 0x7f800000, v12
	v_cmp_ne_u32_e64 s[24:25], s68, v8
                                        ; implicit-def: $vgpr8
	s_and_saveexec_b64 s[94:95], s[24:25]
	s_xor_b64 s[24:25], exec, s[94:95]
; %bb.391:                              ;   in Loop: Header=BB15_354 Depth=4
	v_bfe_u32 v8, v12, 16, 1
	v_add3_u32 v8, v12, v8, s69
                                        ; implicit-def: $vgpr12
; %bb.392:                              ;   in Loop: Header=BB15_354 Depth=4
	s_andn2_saveexec_b64 s[94:95], s[24:25]
; %bb.393:                              ;   in Loop: Header=BB15_354 Depth=4
	v_or_b32_e32 v8, 0x10000, v12
	v_cmp_eq_u32_sdwa s[24:25], v12, v3 src0_sel:WORD_0 src1_sel:DWORD
	s_nop 1
	v_cndmask_b32_e64 v8, v8, v12, s[24:25]
; %bb.394:                              ;   in Loop: Header=BB15_354 Depth=4
	s_or_b64 exec, exec, s[94:95]
	v_lshlrev_b32_e32 v12, 16, v9
	v_lshlrev_b32_e32 v73, 16, v13
	v_max_f32_e32 v73, v73, v73
	v_max_f32_e32 v12, v12, v12
	v_min_f32_e32 v90, v12, v73
	v_max_f32_e32 v12, v12, v73
	v_cndmask_b32_e32 v73, v12, v90, vcc
	v_and_b32_e32 v12, 0x7f800000, v73
	v_cmp_ne_u32_e64 s[24:25], s68, v12
                                        ; implicit-def: $vgpr12
	s_and_saveexec_b64 s[94:95], s[24:25]
	s_xor_b64 s[24:25], exec, s[94:95]
; %bb.395:                              ;   in Loop: Header=BB15_354 Depth=4
	v_bfe_u32 v12, v73, 16, 1
	v_add3_u32 v12, v73, v12, s69
                                        ; implicit-def: $vgpr73
; %bb.396:                              ;   in Loop: Header=BB15_354 Depth=4
	s_andn2_saveexec_b64 s[94:95], s[24:25]
; %bb.397:                              ;   in Loop: Header=BB15_354 Depth=4
	v_or_b32_e32 v12, 0x10000, v73
	v_cmp_eq_u32_sdwa s[24:25], v73, v3 src0_sel:WORD_0 src1_sel:DWORD
	s_nop 1
	v_cndmask_b32_e64 v12, v12, v73, s[24:25]
; %bb.398:                              ;   in Loop: Header=BB15_354 Depth=4
	s_or_b64 exec, exec, s[94:95]
	v_and_b32_e32 v9, 0xffff0000, v9
	v_and_b32_e32 v13, 0xffff0000, v13
	v_max_f32_e32 v13, v13, v13
	v_max_f32_e32 v9, v9, v9
	v_min_f32_e32 v73, v9, v13
	v_max_f32_e32 v9, v9, v13
	v_cndmask_b32_e32 v13, v9, v73, vcc
	v_and_b32_e32 v9, 0x7f800000, v13
	v_cmp_ne_u32_e64 s[24:25], s68, v9
                                        ; implicit-def: $vgpr9
	s_and_saveexec_b64 s[94:95], s[24:25]
	s_xor_b64 s[24:25], exec, s[94:95]
; %bb.399:                              ;   in Loop: Header=BB15_354 Depth=4
	v_bfe_u32 v9, v13, 16, 1
	v_add3_u32 v9, v13, v9, s69
                                        ; implicit-def: $vgpr13
; %bb.400:                              ;   in Loop: Header=BB15_354 Depth=4
	s_andn2_saveexec_b64 s[94:95], s[24:25]
; %bb.401:                              ;   in Loop: Header=BB15_354 Depth=4
	v_or_b32_e32 v9, 0x10000, v13
	v_cmp_eq_u32_sdwa s[24:25], v13, v3 src0_sel:WORD_0 src1_sel:DWORD
	s_nop 1
	v_cndmask_b32_e64 v9, v9, v13, s[24:25]
; %bb.402:                              ;   in Loop: Header=BB15_354 Depth=4
	s_or_b64 exec, exec, s[94:95]
	v_lshlrev_b32_e32 v13, 16, v10
	v_lshlrev_b32_e32 v73, 16, v14
	v_max_f32_e32 v73, v73, v73
	v_max_f32_e32 v13, v13, v13
	v_min_f32_e32 v90, v13, v73
	v_max_f32_e32 v13, v13, v73
	v_cndmask_b32_e32 v73, v13, v90, vcc
	v_and_b32_e32 v13, 0x7f800000, v73
	v_cmp_ne_u32_e64 s[24:25], s68, v13
                                        ; implicit-def: $vgpr13
	s_and_saveexec_b64 s[94:95], s[24:25]
	s_xor_b64 s[24:25], exec, s[94:95]
; %bb.403:                              ;   in Loop: Header=BB15_354 Depth=4
	v_bfe_u32 v13, v73, 16, 1
	v_add3_u32 v13, v73, v13, s69
                                        ; implicit-def: $vgpr73
; %bb.404:                              ;   in Loop: Header=BB15_354 Depth=4
	s_andn2_saveexec_b64 s[94:95], s[24:25]
; %bb.405:                              ;   in Loop: Header=BB15_354 Depth=4
	v_or_b32_e32 v13, 0x10000, v73
	v_cmp_eq_u32_sdwa s[24:25], v73, v3 src0_sel:WORD_0 src1_sel:DWORD
	s_nop 1
	v_cndmask_b32_e64 v13, v13, v73, s[24:25]
; %bb.406:                              ;   in Loop: Header=BB15_354 Depth=4
	s_or_b64 exec, exec, s[94:95]
	v_and_b32_e32 v10, 0xffff0000, v10
	v_and_b32_e32 v14, 0xffff0000, v14
	v_max_f32_e32 v14, v14, v14
	v_max_f32_e32 v10, v10, v10
	v_min_f32_e32 v73, v10, v14
	v_max_f32_e32 v10, v10, v14
	v_cndmask_b32_e32 v14, v10, v73, vcc
	v_and_b32_e32 v10, 0x7f800000, v14
	v_cmp_ne_u32_e64 s[24:25], s68, v10
                                        ; implicit-def: $vgpr10
	s_and_saveexec_b64 s[94:95], s[24:25]
	s_xor_b64 s[24:25], exec, s[94:95]
; %bb.407:                              ;   in Loop: Header=BB15_354 Depth=4
	v_bfe_u32 v10, v14, 16, 1
	v_add3_u32 v10, v14, v10, s69
                                        ; implicit-def: $vgpr14
; %bb.408:                              ;   in Loop: Header=BB15_354 Depth=4
	s_andn2_saveexec_b64 s[94:95], s[24:25]
; %bb.409:                              ;   in Loop: Header=BB15_354 Depth=4
	v_or_b32_e32 v10, 0x10000, v14
	v_cmp_eq_u32_sdwa s[24:25], v14, v3 src0_sel:WORD_0 src1_sel:DWORD
	s_nop 1
	v_cndmask_b32_e64 v10, v10, v14, s[24:25]
; %bb.410:                              ;   in Loop: Header=BB15_354 Depth=4
	s_or_b64 exec, exec, s[94:95]
	v_lshlrev_b32_e32 v14, 16, v11
	v_lshlrev_b32_e32 v73, 16, v15
	v_max_f32_e32 v73, v73, v73
	v_max_f32_e32 v14, v14, v14
	v_min_f32_e32 v90, v14, v73
	v_max_f32_e32 v14, v14, v73
	v_cndmask_b32_e32 v73, v14, v90, vcc
	v_and_b32_e32 v14, 0x7f800000, v73
	v_cmp_ne_u32_e64 s[24:25], s68, v14
                                        ; implicit-def: $vgpr14
	s_and_saveexec_b64 s[94:95], s[24:25]
	s_xor_b64 s[24:25], exec, s[94:95]
; %bb.411:                              ;   in Loop: Header=BB15_354 Depth=4
	v_bfe_u32 v14, v73, 16, 1
	v_add3_u32 v14, v73, v14, s69
                                        ; implicit-def: $vgpr73
; %bb.412:                              ;   in Loop: Header=BB15_354 Depth=4
	s_andn2_saveexec_b64 s[94:95], s[24:25]
; %bb.413:                              ;   in Loop: Header=BB15_354 Depth=4
	v_or_b32_e32 v14, 0x10000, v73
	v_cmp_eq_u32_sdwa s[24:25], v73, v3 src0_sel:WORD_0 src1_sel:DWORD
	s_nop 1
	v_cndmask_b32_e64 v14, v14, v73, s[24:25]
; %bb.414:                              ;   in Loop: Header=BB15_354 Depth=4
	s_or_b64 exec, exec, s[94:95]
	v_and_b32_e32 v11, 0xffff0000, v11
	v_and_b32_e32 v15, 0xffff0000, v15
	v_max_f32_e32 v15, v15, v15
	v_max_f32_e32 v11, v11, v11
	v_min_f32_e32 v73, v11, v15
	v_max_f32_e32 v11, v11, v15
	v_cndmask_b32_e32 v15, v11, v73, vcc
	v_and_b32_e32 v11, 0x7f800000, v15
	v_cmp_ne_u32_e64 s[24:25], s68, v11
                                        ; implicit-def: $vgpr11
	s_and_saveexec_b64 s[94:95], s[24:25]
	s_xor_b64 s[24:25], exec, s[94:95]
; %bb.415:                              ;   in Loop: Header=BB15_354 Depth=4
	v_bfe_u32 v11, v15, 16, 1
	v_add3_u32 v11, v15, v11, s69
                                        ; implicit-def: $vgpr15
; %bb.416:                              ;   in Loop: Header=BB15_354 Depth=4
	s_andn2_saveexec_b64 s[94:95], s[24:25]
	s_cbranch_execz .LBB15_353
; %bb.417:                              ;   in Loop: Header=BB15_354 Depth=4
	v_or_b32_e32 v11, 0x10000, v15
	v_cmp_eq_u32_sdwa s[24:25], v15, v3 src0_sel:WORD_0 src1_sel:DWORD
	s_nop 1
	v_cndmask_b32_e64 v11, v11, v15, s[24:25]
	s_branch .LBB15_353
.LBB15_418:                             ;   in Loop: Header=BB15_272 Depth=3
	s_or_b64 exec, exec, s[92:93]
.LBB15_419:                             ;   in Loop: Header=BB15_272 Depth=3
	s_or_b64 exec, exec, s[26:27]
	v_lshlrev_b32_e32 v22, 11, v63
	v_cmp_ne_u32_e32 vcc, v119, v22
	s_mov_b64 s[24:25], 0
	v_mov_b32_e32 v14, 0
                                        ; implicit-def: $vgpr15
	s_and_saveexec_b64 s[92:93], vcc
	s_cbranch_execz .LBB15_457
; %bb.420:                              ;   in Loop: Header=BB15_272 Depth=3
	v_lshlrev_b32_e32 v8, 6, v41
	v_sub_u32_e32 v8, v75, v8
	v_ashrrev_i32_e32 v10, 31, v8
	v_lshrrev_b32_e32 v10, 26, v10
	v_add_u32_e32 v10, v8, v10
	v_sub_u32_e32 v9, v119, v22
	v_ashrrev_i32_e32 v11, 6, v10
	v_and_b32_e32 v10, 0xffffffc0, v10
	v_sub_u32_e32 v23, v8, v10
	v_ashrrev_i32_e32 v10, 31, v9
	v_lshrrev_b32_e32 v10, 22, v10
	v_add_u32_e32 v10, v9, v10
	v_and_b32_e32 v41, 0xfffffc00, v10
	v_lshlrev_b32_e32 v8, 4, v23
	v_sub_u32_e32 v56, v9, v41
	v_lshl_add_u32 v8, v11, 10, v8
	v_ashrrev_i32_e32 v12, 10, v10
	v_cmp_lt_i32_e32 vcc, 15, v56
	v_sub_u32_e32 v58, v9, v8
	s_nop 0
	v_addc_co_u32_e64 v9, s[24:25], 0, v12, vcc
	v_sub_u32_e32 v57, v9, v11
	v_cmp_lt_i32_e64 s[24:25], 15, v58
	s_and_saveexec_b64 s[94:95], s[24:25]
	s_cbranch_execz .LBB15_456
; %bb.421:                              ;   in Loop: Header=BB15_272 Depth=3
	s_trap 2
	ds_read_b64 v[10:11], v0
	v_add_u32_e32 v8, v8, v22
	s_and_b32 s46, s36, 1
	v_ashrrev_i32_e32 v9, 31, v8
	s_cmp_eq_u64 s[46:47], 0
	v_lshl_add_u64 v[16:17], v[8:9], 0, v[44:45]
	s_waitcnt lgkmcnt(0)
	v_lshl_add_u64 v[18:19], v[10:11], 0, v[8:9]
	v_lshl_add_u64 v[20:21], v[8:9], 0, v[46:47]
	s_mov_b64 s[30:31], 0
	s_cselect_b64 s[24:25], -1, 0
	s_branch .LBB15_423
.LBB15_422:                             ;   in Loop: Header=BB15_423 Depth=4
	s_or_b64 exec, exec, s[34:35]
	v_lshrrev_b32_e32 v12, 16, v12
	v_and_or_b32 v9, v9, s70, v12
	v_lshrrev_b32_e32 v12, 16, v59
	v_and_or_b32 v8, v8, s70, v12
	;; [unrolled: 2-line block ×3, first 2 shown]
	v_lshrrev_b32_e32 v12, 16, v14
	v_sub_u32_e32 v58, v58, v68
	v_and_or_b32 v11, v11, s70, v12
	v_cmp_gt_i32_e64 s[26:27], 16, v58
	global_store_dwordx4 v[20:21], v[8:11], off
	v_lshl_add_u64 v[16:17], v[16:17], 0, v[68:69]
	v_lshl_add_u64 v[18:19], v[18:19], 0, v[68:69]
	;; [unrolled: 1-line block ×3, first 2 shown]
	s_or_b64 s[30:31], s[26:27], s[30:31]
	v_sub_u32_e32 v57, v57, v52
	s_andn2_b64 exec, exec, s[30:31]
	s_cbranch_execz .LBB15_455
.LBB15_423:                             ;   Parent Loop BB15_47 Depth=1
                                        ;     Parent Loop BB15_269 Depth=2
                                        ;       Parent Loop BB15_272 Depth=3
                                        ; =>      This Inner Loop Header: Depth=4
	global_load_dwordx4 v[8:11], v[18:19], off nt
	global_load_dwordx4 v[12:15], v[16:17], off nt
	s_waitcnt vmcnt(0)
	v_lshlrev_b32_e32 v59, 16, v8
	v_lshlrev_b32_e32 v60, 16, v12
	v_max_f32_e32 v59, v59, v59
	v_max_f32_e32 v60, v60, v60
	v_min_f32_e32 v61, v60, v59
	v_max_f32_e32 v59, v60, v59
	v_cndmask_b32_e64 v60, v59, v61, s[24:25]
	v_and_b32_e32 v59, 0x7f800000, v60
	v_cmp_ne_u32_e64 s[26:27], s68, v59
                                        ; implicit-def: $vgpr59
	s_and_saveexec_b64 s[34:35], s[26:27]
	s_xor_b64 s[26:27], exec, s[34:35]
; %bb.424:                              ;   in Loop: Header=BB15_423 Depth=4
	v_bfe_u32 v59, v60, 16, 1
	v_add3_u32 v59, v60, v59, s69
                                        ; implicit-def: $vgpr60
; %bb.425:                              ;   in Loop: Header=BB15_423 Depth=4
	s_andn2_saveexec_b64 s[34:35], s[26:27]
; %bb.426:                              ;   in Loop: Header=BB15_423 Depth=4
	v_or_b32_e32 v59, 0x10000, v60
	v_cmp_eq_u32_sdwa s[26:27], v60, v3 src0_sel:WORD_0 src1_sel:DWORD
	s_nop 1
	v_cndmask_b32_e64 v59, v59, v60, s[26:27]
; %bb.427:                              ;   in Loop: Header=BB15_423 Depth=4
	s_or_b64 exec, exec, s[34:35]
	v_and_b32_e32 v8, 0xffff0000, v8
	v_and_b32_e32 v12, 0xffff0000, v12
	v_max_f32_e32 v8, v8, v8
	v_max_f32_e32 v12, v12, v12
	v_min_f32_e32 v60, v12, v8
	v_max_f32_e32 v8, v12, v8
	v_cndmask_b32_e64 v12, v8, v60, s[24:25]
	v_and_b32_e32 v8, 0x7f800000, v12
	v_cmp_ne_u32_e64 s[26:27], s68, v8
                                        ; implicit-def: $vgpr8
	s_and_saveexec_b64 s[34:35], s[26:27]
	s_xor_b64 s[26:27], exec, s[34:35]
; %bb.428:                              ;   in Loop: Header=BB15_423 Depth=4
	v_bfe_u32 v8, v12, 16, 1
	v_add3_u32 v8, v12, v8, s69
                                        ; implicit-def: $vgpr12
; %bb.429:                              ;   in Loop: Header=BB15_423 Depth=4
	s_andn2_saveexec_b64 s[34:35], s[26:27]
; %bb.430:                              ;   in Loop: Header=BB15_423 Depth=4
	v_or_b32_e32 v8, 0x10000, v12
	v_cmp_eq_u32_sdwa s[26:27], v12, v3 src0_sel:WORD_0 src1_sel:DWORD
	s_nop 1
	v_cndmask_b32_e64 v8, v8, v12, s[26:27]
; %bb.431:                              ;   in Loop: Header=BB15_423 Depth=4
	s_or_b64 exec, exec, s[34:35]
	v_lshlrev_b32_e32 v12, 16, v9
	v_lshlrev_b32_e32 v60, 16, v13
	v_max_f32_e32 v12, v12, v12
	v_max_f32_e32 v60, v60, v60
	v_min_f32_e32 v61, v60, v12
	v_max_f32_e32 v12, v60, v12
	v_cndmask_b32_e64 v60, v12, v61, s[24:25]
	v_and_b32_e32 v12, 0x7f800000, v60
	v_cmp_ne_u32_e64 s[26:27], s68, v12
                                        ; implicit-def: $vgpr12
	s_and_saveexec_b64 s[34:35], s[26:27]
	s_xor_b64 s[26:27], exec, s[34:35]
; %bb.432:                              ;   in Loop: Header=BB15_423 Depth=4
	v_bfe_u32 v12, v60, 16, 1
	v_add3_u32 v12, v60, v12, s69
                                        ; implicit-def: $vgpr60
; %bb.433:                              ;   in Loop: Header=BB15_423 Depth=4
	s_andn2_saveexec_b64 s[34:35], s[26:27]
; %bb.434:                              ;   in Loop: Header=BB15_423 Depth=4
	v_or_b32_e32 v12, 0x10000, v60
	v_cmp_eq_u32_sdwa s[26:27], v60, v3 src0_sel:WORD_0 src1_sel:DWORD
	s_nop 1
	v_cndmask_b32_e64 v12, v12, v60, s[26:27]
; %bb.435:                              ;   in Loop: Header=BB15_423 Depth=4
	s_or_b64 exec, exec, s[34:35]
	v_and_b32_e32 v13, 0xffff0000, v13
	v_and_b32_e32 v9, 0xffff0000, v9
	v_max_f32_e32 v9, v9, v9
	v_max_f32_e32 v13, v13, v13
	v_min_f32_e32 v60, v13, v9
	v_max_f32_e32 v9, v13, v9
	v_cndmask_b32_e64 v13, v9, v60, s[24:25]
	v_and_b32_e32 v9, 0x7f800000, v13
	v_cmp_ne_u32_e64 s[26:27], s68, v9
                                        ; implicit-def: $vgpr9
	s_and_saveexec_b64 s[34:35], s[26:27]
	s_xor_b64 s[26:27], exec, s[34:35]
; %bb.436:                              ;   in Loop: Header=BB15_423 Depth=4
	v_bfe_u32 v9, v13, 16, 1
	v_add3_u32 v9, v13, v9, s69
                                        ; implicit-def: $vgpr13
; %bb.437:                              ;   in Loop: Header=BB15_423 Depth=4
	s_andn2_saveexec_b64 s[34:35], s[26:27]
; %bb.438:                              ;   in Loop: Header=BB15_423 Depth=4
	v_or_b32_e32 v9, 0x10000, v13
	v_cmp_eq_u32_sdwa s[26:27], v13, v3 src0_sel:WORD_0 src1_sel:DWORD
	s_nop 1
	v_cndmask_b32_e64 v9, v9, v13, s[26:27]
; %bb.439:                              ;   in Loop: Header=BB15_423 Depth=4
	s_or_b64 exec, exec, s[34:35]
	v_lshlrev_b32_e32 v13, 16, v10
	v_lshlrev_b32_e32 v60, 16, v14
	v_max_f32_e32 v13, v13, v13
	v_max_f32_e32 v60, v60, v60
	v_min_f32_e32 v61, v60, v13
	v_max_f32_e32 v13, v60, v13
	v_cndmask_b32_e64 v60, v13, v61, s[24:25]
	v_and_b32_e32 v13, 0x7f800000, v60
	v_cmp_ne_u32_e64 s[26:27], s68, v13
                                        ; implicit-def: $vgpr13
	s_and_saveexec_b64 s[34:35], s[26:27]
	s_xor_b64 s[26:27], exec, s[34:35]
; %bb.440:                              ;   in Loop: Header=BB15_423 Depth=4
	v_bfe_u32 v13, v60, 16, 1
	v_add3_u32 v13, v60, v13, s69
                                        ; implicit-def: $vgpr60
; %bb.441:                              ;   in Loop: Header=BB15_423 Depth=4
	s_andn2_saveexec_b64 s[34:35], s[26:27]
; %bb.442:                              ;   in Loop: Header=BB15_423 Depth=4
	v_or_b32_e32 v13, 0x10000, v60
	v_cmp_eq_u32_sdwa s[26:27], v60, v3 src0_sel:WORD_0 src1_sel:DWORD
	s_nop 1
	v_cndmask_b32_e64 v13, v13, v60, s[26:27]
; %bb.443:                              ;   in Loop: Header=BB15_423 Depth=4
	s_or_b64 exec, exec, s[34:35]
	v_and_b32_e32 v14, 0xffff0000, v14
	v_and_b32_e32 v10, 0xffff0000, v10
	v_max_f32_e32 v10, v10, v10
	v_max_f32_e32 v14, v14, v14
	v_min_f32_e32 v60, v14, v10
	v_max_f32_e32 v10, v14, v10
	v_cndmask_b32_e64 v14, v10, v60, s[24:25]
	v_and_b32_e32 v10, 0x7f800000, v14
	v_cmp_ne_u32_e64 s[26:27], s68, v10
                                        ; implicit-def: $vgpr10
	s_and_saveexec_b64 s[34:35], s[26:27]
	s_xor_b64 s[26:27], exec, s[34:35]
; %bb.444:                              ;   in Loop: Header=BB15_423 Depth=4
	v_bfe_u32 v10, v14, 16, 1
	v_add3_u32 v10, v14, v10, s69
                                        ; implicit-def: $vgpr14
; %bb.445:                              ;   in Loop: Header=BB15_423 Depth=4
	s_andn2_saveexec_b64 s[34:35], s[26:27]
; %bb.446:                              ;   in Loop: Header=BB15_423 Depth=4
	v_or_b32_e32 v10, 0x10000, v14
	v_cmp_eq_u32_sdwa s[26:27], v14, v3 src0_sel:WORD_0 src1_sel:DWORD
	s_nop 1
	v_cndmask_b32_e64 v10, v10, v14, s[26:27]
; %bb.447:                              ;   in Loop: Header=BB15_423 Depth=4
	s_or_b64 exec, exec, s[34:35]
	v_lshlrev_b32_e32 v14, 16, v11
	v_lshlrev_b32_e32 v60, 16, v15
	v_max_f32_e32 v14, v14, v14
	v_max_f32_e32 v60, v60, v60
	v_min_f32_e32 v61, v60, v14
	v_max_f32_e32 v14, v60, v14
	v_cndmask_b32_e64 v60, v14, v61, s[24:25]
	v_and_b32_e32 v14, 0x7f800000, v60
	v_cmp_ne_u32_e64 s[26:27], s68, v14
                                        ; implicit-def: $vgpr14
	s_and_saveexec_b64 s[34:35], s[26:27]
	s_xor_b64 s[26:27], exec, s[34:35]
; %bb.448:                              ;   in Loop: Header=BB15_423 Depth=4
	v_bfe_u32 v14, v60, 16, 1
	v_add3_u32 v14, v60, v14, s69
                                        ; implicit-def: $vgpr60
; %bb.449:                              ;   in Loop: Header=BB15_423 Depth=4
	s_andn2_saveexec_b64 s[34:35], s[26:27]
; %bb.450:                              ;   in Loop: Header=BB15_423 Depth=4
	v_or_b32_e32 v14, 0x10000, v60
	v_cmp_eq_u32_sdwa s[26:27], v60, v3 src0_sel:WORD_0 src1_sel:DWORD
	s_nop 1
	v_cndmask_b32_e64 v14, v14, v60, s[26:27]
; %bb.451:                              ;   in Loop: Header=BB15_423 Depth=4
	s_or_b64 exec, exec, s[34:35]
	v_and_b32_e32 v15, 0xffff0000, v15
	v_and_b32_e32 v11, 0xffff0000, v11
	v_max_f32_e32 v11, v11, v11
	v_max_f32_e32 v15, v15, v15
	v_min_f32_e32 v60, v15, v11
	v_max_f32_e32 v11, v15, v11
	v_cndmask_b32_e64 v15, v11, v60, s[24:25]
	v_and_b32_e32 v11, 0x7f800000, v15
	v_cmp_ne_u32_e64 s[26:27], s68, v11
                                        ; implicit-def: $vgpr11
	s_and_saveexec_b64 s[34:35], s[26:27]
	s_xor_b64 s[26:27], exec, s[34:35]
; %bb.452:                              ;   in Loop: Header=BB15_423 Depth=4
	v_bfe_u32 v11, v15, 16, 1
	v_add3_u32 v11, v15, v11, s69
                                        ; implicit-def: $vgpr15
; %bb.453:                              ;   in Loop: Header=BB15_423 Depth=4
	s_andn2_saveexec_b64 s[34:35], s[26:27]
	s_cbranch_execz .LBB15_422
; %bb.454:                              ;   in Loop: Header=BB15_423 Depth=4
	v_or_b32_e32 v11, 0x10000, v15
	v_cmp_eq_u32_sdwa s[26:27], v15, v3 src0_sel:WORD_0 src1_sel:DWORD
	s_nop 1
	v_cndmask_b32_e64 v11, v11, v15, s[26:27]
	s_branch .LBB15_422
.LBB15_455:                             ;   in Loop: Header=BB15_272 Depth=3
	s_or_b64 exec, exec, s[30:31]
.LBB15_456:                             ;   in Loop: Header=BB15_272 Depth=3
	s_or_b64 exec, exec, s[94:95]
	v_and_b32_e32 v8, 14, v119
	v_sub_u32_e32 v9, v56, v8
	v_cndmask_b32_e32 v9, 0, v9, vcc
	v_cndmask_b32_e32 v119, v56, v8, vcc
	v_cmp_lt_i32_e32 vcc, 0, v57
	v_add3_u32 v14, v41, v22, v9
	s_nop 0
	v_cndmask_b32_e32 v8, 0, v52, vcc
	v_sub_u32_e32 v8, v8, v57
	v_cmp_ne_u32_e32 vcc, 0, v119
	v_lshl_add_u32 v15, v8, 6, v23
	s_and_b64 s[24:25], vcc, exec
.LBB15_457:                             ;   in Loop: Header=BB15_272 Depth=3
	s_or_b64 exec, exec, s[92:93]
	s_and_saveexec_b64 s[26:27], s[24:25]
	s_cbranch_execz .LBB15_502
.LBB15_458:                             ;   in Loop: Header=BB15_272 Depth=3
	v_ashrrev_i32_e32 v8, 31, v15
	v_ashrrev_i32_e32 v9, 31, v119
	v_lshrrev_b32_e32 v8, 26, v8
	v_lshrrev_b32_e32 v9, 22, v9
	v_add_u32_e32 v8, v15, v8
	v_add_u32_e32 v9, v119, v9
	v_ashrrev_i32_e32 v16, 6, v8
	v_ashrrev_i32_e32 v18, 10, v9
	v_sub_u32_e32 v17, v18, v16
	v_cmp_lt_i32_e32 vcc, 0, v17
	s_and_saveexec_b64 s[92:93], vcc
	s_cbranch_execz .LBB15_494
; %bb.459:                              ;   in Loop: Header=BB15_272 Depth=3
	v_and_b32_e32 v8, 0x7fffffc0, v8
	s_trap 2
	ds_read_b64 v[10:11], v0
	v_sub_u32_e32 v8, v15, v8
	v_lshlrev_b32_e32 v8, 1, v8
	v_lshlrev_b32_e32 v9, 10, v16
	v_add3_u32 v12, v8, v14, v9
	s_and_b32 s46, s36, 1
	v_ashrrev_i32_e32 v13, 31, v12
	s_cmp_eq_u64 s[46:47], 0
	v_lshl_add_u64 v[20:21], v[46:47], 0, s[72:73]
	v_lshl_add_u64 v[8:9], v[12:13], 0, v[44:45]
	s_waitcnt lgkmcnt(0)
	v_lshl_add_u64 v[10:11], v[10:11], 0, v[12:13]
	s_mov_b64 s[94:95], 0
	s_cselect_b64 s[24:25], -1, 0
	v_lshl_add_u64 v[12:13], v[20:21], 0, v[12:13]
	s_branch .LBB15_461
.LBB15_460:                             ;   in Loop: Header=BB15_461 Depth=4
	s_or_b64 exec, exec, s[30:31]
	v_add_co_u32_e32 v72, vcc, 0xfffffc80, v12
	v_sub_u32_e32 v17, v17, v52
	s_nop 0
	v_addc_co_u32_e32 v73, vcc, -1, v13, vcc
	flat_store_short_d16_hi v[72:73], v19 nt
	v_add_co_u32_e32 v72, vcc, 0xfffffd00, v12
	v_lshl_add_u64 v[8:9], v[8:9], 0, v[68:69]
	s_nop 0
	v_addc_co_u32_e32 v73, vcc, -1, v13, vcc
	flat_store_short_d16_hi v[72:73], v22 nt
	v_add_co_u32_e32 v72, vcc, 0xfffffd80, v12
	v_lshl_add_u64 v[10:11], v[10:11], 0, v[68:69]
	s_nop 0
	v_addc_co_u32_e32 v73, vcc, -1, v13, vcc
	flat_store_short_d16_hi v[72:73], v56 nt
	v_add_co_u32_e32 v72, vcc, 0xfffffe00, v12
	s_nop 1
	v_addc_co_u32_e32 v73, vcc, -1, v13, vcc
	flat_store_short_d16_hi v[72:73], v58 nt
	v_add_co_u32_e32 v58, vcc, 0xfffffe80, v12
	;; [unrolled: 4-line block ×3, first 2 shown]
	s_nop 1
	v_addc_co_u32_e32 v59, vcc, -1, v13, vcc
	v_add_co_u32_e32 v56, vcc, 0xffffff80, v12
	flat_store_short_d16_hi v[58:59], v57 nt
	s_nop 0
	v_addc_co_u32_e32 v57, vcc, -1, v13, vcc
	v_cmp_gt_i32_e32 vcc, 1, v17
	flat_store_short_d16_hi v[56:57], v23 nt
	flat_store_short_d16_hi v[12:13], v20 nt
	s_or_b64 s[94:95], vcc, s[94:95]
	v_lshl_add_u64 v[12:13], v[12:13], 0, v[68:69]
	s_andn2_b64 exec, exec, s[94:95]
	s_cbranch_execz .LBB15_493
.LBB15_461:                             ;   Parent Loop BB15_47 Depth=1
                                        ;     Parent Loop BB15_269 Depth=2
                                        ;       Parent Loop BB15_272 Depth=3
                                        ; =>      This Inner Loop Header: Depth=4
	flat_load_ushort v56, v[8:9] offset:256 nt
	flat_load_ushort v58, v[8:9] offset:384 nt
	;; [unrolled: 1-line block ×6, first 2 shown]
	flat_load_ushort v19, v[8:9] nt
	flat_load_ushort v72, v[10:11] offset:256 nt
	flat_load_ushort v63, v[10:11] offset:384 nt
	;; [unrolled: 1-line block ×6, first 2 shown]
	flat_load_ushort v90, v[10:11] nt
	flat_load_ushort v22, v[8:9] offset:128 nt
	flat_load_ushort v73, v[10:11] offset:128 nt
	s_waitcnt vmcnt(0) lgkmcnt(0)
	v_lshlrev_b32_e32 v19, 16, v19
	v_max_f32_e32 v19, v19, v19
	v_lshlrev_b32_e32 v90, 16, v90
	v_max_f32_e32 v90, v90, v90
	v_min_f32_e32 v91, v19, v90
	v_max_f32_e32 v19, v19, v90
	v_cndmask_b32_e64 v90, v19, v91, s[24:25]
	v_and_b32_e32 v19, 0x7f800000, v90
	v_cmp_ne_u32_e32 vcc, s68, v19
                                        ; implicit-def: $vgpr19
	s_and_saveexec_b64 s[30:31], vcc
	s_xor_b64 vcc, exec, s[30:31]
; %bb.462:                              ;   in Loop: Header=BB15_461 Depth=4
	v_bfe_u32 v19, v90, 16, 1
	v_add3_u32 v19, v90, v19, s69
                                        ; implicit-def: $vgpr90
; %bb.463:                              ;   in Loop: Header=BB15_461 Depth=4
	s_andn2_saveexec_b64 s[30:31], vcc
; %bb.464:                              ;   in Loop: Header=BB15_461 Depth=4
	v_or_b32_e32 v19, 0x10000, v90
	v_cmp_eq_u32_sdwa vcc, v90, v3 src0_sel:WORD_0 src1_sel:DWORD
	s_nop 1
	v_cndmask_b32_e32 v19, v19, v90, vcc
; %bb.465:                              ;   in Loop: Header=BB15_461 Depth=4
	s_or_b64 exec, exec, s[30:31]
	v_lshlrev_b32_e32 v22, 16, v22
	v_lshlrev_b32_e32 v73, 16, v73
	v_max_f32_e32 v73, v73, v73
	v_max_f32_e32 v22, v22, v22
	v_min_f32_e32 v90, v22, v73
	v_max_f32_e32 v22, v22, v73
	v_cndmask_b32_e64 v73, v22, v90, s[24:25]
	v_and_b32_e32 v22, 0x7f800000, v73
	v_cmp_ne_u32_e32 vcc, s68, v22
                                        ; implicit-def: $vgpr22
	s_and_saveexec_b64 s[30:31], vcc
	s_xor_b64 vcc, exec, s[30:31]
; %bb.466:                              ;   in Loop: Header=BB15_461 Depth=4
	v_bfe_u32 v22, v73, 16, 1
	v_add3_u32 v22, v73, v22, s69
                                        ; implicit-def: $vgpr73
; %bb.467:                              ;   in Loop: Header=BB15_461 Depth=4
	s_andn2_saveexec_b64 s[30:31], vcc
; %bb.468:                              ;   in Loop: Header=BB15_461 Depth=4
	v_or_b32_e32 v22, 0x10000, v73
	v_cmp_eq_u32_sdwa vcc, v73, v3 src0_sel:WORD_0 src1_sel:DWORD
	s_nop 1
	v_cndmask_b32_e32 v22, v22, v73, vcc
; %bb.469:                              ;   in Loop: Header=BB15_461 Depth=4
	s_or_b64 exec, exec, s[30:31]
	v_lshlrev_b32_e32 v56, 16, v56
	v_lshlrev_b32_e32 v72, 16, v72
	v_max_f32_e32 v72, v72, v72
	v_max_f32_e32 v56, v56, v56
	v_min_f32_e32 v73, v56, v72
	v_max_f32_e32 v56, v56, v72
	v_cndmask_b32_e64 v72, v56, v73, s[24:25]
	v_and_b32_e32 v56, 0x7f800000, v72
	v_cmp_ne_u32_e32 vcc, s68, v56
                                        ; implicit-def: $vgpr56
	s_and_saveexec_b64 s[30:31], vcc
	s_xor_b64 vcc, exec, s[30:31]
; %bb.470:                              ;   in Loop: Header=BB15_461 Depth=4
	v_bfe_u32 v56, v72, 16, 1
	v_add3_u32 v56, v72, v56, s69
                                        ; implicit-def: $vgpr72
; %bb.471:                              ;   in Loop: Header=BB15_461 Depth=4
	s_andn2_saveexec_b64 s[30:31], vcc
; %bb.472:                              ;   in Loop: Header=BB15_461 Depth=4
	v_or_b32_e32 v56, 0x10000, v72
	v_cmp_eq_u32_sdwa vcc, v72, v3 src0_sel:WORD_0 src1_sel:DWORD
	s_nop 1
	v_cndmask_b32_e32 v56, v56, v72, vcc
; %bb.473:                              ;   in Loop: Header=BB15_461 Depth=4
	s_or_b64 exec, exec, s[30:31]
	v_lshlrev_b32_e32 v58, 16, v58
	v_lshlrev_b32_e32 v63, 16, v63
	v_max_f32_e32 v63, v63, v63
	v_max_f32_e32 v58, v58, v58
	v_min_f32_e32 v72, v58, v63
	v_max_f32_e32 v58, v58, v63
	v_cndmask_b32_e64 v63, v58, v72, s[24:25]
	v_and_b32_e32 v58, 0x7f800000, v63
	v_cmp_ne_u32_e32 vcc, s68, v58
                                        ; implicit-def: $vgpr58
	s_and_saveexec_b64 s[30:31], vcc
	s_xor_b64 vcc, exec, s[30:31]
; %bb.474:                              ;   in Loop: Header=BB15_461 Depth=4
	v_bfe_u32 v58, v63, 16, 1
	v_add3_u32 v58, v63, v58, s69
                                        ; implicit-def: $vgpr63
; %bb.475:                              ;   in Loop: Header=BB15_461 Depth=4
	s_andn2_saveexec_b64 s[30:31], vcc
; %bb.476:                              ;   in Loop: Header=BB15_461 Depth=4
	v_or_b32_e32 v58, 0x10000, v63
	v_cmp_eq_u32_sdwa vcc, v63, v3 src0_sel:WORD_0 src1_sel:DWORD
	s_nop 1
	v_cndmask_b32_e32 v58, v58, v63, vcc
; %bb.477:                              ;   in Loop: Header=BB15_461 Depth=4
	s_or_b64 exec, exec, s[30:31]
	v_lshlrev_b32_e32 v60, 16, v60
	v_lshlrev_b32_e32 v61, 16, v61
	v_max_f32_e32 v61, v61, v61
	v_max_f32_e32 v60, v60, v60
	v_min_f32_e32 v63, v60, v61
	v_max_f32_e32 v60, v60, v61
	v_cndmask_b32_e64 v61, v60, v63, s[24:25]
	v_and_b32_e32 v60, 0x7f800000, v61
	v_cmp_ne_u32_e32 vcc, s68, v60
                                        ; implicit-def: $vgpr60
	s_and_saveexec_b64 s[30:31], vcc
	s_xor_b64 vcc, exec, s[30:31]
; %bb.478:                              ;   in Loop: Header=BB15_461 Depth=4
	v_bfe_u32 v60, v61, 16, 1
	v_add3_u32 v60, v61, v60, s69
                                        ; implicit-def: $vgpr61
; %bb.479:                              ;   in Loop: Header=BB15_461 Depth=4
	s_andn2_saveexec_b64 s[30:31], vcc
; %bb.480:                              ;   in Loop: Header=BB15_461 Depth=4
	v_or_b32_e32 v60, 0x10000, v61
	v_cmp_eq_u32_sdwa vcc, v61, v3 src0_sel:WORD_0 src1_sel:DWORD
	s_nop 1
	v_cndmask_b32_e32 v60, v60, v61, vcc
; %bb.481:                              ;   in Loop: Header=BB15_461 Depth=4
	s_or_b64 exec, exec, s[30:31]
	v_lshlrev_b32_e32 v57, 16, v57
	v_lshlrev_b32_e32 v59, 16, v59
	v_max_f32_e32 v59, v59, v59
	v_max_f32_e32 v57, v57, v57
	v_min_f32_e32 v61, v57, v59
	v_max_f32_e32 v57, v57, v59
	v_cndmask_b32_e64 v59, v57, v61, s[24:25]
	v_and_b32_e32 v57, 0x7f800000, v59
	v_cmp_ne_u32_e32 vcc, s68, v57
                                        ; implicit-def: $vgpr57
	s_and_saveexec_b64 s[30:31], vcc
	s_xor_b64 vcc, exec, s[30:31]
; %bb.482:                              ;   in Loop: Header=BB15_461 Depth=4
	v_bfe_u32 v57, v59, 16, 1
	v_add3_u32 v57, v59, v57, s69
                                        ; implicit-def: $vgpr59
; %bb.483:                              ;   in Loop: Header=BB15_461 Depth=4
	s_andn2_saveexec_b64 s[30:31], vcc
; %bb.484:                              ;   in Loop: Header=BB15_461 Depth=4
	v_or_b32_e32 v57, 0x10000, v59
	v_cmp_eq_u32_sdwa vcc, v59, v3 src0_sel:WORD_0 src1_sel:DWORD
	s_nop 1
	v_cndmask_b32_e32 v57, v57, v59, vcc
; %bb.485:                              ;   in Loop: Header=BB15_461 Depth=4
	s_or_b64 exec, exec, s[30:31]
	v_lshlrev_b32_e32 v23, 16, v23
	v_lshlrev_b32_e32 v41, 16, v41
	v_max_f32_e32 v41, v41, v41
	v_max_f32_e32 v23, v23, v23
	v_min_f32_e32 v59, v23, v41
	v_max_f32_e32 v23, v23, v41
	v_cndmask_b32_e64 v41, v23, v59, s[24:25]
	v_and_b32_e32 v23, 0x7f800000, v41
	v_cmp_ne_u32_e32 vcc, s68, v23
                                        ; implicit-def: $vgpr23
	s_and_saveexec_b64 s[30:31], vcc
	s_xor_b64 vcc, exec, s[30:31]
; %bb.486:                              ;   in Loop: Header=BB15_461 Depth=4
	v_bfe_u32 v23, v41, 16, 1
	v_add3_u32 v23, v41, v23, s69
                                        ; implicit-def: $vgpr41
; %bb.487:                              ;   in Loop: Header=BB15_461 Depth=4
	s_andn2_saveexec_b64 s[30:31], vcc
; %bb.488:                              ;   in Loop: Header=BB15_461 Depth=4
	v_or_b32_e32 v23, 0x10000, v41
	v_cmp_eq_u32_sdwa vcc, v41, v3 src0_sel:WORD_0 src1_sel:DWORD
	s_nop 1
	v_cndmask_b32_e32 v23, v23, v41, vcc
; %bb.489:                              ;   in Loop: Header=BB15_461 Depth=4
	s_or_b64 exec, exec, s[30:31]
	v_lshlrev_b32_e32 v20, 16, v20
	v_lshlrev_b32_e32 v21, 16, v21
	v_max_f32_e32 v21, v21, v21
	v_max_f32_e32 v20, v20, v20
	v_min_f32_e32 v41, v20, v21
	v_max_f32_e32 v20, v20, v21
	v_cndmask_b32_e64 v21, v20, v41, s[24:25]
	v_and_b32_e32 v20, 0x7f800000, v21
	v_cmp_ne_u32_e32 vcc, s68, v20
                                        ; implicit-def: $vgpr20
	s_and_saveexec_b64 s[30:31], vcc
	s_xor_b64 vcc, exec, s[30:31]
; %bb.490:                              ;   in Loop: Header=BB15_461 Depth=4
	v_bfe_u32 v20, v21, 16, 1
	v_add3_u32 v20, v21, v20, s69
                                        ; implicit-def: $vgpr21
; %bb.491:                              ;   in Loop: Header=BB15_461 Depth=4
	s_andn2_saveexec_b64 s[30:31], vcc
	s_cbranch_execz .LBB15_460
; %bb.492:                              ;   in Loop: Header=BB15_461 Depth=4
	v_or_b32_e32 v20, 0x10000, v21
	v_cmp_eq_u32_sdwa vcc, v21, v3 src0_sel:WORD_0 src1_sel:DWORD
	s_nop 1
	v_cndmask_b32_e32 v20, v20, v21, vcc
	s_branch .LBB15_460
.LBB15_493:                             ;   in Loop: Header=BB15_272 Depth=3
	s_or_b64 exec, exec, s[94:95]
.LBB15_494:                             ;   in Loop: Header=BB15_272 Depth=3
	s_or_b64 exec, exec, s[92:93]
	v_lshlrev_b32_e32 v8, 10, v18
	v_cmp_ne_u32_e32 vcc, v119, v8
	s_and_b64 exec, exec, vcc
	s_cbranch_execz .LBB15_502
; %bb.495:                              ;   in Loop: Header=BB15_272 Depth=3
	v_lshlrev_b32_e32 v9, 6, v16
	v_sub_u32_e32 v9, v15, v9
	v_lshlrev_b32_e32 v10, 6, v17
	v_sub_u32_e32 v9, v9, v10
	v_ashrrev_i32_e32 v10, 31, v9
	v_lshrrev_b32_e32 v10, 26, v10
	v_add_u32_e32 v10, v9, v10
	v_and_b32_e32 v11, 0x7fffffc0, v10
	v_sub_u32_e32 v9, v9, v11
	v_lshlrev_b32_e32 v10, 1, v10
	v_and_b32_e32 v10, 0xffffff80, v10
	v_lshlrev_b32_e32 v9, 1, v9
	v_add3_u32 v8, v10, v9, v8
	v_sub_u32_e32 v15, v119, v8
	v_cmp_lt_i32_e32 vcc, 1, v15
	s_and_b64 exec, exec, vcc
	s_cbranch_execz .LBB15_502
; %bb.496:                              ;   in Loop: Header=BB15_272 Depth=3
	s_trap 2
	ds_read_b64 v[10:11], v0
	v_add_u32_e32 v12, v8, v14
	s_and_b32 s46, s36, 1
	v_ashrrev_i32_e32 v13, 31, v12
	s_cmp_eq_u64 s[46:47], 0
	v_lshl_add_u64 v[8:9], v[12:13], 0, v[44:45]
	s_waitcnt lgkmcnt(0)
	v_lshl_add_u64 v[10:11], v[10:11], 0, v[12:13]
	v_lshl_add_u64 v[12:13], v[12:13], 0, v[46:47]
	s_mov_b64 s[92:93], 0
	s_cselect_b64 vcc, -1, 0
	s_branch .LBB15_498
.LBB15_497:                             ;   in Loop: Header=BB15_498 Depth=4
	s_or_b64 exec, exec, s[94:95]
	v_sub_u32_e32 v15, v15, v70
	v_cmp_gt_i32_e64 s[24:25], 2, v15
	flat_store_short_d16_hi v[12:13], v16 nt
	v_lshl_add_u64 v[8:9], v[8:9], 0, v[70:71]
	v_lshl_add_u64 v[10:11], v[10:11], 0, v[70:71]
	s_or_b64 s[92:93], s[24:25], s[92:93]
	v_lshl_add_u64 v[12:13], v[12:13], 0, v[70:71]
	s_andn2_b64 exec, exec, s[92:93]
	s_cbranch_execz .LBB15_502
.LBB15_498:                             ;   Parent Loop BB15_47 Depth=1
                                        ;     Parent Loop BB15_269 Depth=2
                                        ;       Parent Loop BB15_272 Depth=3
                                        ; =>      This Inner Loop Header: Depth=4
	flat_load_ushort v14, v[10:11] nt
	flat_load_ushort v16, v[8:9] nt
	s_waitcnt vmcnt(0) lgkmcnt(0)
	v_lshlrev_b32_e32 v14, 16, v14
	v_lshlrev_b32_e32 v16, 16, v16
	v_max_f32_e32 v14, v14, v14
	v_max_f32_e32 v16, v16, v16
	v_min_f32_e32 v17, v16, v14
	v_max_f32_e32 v14, v16, v14
	v_cndmask_b32_e32 v14, v14, v17, vcc
	v_and_b32_e32 v16, 0x7f800000, v14
	v_cmp_ne_u32_e64 s[24:25], s68, v16
                                        ; implicit-def: $vgpr16
	s_and_saveexec_b64 s[94:95], s[24:25]
	s_xor_b64 s[24:25], exec, s[94:95]
; %bb.499:                              ;   in Loop: Header=BB15_498 Depth=4
	v_bfe_u32 v16, v14, 16, 1
	v_add3_u32 v16, v14, v16, s69
                                        ; implicit-def: $vgpr14
; %bb.500:                              ;   in Loop: Header=BB15_498 Depth=4
	s_andn2_saveexec_b64 s[94:95], s[24:25]
	s_cbranch_execz .LBB15_497
; %bb.501:                              ;   in Loop: Header=BB15_498 Depth=4
	v_or_b32_e32 v16, 0x10000, v14
	v_cmp_eq_u32_sdwa s[24:25], v14, v3 src0_sel:WORD_0 src1_sel:DWORD
	s_nop 1
	v_cndmask_b32_e64 v16, v16, v14, s[24:25]
	s_branch .LBB15_497
.LBB15_502:                             ;   in Loop: Header=BB15_272 Depth=3
	s_or_b64 exec, exec, s[26:27]
	v_cmp_lt_i32_e64 s[24:25], 0, v2
	s_and_saveexec_b64 s[26:27], s[4:5]
	s_cbranch_execz .LBB15_347
.LBB15_503:                             ;   in Loop: Header=BB15_272 Depth=3
	s_and_saveexec_b64 s[92:93], s[56:57]
	s_xor_b64 s[92:93], exec, s[92:93]
	s_cbranch_execz .LBB15_518
; %bb.504:                              ;   in Loop: Header=BB15_272 Depth=3
	s_and_saveexec_b64 s[94:95], s[12:13]
	s_cbranch_execz .LBB15_517
; %bb.505:                              ;   in Loop: Header=BB15_272 Depth=3
	s_mov_b64 s[34:35], exec
	v_mbcnt_lo_u32_b32 v2, s34, 0
	v_mbcnt_hi_u32_b32 v2, s35, v2
	v_cmp_eq_u32_e32 vcc, 0, v2
	s_waitcnt lgkmcnt(0)
	s_and_saveexec_b64 s[30:31], vcc
	s_cbranch_execz .LBB15_507
; %bb.506:                              ;   in Loop: Header=BB15_272 Depth=3
	s_bcnt1_i32_b64 s46, s[34:35]
	v_mov_b32_e32 v2, s46
	ds_add_u64 v0, v[2:3]
	s_trap 2
.LBB15_507:                             ;   in Loop: Header=BB15_272 Depth=3
	s_or_b64 exec, exec, s[30:31]
	s_trap 2
	ds_read_b64 v[8:9], v0
	s_waitcnt lgkmcnt(0)
	v_lshl_add_u64 v[38:39], v[38:39], 0, v[52:53]
	v_cmp_lt_u64_e32 vcc, v[8:9], v[38:39]
	s_and_saveexec_b64 s[30:31], vcc
	s_cbranch_execz .LBB15_516
; %bb.508:                              ;   in Loop: Header=BB15_272 Depth=3
	s_mov_b32 s46, 0
	s_mov_b64 s[34:35], 0
                                        ; implicit-def: $sgpr36_sgpr37
                                        ; implicit-def: $sgpr38_sgpr39
	s_branch .LBB15_510
.LBB15_509:                             ;   in Loop: Header=BB15_510 Depth=4
	s_or_b64 exec, exec, s[50:51]
	s_and_b64 vcc, exec, vcc
	s_or_b64 s[34:35], vcc, s[34:35]
	s_andn2_b64 vcc, s[36:37], exec
	s_and_b64 s[36:37], s[38:39], exec
	s_or_b64 s[36:37], vcc, s[36:37]
	s_andn2_b64 exec, exec, s[34:35]
	s_cbranch_execz .LBB15_514
.LBB15_510:                             ;   Parent Loop BB15_47 Depth=1
                                        ;     Parent Loop BB15_269 Depth=2
                                        ;       Parent Loop BB15_272 Depth=3
                                        ; =>      This Inner Loop Header: Depth=4
	s_add_i32 s46, s46, 1
	s_cmpk_lg_i32 s46, 0x2710
	s_cselect_b64 s[48:49], -1, 0
	s_and_b64 vcc, exec, s[48:49]
	s_cbranch_vccz .LBB15_512
; %bb.511:                              ;   in Loop: Header=BB15_510 Depth=4
	s_mov_b64 vcc, -1
	s_or_b64 s[38:39], s[38:39], exec
	s_and_saveexec_b64 s[50:51], s[48:49]
	s_cbranch_execz .LBB15_509
	s_branch .LBB15_513
.LBB15_512:                             ;   in Loop: Header=BB15_510 Depth=4
	s_trap 2
	ds_read_b64 v[8:9], v0
	s_andn2_b64 s[48:49], s[48:49], exec
	s_mov_b32 s46, 0
	s_waitcnt vmcnt(0) lgkmcnt(0)
	flat_load_dword v2, v[8:9] sc0 sc1
	s_waitcnt vmcnt(0) lgkmcnt(0)
	buffer_inv sc0 sc1
	v_cmp_eq_u32_e32 vcc, 0, v2
	s_and_b64 vcc, vcc, exec
	s_or_b64 s[48:49], s[48:49], vcc
	s_mov_b64 vcc, -1
	s_or_b64 s[38:39], s[38:39], exec
	s_and_saveexec_b64 s[50:51], s[48:49]
	s_cbranch_execz .LBB15_509
.LBB15_513:                             ;   in Loop: Header=BB15_510 Depth=4
	s_sleep 1
	s_trap 2
	ds_read_b64 v[8:9], v0
	s_waitcnt lgkmcnt(0)
	s_andn2_b64 s[38:39], s[38:39], exec
	v_cmp_ge_u64_e32 vcc, v[8:9], v[38:39]
	s_orn2_b64 vcc, vcc, exec
	s_branch .LBB15_509
.LBB15_514:                             ;   in Loop: Header=BB15_272 Depth=3
	s_or_b64 exec, exec, s[34:35]
	s_and_saveexec_b64 vcc, s[36:37]
	s_xor_b64 vcc, exec, vcc
	s_cbranch_execz .LBB15_516
; %bb.515:                              ;   in Loop: Header=BB15_272 Depth=3
	ds_write_b32 v0, v77
	s_trap 2
.LBB15_516:                             ;   in Loop: Header=BB15_272 Depth=3
	s_or_b64 exec, exec, s[30:31]
	;;#ASMSTART
	s_wakeup
	;;#ASMEND
.LBB15_517:                             ;   in Loop: Header=BB15_272 Depth=3
	s_or_b64 exec, exec, s[94:95]
.LBB15_518:                             ;   in Loop: Header=BB15_272 Depth=3
	s_andn2_saveexec_b64 s[92:93], s[92:93]
	s_cbranch_execz .LBB15_520
; %bb.519:                              ;   in Loop: Header=BB15_272 Depth=3
	s_waitcnt lgkmcnt(0)
	s_barrier
.LBB15_520:                             ;   in Loop: Header=BB15_272 Depth=3
	s_or_b64 exec, exec, s[92:93]
	s_or_b64 exec, exec, s[26:27]
                                        ; implicit-def: $vgpr2
	s_and_saveexec_b64 s[26:27], s[20:21]
	s_xor_b64 s[26:27], exec, s[26:27]
	s_cbranch_execnz .LBB15_348
.LBB15_521:                             ;   in Loop: Header=BB15_272 Depth=3
	s_andn2_saveexec_b64 s[24:25], s[26:27]
	s_cbranch_execz .LBB15_540
.LBB15_522:                             ;   in Loop: Header=BB15_272 Depth=3
	s_and_saveexec_b64 s[26:27], s[56:57]
	s_xor_b64 s[26:27], exec, s[26:27]
	s_cbranch_execz .LBB15_537
; %bb.523:                              ;   in Loop: Header=BB15_272 Depth=3
	s_and_saveexec_b64 s[92:93], s[12:13]
	s_cbranch_execz .LBB15_536
; %bb.524:                              ;   in Loop: Header=BB15_272 Depth=3
	s_mov_b64 s[30:31], exec
	v_mbcnt_lo_u32_b32 v2, s30, 0
	v_mbcnt_hi_u32_b32 v2, s31, v2
	v_cmp_eq_u32_e32 vcc, 0, v2
	;;#ASMSTART
	s_waitcnt lgkmcnt(0) vmcnt(0)
	;;#ASMEND
	s_and_saveexec_b64 s[94:95], vcc
	s_cbranch_execz .LBB15_526
; %bb.525:                              ;   in Loop: Header=BB15_272 Depth=3
	s_bcnt1_i32_b64 s46, s[30:31]
	v_mov_b32_e32 v2, s46
	s_waitcnt lgkmcnt(0)
	ds_add_u64 v0, v[2:3]
	s_trap 2
.LBB15_526:                             ;   in Loop: Header=BB15_272 Depth=3
	s_or_b64 exec, exec, s[94:95]
	s_trap 2
	ds_read_b64 v[8:9], v0
	s_waitcnt lgkmcnt(0)
	v_lshl_add_u64 v[38:39], v[38:39], 0, v[52:53]
	v_cmp_lt_u64_e32 vcc, v[8:9], v[38:39]
	s_and_saveexec_b64 s[94:95], vcc
	s_cbranch_execz .LBB15_535
; %bb.527:                              ;   in Loop: Header=BB15_272 Depth=3
	s_mov_b32 s46, 0
	s_mov_b64 s[30:31], 0
                                        ; implicit-def: $sgpr34_sgpr35
                                        ; implicit-def: $sgpr36_sgpr37
	s_branch .LBB15_529
.LBB15_528:                             ;   in Loop: Header=BB15_529 Depth=4
	s_or_b64 exec, exec, s[48:49]
	s_and_b64 vcc, exec, vcc
	s_or_b64 s[30:31], vcc, s[30:31]
	s_andn2_b64 vcc, s[34:35], exec
	s_and_b64 s[34:35], s[36:37], exec
	s_or_b64 s[34:35], vcc, s[34:35]
	s_andn2_b64 exec, exec, s[30:31]
	s_cbranch_execz .LBB15_533
.LBB15_529:                             ;   Parent Loop BB15_47 Depth=1
                                        ;     Parent Loop BB15_269 Depth=2
                                        ;       Parent Loop BB15_272 Depth=3
                                        ; =>      This Inner Loop Header: Depth=4
	s_add_i32 s46, s46, 1
	s_cmpk_lg_i32 s46, 0x2710
	s_cselect_b64 s[38:39], -1, 0
	s_and_b64 vcc, exec, s[38:39]
	s_cbranch_vccz .LBB15_531
; %bb.530:                              ;   in Loop: Header=BB15_529 Depth=4
	s_mov_b64 vcc, -1
	s_or_b64 s[36:37], s[36:37], exec
	s_and_saveexec_b64 s[48:49], s[38:39]
	s_cbranch_execz .LBB15_528
	s_branch .LBB15_532
.LBB15_531:                             ;   in Loop: Header=BB15_529 Depth=4
	s_trap 2
	ds_read_b64 v[8:9], v0
	s_andn2_b64 s[38:39], s[38:39], exec
	s_mov_b32 s46, 0
	s_waitcnt vmcnt(0) lgkmcnt(0)
	flat_load_dword v2, v[8:9] sc0 sc1
	s_waitcnt vmcnt(0) lgkmcnt(0)
	buffer_inv sc0 sc1
	v_cmp_eq_u32_e32 vcc, 0, v2
	s_and_b64 vcc, vcc, exec
	s_or_b64 s[38:39], s[38:39], vcc
	s_mov_b64 vcc, -1
	s_or_b64 s[36:37], s[36:37], exec
	s_and_saveexec_b64 s[48:49], s[38:39]
	s_cbranch_execz .LBB15_528
.LBB15_532:                             ;   in Loop: Header=BB15_529 Depth=4
	s_sleep 1
	s_trap 2
	ds_read_b64 v[8:9], v0
	s_waitcnt lgkmcnt(0)
	s_andn2_b64 s[36:37], s[36:37], exec
	v_cmp_ge_u64_e32 vcc, v[8:9], v[38:39]
	s_orn2_b64 vcc, vcc, exec
	s_branch .LBB15_528
.LBB15_533:                             ;   in Loop: Header=BB15_272 Depth=3
	s_or_b64 exec, exec, s[30:31]
	s_and_saveexec_b64 vcc, s[34:35]
	s_xor_b64 vcc, exec, vcc
	s_cbranch_execz .LBB15_535
; %bb.534:                              ;   in Loop: Header=BB15_272 Depth=3
	ds_write_b32 v0, v77
	s_trap 2
.LBB15_535:                             ;   in Loop: Header=BB15_272 Depth=3
	s_or_b64 exec, exec, s[94:95]
	;;#ASMSTART
	s_wakeup
	;;#ASMEND
.LBB15_536:                             ;   in Loop: Header=BB15_272 Depth=3
	s_or_b64 exec, exec, s[92:93]
.LBB15_537:                             ;   in Loop: Header=BB15_272 Depth=3
	s_andn2_saveexec_b64 s[26:27], s[26:27]
	s_cbranch_execz .LBB15_539
; %bb.538:                              ;   in Loop: Header=BB15_272 Depth=3
	;;#ASMSTART
	s_waitcnt lgkmcnt(0) vmcnt(0)
	;;#ASMEND
	s_barrier
.LBB15_539:                             ;   in Loop: Header=BB15_272 Depth=3
	s_or_b64 exec, exec, s[26:27]
	v_and_b32_e32 v2, 16, v74
.LBB15_540:                             ;   in Loop: Header=BB15_272 Depth=3
	s_or_b64 exec, exec, s[24:25]
	v_cmp_ne_u32_e32 vcc, 0, v2
	s_xor_b64 s[24:25], s[6:7], -1
	s_and_b64 s[26:27], vcc, s[24:25]
	s_and_saveexec_b64 s[24:25], s[26:27]
	s_cbranch_execz .LBB15_542
; %bb.541:                              ;   in Loop: Header=BB15_272 Depth=3
	flat_store_dword v[36:37], v77 sc0 sc1
.LBB15_542:                             ;   in Loop: Header=BB15_272 Depth=3
	s_or_b64 exec, exec, s[24:25]
	v_and_b32_e32 v2, 48, v74
	v_cmp_ne_u32_e32 vcc, 0, v2
	s_and_saveexec_b64 s[24:25], vcc
	s_cbranch_execz .LBB15_271
; %bb.543:                              ;   in Loop: Header=BB15_272 Depth=3
	v_lshl_add_u64 v[112:113], v[112:113], 0, 2
	flat_store_dwordx2 v[32:33], v[112:113] sc0 sc1
	s_branch .LBB15_271
.LBB15_544:                             ;   in Loop: Header=BB15_269 Depth=2
	s_or_b64 exec, exec, s[40:41]
.LBB15_545:                             ;   in Loop: Header=BB15_269 Depth=2
	s_or_b64 exec, exec, s[28:29]
	v_cmp_gt_i32_e32 vcc, 2, v2
	s_and_saveexec_b64 s[26:27], vcc
	s_cbranch_execz .LBB15_268
; %bb.546:                              ;   in Loop: Header=BB15_269 Depth=2
	v_cmp_eq_u32_e64 s[40:41], 0, v2
	s_mov_b64 s[28:29], 0
	s_branch .LBB15_548
.LBB15_547:                             ;   in Loop: Header=BB15_548 Depth=3
	s_or_b64 exec, exec, s[24:25]
	v_add_u32_e32 v40, v118, v40
	s_mov_b64 s[40:41], 0
	s_andn2_b64 exec, exec, s[28:29]
	s_cbranch_execz .LBB15_267
.LBB15_548:                             ;   Parent Loop BB15_47 Depth=1
                                        ;     Parent Loop BB15_269 Depth=2
                                        ; =>    This Loop Header: Depth=3
                                        ;         Child Loop BB15_554 Depth 4
                                        ;         Child Loop BB15_582 Depth 4
	;; [unrolled: 1-line block ×3, first 2 shown]
	v_sub_u32_e32 v2, v62, v40
	v_min_i32_e32 v118, v118, v2
	v_and_b32_e32 v2, 12, v74
	v_cmp_ne_u32_e32 vcc, 0, v2
	s_and_saveexec_b64 s[90:91], vcc
	s_cbranch_execz .LBB15_574
; %bb.549:                              ;   in Loop: Header=BB15_548 Depth=3
	v_and_b32_e32 v2, 8, v74
	s_waitcnt vmcnt(0) lgkmcnt(0)
	v_lshl_add_u64 v[10:11], v[48:49], 0, v[2:3]
	v_lshl_add_u64 v[8:9], v[112:113], 0, 2
	v_cmp_lt_u64_e32 vcc, v[10:11], v[8:9]
	s_and_saveexec_b64 s[92:93], vcc
	s_cbranch_execz .LBB15_561
; %bb.550:                              ;   in Loop: Header=BB15_548 Depth=3
	v_and_b32_e32 v10, 64, v74
	s_mov_b32 s46, 0
	v_cmp_eq_u32_e32 vcc, 0, v10
	s_mov_b64 s[94:95], 0
                                        ; implicit-def: $sgpr30_sgpr31
                                        ; implicit-def: $sgpr34_sgpr35
                                        ; implicit-def: $sgpr36_sgpr37
	s_branch .LBB15_554
.LBB15_551:                             ;   in Loop: Header=BB15_554 Depth=4
	s_waitcnt vmcnt(0) lgkmcnt(0)
	v_lshl_add_u64 v[12:13], v[48:49], 0, v[2:3]
	v_cmp_ge_u64_e64 s[24:25], v[12:13], v[8:9]
	s_or_b64 s[50:51], s[50:51], exec
	s_orn2_b64 s[48:49], s[24:25], exec
.LBB15_552:                             ;   in Loop: Header=BB15_554 Depth=4
	s_or_b64 exec, exec, s[54:55]
	s_andn2_b64 s[24:25], s[36:37], exec
	s_and_b64 s[36:37], s[50:51], exec
	s_or_b64 s[36:37], s[24:25], s[36:37]
	s_andn2_b64 s[24:25], s[34:35], exec
	s_and_b64 s[34:35], s[48:49], exec
	s_or_b64 s[34:35], s[24:25], s[34:35]
.LBB15_553:                             ;   in Loop: Header=BB15_554 Depth=4
	s_or_b64 exec, exec, s[38:39]
	s_and_b64 s[24:25], exec, s[34:35]
	s_or_b64 s[94:95], s[24:25], s[94:95]
	s_andn2_b64 s[24:25], s[30:31], exec
	s_and_b64 s[30:31], s[36:37], exec
	s_or_b64 s[30:31], s[24:25], s[30:31]
	s_andn2_b64 exec, exec, s[94:95]
	s_cbranch_execz .LBB15_558
.LBB15_554:                             ;   Parent Loop BB15_47 Depth=1
                                        ;     Parent Loop BB15_269 Depth=2
                                        ;       Parent Loop BB15_548 Depth=3
                                        ; =>      This Inner Loop Header: Depth=4
	s_sleep 1
	s_waitcnt vmcnt(0) lgkmcnt(0)
	flat_load_dwordx2 v[48:49], v[32:33] sc0 sc1
	s_or_b64 s[36:37], s[36:37], exec
	s_or_b64 s[34:35], s[34:35], exec
                                        ; implicit-def: $vgpr10
	s_and_saveexec_b64 s[38:39], vcc
	s_cbranch_execz .LBB15_553
; %bb.555:                              ;   in Loop: Header=BB15_554 Depth=4
	s_cmpk_lt_i32 s46, 0x270f
	s_cselect_b64 s[52:53], -1, 0
	s_cmpk_gt_i32 s46, 0x270e
	s_mov_b64 s[48:49], -1
	s_cbranch_scc0 .LBB15_557
; %bb.556:                              ;   in Loop: Header=BB15_554 Depth=4
	s_trap 2
	ds_read_b64 v[10:11], v0
	s_andn2_b64 s[52:53], s[52:53], exec
	s_mov_b32 s46, 0
	s_mov_b64 s[50:51], 0
	s_waitcnt vmcnt(0) lgkmcnt(0)
	flat_load_dword v10, v[10:11] sc0 sc1
	s_waitcnt vmcnt(0) lgkmcnt(0)
	buffer_inv sc0 sc1
	v_cmp_eq_u32_e64 s[24:25], 0, v10
	s_and_b64 s[24:25], s[24:25], exec
	s_or_b64 s[52:53], s[52:53], s[24:25]
	s_and_saveexec_b64 s[54:55], s[52:53]
	s_cbranch_execz .LBB15_552
	s_branch .LBB15_551
.LBB15_557:                             ;   in Loop: Header=BB15_554 Depth=4
	s_add_i32 s46, s46, 1
	s_mov_b64 s[50:51], -1
                                        ; implicit-def: $vgpr10
	s_and_saveexec_b64 s[54:55], s[52:53]
	s_cbranch_execz .LBB15_552
	s_branch .LBB15_551
.LBB15_558:                             ;   in Loop: Header=BB15_548 Depth=3
	s_or_b64 exec, exec, s[94:95]
	s_xor_b64 s[24:25], s[30:31], -1
	s_and_saveexec_b64 s[94:95], s[24:25]
	s_xor_b64 s[24:25], exec, s[94:95]
	s_cbranch_execz .LBB15_560
; %bb.559:                              ;   in Loop: Header=BB15_548 Depth=3
	v_or_b32_e32 v74, 64, v74
	s_waitcnt lgkmcnt(0)
	ds_write_b32 v0, v10
	s_trap 2
.LBB15_560:                             ;   in Loop: Header=BB15_548 Depth=3
	s_or_b64 exec, exec, s[24:25]
.LBB15_561:                             ;   in Loop: Header=BB15_548 Depth=3
	s_or_b64 exec, exec, s[92:93]
	v_and_b32_e32 v10, 0x108, v74
	v_cmp_ne_u32_e32 vcc, s67, v10
	;;#ASMSTART
	s_wakeup
	;;#ASMEND
                                        ; implicit-def: $vgpr10_vgpr11
	s_and_saveexec_b64 s[24:25], vcc
	s_xor_b64 s[24:25], exec, s[24:25]
; %bb.562:                              ;   in Loop: Header=BB15_548 Depth=3
	v_and_b32_e32 v10, 7, v112
	v_mov_b32_e32 v11, v3
                                        ; implicit-def: $vgpr112_vgpr113
; %bb.563:                              ;   in Loop: Header=BB15_548 Depth=3
	s_andn2_saveexec_b64 s[24:25], s[24:25]
	s_cbranch_execz .LBB15_565
; %bb.564:                              ;   in Loop: Header=BB15_548 Depth=3
	v_and_b32_e32 v10, 7, v112
	v_ashrrev_i32_e32 v119, 31, v118
	v_mov_b32_e32 v11, v3
	v_mad_u64_u32 v[12:13], s[92:93], v10, 24, v[6:7]
	v_lshlrev_b64 v[14:15], 1, v[118:119]
	flat_store_dwordx2 v[12:13], v[14:15] offset:8
.LBB15_565:                             ;   in Loop: Header=BB15_548 Depth=3
	s_or_b64 exec, exec, s[24:25]
	v_and_b32_e32 v12, 0x100, v74
	v_cmp_ne_u32_e32 vcc, 0, v12
	s_mov_b64 s[24:25], -1
                                        ; implicit-def: $vgpr12_vgpr13
	s_and_saveexec_b64 s[92:93], vcc
	s_cbranch_execz .LBB15_569
; %bb.566:                              ;   in Loop: Header=BB15_548 Depth=3
	v_mad_u64_u32 v[14:15], s[24:25], v10, 24, v[6:7]
	v_mov_b32_e32 v12, v15
	v_mad_u64_u32 v[12:13], s[24:25], v11, 24, v[12:13]
	v_mov_b32_e32 v15, v12
	flat_load_dword v12, v[14:15]
	s_waitcnt vmcnt(0) lgkmcnt(0)
	v_cmp_ne_u32_e32 vcc, 1, v12
	v_cmp_eq_u32_e64 s[24:25], 1, v12
                                        ; implicit-def: $vgpr12_vgpr13
	s_and_saveexec_b64 s[94:95], s[24:25]
	s_cbranch_execz .LBB15_568
; %bb.567:                              ;   in Loop: Header=BB15_548 Depth=3
	flat_load_dword v12, v[14:15] offset:4 sc0 sc1
	s_waitcnt vmcnt(0) lgkmcnt(0)
	v_ashrrev_i32_e32 v13, 31, v12
	v_lshrrev_b64 v[12:13], 1, v[12:13]
.LBB15_568:                             ;   in Loop: Header=BB15_548 Depth=3
	s_or_b64 exec, exec, s[94:95]
	s_orn2_b64 s[24:25], vcc, exec
.LBB15_569:                             ;   in Loop: Header=BB15_548 Depth=3
	s_or_b64 exec, exec, s[92:93]
	s_and_saveexec_b64 s[92:93], s[24:25]
; %bb.570:                              ;   in Loop: Header=BB15_548 Depth=3
	v_mul_lo_u32 v11, v11, v30
	v_mul_lo_u32 v14, v10, v51
	v_mad_u64_u32 v[12:13], s[24:25], v10, v30, 0
	v_add3_u32 v13, v13, v14, v11
; %bb.571:                              ;   in Loop: Header=BB15_548 Depth=3
	s_or_b64 exec, exec, s[92:93]
	v_cmp_eq_u32_e32 vcc, 0, v2
	v_lshl_add_u64 v[10:11], v[12:13], 1, v[34:35]
	s_nop 0
	v_cndmask_b32_e32 v2, v78, v79, vcc
	v_add_u32_e32 v2, v0, v2
	ds_write_b64 v2, v[10:11] offset:584
	v_and_b32_e32 v2, 0x2000, v74
	v_cmp_ne_u32_e32 vcc, 0, v2
	s_and_saveexec_b64 s[24:25], vcc
	s_cbranch_execz .LBB15_573
; %bb.572:                              ;   in Loop: Header=BB15_548 Depth=3
	ds_read_b64 v[10:11], v0 offset:872
	s_waitcnt lgkmcnt(0)
	v_lshl_add_u64 v[10:11], v[10:11], 0, 1
	ds_write_b64 v0, v[10:11] offset:872
.LBB15_573:                             ;   in Loop: Header=BB15_548 Depth=3
	s_or_b64 exec, exec, s[24:25]
	v_mov_b64_e32 v[112:113], v[8:9]
.LBB15_574:                             ;   in Loop: Header=BB15_548 Depth=3
	s_or_b64 exec, exec, s[90:91]
	s_xor_b64 s[24:25], s[40:41], -1
	s_and_b64 s[24:25], exec, s[24:25]
	s_or_b64 s[28:29], s[24:25], s[28:29]
	s_and_saveexec_b64 s[24:25], s[4:5]
	s_cbranch_execz .LBB15_593
; %bb.575:                              ;   in Loop: Header=BB15_548 Depth=3
	s_and_saveexec_b64 s[40:41], s[56:57]
	s_xor_b64 s[40:41], exec, s[40:41]
	s_cbranch_execz .LBB15_590
; %bb.576:                              ;   in Loop: Header=BB15_548 Depth=3
	s_and_saveexec_b64 s[90:91], s[12:13]
	s_cbranch_execz .LBB15_589
; %bb.577:                              ;   in Loop: Header=BB15_548 Depth=3
	s_mov_b64 s[94:95], exec
	v_mbcnt_lo_u32_b32 v2, s94, 0
	v_mbcnt_hi_u32_b32 v2, s95, v2
	v_cmp_eq_u32_e32 vcc, 0, v2
	s_waitcnt lgkmcnt(0)
	s_and_saveexec_b64 s[92:93], vcc
	s_cbranch_execz .LBB15_579
; %bb.578:                              ;   in Loop: Header=BB15_548 Depth=3
	s_bcnt1_i32_b64 s46, s[94:95]
	v_mov_b32_e32 v2, s46
	ds_add_u64 v0, v[2:3]
	s_trap 2
.LBB15_579:                             ;   in Loop: Header=BB15_548 Depth=3
	s_or_b64 exec, exec, s[92:93]
	s_trap 2
	ds_read_b64 v[8:9], v0
	s_waitcnt lgkmcnt(0)
	v_lshl_add_u64 v[38:39], v[38:39], 0, v[52:53]
	v_cmp_lt_u64_e32 vcc, v[8:9], v[38:39]
	s_and_saveexec_b64 s[92:93], vcc
	s_cbranch_execz .LBB15_588
; %bb.580:                              ;   in Loop: Header=BB15_548 Depth=3
	s_mov_b32 s46, 0
	s_mov_b64 s[94:95], 0
                                        ; implicit-def: $sgpr30_sgpr31
                                        ; implicit-def: $sgpr34_sgpr35
	s_branch .LBB15_582
.LBB15_581:                             ;   in Loop: Header=BB15_582 Depth=4
	s_or_b64 exec, exec, s[38:39]
	s_and_b64 vcc, exec, vcc
	s_or_b64 s[94:95], vcc, s[94:95]
	s_andn2_b64 vcc, s[30:31], exec
	s_and_b64 s[30:31], s[34:35], exec
	s_or_b64 s[30:31], vcc, s[30:31]
	s_andn2_b64 exec, exec, s[94:95]
	s_cbranch_execz .LBB15_586
.LBB15_582:                             ;   Parent Loop BB15_47 Depth=1
                                        ;     Parent Loop BB15_269 Depth=2
                                        ;       Parent Loop BB15_548 Depth=3
                                        ; =>      This Inner Loop Header: Depth=4
	s_add_i32 s46, s46, 1
	s_cmpk_lg_i32 s46, 0x2710
	s_cselect_b64 s[36:37], -1, 0
	s_and_b64 vcc, exec, s[36:37]
	s_cbranch_vccz .LBB15_584
; %bb.583:                              ;   in Loop: Header=BB15_582 Depth=4
	s_mov_b64 vcc, -1
	s_or_b64 s[34:35], s[34:35], exec
	s_and_saveexec_b64 s[38:39], s[36:37]
	s_cbranch_execz .LBB15_581
	s_branch .LBB15_585
.LBB15_584:                             ;   in Loop: Header=BB15_582 Depth=4
	s_trap 2
	ds_read_b64 v[8:9], v0
	s_andn2_b64 s[36:37], s[36:37], exec
	s_mov_b32 s46, 0
	s_waitcnt vmcnt(0) lgkmcnt(0)
	flat_load_dword v2, v[8:9] sc0 sc1
	s_waitcnt vmcnt(0) lgkmcnt(0)
	buffer_inv sc0 sc1
	v_cmp_eq_u32_e32 vcc, 0, v2
	s_and_b64 vcc, vcc, exec
	s_or_b64 s[36:37], s[36:37], vcc
	s_mov_b64 vcc, -1
	s_or_b64 s[34:35], s[34:35], exec
	s_and_saveexec_b64 s[38:39], s[36:37]
	s_cbranch_execz .LBB15_581
.LBB15_585:                             ;   in Loop: Header=BB15_582 Depth=4
	s_sleep 1
	s_trap 2
	ds_read_b64 v[8:9], v0
	s_waitcnt lgkmcnt(0)
	s_andn2_b64 s[34:35], s[34:35], exec
	v_cmp_ge_u64_e32 vcc, v[8:9], v[38:39]
	s_orn2_b64 vcc, vcc, exec
	s_branch .LBB15_581
.LBB15_586:                             ;   in Loop: Header=BB15_548 Depth=3
	s_or_b64 exec, exec, s[94:95]
	s_and_saveexec_b64 s[94:95], s[30:31]
	s_xor_b64 s[94:95], exec, s[94:95]
	s_cbranch_execz .LBB15_588
; %bb.587:                              ;   in Loop: Header=BB15_548 Depth=3
	ds_write_b32 v0, v77
	s_trap 2
.LBB15_588:                             ;   in Loop: Header=BB15_548 Depth=3
	s_or_b64 exec, exec, s[92:93]
	;;#ASMSTART
	s_wakeup
	;;#ASMEND
.LBB15_589:                             ;   in Loop: Header=BB15_548 Depth=3
	s_or_b64 exec, exec, s[90:91]
.LBB15_590:                             ;   in Loop: Header=BB15_548 Depth=3
	s_andn2_saveexec_b64 s[40:41], s[40:41]
	s_cbranch_execz .LBB15_592
; %bb.591:                              ;   in Loop: Header=BB15_548 Depth=3
	s_waitcnt lgkmcnt(0)
	s_barrier
.LBB15_592:                             ;   in Loop: Header=BB15_548 Depth=3
	s_or_b64 exec, exec, s[40:41]
.LBB15_593:                             ;   in Loop: Header=BB15_548 Depth=3
	s_or_b64 exec, exec, s[24:25]
                                        ; implicit-def: $vgpr2
	s_and_saveexec_b64 s[24:25], s[78:79]
	s_xor_b64 s[24:25], exec, s[24:25]
	s_cbranch_execz .LBB15_605
; %bb.594:                              ;   in Loop: Header=BB15_548 Depth=3
	s_and_saveexec_b64 s[40:41], s[56:57]
	s_xor_b64 s[40:41], exec, s[40:41]
	s_cbranch_execz .LBB15_610
; %bb.595:                              ;   in Loop: Header=BB15_548 Depth=3
	s_and_saveexec_b64 s[90:91], s[12:13]
	s_cbranch_execz .LBB15_609
; %bb.596:                              ;   in Loop: Header=BB15_548 Depth=3
	s_mov_b64 s[94:95], exec
	v_mbcnt_lo_u32_b32 v2, s94, 0
	v_mbcnt_hi_u32_b32 v2, s95, v2
	v_cmp_eq_u32_e32 vcc, 0, v2
	;;#ASMSTART
	s_waitcnt lgkmcnt(0) vmcnt(0)
	;;#ASMEND
	s_and_saveexec_b64 s[92:93], vcc
	s_cbranch_execz .LBB15_598
; %bb.597:                              ;   in Loop: Header=BB15_548 Depth=3
	s_bcnt1_i32_b64 s46, s[94:95]
	v_mov_b32_e32 v2, s46
	s_waitcnt lgkmcnt(0)
	ds_add_u64 v0, v[2:3]
	s_trap 2
.LBB15_598:                             ;   in Loop: Header=BB15_548 Depth=3
	s_or_b64 exec, exec, s[92:93]
	s_trap 2
	ds_read_b64 v[8:9], v0
	s_waitcnt lgkmcnt(0)
	v_lshl_add_u64 v[38:39], v[38:39], 0, v[52:53]
	v_cmp_lt_u64_e32 vcc, v[8:9], v[38:39]
	s_and_saveexec_b64 s[92:93], vcc
	s_cbranch_execz .LBB15_608
; %bb.599:                              ;   in Loop: Header=BB15_548 Depth=3
	s_mov_b32 s46, 0
	s_mov_b64 s[94:95], 0
                                        ; implicit-def: $sgpr30_sgpr31
                                        ; implicit-def: $sgpr34_sgpr35
	s_branch .LBB15_601
.LBB15_600:                             ;   in Loop: Header=BB15_601 Depth=4
	s_or_b64 exec, exec, s[38:39]
	s_and_b64 vcc, exec, vcc
	s_or_b64 s[94:95], vcc, s[94:95]
	s_andn2_b64 vcc, s[30:31], exec
	s_and_b64 s[30:31], s[34:35], exec
	s_or_b64 s[30:31], vcc, s[30:31]
	s_andn2_b64 exec, exec, s[94:95]
	s_cbranch_execz .LBB15_606
.LBB15_601:                             ;   Parent Loop BB15_47 Depth=1
                                        ;     Parent Loop BB15_269 Depth=2
                                        ;       Parent Loop BB15_548 Depth=3
                                        ; =>      This Inner Loop Header: Depth=4
	s_add_i32 s46, s46, 1
	s_cmpk_lg_i32 s46, 0x2710
	s_cselect_b64 s[36:37], -1, 0
	s_and_b64 vcc, exec, s[36:37]
	s_cbranch_vccz .LBB15_603
; %bb.602:                              ;   in Loop: Header=BB15_601 Depth=4
	s_mov_b64 vcc, -1
	s_or_b64 s[34:35], s[34:35], exec
	s_and_saveexec_b64 s[38:39], s[36:37]
	s_cbranch_execz .LBB15_600
	s_branch .LBB15_604
.LBB15_603:                             ;   in Loop: Header=BB15_601 Depth=4
	s_trap 2
	ds_read_b64 v[8:9], v0
	s_andn2_b64 s[36:37], s[36:37], exec
	s_mov_b32 s46, 0
	s_waitcnt vmcnt(0) lgkmcnt(0)
	flat_load_dword v2, v[8:9] sc0 sc1
	s_waitcnt vmcnt(0) lgkmcnt(0)
	buffer_inv sc0 sc1
	v_cmp_eq_u32_e32 vcc, 0, v2
	s_and_b64 vcc, vcc, exec
	s_or_b64 s[36:37], s[36:37], vcc
	s_mov_b64 vcc, -1
	s_or_b64 s[34:35], s[34:35], exec
	s_and_saveexec_b64 s[38:39], s[36:37]
	s_cbranch_execz .LBB15_600
.LBB15_604:                             ;   in Loop: Header=BB15_601 Depth=4
	s_sleep 1
	s_trap 2
	ds_read_b64 v[8:9], v0
	s_waitcnt lgkmcnt(0)
	s_andn2_b64 s[34:35], s[34:35], exec
	v_cmp_ge_u64_e32 vcc, v[8:9], v[38:39]
	s_orn2_b64 vcc, vcc, exec
	s_branch .LBB15_600
.LBB15_605:                             ;   in Loop: Header=BB15_548 Depth=3
	s_andn2_saveexec_b64 s[24:25], s[24:25]
	s_cbranch_execnz .LBB15_613
	s_branch .LBB15_616
.LBB15_606:                             ;   in Loop: Header=BB15_548 Depth=3
	s_or_b64 exec, exec, s[94:95]
	s_and_saveexec_b64 s[94:95], s[30:31]
	s_xor_b64 s[94:95], exec, s[94:95]
	s_cbranch_execz .LBB15_608
; %bb.607:                              ;   in Loop: Header=BB15_548 Depth=3
	ds_write_b32 v0, v77
	s_trap 2
.LBB15_608:                             ;   in Loop: Header=BB15_548 Depth=3
	s_or_b64 exec, exec, s[92:93]
	;;#ASMSTART
	s_wakeup
	;;#ASMEND
.LBB15_609:                             ;   in Loop: Header=BB15_548 Depth=3
	s_or_b64 exec, exec, s[90:91]
.LBB15_610:                             ;   in Loop: Header=BB15_548 Depth=3
	s_andn2_saveexec_b64 s[40:41], s[40:41]
	s_cbranch_execz .LBB15_612
; %bb.611:                              ;   in Loop: Header=BB15_548 Depth=3
	;;#ASMSTART
	s_waitcnt lgkmcnt(0) vmcnt(0)
	;;#ASMEND
	s_barrier
.LBB15_612:                             ;   in Loop: Header=BB15_548 Depth=3
	s_or_b64 exec, exec, s[40:41]
	v_and_b32_e32 v2, 16, v74
	s_andn2_saveexec_b64 s[24:25], s[24:25]
	s_cbranch_execz .LBB15_616
.LBB15_613:                             ;   in Loop: Header=BB15_548 Depth=3
	s_trap 2
	ds_read_b32 v8, v0
	v_cmp_lt_i32_e32 vcc, 0, v118
	v_and_b32_e32 v9, 16, v74
	v_and_b32_e32 v2, 16, v74
	s_waitcnt lgkmcnt(0)
	v_readfirstlane_b32 s40, v8
	s_cmp_eq_u32 s40, 0
	s_cselect_b64 s[40:41], -1, 0
	s_and_b64 s[40:41], vcc, s[40:41]
	v_cmp_ne_u32_e32 vcc, 0, v9
	s_and_b64 s[90:91], vcc, s[40:41]
	s_and_saveexec_b64 s[40:41], s[90:91]
	s_cbranch_execz .LBB15_615
; %bb.614:                              ;   in Loop: Header=BB15_548 Depth=3
	v_mov_b32_e32 v2, 1
	buffer_wbl2 sc1
	s_waitcnt vmcnt(0)
	buffer_inv sc1
.LBB15_615:                             ;   in Loop: Header=BB15_548 Depth=3
	s_or_b64 exec, exec, s[40:41]
.LBB15_616:                             ;   in Loop: Header=BB15_548 Depth=3
	s_or_b64 exec, exec, s[24:25]
	v_cmp_ne_u32_e32 vcc, 0, v2
	s_xor_b64 s[24:25], s[6:7], -1
	s_and_b64 s[40:41], vcc, s[24:25]
	s_and_saveexec_b64 s[24:25], s[40:41]
	s_cbranch_execz .LBB15_618
; %bb.617:                              ;   in Loop: Header=BB15_548 Depth=3
	flat_store_dword v[36:37], v77 sc0 sc1
.LBB15_618:                             ;   in Loop: Header=BB15_548 Depth=3
	s_or_b64 exec, exec, s[24:25]
	v_and_b32_e32 v2, 48, v74
	v_cmp_ne_u32_e32 vcc, 0, v2
	s_and_saveexec_b64 s[24:25], vcc
	s_cbranch_execz .LBB15_547
; %bb.619:                              ;   in Loop: Header=BB15_548 Depth=3
	v_lshl_add_u64 v[112:113], v[112:113], 0, 2
	flat_store_dwordx2 v[32:33], v[112:113] sc0 sc1
	s_branch .LBB15_547
.LBB15_620:                             ;   in Loop: Header=BB15_47 Depth=1
	v_mul_lo_u32 v2, v103, s64
	v_mul_lo_u32 v10, v102, s65
	v_mad_u64_u32 v[8:9], s[24:25], v102, s64, 0
	v_add3_u32 v9, v9, v10, v2
	v_sub_co_u32_e32 v10, vcc, v114, v8
	v_mov_b32_e32 v2, 0
	s_nop 0
	v_subb_co_u32_e32 v11, vcc, v115, v9, vcc
	v_cmp_lt_i64_e32 vcc, v[102:103], v[10:11]
	v_mov_b32_e32 v40, 0
	s_nop 0
	v_cndmask_b32_e32 v10, v10, v102, vcc
	v_max_i32_e32 v90, 0, v10
	v_add_u32_e32 v11, 31, v90
	v_ashrrev_i32_e32 v12, 31, v11
	v_lshrrev_b32_e32 v12, 27, v12
	v_add_u32_e32 v11, v11, v12
	v_ashrrev_i32_e32 v11, 5, v11
	v_lshlrev_b32_e32 v11, 4, v11
	v_cmp_lt_i32_e32 vcc, 0, v10
	v_max_i32_e32 v118, s82, v11
	s_and_b64 s[24:25], s[88:89], vcc
	s_and_saveexec_b64 s[90:91], s[24:25]
	s_cbranch_execz .LBB15_1060
; %bb.621:                              ;   in Loop: Header=BB15_47 Depth=1
	v_lshl_add_u64 v[8:9], v[8:9], 0, v[116:117]
	s_mov_b32 s86, 1
	s_mov_b64 s[94:95], -1
	v_mov_b32_e32 v40, 0
	s_mov_b64 s[92:93], 0
	v_lshlrev_b64 v[42:43], 1, v[8:9]
	s_branch .LBB15_623
.LBB15_622:                             ;   in Loop: Header=BB15_623 Depth=2
	s_or_b64 exec, exec, s[24:25]
	v_add_u32_e32 v40, v118, v40
	v_cmp_ge_i32_e32 vcc, v40, v90
	s_xor_b64 s[24:25], s[94:95], -1
	s_or_b64 s[24:25], s[24:25], vcc
	s_and_b64 s[24:25], exec, s[24:25]
	s_or_b64 s[92:93], s[24:25], s[92:93]
	s_mov_b64 s[94:95], 0
	v_mov_b32_e32 v2, s86
	s_mov_b32 s86, 2
	s_andn2_b64 exec, exec, s[92:93]
	s_cbranch_execz .LBB15_1135
.LBB15_623:                             ;   Parent Loop BB15_47 Depth=1
                                        ; =>  This Loop Header: Depth=2
                                        ;       Child Loop BB15_631 Depth 3
                                        ;       Child Loop BB15_659 Depth 3
	;; [unrolled: 1-line block ×9, first 2 shown]
                                        ;         Child Loop BB15_809 Depth 4
                                        ;       Child Loop BB15_817 Depth 3
                                        ;       Child Loop BB15_853 Depth 3
                                        ;         Child Loop BB15_858 Depth 4
                                        ;       Child Loop BB15_1026 Depth 3
                                        ;       Child Loop BB15_1045 Depth 3
	s_and_saveexec_b64 s[24:25], s[0:1]
	s_cbranch_execz .LBB15_625
; %bb.624:                              ;   in Loop: Header=BB15_623 Depth=2
	s_trap 2
	ds_read2_b64 v[8:11], v0 offset1:1
	ds_read_b64 v[12:13], v0
	v_ashrrev_i32_e32 v41, 31, v40
	v_lshlrev_b64 v[14:15], 1, v[40:41]
	s_waitcnt lgkmcnt(0)
	v_lshl_add_u64 v[8:9], v[8:9], 0, v[42:43]
	v_lshl_add_u64 v[8:9], v[8:9], 0, v[14:15]
	ds_write_b64 v0, v[8:9]
	v_lshl_add_u64 v[8:9], v[10:11], 0, v[42:43]
	v_lshl_add_u64 v[8:9], v[8:9], 0, v[14:15]
	ds_write_b64 v0, v[8:9]
	v_lshl_add_u64 v[8:9], v[12:13], 0, v[42:43]
	v_lshl_add_u64 v[8:9], v[8:9], 0, v[14:15]
	v_cmp_ne_u64_e32 vcc, 0, v[12:13]
	s_nop 1
	v_cndmask_b32_e32 v9, 0, v9, vcc
	v_cndmask_b32_e32 v8, 0, v8, vcc
	ds_write_b64 v0, v[8:9]
.LBB15_625:                             ;   in Loop: Header=BB15_623 Depth=2
	s_or_b64 exec, exec, s[24:25]
	v_sub_u32_e32 v2, v90, v40
	v_min_i32_e32 v118, v118, v2
	v_and_b32_e32 v2, 12, v74
	v_cmp_ne_u32_e32 vcc, 0, v2
	s_and_saveexec_b64 s[26:27], vcc
	s_cbranch_execz .LBB15_651
; %bb.626:                              ;   in Loop: Header=BB15_623 Depth=2
	v_and_b32_e32 v2, 8, v74
	s_waitcnt vmcnt(0) lgkmcnt(0)
	v_lshl_add_u64 v[10:11], v[48:49], 0, v[2:3]
	v_lshl_add_u64 v[8:9], v[112:113], 0, 2
	v_cmp_lt_u64_e32 vcc, v[10:11], v[8:9]
	s_and_saveexec_b64 s[28:29], vcc
	s_cbranch_execz .LBB15_638
; %bb.627:                              ;   in Loop: Header=BB15_623 Depth=2
	v_and_b32_e32 v10, 64, v74
	s_mov_b32 s46, 0
	v_cmp_eq_u32_e32 vcc, 0, v10
	s_mov_b64 s[40:41], 0
                                        ; implicit-def: $sgpr30_sgpr31
                                        ; implicit-def: $sgpr34_sgpr35
                                        ; implicit-def: $sgpr36_sgpr37
	s_branch .LBB15_631
.LBB15_628:                             ;   in Loop: Header=BB15_631 Depth=3
	s_waitcnt vmcnt(0) lgkmcnt(0)
	v_lshl_add_u64 v[12:13], v[48:49], 0, v[2:3]
	v_cmp_ge_u64_e64 s[24:25], v[12:13], v[8:9]
	s_or_b64 s[50:51], s[50:51], exec
	s_orn2_b64 s[48:49], s[24:25], exec
.LBB15_629:                             ;   in Loop: Header=BB15_631 Depth=3
	s_or_b64 exec, exec, s[54:55]
	s_andn2_b64 s[24:25], s[36:37], exec
	s_and_b64 s[36:37], s[50:51], exec
	s_or_b64 s[36:37], s[24:25], s[36:37]
	s_andn2_b64 s[24:25], s[34:35], exec
	s_and_b64 s[34:35], s[48:49], exec
	s_or_b64 s[34:35], s[24:25], s[34:35]
.LBB15_630:                             ;   in Loop: Header=BB15_631 Depth=3
	s_or_b64 exec, exec, s[38:39]
	s_and_b64 s[24:25], exec, s[34:35]
	s_or_b64 s[40:41], s[24:25], s[40:41]
	s_andn2_b64 s[24:25], s[30:31], exec
	s_and_b64 s[30:31], s[36:37], exec
	s_or_b64 s[30:31], s[24:25], s[30:31]
	s_andn2_b64 exec, exec, s[40:41]
	s_cbranch_execz .LBB15_635
.LBB15_631:                             ;   Parent Loop BB15_47 Depth=1
                                        ;     Parent Loop BB15_623 Depth=2
                                        ; =>    This Inner Loop Header: Depth=3
	s_sleep 1
	s_waitcnt vmcnt(0) lgkmcnt(0)
	flat_load_dwordx2 v[48:49], v[32:33] sc0 sc1
	s_or_b64 s[36:37], s[36:37], exec
	s_or_b64 s[34:35], s[34:35], exec
                                        ; implicit-def: $vgpr10
	s_and_saveexec_b64 s[38:39], vcc
	s_cbranch_execz .LBB15_630
; %bb.632:                              ;   in Loop: Header=BB15_631 Depth=3
	s_cmpk_lt_i32 s46, 0x270f
	s_cselect_b64 s[52:53], -1, 0
	s_cmpk_gt_i32 s46, 0x270e
	s_mov_b64 s[48:49], -1
	s_cbranch_scc0 .LBB15_634
; %bb.633:                              ;   in Loop: Header=BB15_631 Depth=3
	s_trap 2
	ds_read_b64 v[10:11], v0
	s_andn2_b64 s[52:53], s[52:53], exec
	s_mov_b32 s46, 0
	s_mov_b64 s[50:51], 0
	s_waitcnt vmcnt(0) lgkmcnt(0)
	flat_load_dword v10, v[10:11] sc0 sc1
	s_waitcnt vmcnt(0) lgkmcnt(0)
	buffer_inv sc0 sc1
	v_cmp_eq_u32_e64 s[24:25], 0, v10
	s_and_b64 s[24:25], s[24:25], exec
	s_or_b64 s[52:53], s[52:53], s[24:25]
	s_and_saveexec_b64 s[54:55], s[52:53]
	s_cbranch_execz .LBB15_629
	s_branch .LBB15_628
.LBB15_634:                             ;   in Loop: Header=BB15_631 Depth=3
	s_add_i32 s46, s46, 1
	s_mov_b64 s[50:51], -1
                                        ; implicit-def: $vgpr10
	s_and_saveexec_b64 s[54:55], s[52:53]
	s_cbranch_execz .LBB15_629
	s_branch .LBB15_628
.LBB15_635:                             ;   in Loop: Header=BB15_623 Depth=2
	s_or_b64 exec, exec, s[40:41]
	s_xor_b64 s[24:25], s[30:31], -1
	s_and_saveexec_b64 s[40:41], s[24:25]
	s_xor_b64 s[24:25], exec, s[40:41]
	s_cbranch_execz .LBB15_637
; %bb.636:                              ;   in Loop: Header=BB15_623 Depth=2
	v_or_b32_e32 v74, 64, v74
	s_waitcnt lgkmcnt(0)
	ds_write_b32 v0, v10
	s_trap 2
.LBB15_637:                             ;   in Loop: Header=BB15_623 Depth=2
	s_or_b64 exec, exec, s[24:25]
.LBB15_638:                             ;   in Loop: Header=BB15_623 Depth=2
	s_or_b64 exec, exec, s[28:29]
	v_and_b32_e32 v10, 0x108, v74
	v_cmp_ne_u32_e32 vcc, s67, v10
	;;#ASMSTART
	s_wakeup
	;;#ASMEND
                                        ; implicit-def: $vgpr10_vgpr11
	s_and_saveexec_b64 s[24:25], vcc
	s_xor_b64 s[24:25], exec, s[24:25]
; %bb.639:                              ;   in Loop: Header=BB15_623 Depth=2
	v_and_b32_e32 v10, 7, v112
	v_mov_b32_e32 v11, v3
                                        ; implicit-def: $vgpr112_vgpr113
; %bb.640:                              ;   in Loop: Header=BB15_623 Depth=2
	s_andn2_saveexec_b64 s[24:25], s[24:25]
	s_cbranch_execz .LBB15_642
; %bb.641:                              ;   in Loop: Header=BB15_623 Depth=2
	v_and_b32_e32 v10, 7, v112
	v_ashrrev_i32_e32 v119, 31, v118
	v_mov_b32_e32 v11, v3
	v_mad_u64_u32 v[12:13], s[28:29], v10, 24, v[6:7]
	v_lshlrev_b64 v[14:15], 1, v[118:119]
	flat_store_dwordx2 v[12:13], v[14:15] offset:8
.LBB15_642:                             ;   in Loop: Header=BB15_623 Depth=2
	s_or_b64 exec, exec, s[24:25]
	v_and_b32_e32 v12, 0x100, v74
	v_cmp_ne_u32_e32 vcc, 0, v12
	s_mov_b64 s[24:25], -1
                                        ; implicit-def: $vgpr12_vgpr13
	s_and_saveexec_b64 s[28:29], vcc
	s_cbranch_execz .LBB15_646
; %bb.643:                              ;   in Loop: Header=BB15_623 Depth=2
	v_mad_u64_u32 v[14:15], s[24:25], v10, 24, v[6:7]
	v_mov_b32_e32 v12, v15
	v_mad_u64_u32 v[12:13], s[24:25], v11, 24, v[12:13]
	v_mov_b32_e32 v15, v12
	flat_load_dword v12, v[14:15]
	s_waitcnt vmcnt(0) lgkmcnt(0)
	v_cmp_ne_u32_e32 vcc, 1, v12
	v_cmp_eq_u32_e64 s[24:25], 1, v12
                                        ; implicit-def: $vgpr12_vgpr13
	s_and_saveexec_b64 s[40:41], s[24:25]
	s_cbranch_execz .LBB15_645
; %bb.644:                              ;   in Loop: Header=BB15_623 Depth=2
	flat_load_dword v12, v[14:15] offset:4 sc0 sc1
	s_waitcnt vmcnt(0) lgkmcnt(0)
	v_ashrrev_i32_e32 v13, 31, v12
	v_lshrrev_b64 v[12:13], 1, v[12:13]
.LBB15_645:                             ;   in Loop: Header=BB15_623 Depth=2
	s_or_b64 exec, exec, s[40:41]
	s_orn2_b64 s[24:25], vcc, exec
.LBB15_646:                             ;   in Loop: Header=BB15_623 Depth=2
	s_or_b64 exec, exec, s[28:29]
	s_and_saveexec_b64 s[28:29], s[24:25]
; %bb.647:                              ;   in Loop: Header=BB15_623 Depth=2
	v_mul_lo_u32 v11, v11, v30
	v_mul_lo_u32 v14, v10, v51
	v_mad_u64_u32 v[12:13], s[24:25], v10, v30, 0
	v_add3_u32 v13, v13, v14, v11
; %bb.648:                              ;   in Loop: Header=BB15_623 Depth=2
	s_or_b64 exec, exec, s[28:29]
	v_cmp_eq_u32_e32 vcc, 0, v2
	v_lshl_add_u64 v[10:11], v[12:13], 1, v[34:35]
	s_nop 0
	v_cndmask_b32_e32 v2, v88, v79, vcc
	v_add_u32_e32 v2, v0, v2
	ds_write_b64 v2, v[10:11] offset:584
	v_and_b32_e32 v2, 0x2000, v74
	v_cmp_ne_u32_e32 vcc, 0, v2
	s_and_saveexec_b64 s[24:25], vcc
	s_cbranch_execz .LBB15_650
; %bb.649:                              ;   in Loop: Header=BB15_623 Depth=2
	ds_read_b64 v[10:11], v0 offset:872
	s_waitcnt lgkmcnt(0)
	v_lshl_add_u64 v[10:11], v[10:11], 0, 1
	ds_write_b64 v0, v[10:11] offset:872
.LBB15_650:                             ;   in Loop: Header=BB15_623 Depth=2
	s_or_b64 exec, exec, s[24:25]
	v_mov_b64_e32 v[112:113], v[8:9]
.LBB15_651:                             ;   in Loop: Header=BB15_623 Depth=2
	s_or_b64 exec, exec, s[26:27]
	s_and_saveexec_b64 s[24:25], s[4:5]
	s_cbranch_execz .LBB15_670
; %bb.652:                              ;   in Loop: Header=BB15_623 Depth=2
	s_and_saveexec_b64 s[26:27], s[56:57]
	s_xor_b64 s[26:27], exec, s[26:27]
	s_cbranch_execz .LBB15_667
; %bb.653:                              ;   in Loop: Header=BB15_623 Depth=2
	s_and_saveexec_b64 s[28:29], s[12:13]
	s_cbranch_execz .LBB15_666
; %bb.654:                              ;   in Loop: Header=BB15_623 Depth=2
	s_mov_b64 s[30:31], exec
	v_mbcnt_lo_u32_b32 v2, s30, 0
	v_mbcnt_hi_u32_b32 v2, s31, v2
	v_cmp_eq_u32_e32 vcc, 0, v2
	s_waitcnt lgkmcnt(0)
	s_and_saveexec_b64 s[40:41], vcc
	s_cbranch_execz .LBB15_656
; %bb.655:                              ;   in Loop: Header=BB15_623 Depth=2
	s_bcnt1_i32_b64 s46, s[30:31]
	v_mov_b32_e32 v2, s46
	ds_add_u64 v0, v[2:3]
	s_trap 2
.LBB15_656:                             ;   in Loop: Header=BB15_623 Depth=2
	s_or_b64 exec, exec, s[40:41]
	s_trap 2
	ds_read_b64 v[8:9], v0
	s_waitcnt lgkmcnt(0)
	v_lshl_add_u64 v[38:39], v[38:39], 0, v[52:53]
	v_cmp_lt_u64_e32 vcc, v[8:9], v[38:39]
	s_and_saveexec_b64 s[40:41], vcc
	s_cbranch_execz .LBB15_665
; %bb.657:                              ;   in Loop: Header=BB15_623 Depth=2
	s_mov_b32 s46, 0
	s_mov_b64 s[30:31], 0
                                        ; implicit-def: $sgpr34_sgpr35
                                        ; implicit-def: $sgpr36_sgpr37
	s_branch .LBB15_659
.LBB15_658:                             ;   in Loop: Header=BB15_659 Depth=3
	s_or_b64 exec, exec, s[48:49]
	s_and_b64 vcc, exec, vcc
	s_or_b64 s[30:31], vcc, s[30:31]
	s_andn2_b64 vcc, s[34:35], exec
	s_and_b64 s[34:35], s[36:37], exec
	s_or_b64 s[34:35], vcc, s[34:35]
	s_andn2_b64 exec, exec, s[30:31]
	s_cbranch_execz .LBB15_663
.LBB15_659:                             ;   Parent Loop BB15_47 Depth=1
                                        ;     Parent Loop BB15_623 Depth=2
                                        ; =>    This Inner Loop Header: Depth=3
	s_add_i32 s46, s46, 1
	s_cmpk_lg_i32 s46, 0x2710
	s_cselect_b64 s[38:39], -1, 0
	s_and_b64 vcc, exec, s[38:39]
	s_cbranch_vccz .LBB15_661
; %bb.660:                              ;   in Loop: Header=BB15_659 Depth=3
	s_mov_b64 vcc, -1
	s_or_b64 s[36:37], s[36:37], exec
	s_and_saveexec_b64 s[48:49], s[38:39]
	s_cbranch_execz .LBB15_658
	s_branch .LBB15_662
.LBB15_661:                             ;   in Loop: Header=BB15_659 Depth=3
	s_trap 2
	ds_read_b64 v[8:9], v0
	s_andn2_b64 s[38:39], s[38:39], exec
	s_mov_b32 s46, 0
	s_waitcnt vmcnt(0) lgkmcnt(0)
	flat_load_dword v2, v[8:9] sc0 sc1
	s_waitcnt vmcnt(0) lgkmcnt(0)
	buffer_inv sc0 sc1
	v_cmp_eq_u32_e32 vcc, 0, v2
	s_and_b64 vcc, vcc, exec
	s_or_b64 s[38:39], s[38:39], vcc
	s_mov_b64 vcc, -1
	s_or_b64 s[36:37], s[36:37], exec
	s_and_saveexec_b64 s[48:49], s[38:39]
	s_cbranch_execz .LBB15_658
.LBB15_662:                             ;   in Loop: Header=BB15_659 Depth=3
	s_sleep 1
	s_trap 2
	ds_read_b64 v[8:9], v0
	s_waitcnt lgkmcnt(0)
	s_andn2_b64 s[36:37], s[36:37], exec
	v_cmp_ge_u64_e32 vcc, v[8:9], v[38:39]
	s_orn2_b64 vcc, vcc, exec
	s_branch .LBB15_658
.LBB15_663:                             ;   in Loop: Header=BB15_623 Depth=2
	s_or_b64 exec, exec, s[30:31]
	s_and_saveexec_b64 vcc, s[34:35]
	s_xor_b64 vcc, exec, vcc
	s_cbranch_execz .LBB15_665
; %bb.664:                              ;   in Loop: Header=BB15_623 Depth=2
	ds_write_b32 v0, v77
	s_trap 2
.LBB15_665:                             ;   in Loop: Header=BB15_623 Depth=2
	s_or_b64 exec, exec, s[40:41]
	;;#ASMSTART
	s_wakeup
	;;#ASMEND
.LBB15_666:                             ;   in Loop: Header=BB15_623 Depth=2
	s_or_b64 exec, exec, s[28:29]
.LBB15_667:                             ;   in Loop: Header=BB15_623 Depth=2
	s_andn2_saveexec_b64 s[26:27], s[26:27]
	s_cbranch_execz .LBB15_669
; %bb.668:                              ;   in Loop: Header=BB15_623 Depth=2
	s_waitcnt lgkmcnt(0)
	s_barrier
.LBB15_669:                             ;   in Loop: Header=BB15_623 Depth=2
	s_or_b64 exec, exec, s[26:27]
.LBB15_670:                             ;   in Loop: Header=BB15_623 Depth=2
	s_or_b64 exec, exec, s[24:25]
	s_trap 2
	ds_read_b32 v8, v0
	v_and_b32_e32 v2, 0x4000, v74
	v_cmp_ne_u32_e32 vcc, 0, v2
	s_xor_b64 s[24:25], s[2:3], -1
	s_and_b64 s[26:27], s[24:25], vcc
	s_and_saveexec_b64 s[24:25], s[26:27]
	s_cbranch_execz .LBB15_689
; %bb.671:                              ;   in Loop: Header=BB15_623 Depth=2
	s_and_saveexec_b64 s[26:27], s[56:57]
	s_xor_b64 s[26:27], exec, s[26:27]
	s_cbranch_execz .LBB15_686
; %bb.672:                              ;   in Loop: Header=BB15_623 Depth=2
	s_and_saveexec_b64 s[28:29], s[12:13]
	s_cbranch_execz .LBB15_685
; %bb.673:                              ;   in Loop: Header=BB15_623 Depth=2
	s_mov_b64 s[30:31], exec
	v_mbcnt_lo_u32_b32 v2, s30, 0
	v_mbcnt_hi_u32_b32 v2, s31, v2
	v_cmp_eq_u32_e32 vcc, 0, v2
	s_waitcnt lgkmcnt(0)
	s_and_saveexec_b64 s[40:41], vcc
	s_cbranch_execz .LBB15_675
; %bb.674:                              ;   in Loop: Header=BB15_623 Depth=2
	s_bcnt1_i32_b64 s46, s[30:31]
	v_mov_b32_e32 v2, s46
	ds_add_u64 v0, v[2:3]
	s_trap 2
.LBB15_675:                             ;   in Loop: Header=BB15_623 Depth=2
	s_or_b64 exec, exec, s[40:41]
	s_trap 2
	ds_read_b64 v[10:11], v0
	s_waitcnt lgkmcnt(0)
	v_lshl_add_u64 v[38:39], v[38:39], 0, v[52:53]
	v_cmp_lt_u64_e32 vcc, v[10:11], v[38:39]
	s_and_saveexec_b64 s[40:41], vcc
	s_cbranch_execz .LBB15_684
; %bb.676:                              ;   in Loop: Header=BB15_623 Depth=2
	s_mov_b32 s46, 0
	s_mov_b64 s[30:31], 0
                                        ; implicit-def: $sgpr34_sgpr35
                                        ; implicit-def: $sgpr36_sgpr37
	s_branch .LBB15_678
.LBB15_677:                             ;   in Loop: Header=BB15_678 Depth=3
	s_or_b64 exec, exec, s[48:49]
	s_and_b64 vcc, exec, vcc
	s_or_b64 s[30:31], vcc, s[30:31]
	s_andn2_b64 vcc, s[34:35], exec
	s_and_b64 s[34:35], s[36:37], exec
	s_or_b64 s[34:35], vcc, s[34:35]
	s_andn2_b64 exec, exec, s[30:31]
	s_cbranch_execz .LBB15_682
.LBB15_678:                             ;   Parent Loop BB15_47 Depth=1
                                        ;     Parent Loop BB15_623 Depth=2
                                        ; =>    This Inner Loop Header: Depth=3
	s_add_i32 s46, s46, 1
	s_cmpk_lg_i32 s46, 0x2710
	s_cselect_b64 s[38:39], -1, 0
	s_and_b64 vcc, exec, s[38:39]
	s_cbranch_vccz .LBB15_680
; %bb.679:                              ;   in Loop: Header=BB15_678 Depth=3
	s_mov_b64 vcc, -1
	s_or_b64 s[36:37], s[36:37], exec
	s_and_saveexec_b64 s[48:49], s[38:39]
	s_cbranch_execz .LBB15_677
	s_branch .LBB15_681
.LBB15_680:                             ;   in Loop: Header=BB15_678 Depth=3
	s_trap 2
	ds_read_b64 v[10:11], v0
	s_andn2_b64 s[38:39], s[38:39], exec
	s_mov_b32 s46, 0
	s_waitcnt vmcnt(0) lgkmcnt(0)
	flat_load_dword v2, v[10:11] sc0 sc1
	s_waitcnt vmcnt(0) lgkmcnt(0)
	buffer_inv sc0 sc1
	v_cmp_eq_u32_e32 vcc, 0, v2
	s_and_b64 vcc, vcc, exec
	s_or_b64 s[38:39], s[38:39], vcc
	s_mov_b64 vcc, -1
	s_or_b64 s[36:37], s[36:37], exec
	s_and_saveexec_b64 s[48:49], s[38:39]
	s_cbranch_execz .LBB15_677
.LBB15_681:                             ;   in Loop: Header=BB15_678 Depth=3
	s_sleep 1
	s_trap 2
	ds_read_b64 v[10:11], v0
	s_waitcnt lgkmcnt(0)
	s_andn2_b64 s[36:37], s[36:37], exec
	v_cmp_ge_u64_e32 vcc, v[10:11], v[38:39]
	s_orn2_b64 vcc, vcc, exec
	s_branch .LBB15_677
.LBB15_682:                             ;   in Loop: Header=BB15_623 Depth=2
	s_or_b64 exec, exec, s[30:31]
	s_and_saveexec_b64 vcc, s[34:35]
	s_xor_b64 vcc, exec, vcc
	s_cbranch_execz .LBB15_684
; %bb.683:                              ;   in Loop: Header=BB15_623 Depth=2
	ds_write_b32 v0, v77
	s_trap 2
.LBB15_684:                             ;   in Loop: Header=BB15_623 Depth=2
	s_or_b64 exec, exec, s[40:41]
	;;#ASMSTART
	s_wakeup
	;;#ASMEND
.LBB15_685:                             ;   in Loop: Header=BB15_623 Depth=2
	s_or_b64 exec, exec, s[28:29]
.LBB15_686:                             ;   in Loop: Header=BB15_623 Depth=2
	s_andn2_saveexec_b64 s[26:27], s[26:27]
	s_cbranch_execz .LBB15_688
; %bb.687:                              ;   in Loop: Header=BB15_623 Depth=2
	s_waitcnt lgkmcnt(0)
	s_barrier
.LBB15_688:                             ;   in Loop: Header=BB15_623 Depth=2
	s_or_b64 exec, exec, s[26:27]
.LBB15_689:                             ;   in Loop: Header=BB15_623 Depth=2
	s_or_b64 exec, exec, s[24:25]
	s_trap 2
	ds_read_b64 v[44:45], v0
	s_waitcnt lgkmcnt(0)
	v_cmp_eq_u64_e32 vcc, 0, v[44:45]
	s_cbranch_vccnz .LBB15_698
; %bb.690:                              ;   in Loop: Header=BB15_623 Depth=2
	s_trap 2
	ds_read_b64 v[46:47], v0
	s_waitcnt lgkmcnt(0)
	v_cmp_eq_u64_e32 vcc, 0, v[46:47]
	s_cbranch_vccnz .LBB15_698
; %bb.691:                              ;   in Loop: Header=BB15_623 Depth=2
	s_trap 2
	ds_read_b64 v[56:57], v0
	v_cmp_eq_u32_e32 vcc, 0, v8
	s_waitcnt lgkmcnt(0)
	v_readfirstlane_b32 s50, v56
	v_cndmask_b32_e32 v2, 0, v118, vcc
	v_cmp_ne_u64_e32 vcc, 0, v[56:57]
	v_lshlrev_b32_e32 v119, 1, v2
	s_cbranch_vccz .LBB15_703
; %bb.692:                              ;   in Loop: Header=BB15_623 Depth=2
	s_mov_b64 s[26:27], -1
	s_and_saveexec_b64 s[24:25], s[18:19]
	s_cbranch_execz .LBB15_694
; %bb.693:                              ;   in Loop: Header=BB15_623 Depth=2
	ds_read_b32 v8, v0 offset:720
	s_waitcnt lgkmcnt(0)
	v_and_b32_e32 v8, 15, v8
	v_cmp_eq_u32_e32 vcc, 0, v8
	s_orn2_b64 s[26:27], vcc, exec
.LBB15_694:                             ;   in Loop: Header=BB15_623 Depth=2
	s_or_b64 exec, exec, s[24:25]
	s_and_saveexec_b64 s[24:25], s[18:19]
	s_cbranch_execz .LBB15_696
; %bb.695:                              ;   in Loop: Header=BB15_623 Depth=2
	ds_read_b32 v8, v0 offset:784
	s_waitcnt lgkmcnt(0)
	v_and_b32_e32 v8, 15, v8
	v_cmp_eq_u32_e32 vcc, 0, v8
	s_and_b64 s[28:29], s[26:27], vcc
	s_andn2_b64 s[26:27], s[26:27], exec
	s_and_b64 s[28:29], s[28:29], exec
	s_or_b64 s[26:27], s[26:27], s[28:29]
.LBB15_696:                             ;   in Loop: Header=BB15_623 Depth=2
	s_or_b64 exec, exec, s[24:25]
	s_xor_b64 s[26:27], s[26:27], -1
	v_cndmask_b32_e64 v8, 0, 1, s[26:27]
	s_mov_b64 s[24:25], -1
	v_mov_b32_e32 v16, 0
	v_cmp_ne_u32_e32 vcc, 0, v8
	v_mov_b32_e32 v17, v119
	v_mov_b32_e32 v18, v0
	s_cbranch_vccz .LBB15_705
; %bb.697:                              ;   in Loop: Header=BB15_623 Depth=2
	s_and_saveexec_b64 s[40:41], s[24:25]
	s_cbranch_execnz .LBB15_814
	s_branch .LBB15_860
.LBB15_698:                             ;   in Loop: Header=BB15_623 Depth=2
	s_mov_b64 s[24:25], 0
	s_and_saveexec_b64 s[26:27], s[4:5]
	s_cbranch_execnz .LBB15_1019
.LBB15_699:                             ;   in Loop: Header=BB15_623 Depth=2
	s_or_b64 exec, exec, s[26:27]
                                        ; implicit-def: $vgpr2
	s_and_saveexec_b64 s[26:27], s[20:21]
	s_xor_b64 s[26:27], exec, s[26:27]
	s_cbranch_execz .LBB15_1037
.LBB15_700:                             ;   in Loop: Header=BB15_623 Depth=2
	v_and_b32_e32 v8, 16, v74
	v_cmp_ne_u32_e32 vcc, 0, v8
	v_and_b32_e32 v2, 16, v74
	s_and_b64 s[28:29], vcc, s[24:25]
	s_and_saveexec_b64 s[24:25], s[28:29]
	s_cbranch_execz .LBB15_702
; %bb.701:                              ;   in Loop: Header=BB15_623 Depth=2
	v_mov_b32_e32 v2, 1
	buffer_wbl2 sc1
	s_waitcnt vmcnt(0) lgkmcnt(0)
	buffer_inv sc1
.LBB15_702:                             ;   in Loop: Header=BB15_623 Depth=2
	s_or_b64 exec, exec, s[24:25]
	s_andn2_saveexec_b64 s[24:25], s[26:27]
	s_cbranch_execz .LBB15_1056
	s_branch .LBB15_1038
.LBB15_703:                             ;   in Loop: Header=BB15_623 Depth=2
	s_cbranch_execnz .LBB15_861
.LBB15_704:                             ;   in Loop: Header=BB15_623 Depth=2
	v_cmp_lt_i32_e64 s[24:25], 0, v2
	s_and_saveexec_b64 s[26:27], s[4:5]
	s_cbranch_execnz .LBB15_1019
	s_branch .LBB15_699
.LBB15_705:                             ;   in Loop: Header=BB15_623 Depth=2
	v_ashrrev_i32_e32 v8, 31, v119
	v_lshrrev_b32_e32 v8, 21, v8
	v_add_u32_e32 v8, v119, v8
	v_ashrrev_i32_e32 v91, 11, v8
	v_sub_u32_e32 v41, v91, v76
	v_cmp_lt_i32_e32 vcc, 0, v41
	s_and_saveexec_b64 s[26:27], vcc
	s_cbranch_execz .LBB15_773
; %bb.706:                              ;   in Loop: Header=BB15_623 Depth=2
	s_trap 2
	ds_read_b64 v[8:9], v0
	s_and_b32 s46, s50, 1
	s_cmp_eq_u64 s[46:47], 0
	v_lshl_add_u64 v[58:59], v[46:47], 0, v[80:81]
	v_lshl_add_u64 v[60:61], v[56:57], 0, v[80:81]
	;; [unrolled: 1-line block ×3, first 2 shown]
	s_waitcnt lgkmcnt(0)
	v_lshl_add_u64 v[72:73], v[8:9], 0, v[80:81]
	s_mov_b64 s[28:29], 0
	s_cselect_b64 vcc, -1, 0
	s_branch .LBB15_708
.LBB15_707:                             ;   in Loop: Header=BB15_708 Depth=3
	s_or_b64 exec, exec, s[40:41]
	v_lshrrev_b32_e32 v15, 16, v20
	v_and_or_b32 v17, v17, s70, v15
	v_lshrrev_b32_e32 v15, 16, v92
	v_lshrrev_b32_e32 v12, 16, v12
	v_and_or_b32 v16, v16, s70, v15
	v_lshrrev_b32_e32 v15, 16, v21
	v_and_or_b32 v9, v9, s70, v12
	;; [unrolled: 2-line block ×4, first 2 shown]
	v_lshrrev_b32_e32 v12, 16, v13
	v_sub_u32_e32 v41, v41, v52
	v_and_or_b32 v19, v19, s70, v15
	v_and_or_b32 v10, v10, s70, v12
	v_lshrrev_b32_e32 v12, 16, v14
	v_cmp_gt_i32_e64 s[24:25], 1, v41
	v_and_or_b32 v11, v11, s70, v12
	global_store_dwordx4 v[58:59], v[16:19], off
	global_store_dwordx4 v[58:59], v[8:11], off offset:1024
	global_store_dwordx4 v[60:61], v[16:19], off
	global_store_dwordx4 v[60:61], v[8:11], off offset:1024
	v_lshl_add_u64 v[62:63], v[62:63], 0, v[82:83]
	v_lshl_add_u64 v[72:73], v[72:73], 0, v[82:83]
	;; [unrolled: 1-line block ×3, first 2 shown]
	s_or_b64 s[28:29], s[24:25], s[28:29]
	v_lshl_add_u64 v[60:61], v[60:61], 0, v[82:83]
	s_andn2_b64 exec, exec, s[28:29]
	s_cbranch_execz .LBB15_772
.LBB15_708:                             ;   Parent Loop BB15_47 Depth=1
                                        ;     Parent Loop BB15_623 Depth=2
                                        ; =>    This Inner Loop Header: Depth=3
	global_load_dwordx4 v[16:19], v[62:63], off nt
	global_load_dwordx4 v[20:23], v[72:73], off nt
	global_load_dwordx4 v[8:11], v[62:63], off offset:1024 nt
	global_load_dwordx4 v[12:15], v[72:73], off offset:1024 nt
	s_waitcnt vmcnt(0)
	v_lshlrev_b32_e32 v92, 16, v16
	v_lshlrev_b32_e32 v93, 16, v20
	v_max_f32_e32 v93, v93, v93
	v_max_f32_e32 v92, v92, v92
	v_min_f32_e32 v94, v92, v93
	v_max_f32_e32 v92, v92, v93
	v_cndmask_b32_e32 v93, v92, v94, vcc
	v_and_b32_e32 v92, 0x7f800000, v93
	v_cmp_ne_u32_e64 s[24:25], s68, v92
                                        ; implicit-def: $vgpr92
	s_and_saveexec_b64 s[40:41], s[24:25]
	s_xor_b64 s[24:25], exec, s[40:41]
; %bb.709:                              ;   in Loop: Header=BB15_708 Depth=3
	v_bfe_u32 v92, v93, 16, 1
	v_add3_u32 v92, v93, v92, s69
                                        ; implicit-def: $vgpr93
; %bb.710:                              ;   in Loop: Header=BB15_708 Depth=3
	s_andn2_saveexec_b64 s[40:41], s[24:25]
; %bb.711:                              ;   in Loop: Header=BB15_708 Depth=3
	v_or_b32_e32 v92, 0x10000, v93
	v_cmp_eq_u32_sdwa s[24:25], v93, v3 src0_sel:WORD_0 src1_sel:DWORD
	s_nop 1
	v_cndmask_b32_e64 v92, v92, v93, s[24:25]
; %bb.712:                              ;   in Loop: Header=BB15_708 Depth=3
	s_or_b64 exec, exec, s[40:41]
	v_and_b32_e32 v16, 0xffff0000, v16
	v_and_b32_e32 v20, 0xffff0000, v20
	v_max_f32_e32 v20, v20, v20
	v_max_f32_e32 v16, v16, v16
	v_min_f32_e32 v93, v16, v20
	v_max_f32_e32 v16, v16, v20
	v_cndmask_b32_e32 v20, v16, v93, vcc
	v_and_b32_e32 v16, 0x7f800000, v20
	v_cmp_ne_u32_e64 s[24:25], s68, v16
                                        ; implicit-def: $vgpr16
	s_and_saveexec_b64 s[40:41], s[24:25]
	s_xor_b64 s[24:25], exec, s[40:41]
; %bb.713:                              ;   in Loop: Header=BB15_708 Depth=3
	v_bfe_u32 v16, v20, 16, 1
	v_add3_u32 v16, v20, v16, s69
                                        ; implicit-def: $vgpr20
; %bb.714:                              ;   in Loop: Header=BB15_708 Depth=3
	s_andn2_saveexec_b64 s[40:41], s[24:25]
; %bb.715:                              ;   in Loop: Header=BB15_708 Depth=3
	v_or_b32_e32 v16, 0x10000, v20
	v_cmp_eq_u32_sdwa s[24:25], v20, v3 src0_sel:WORD_0 src1_sel:DWORD
	s_nop 1
	v_cndmask_b32_e64 v16, v16, v20, s[24:25]
; %bb.716:                              ;   in Loop: Header=BB15_708 Depth=3
	s_or_b64 exec, exec, s[40:41]
	v_lshlrev_b32_e32 v20, 16, v17
	v_lshlrev_b32_e32 v93, 16, v21
	v_max_f32_e32 v93, v93, v93
	v_max_f32_e32 v20, v20, v20
	v_min_f32_e32 v94, v20, v93
	v_max_f32_e32 v20, v20, v93
	v_cndmask_b32_e32 v93, v20, v94, vcc
	v_and_b32_e32 v20, 0x7f800000, v93
	v_cmp_ne_u32_e64 s[24:25], s68, v20
                                        ; implicit-def: $vgpr20
	s_and_saveexec_b64 s[40:41], s[24:25]
	s_xor_b64 s[24:25], exec, s[40:41]
; %bb.717:                              ;   in Loop: Header=BB15_708 Depth=3
	v_bfe_u32 v20, v93, 16, 1
	v_add3_u32 v20, v93, v20, s69
                                        ; implicit-def: $vgpr93
; %bb.718:                              ;   in Loop: Header=BB15_708 Depth=3
	s_andn2_saveexec_b64 s[40:41], s[24:25]
; %bb.719:                              ;   in Loop: Header=BB15_708 Depth=3
	v_or_b32_e32 v20, 0x10000, v93
	v_cmp_eq_u32_sdwa s[24:25], v93, v3 src0_sel:WORD_0 src1_sel:DWORD
	s_nop 1
	v_cndmask_b32_e64 v20, v20, v93, s[24:25]
; %bb.720:                              ;   in Loop: Header=BB15_708 Depth=3
	s_or_b64 exec, exec, s[40:41]
	v_and_b32_e32 v17, 0xffff0000, v17
	v_and_b32_e32 v21, 0xffff0000, v21
	v_max_f32_e32 v21, v21, v21
	v_max_f32_e32 v17, v17, v17
	v_min_f32_e32 v93, v17, v21
	v_max_f32_e32 v17, v17, v21
	v_cndmask_b32_e32 v21, v17, v93, vcc
	v_and_b32_e32 v17, 0x7f800000, v21
	v_cmp_ne_u32_e64 s[24:25], s68, v17
                                        ; implicit-def: $vgpr17
	s_and_saveexec_b64 s[40:41], s[24:25]
	s_xor_b64 s[24:25], exec, s[40:41]
; %bb.721:                              ;   in Loop: Header=BB15_708 Depth=3
	v_bfe_u32 v17, v21, 16, 1
	v_add3_u32 v17, v21, v17, s69
                                        ; implicit-def: $vgpr21
; %bb.722:                              ;   in Loop: Header=BB15_708 Depth=3
	s_andn2_saveexec_b64 s[40:41], s[24:25]
; %bb.723:                              ;   in Loop: Header=BB15_708 Depth=3
	v_or_b32_e32 v17, 0x10000, v21
	v_cmp_eq_u32_sdwa s[24:25], v21, v3 src0_sel:WORD_0 src1_sel:DWORD
	s_nop 1
	v_cndmask_b32_e64 v17, v17, v21, s[24:25]
; %bb.724:                              ;   in Loop: Header=BB15_708 Depth=3
	s_or_b64 exec, exec, s[40:41]
	v_lshlrev_b32_e32 v21, 16, v18
	v_lshlrev_b32_e32 v93, 16, v22
	v_max_f32_e32 v93, v93, v93
	v_max_f32_e32 v21, v21, v21
	v_min_f32_e32 v94, v21, v93
	v_max_f32_e32 v21, v21, v93
	v_cndmask_b32_e32 v93, v21, v94, vcc
	v_and_b32_e32 v21, 0x7f800000, v93
	v_cmp_ne_u32_e64 s[24:25], s68, v21
                                        ; implicit-def: $vgpr21
	s_and_saveexec_b64 s[40:41], s[24:25]
	s_xor_b64 s[24:25], exec, s[40:41]
; %bb.725:                              ;   in Loop: Header=BB15_708 Depth=3
	v_bfe_u32 v21, v93, 16, 1
	v_add3_u32 v21, v93, v21, s69
                                        ; implicit-def: $vgpr93
; %bb.726:                              ;   in Loop: Header=BB15_708 Depth=3
	s_andn2_saveexec_b64 s[40:41], s[24:25]
; %bb.727:                              ;   in Loop: Header=BB15_708 Depth=3
	v_or_b32_e32 v21, 0x10000, v93
	v_cmp_eq_u32_sdwa s[24:25], v93, v3 src0_sel:WORD_0 src1_sel:DWORD
	s_nop 1
	v_cndmask_b32_e64 v21, v21, v93, s[24:25]
; %bb.728:                              ;   in Loop: Header=BB15_708 Depth=3
	s_or_b64 exec, exec, s[40:41]
	v_and_b32_e32 v18, 0xffff0000, v18
	v_and_b32_e32 v22, 0xffff0000, v22
	v_max_f32_e32 v22, v22, v22
	v_max_f32_e32 v18, v18, v18
	v_min_f32_e32 v93, v18, v22
	v_max_f32_e32 v18, v18, v22
	v_cndmask_b32_e32 v22, v18, v93, vcc
	v_and_b32_e32 v18, 0x7f800000, v22
	v_cmp_ne_u32_e64 s[24:25], s68, v18
                                        ; implicit-def: $vgpr18
	s_and_saveexec_b64 s[40:41], s[24:25]
	s_xor_b64 s[24:25], exec, s[40:41]
; %bb.729:                              ;   in Loop: Header=BB15_708 Depth=3
	v_bfe_u32 v18, v22, 16, 1
	v_add3_u32 v18, v22, v18, s69
                                        ; implicit-def: $vgpr22
; %bb.730:                              ;   in Loop: Header=BB15_708 Depth=3
	s_andn2_saveexec_b64 s[40:41], s[24:25]
; %bb.731:                              ;   in Loop: Header=BB15_708 Depth=3
	v_or_b32_e32 v18, 0x10000, v22
	v_cmp_eq_u32_sdwa s[24:25], v22, v3 src0_sel:WORD_0 src1_sel:DWORD
	s_nop 1
	v_cndmask_b32_e64 v18, v18, v22, s[24:25]
; %bb.732:                              ;   in Loop: Header=BB15_708 Depth=3
	s_or_b64 exec, exec, s[40:41]
	v_lshlrev_b32_e32 v22, 16, v19
	v_lshlrev_b32_e32 v93, 16, v23
	v_max_f32_e32 v93, v93, v93
	v_max_f32_e32 v22, v22, v22
	v_min_f32_e32 v94, v22, v93
	v_max_f32_e32 v22, v22, v93
	v_cndmask_b32_e32 v93, v22, v94, vcc
	v_and_b32_e32 v22, 0x7f800000, v93
	v_cmp_ne_u32_e64 s[24:25], s68, v22
                                        ; implicit-def: $vgpr22
	s_and_saveexec_b64 s[40:41], s[24:25]
	s_xor_b64 s[24:25], exec, s[40:41]
; %bb.733:                              ;   in Loop: Header=BB15_708 Depth=3
	v_bfe_u32 v22, v93, 16, 1
	v_add3_u32 v22, v93, v22, s69
                                        ; implicit-def: $vgpr93
; %bb.734:                              ;   in Loop: Header=BB15_708 Depth=3
	s_andn2_saveexec_b64 s[40:41], s[24:25]
; %bb.735:                              ;   in Loop: Header=BB15_708 Depth=3
	v_or_b32_e32 v22, 0x10000, v93
	v_cmp_eq_u32_sdwa s[24:25], v93, v3 src0_sel:WORD_0 src1_sel:DWORD
	s_nop 1
	v_cndmask_b32_e64 v22, v22, v93, s[24:25]
; %bb.736:                              ;   in Loop: Header=BB15_708 Depth=3
	s_or_b64 exec, exec, s[40:41]
	v_and_b32_e32 v19, 0xffff0000, v19
	v_and_b32_e32 v23, 0xffff0000, v23
	v_max_f32_e32 v23, v23, v23
	v_max_f32_e32 v19, v19, v19
	v_min_f32_e32 v93, v19, v23
	v_max_f32_e32 v19, v19, v23
	v_cndmask_b32_e32 v23, v19, v93, vcc
	v_and_b32_e32 v19, 0x7f800000, v23
	v_cmp_ne_u32_e64 s[24:25], s68, v19
                                        ; implicit-def: $vgpr19
	s_and_saveexec_b64 s[40:41], s[24:25]
	s_xor_b64 s[24:25], exec, s[40:41]
; %bb.737:                              ;   in Loop: Header=BB15_708 Depth=3
	v_bfe_u32 v19, v23, 16, 1
	v_add3_u32 v19, v23, v19, s69
                                        ; implicit-def: $vgpr23
; %bb.738:                              ;   in Loop: Header=BB15_708 Depth=3
	s_andn2_saveexec_b64 s[40:41], s[24:25]
; %bb.739:                              ;   in Loop: Header=BB15_708 Depth=3
	v_or_b32_e32 v19, 0x10000, v23
	v_cmp_eq_u32_sdwa s[24:25], v23, v3 src0_sel:WORD_0 src1_sel:DWORD
	s_nop 1
	v_cndmask_b32_e64 v19, v19, v23, s[24:25]
; %bb.740:                              ;   in Loop: Header=BB15_708 Depth=3
	s_or_b64 exec, exec, s[40:41]
	v_lshlrev_b32_e32 v23, 16, v8
	v_lshlrev_b32_e32 v93, 16, v12
	v_max_f32_e32 v93, v93, v93
	v_max_f32_e32 v23, v23, v23
	v_min_f32_e32 v94, v23, v93
	v_max_f32_e32 v23, v23, v93
	v_cndmask_b32_e32 v93, v23, v94, vcc
	v_and_b32_e32 v23, 0x7f800000, v93
	v_cmp_ne_u32_e64 s[24:25], s68, v23
                                        ; implicit-def: $vgpr23
	s_and_saveexec_b64 s[40:41], s[24:25]
	s_xor_b64 s[24:25], exec, s[40:41]
; %bb.741:                              ;   in Loop: Header=BB15_708 Depth=3
	v_bfe_u32 v23, v93, 16, 1
	v_add3_u32 v23, v93, v23, s69
                                        ; implicit-def: $vgpr93
; %bb.742:                              ;   in Loop: Header=BB15_708 Depth=3
	s_andn2_saveexec_b64 s[40:41], s[24:25]
; %bb.743:                              ;   in Loop: Header=BB15_708 Depth=3
	v_or_b32_e32 v23, 0x10000, v93
	v_cmp_eq_u32_sdwa s[24:25], v93, v3 src0_sel:WORD_0 src1_sel:DWORD
	s_nop 1
	v_cndmask_b32_e64 v23, v23, v93, s[24:25]
; %bb.744:                              ;   in Loop: Header=BB15_708 Depth=3
	s_or_b64 exec, exec, s[40:41]
	v_and_b32_e32 v8, 0xffff0000, v8
	v_and_b32_e32 v12, 0xffff0000, v12
	v_max_f32_e32 v12, v12, v12
	v_max_f32_e32 v8, v8, v8
	v_min_f32_e32 v93, v8, v12
	v_max_f32_e32 v8, v8, v12
	v_cndmask_b32_e32 v12, v8, v93, vcc
	v_and_b32_e32 v8, 0x7f800000, v12
	v_cmp_ne_u32_e64 s[24:25], s68, v8
                                        ; implicit-def: $vgpr8
	s_and_saveexec_b64 s[40:41], s[24:25]
	s_xor_b64 s[24:25], exec, s[40:41]
; %bb.745:                              ;   in Loop: Header=BB15_708 Depth=3
	v_bfe_u32 v8, v12, 16, 1
	v_add3_u32 v8, v12, v8, s69
                                        ; implicit-def: $vgpr12
; %bb.746:                              ;   in Loop: Header=BB15_708 Depth=3
	s_andn2_saveexec_b64 s[40:41], s[24:25]
; %bb.747:                              ;   in Loop: Header=BB15_708 Depth=3
	v_or_b32_e32 v8, 0x10000, v12
	v_cmp_eq_u32_sdwa s[24:25], v12, v3 src0_sel:WORD_0 src1_sel:DWORD
	s_nop 1
	v_cndmask_b32_e64 v8, v8, v12, s[24:25]
; %bb.748:                              ;   in Loop: Header=BB15_708 Depth=3
	s_or_b64 exec, exec, s[40:41]
	v_lshlrev_b32_e32 v12, 16, v9
	v_lshlrev_b32_e32 v93, 16, v13
	v_max_f32_e32 v93, v93, v93
	v_max_f32_e32 v12, v12, v12
	v_min_f32_e32 v94, v12, v93
	v_max_f32_e32 v12, v12, v93
	v_cndmask_b32_e32 v93, v12, v94, vcc
	v_and_b32_e32 v12, 0x7f800000, v93
	v_cmp_ne_u32_e64 s[24:25], s68, v12
                                        ; implicit-def: $vgpr12
	s_and_saveexec_b64 s[40:41], s[24:25]
	s_xor_b64 s[24:25], exec, s[40:41]
; %bb.749:                              ;   in Loop: Header=BB15_708 Depth=3
	v_bfe_u32 v12, v93, 16, 1
	v_add3_u32 v12, v93, v12, s69
                                        ; implicit-def: $vgpr93
; %bb.750:                              ;   in Loop: Header=BB15_708 Depth=3
	s_andn2_saveexec_b64 s[40:41], s[24:25]
; %bb.751:                              ;   in Loop: Header=BB15_708 Depth=3
	v_or_b32_e32 v12, 0x10000, v93
	v_cmp_eq_u32_sdwa s[24:25], v93, v3 src0_sel:WORD_0 src1_sel:DWORD
	s_nop 1
	v_cndmask_b32_e64 v12, v12, v93, s[24:25]
; %bb.752:                              ;   in Loop: Header=BB15_708 Depth=3
	s_or_b64 exec, exec, s[40:41]
	v_and_b32_e32 v9, 0xffff0000, v9
	v_and_b32_e32 v13, 0xffff0000, v13
	v_max_f32_e32 v13, v13, v13
	v_max_f32_e32 v9, v9, v9
	v_min_f32_e32 v93, v9, v13
	v_max_f32_e32 v9, v9, v13
	v_cndmask_b32_e32 v13, v9, v93, vcc
	v_and_b32_e32 v9, 0x7f800000, v13
	v_cmp_ne_u32_e64 s[24:25], s68, v9
                                        ; implicit-def: $vgpr9
	s_and_saveexec_b64 s[40:41], s[24:25]
	s_xor_b64 s[24:25], exec, s[40:41]
; %bb.753:                              ;   in Loop: Header=BB15_708 Depth=3
	v_bfe_u32 v9, v13, 16, 1
	v_add3_u32 v9, v13, v9, s69
                                        ; implicit-def: $vgpr13
; %bb.754:                              ;   in Loop: Header=BB15_708 Depth=3
	s_andn2_saveexec_b64 s[40:41], s[24:25]
; %bb.755:                              ;   in Loop: Header=BB15_708 Depth=3
	v_or_b32_e32 v9, 0x10000, v13
	v_cmp_eq_u32_sdwa s[24:25], v13, v3 src0_sel:WORD_0 src1_sel:DWORD
	s_nop 1
	v_cndmask_b32_e64 v9, v9, v13, s[24:25]
; %bb.756:                              ;   in Loop: Header=BB15_708 Depth=3
	s_or_b64 exec, exec, s[40:41]
	v_lshlrev_b32_e32 v13, 16, v10
	v_lshlrev_b32_e32 v93, 16, v14
	v_max_f32_e32 v93, v93, v93
	v_max_f32_e32 v13, v13, v13
	v_min_f32_e32 v94, v13, v93
	v_max_f32_e32 v13, v13, v93
	v_cndmask_b32_e32 v93, v13, v94, vcc
	v_and_b32_e32 v13, 0x7f800000, v93
	v_cmp_ne_u32_e64 s[24:25], s68, v13
                                        ; implicit-def: $vgpr13
	s_and_saveexec_b64 s[40:41], s[24:25]
	s_xor_b64 s[24:25], exec, s[40:41]
; %bb.757:                              ;   in Loop: Header=BB15_708 Depth=3
	v_bfe_u32 v13, v93, 16, 1
	v_add3_u32 v13, v93, v13, s69
                                        ; implicit-def: $vgpr93
; %bb.758:                              ;   in Loop: Header=BB15_708 Depth=3
	s_andn2_saveexec_b64 s[40:41], s[24:25]
; %bb.759:                              ;   in Loop: Header=BB15_708 Depth=3
	v_or_b32_e32 v13, 0x10000, v93
	v_cmp_eq_u32_sdwa s[24:25], v93, v3 src0_sel:WORD_0 src1_sel:DWORD
	s_nop 1
	v_cndmask_b32_e64 v13, v13, v93, s[24:25]
; %bb.760:                              ;   in Loop: Header=BB15_708 Depth=3
	s_or_b64 exec, exec, s[40:41]
	v_and_b32_e32 v10, 0xffff0000, v10
	v_and_b32_e32 v14, 0xffff0000, v14
	v_max_f32_e32 v14, v14, v14
	v_max_f32_e32 v10, v10, v10
	v_min_f32_e32 v93, v10, v14
	v_max_f32_e32 v10, v10, v14
	v_cndmask_b32_e32 v14, v10, v93, vcc
	v_and_b32_e32 v10, 0x7f800000, v14
	v_cmp_ne_u32_e64 s[24:25], s68, v10
                                        ; implicit-def: $vgpr10
	s_and_saveexec_b64 s[40:41], s[24:25]
	s_xor_b64 s[24:25], exec, s[40:41]
; %bb.761:                              ;   in Loop: Header=BB15_708 Depth=3
	v_bfe_u32 v10, v14, 16, 1
	v_add3_u32 v10, v14, v10, s69
                                        ; implicit-def: $vgpr14
; %bb.762:                              ;   in Loop: Header=BB15_708 Depth=3
	s_andn2_saveexec_b64 s[40:41], s[24:25]
; %bb.763:                              ;   in Loop: Header=BB15_708 Depth=3
	v_or_b32_e32 v10, 0x10000, v14
	v_cmp_eq_u32_sdwa s[24:25], v14, v3 src0_sel:WORD_0 src1_sel:DWORD
	s_nop 1
	v_cndmask_b32_e64 v10, v10, v14, s[24:25]
; %bb.764:                              ;   in Loop: Header=BB15_708 Depth=3
	s_or_b64 exec, exec, s[40:41]
	v_lshlrev_b32_e32 v14, 16, v11
	v_lshlrev_b32_e32 v93, 16, v15
	v_max_f32_e32 v93, v93, v93
	v_max_f32_e32 v14, v14, v14
	v_min_f32_e32 v94, v14, v93
	v_max_f32_e32 v14, v14, v93
	v_cndmask_b32_e32 v93, v14, v94, vcc
	v_and_b32_e32 v14, 0x7f800000, v93
	v_cmp_ne_u32_e64 s[24:25], s68, v14
                                        ; implicit-def: $vgpr14
	s_and_saveexec_b64 s[40:41], s[24:25]
	s_xor_b64 s[24:25], exec, s[40:41]
; %bb.765:                              ;   in Loop: Header=BB15_708 Depth=3
	v_bfe_u32 v14, v93, 16, 1
	v_add3_u32 v14, v93, v14, s69
                                        ; implicit-def: $vgpr93
; %bb.766:                              ;   in Loop: Header=BB15_708 Depth=3
	s_andn2_saveexec_b64 s[40:41], s[24:25]
; %bb.767:                              ;   in Loop: Header=BB15_708 Depth=3
	v_or_b32_e32 v14, 0x10000, v93
	v_cmp_eq_u32_sdwa s[24:25], v93, v3 src0_sel:WORD_0 src1_sel:DWORD
	s_nop 1
	v_cndmask_b32_e64 v14, v14, v93, s[24:25]
; %bb.768:                              ;   in Loop: Header=BB15_708 Depth=3
	s_or_b64 exec, exec, s[40:41]
	v_and_b32_e32 v11, 0xffff0000, v11
	v_and_b32_e32 v15, 0xffff0000, v15
	v_max_f32_e32 v15, v15, v15
	v_max_f32_e32 v11, v11, v11
	v_min_f32_e32 v93, v11, v15
	v_max_f32_e32 v11, v11, v15
	v_cndmask_b32_e32 v15, v11, v93, vcc
	v_and_b32_e32 v11, 0x7f800000, v15
	v_cmp_ne_u32_e64 s[24:25], s68, v11
                                        ; implicit-def: $vgpr11
	s_and_saveexec_b64 s[40:41], s[24:25]
	s_xor_b64 s[24:25], exec, s[40:41]
; %bb.769:                              ;   in Loop: Header=BB15_708 Depth=3
	v_bfe_u32 v11, v15, 16, 1
	v_add3_u32 v11, v15, v11, s69
                                        ; implicit-def: $vgpr15
; %bb.770:                              ;   in Loop: Header=BB15_708 Depth=3
	s_andn2_saveexec_b64 s[40:41], s[24:25]
	s_cbranch_execz .LBB15_707
; %bb.771:                              ;   in Loop: Header=BB15_708 Depth=3
	v_or_b32_e32 v11, 0x10000, v15
	v_cmp_eq_u32_sdwa s[24:25], v15, v3 src0_sel:WORD_0 src1_sel:DWORD
	s_nop 1
	v_cndmask_b32_e64 v11, v11, v15, s[24:25]
	s_branch .LBB15_707
.LBB15_772:                             ;   in Loop: Header=BB15_623 Depth=2
	s_or_b64 exec, exec, s[28:29]
.LBB15_773:                             ;   in Loop: Header=BB15_623 Depth=2
	s_or_b64 exec, exec, s[26:27]
	v_lshlrev_b32_e32 v58, 11, v91
	v_cmp_ne_u32_e32 vcc, v119, v58
	s_mov_b64 s[24:25], 0
	v_mov_b32_e32 v16, 0
                                        ; implicit-def: $vgpr17
                                        ; implicit-def: $vgpr18
	s_and_saveexec_b64 s[30:31], vcc
	s_cbranch_execz .LBB15_813
; %bb.774:                              ;   in Loop: Header=BB15_623 Depth=2
	v_lshlrev_b32_e32 v8, 6, v41
	v_sub_u32_e32 v8, v75, v8
	v_ashrrev_i32_e32 v10, 31, v8
	v_lshrrev_b32_e32 v10, 26, v10
	v_add_u32_e32 v10, v8, v10
	v_sub_u32_e32 v9, v119, v58
	v_ashrrev_i32_e32 v11, 6, v10
	v_and_b32_e32 v10, 0xffffffc0, v10
	v_sub_u32_e32 v41, v8, v10
	v_ashrrev_i32_e32 v10, 31, v9
	v_lshrrev_b32_e32 v10, 22, v10
	v_add_u32_e32 v10, v9, v10
	v_and_b32_e32 v59, 0xfffffc00, v10
	v_lshlrev_b32_e32 v8, 4, v41
	v_sub_u32_e32 v60, v9, v59
	v_lshl_add_u32 v8, v11, 10, v8
	v_ashrrev_i32_e32 v12, 10, v10
	v_cmp_lt_i32_e64 s[24:25], 15, v60
	v_sub_u32_e32 v62, v9, v8
	s_nop 0
	v_addc_co_u32_e64 v9, vcc, 0, v12, s[24:25]
	v_sub_u32_e32 v61, v9, v11
	v_cmp_lt_i32_e32 vcc, 15, v62
	s_and_saveexec_b64 s[34:35], vcc
	s_cbranch_execz .LBB15_812
; %bb.775:                              ;   in Loop: Header=BB15_623 Depth=2
	s_trap 2
	ds_read_b64 v[10:11], v0
	v_add_u32_e32 v8, v8, v58
	s_and_b32 s46, s50, 1
	v_ashrrev_i32_e32 v9, 31, v8
	s_cmp_eq_u64 s[46:47], 0
	v_lshl_add_u64 v[16:17], v[8:9], 0, v[46:47]
	v_lshl_add_u64 v[18:19], v[8:9], 0, v[56:57]
	;; [unrolled: 1-line block ×3, first 2 shown]
	s_waitcnt lgkmcnt(0)
	v_lshl_add_u64 v[22:23], v[10:11], 0, v[8:9]
	s_mov_b64 s[36:37], 0
	s_cselect_b64 s[26:27], -1, 0
.LBB15_776:                             ;   Parent Loop BB15_47 Depth=1
                                        ;     Parent Loop BB15_623 Depth=2
                                        ; =>    This Loop Header: Depth=3
                                        ;         Child Loop BB15_809 Depth 4
	global_load_dwordx4 v[8:11], v[22:23], off nt
	global_load_dwordx4 v[12:15], v[20:21], off nt
	s_waitcnt vmcnt(0)
	v_lshlrev_b32_e32 v63, 16, v8
	v_lshlrev_b32_e32 v72, 16, v12
	v_max_f32_e32 v63, v63, v63
	v_max_f32_e32 v72, v72, v72
	v_min_f32_e32 v73, v72, v63
	v_max_f32_e32 v63, v72, v63
	v_cndmask_b32_e64 v72, v63, v73, s[26:27]
	v_and_b32_e32 v63, 0x7f800000, v72
	v_cmp_ne_u32_e32 vcc, s68, v63
                                        ; implicit-def: $vgpr63
	s_and_saveexec_b64 s[28:29], vcc
	s_xor_b64 s[28:29], exec, s[28:29]
; %bb.777:                              ;   in Loop: Header=BB15_776 Depth=3
	v_bfe_u32 v63, v72, 16, 1
	v_add3_u32 v63, v72, v63, s69
                                        ; implicit-def: $vgpr72
; %bb.778:                              ;   in Loop: Header=BB15_776 Depth=3
	s_andn2_saveexec_b64 s[28:29], s[28:29]
; %bb.779:                              ;   in Loop: Header=BB15_776 Depth=3
	v_or_b32_e32 v63, 0x10000, v72
	v_cmp_eq_u32_sdwa vcc, v72, v3 src0_sel:WORD_0 src1_sel:DWORD
	s_nop 1
	v_cndmask_b32_e32 v63, v63, v72, vcc
; %bb.780:                              ;   in Loop: Header=BB15_776 Depth=3
	s_or_b64 exec, exec, s[28:29]
	v_and_b32_e32 v8, 0xffff0000, v8
	v_and_b32_e32 v12, 0xffff0000, v12
	v_max_f32_e32 v8, v8, v8
	v_max_f32_e32 v12, v12, v12
	v_min_f32_e32 v72, v12, v8
	v_max_f32_e32 v8, v12, v8
	v_cndmask_b32_e64 v12, v8, v72, s[26:27]
	v_and_b32_e32 v8, 0x7f800000, v12
	v_cmp_ne_u32_e32 vcc, s68, v8
                                        ; implicit-def: $vgpr8
	s_and_saveexec_b64 s[28:29], vcc
	s_xor_b64 s[28:29], exec, s[28:29]
; %bb.781:                              ;   in Loop: Header=BB15_776 Depth=3
	v_bfe_u32 v8, v12, 16, 1
	v_add3_u32 v8, v12, v8, s69
                                        ; implicit-def: $vgpr12
; %bb.782:                              ;   in Loop: Header=BB15_776 Depth=3
	s_andn2_saveexec_b64 s[28:29], s[28:29]
; %bb.783:                              ;   in Loop: Header=BB15_776 Depth=3
	v_or_b32_e32 v8, 0x10000, v12
	v_cmp_eq_u32_sdwa vcc, v12, v3 src0_sel:WORD_0 src1_sel:DWORD
	s_nop 1
	v_cndmask_b32_e32 v8, v8, v12, vcc
; %bb.784:                              ;   in Loop: Header=BB15_776 Depth=3
	s_or_b64 exec, exec, s[28:29]
	v_lshlrev_b32_e32 v12, 16, v9
	v_lshlrev_b32_e32 v72, 16, v13
	v_max_f32_e32 v12, v12, v12
	v_max_f32_e32 v72, v72, v72
	v_min_f32_e32 v73, v72, v12
	v_max_f32_e32 v12, v72, v12
	v_cndmask_b32_e64 v72, v12, v73, s[26:27]
	v_and_b32_e32 v12, 0x7f800000, v72
	v_cmp_ne_u32_e32 vcc, s68, v12
                                        ; implicit-def: $vgpr12
	s_and_saveexec_b64 s[28:29], vcc
	s_xor_b64 s[28:29], exec, s[28:29]
; %bb.785:                              ;   in Loop: Header=BB15_776 Depth=3
	v_bfe_u32 v12, v72, 16, 1
	v_add3_u32 v12, v72, v12, s69
                                        ; implicit-def: $vgpr72
; %bb.786:                              ;   in Loop: Header=BB15_776 Depth=3
	s_andn2_saveexec_b64 s[28:29], s[28:29]
; %bb.787:                              ;   in Loop: Header=BB15_776 Depth=3
	v_or_b32_e32 v12, 0x10000, v72
	v_cmp_eq_u32_sdwa vcc, v72, v3 src0_sel:WORD_0 src1_sel:DWORD
	s_nop 1
	v_cndmask_b32_e32 v12, v12, v72, vcc
; %bb.788:                              ;   in Loop: Header=BB15_776 Depth=3
	s_or_b64 exec, exec, s[28:29]
	v_and_b32_e32 v13, 0xffff0000, v13
	v_and_b32_e32 v9, 0xffff0000, v9
	v_max_f32_e32 v9, v9, v9
	v_max_f32_e32 v13, v13, v13
	v_min_f32_e32 v72, v13, v9
	v_max_f32_e32 v9, v13, v9
	v_cndmask_b32_e64 v13, v9, v72, s[26:27]
	v_and_b32_e32 v9, 0x7f800000, v13
	v_cmp_ne_u32_e32 vcc, s68, v9
                                        ; implicit-def: $vgpr9
	s_and_saveexec_b64 s[28:29], vcc
	s_xor_b64 s[28:29], exec, s[28:29]
; %bb.789:                              ;   in Loop: Header=BB15_776 Depth=3
	v_bfe_u32 v9, v13, 16, 1
	v_add3_u32 v9, v13, v9, s69
                                        ; implicit-def: $vgpr13
; %bb.790:                              ;   in Loop: Header=BB15_776 Depth=3
	s_andn2_saveexec_b64 s[28:29], s[28:29]
; %bb.791:                              ;   in Loop: Header=BB15_776 Depth=3
	v_or_b32_e32 v9, 0x10000, v13
	v_cmp_eq_u32_sdwa vcc, v13, v3 src0_sel:WORD_0 src1_sel:DWORD
	s_nop 1
	v_cndmask_b32_e32 v9, v9, v13, vcc
; %bb.792:                              ;   in Loop: Header=BB15_776 Depth=3
	s_or_b64 exec, exec, s[28:29]
	v_lshlrev_b32_e32 v13, 16, v10
	v_lshlrev_b32_e32 v72, 16, v14
	v_max_f32_e32 v13, v13, v13
	v_max_f32_e32 v72, v72, v72
	v_min_f32_e32 v73, v72, v13
	v_max_f32_e32 v13, v72, v13
	v_cndmask_b32_e64 v72, v13, v73, s[26:27]
	v_and_b32_e32 v13, 0x7f800000, v72
	v_cmp_ne_u32_e32 vcc, s68, v13
                                        ; implicit-def: $vgpr13
	s_and_saveexec_b64 s[28:29], vcc
	s_xor_b64 s[28:29], exec, s[28:29]
; %bb.793:                              ;   in Loop: Header=BB15_776 Depth=3
	v_bfe_u32 v13, v72, 16, 1
	v_add3_u32 v13, v72, v13, s69
                                        ; implicit-def: $vgpr72
; %bb.794:                              ;   in Loop: Header=BB15_776 Depth=3
	s_andn2_saveexec_b64 s[28:29], s[28:29]
; %bb.795:                              ;   in Loop: Header=BB15_776 Depth=3
	v_or_b32_e32 v13, 0x10000, v72
	v_cmp_eq_u32_sdwa vcc, v72, v3 src0_sel:WORD_0 src1_sel:DWORD
	s_nop 1
	v_cndmask_b32_e32 v13, v13, v72, vcc
; %bb.796:                              ;   in Loop: Header=BB15_776 Depth=3
	s_or_b64 exec, exec, s[28:29]
	v_and_b32_e32 v14, 0xffff0000, v14
	v_and_b32_e32 v10, 0xffff0000, v10
	v_max_f32_e32 v10, v10, v10
	v_max_f32_e32 v14, v14, v14
	v_min_f32_e32 v72, v14, v10
	v_max_f32_e32 v10, v14, v10
	v_cndmask_b32_e64 v14, v10, v72, s[26:27]
	v_and_b32_e32 v10, 0x7f800000, v14
	v_cmp_ne_u32_e32 vcc, s68, v10
                                        ; implicit-def: $vgpr10
	s_and_saveexec_b64 s[28:29], vcc
	s_xor_b64 s[28:29], exec, s[28:29]
; %bb.797:                              ;   in Loop: Header=BB15_776 Depth=3
	v_bfe_u32 v10, v14, 16, 1
	v_add3_u32 v10, v14, v10, s69
                                        ; implicit-def: $vgpr14
; %bb.798:                              ;   in Loop: Header=BB15_776 Depth=3
	s_andn2_saveexec_b64 s[28:29], s[28:29]
; %bb.799:                              ;   in Loop: Header=BB15_776 Depth=3
	v_or_b32_e32 v10, 0x10000, v14
	v_cmp_eq_u32_sdwa vcc, v14, v3 src0_sel:WORD_0 src1_sel:DWORD
	s_nop 1
	v_cndmask_b32_e32 v10, v10, v14, vcc
; %bb.800:                              ;   in Loop: Header=BB15_776 Depth=3
	s_or_b64 exec, exec, s[28:29]
	v_lshlrev_b32_e32 v14, 16, v11
	v_lshlrev_b32_e32 v72, 16, v15
	v_max_f32_e32 v14, v14, v14
	v_max_f32_e32 v72, v72, v72
	v_min_f32_e32 v73, v72, v14
	v_max_f32_e32 v14, v72, v14
	v_cndmask_b32_e64 v72, v14, v73, s[26:27]
	v_and_b32_e32 v14, 0x7f800000, v72
	v_cmp_ne_u32_e32 vcc, s68, v14
                                        ; implicit-def: $vgpr14
	s_and_saveexec_b64 s[28:29], vcc
	s_xor_b64 s[28:29], exec, s[28:29]
; %bb.801:                              ;   in Loop: Header=BB15_776 Depth=3
	v_bfe_u32 v14, v72, 16, 1
	v_add3_u32 v14, v72, v14, s69
                                        ; implicit-def: $vgpr72
; %bb.802:                              ;   in Loop: Header=BB15_776 Depth=3
	s_andn2_saveexec_b64 s[28:29], s[28:29]
; %bb.803:                              ;   in Loop: Header=BB15_776 Depth=3
	v_or_b32_e32 v14, 0x10000, v72
	v_cmp_eq_u32_sdwa vcc, v72, v3 src0_sel:WORD_0 src1_sel:DWORD
	s_nop 1
	v_cndmask_b32_e32 v14, v14, v72, vcc
; %bb.804:                              ;   in Loop: Header=BB15_776 Depth=3
	s_or_b64 exec, exec, s[28:29]
	v_and_b32_e32 v15, 0xffff0000, v15
	v_and_b32_e32 v11, 0xffff0000, v11
	v_max_f32_e32 v11, v11, v11
	v_max_f32_e32 v15, v15, v15
	v_min_f32_e32 v72, v15, v11
	v_max_f32_e32 v11, v15, v11
	v_cndmask_b32_e64 v15, v11, v72, s[26:27]
	v_and_b32_e32 v11, 0x7f800000, v15
	v_cmp_ne_u32_e32 vcc, s68, v11
                                        ; implicit-def: $vgpr11
	s_and_saveexec_b64 s[28:29], vcc
	s_xor_b64 s[28:29], exec, s[28:29]
; %bb.805:                              ;   in Loop: Header=BB15_776 Depth=3
	v_bfe_u32 v11, v15, 16, 1
	v_add3_u32 v11, v15, v11, s69
                                        ; implicit-def: $vgpr15
; %bb.806:                              ;   in Loop: Header=BB15_776 Depth=3
	s_andn2_saveexec_b64 s[28:29], s[28:29]
; %bb.807:                              ;   in Loop: Header=BB15_776 Depth=3
	v_or_b32_e32 v11, 0x10000, v15
	v_cmp_eq_u32_sdwa vcc, v15, v3 src0_sel:WORD_0 src1_sel:DWORD
	s_nop 1
	v_cndmask_b32_e32 v11, v11, v15, vcc
; %bb.808:                              ;   in Loop: Header=BB15_776 Depth=3
	s_or_b64 exec, exec, s[28:29]
	v_lshrrev_b32_e32 v12, 16, v12
	v_and_or_b32 v9, v9, s70, v12
	v_lshrrev_b32_e32 v12, 16, v63
	v_and_or_b32 v8, v8, s70, v12
	;; [unrolled: 2-line block ×4, first 2 shown]
	s_mov_b64 s[48:49], 0
	s_mov_b64 s[38:39], -1
.LBB15_809:                             ;   Parent Loop BB15_47 Depth=1
                                        ;     Parent Loop BB15_623 Depth=2
                                        ;       Parent Loop BB15_776 Depth=3
                                        ; =>      This Inner Loop Header: Depth=4
	s_cmp_eq_u32 s48, 1
	s_cselect_b64 vcc, -1, 0
	v_cndmask_b32_e32 v13, v17, v19, vcc
	s_cmp_eq_u32 s48, 0
	v_cndmask_b32_e32 v12, v16, v18, vcc
	global_store_dwordx4 v[12:13], v[8:11], off
	v_lshl_add_u64 v[12:13], v[12:13], 0, s[60:61]
	s_cselect_b64 s[28:29], -1, 0
	s_and_b64 s[40:41], exec, s[38:39]
	s_mov_b64 s[48:49], 1
	s_mov_b64 s[38:39], 0
	v_cndmask_b32_e32 v19, v19, v13, vcc
	v_cndmask_b32_e32 v18, v18, v12, vcc
	v_cndmask_b32_e64 v17, v17, v13, s[28:29]
	v_cndmask_b32_e64 v16, v16, v12, s[28:29]
	s_mov_b64 vcc, s[40:41]
	s_cbranch_vccnz .LBB15_809
; %bb.810:                              ;   in Loop: Header=BB15_776 Depth=3
	v_sub_u32_e32 v62, v62, v68
	v_cmp_gt_i32_e32 vcc, 16, v62
	v_lshl_add_u64 v[20:21], v[20:21], 0, v[98:99]
	v_lshl_add_u64 v[22:23], v[22:23], 0, v[98:99]
	;; [unrolled: 1-line block ×4, first 2 shown]
	s_or_b64 s[36:37], vcc, s[36:37]
	v_sub_u32_e32 v61, v61, v52
	s_andn2_b64 exec, exec, s[36:37]
	s_cbranch_execnz .LBB15_776
; %bb.811:                              ;   in Loop: Header=BB15_623 Depth=2
	s_or_b64 exec, exec, s[36:37]
.LBB15_812:                             ;   in Loop: Header=BB15_623 Depth=2
	s_or_b64 exec, exec, s[34:35]
	v_and_b32_e32 v8, 14, v119
	v_cmp_lt_i32_e32 vcc, 0, v61
	v_sub_u32_e32 v9, v60, v8
	v_cndmask_b32_e64 v17, v60, v8, s[24:25]
	v_cndmask_b32_e32 v8, 0, v52, vcc
	v_cndmask_b32_e64 v9, 0, v9, s[24:25]
	v_sub_u32_e32 v8, v8, v61
	v_cmp_ne_u32_e32 vcc, 0, v17
	v_add3_u32 v16, v59, v58, v9
	v_lshl_add_u32 v18, v8, 6, v41
	s_and_b64 s[24:25], vcc, exec
.LBB15_813:                             ;   in Loop: Header=BB15_623 Depth=2
	s_or_b64 exec, exec, s[30:31]
	s_and_saveexec_b64 s[40:41], s[24:25]
	s_cbranch_execz .LBB15_860
.LBB15_814:                             ;   in Loop: Header=BB15_623 Depth=2
	v_ashrrev_i32_e32 v8, 31, v18
	v_ashrrev_i32_e32 v9, 31, v17
	v_lshrrev_b32_e32 v8, 26, v8
	v_lshrrev_b32_e32 v9, 22, v9
	v_add_u32_e32 v8, v18, v8
	v_add_u32_e32 v9, v17, v9
	v_ashrrev_i32_e32 v19, 6, v8
	v_ashrrev_i32_e32 v21, 10, v9
	v_sub_u32_e32 v20, v21, v19
	v_cmp_lt_i32_e32 vcc, 0, v20
	s_and_saveexec_b64 s[26:27], vcc
	s_cbranch_execz .LBB15_850
; %bb.815:                              ;   in Loop: Header=BB15_623 Depth=2
	v_and_b32_e32 v8, 0x7fffffc0, v8
	s_trap 2
	ds_read_b64 v[22:23], v0
	v_sub_u32_e32 v8, v18, v8
	v_lshlrev_b32_e32 v8, 1, v8
	v_lshlrev_b32_e32 v9, 10, v19
	v_add3_u32 v14, v8, v16, v9
	s_and_b32 s46, s50, 1
	v_ashrrev_i32_e32 v15, 31, v14
	s_cmp_eq_u64 s[46:47], 0
	v_lshl_add_u64 v[8:9], v[14:15], 0, v[46:47]
	v_lshl_add_u64 v[10:11], v[14:15], 0, v[56:57]
	;; [unrolled: 1-line block ×3, first 2 shown]
	s_waitcnt lgkmcnt(0)
	v_lshl_add_u64 v[14:15], v[22:23], 0, v[14:15]
	s_mov_b64 s[28:29], 0
	s_cselect_b64 vcc, -1, 0
	s_branch .LBB15_817
.LBB15_816:                             ;   in Loop: Header=BB15_817 Depth=3
	s_or_b64 exec, exec, s[30:31]
	v_sub_u32_e32 v20, v20, v52
	v_lshrrev_b32_e32 v22, 16, v22
	v_cmp_gt_i32_e64 s[24:25], 1, v20
	v_lshrrev_b32_e32 v41, 16, v59
	v_lshrrev_b32_e32 v59, 16, v62
	;; [unrolled: 1-line block ×7, first 2 shown]
	flat_store_short v[8:9], v22 nt
	flat_store_short v[8:9], v58 offset:128 nt
	flat_store_short v[8:9], v61 offset:256 nt
	flat_store_short v[8:9], v62 offset:384 nt
	flat_store_short v[8:9], v60 offset:512 nt
	flat_store_short v[8:9], v59 offset:640 nt
	flat_store_short v[8:9], v41 offset:768 nt
	flat_store_short v[8:9], v23 offset:896 nt
	flat_store_short v[10:11], v22 nt
	flat_store_short v[10:11], v58 offset:128 nt
	flat_store_short v[10:11], v61 offset:256 nt
	;; [unrolled: 1-line block ×7, first 2 shown]
	v_lshl_add_u64 v[12:13], v[12:13], 0, v[68:69]
	v_lshl_add_u64 v[14:15], v[14:15], 0, v[68:69]
	;; [unrolled: 1-line block ×3, first 2 shown]
	s_or_b64 s[28:29], s[24:25], s[28:29]
	v_lshl_add_u64 v[10:11], v[10:11], 0, v[68:69]
	s_andn2_b64 exec, exec, s[28:29]
	s_cbranch_execz .LBB15_849
.LBB15_817:                             ;   Parent Loop BB15_47 Depth=1
                                        ;     Parent Loop BB15_623 Depth=2
                                        ; =>    This Inner Loop Header: Depth=3
	flat_load_ushort v61, v[12:13] offset:256 nt
	flat_load_ushort v72, v[12:13] offset:384 nt
	;; [unrolled: 1-line block ×6, first 2 shown]
	flat_load_ushort v22, v[12:13] nt
	flat_load_ushort v93, v[14:15] offset:256 nt
	flat_load_ushort v92, v[14:15] offset:384 nt
	;; [unrolled: 1-line block ×6, first 2 shown]
	flat_load_ushort v95, v[14:15] nt
	flat_load_ushort v58, v[12:13] offset:128 nt
	flat_load_ushort v94, v[14:15] offset:128 nt
	s_waitcnt vmcnt(0) lgkmcnt(0)
	v_lshlrev_b32_e32 v22, 16, v22
	v_max_f32_e32 v22, v22, v22
	v_lshlrev_b32_e32 v95, 16, v95
	v_max_f32_e32 v95, v95, v95
	v_min_f32_e32 v106, v22, v95
	v_max_f32_e32 v22, v22, v95
	v_cndmask_b32_e32 v95, v22, v106, vcc
	v_and_b32_e32 v22, 0x7f800000, v95
	v_cmp_ne_u32_e64 s[24:25], s68, v22
                                        ; implicit-def: $vgpr22
	s_and_saveexec_b64 s[30:31], s[24:25]
	s_xor_b64 s[24:25], exec, s[30:31]
; %bb.818:                              ;   in Loop: Header=BB15_817 Depth=3
	v_bfe_u32 v22, v95, 16, 1
	v_add3_u32 v22, v95, v22, s69
                                        ; implicit-def: $vgpr95
; %bb.819:                              ;   in Loop: Header=BB15_817 Depth=3
	s_andn2_saveexec_b64 s[30:31], s[24:25]
; %bb.820:                              ;   in Loop: Header=BB15_817 Depth=3
	v_or_b32_e32 v22, 0x10000, v95
	v_cmp_eq_u32_sdwa s[24:25], v95, v3 src0_sel:WORD_0 src1_sel:DWORD
	s_nop 1
	v_cndmask_b32_e64 v22, v22, v95, s[24:25]
; %bb.821:                              ;   in Loop: Header=BB15_817 Depth=3
	s_or_b64 exec, exec, s[30:31]
	v_lshlrev_b32_e32 v58, 16, v58
	v_lshlrev_b32_e32 v94, 16, v94
	v_max_f32_e32 v94, v94, v94
	v_max_f32_e32 v58, v58, v58
	v_min_f32_e32 v95, v58, v94
	v_max_f32_e32 v58, v58, v94
	v_cndmask_b32_e32 v94, v58, v95, vcc
	v_and_b32_e32 v58, 0x7f800000, v94
	v_cmp_ne_u32_e64 s[24:25], s68, v58
                                        ; implicit-def: $vgpr58
	s_and_saveexec_b64 s[30:31], s[24:25]
	s_xor_b64 s[24:25], exec, s[30:31]
; %bb.822:                              ;   in Loop: Header=BB15_817 Depth=3
	v_bfe_u32 v58, v94, 16, 1
	v_add3_u32 v58, v94, v58, s69
                                        ; implicit-def: $vgpr94
; %bb.823:                              ;   in Loop: Header=BB15_817 Depth=3
	s_andn2_saveexec_b64 s[30:31], s[24:25]
; %bb.824:                              ;   in Loop: Header=BB15_817 Depth=3
	v_or_b32_e32 v58, 0x10000, v94
	v_cmp_eq_u32_sdwa s[24:25], v94, v3 src0_sel:WORD_0 src1_sel:DWORD
	s_nop 1
	v_cndmask_b32_e64 v58, v58, v94, s[24:25]
; %bb.825:                              ;   in Loop: Header=BB15_817 Depth=3
	s_or_b64 exec, exec, s[30:31]
	v_lshlrev_b32_e32 v61, 16, v61
	v_lshlrev_b32_e32 v93, 16, v93
	v_max_f32_e32 v93, v93, v93
	v_max_f32_e32 v61, v61, v61
	v_min_f32_e32 v94, v61, v93
	v_max_f32_e32 v61, v61, v93
	v_cndmask_b32_e32 v93, v61, v94, vcc
	v_and_b32_e32 v61, 0x7f800000, v93
	v_cmp_ne_u32_e64 s[24:25], s68, v61
                                        ; implicit-def: $vgpr61
	s_and_saveexec_b64 s[30:31], s[24:25]
	s_xor_b64 s[24:25], exec, s[30:31]
; %bb.826:                              ;   in Loop: Header=BB15_817 Depth=3
	v_bfe_u32 v61, v93, 16, 1
	v_add3_u32 v61, v93, v61, s69
                                        ; implicit-def: $vgpr93
; %bb.827:                              ;   in Loop: Header=BB15_817 Depth=3
	s_andn2_saveexec_b64 s[30:31], s[24:25]
; %bb.828:                              ;   in Loop: Header=BB15_817 Depth=3
	v_or_b32_e32 v61, 0x10000, v93
	v_cmp_eq_u32_sdwa s[24:25], v93, v3 src0_sel:WORD_0 src1_sel:DWORD
	s_nop 1
	v_cndmask_b32_e64 v61, v61, v93, s[24:25]
; %bb.829:                              ;   in Loop: Header=BB15_817 Depth=3
	s_or_b64 exec, exec, s[30:31]
	v_lshlrev_b32_e32 v72, 16, v72
	v_lshlrev_b32_e32 v92, 16, v92
	v_max_f32_e32 v92, v92, v92
	v_max_f32_e32 v72, v72, v72
	v_min_f32_e32 v93, v72, v92
	v_max_f32_e32 v72, v72, v92
	v_cndmask_b32_e32 v92, v72, v93, vcc
	v_and_b32_e32 v72, 0x7f800000, v92
	v_cmp_ne_u32_e64 s[24:25], s68, v72
                                        ; implicit-def: $vgpr72
	s_and_saveexec_b64 s[30:31], s[24:25]
	s_xor_b64 s[24:25], exec, s[30:31]
; %bb.830:                              ;   in Loop: Header=BB15_817 Depth=3
	v_bfe_u32 v72, v92, 16, 1
	v_add3_u32 v72, v92, v72, s69
                                        ; implicit-def: $vgpr92
; %bb.831:                              ;   in Loop: Header=BB15_817 Depth=3
	s_andn2_saveexec_b64 s[30:31], s[24:25]
; %bb.832:                              ;   in Loop: Header=BB15_817 Depth=3
	v_or_b32_e32 v72, 0x10000, v92
	v_cmp_eq_u32_sdwa s[24:25], v92, v3 src0_sel:WORD_0 src1_sel:DWORD
	s_nop 1
	v_cndmask_b32_e64 v72, v72, v92, s[24:25]
; %bb.833:                              ;   in Loop: Header=BB15_817 Depth=3
	s_or_b64 exec, exec, s[30:31]
	v_lshlrev_b32_e32 v73, 16, v73
	v_lshlrev_b32_e32 v91, 16, v91
	v_max_f32_e32 v91, v91, v91
	v_max_f32_e32 v73, v73, v73
	v_min_f32_e32 v92, v73, v91
	v_max_f32_e32 v73, v73, v91
	v_cndmask_b32_e32 v91, v73, v92, vcc
	v_and_b32_e32 v73, 0x7f800000, v91
	v_cmp_ne_u32_e64 s[24:25], s68, v73
                                        ; implicit-def: $vgpr73
	s_and_saveexec_b64 s[30:31], s[24:25]
	s_xor_b64 s[24:25], exec, s[30:31]
; %bb.834:                              ;   in Loop: Header=BB15_817 Depth=3
	v_bfe_u32 v73, v91, 16, 1
	v_add3_u32 v73, v91, v73, s69
                                        ; implicit-def: $vgpr91
; %bb.835:                              ;   in Loop: Header=BB15_817 Depth=3
	s_andn2_saveexec_b64 s[30:31], s[24:25]
; %bb.836:                              ;   in Loop: Header=BB15_817 Depth=3
	v_or_b32_e32 v73, 0x10000, v91
	v_cmp_eq_u32_sdwa s[24:25], v91, v3 src0_sel:WORD_0 src1_sel:DWORD
	s_nop 1
	v_cndmask_b32_e64 v73, v73, v91, s[24:25]
; %bb.837:                              ;   in Loop: Header=BB15_817 Depth=3
	s_or_b64 exec, exec, s[30:31]
	v_lshlrev_b32_e32 v62, 16, v62
	v_lshlrev_b32_e32 v63, 16, v63
	v_max_f32_e32 v63, v63, v63
	v_max_f32_e32 v62, v62, v62
	v_min_f32_e32 v91, v62, v63
	v_max_f32_e32 v62, v62, v63
	v_cndmask_b32_e32 v63, v62, v91, vcc
	v_and_b32_e32 v62, 0x7f800000, v63
	v_cmp_ne_u32_e64 s[24:25], s68, v62
                                        ; implicit-def: $vgpr62
	s_and_saveexec_b64 s[30:31], s[24:25]
	s_xor_b64 s[24:25], exec, s[30:31]
; %bb.838:                              ;   in Loop: Header=BB15_817 Depth=3
	v_bfe_u32 v62, v63, 16, 1
	v_add3_u32 v62, v63, v62, s69
                                        ; implicit-def: $vgpr63
; %bb.839:                              ;   in Loop: Header=BB15_817 Depth=3
	s_andn2_saveexec_b64 s[30:31], s[24:25]
; %bb.840:                              ;   in Loop: Header=BB15_817 Depth=3
	v_or_b32_e32 v62, 0x10000, v63
	v_cmp_eq_u32_sdwa s[24:25], v63, v3 src0_sel:WORD_0 src1_sel:DWORD
	s_nop 1
	v_cndmask_b32_e64 v62, v62, v63, s[24:25]
; %bb.841:                              ;   in Loop: Header=BB15_817 Depth=3
	s_or_b64 exec, exec, s[30:31]
	v_lshlrev_b32_e32 v59, 16, v59
	v_lshlrev_b32_e32 v60, 16, v60
	v_max_f32_e32 v60, v60, v60
	v_max_f32_e32 v59, v59, v59
	v_min_f32_e32 v63, v59, v60
	v_max_f32_e32 v59, v59, v60
	v_cndmask_b32_e32 v60, v59, v63, vcc
	v_and_b32_e32 v59, 0x7f800000, v60
	v_cmp_ne_u32_e64 s[24:25], s68, v59
                                        ; implicit-def: $vgpr59
	s_and_saveexec_b64 s[30:31], s[24:25]
	s_xor_b64 s[24:25], exec, s[30:31]
; %bb.842:                              ;   in Loop: Header=BB15_817 Depth=3
	v_bfe_u32 v59, v60, 16, 1
	v_add3_u32 v59, v60, v59, s69
                                        ; implicit-def: $vgpr60
; %bb.843:                              ;   in Loop: Header=BB15_817 Depth=3
	s_andn2_saveexec_b64 s[30:31], s[24:25]
; %bb.844:                              ;   in Loop: Header=BB15_817 Depth=3
	v_or_b32_e32 v59, 0x10000, v60
	v_cmp_eq_u32_sdwa s[24:25], v60, v3 src0_sel:WORD_0 src1_sel:DWORD
	s_nop 1
	v_cndmask_b32_e64 v59, v59, v60, s[24:25]
; %bb.845:                              ;   in Loop: Header=BB15_817 Depth=3
	s_or_b64 exec, exec, s[30:31]
	v_lshlrev_b32_e32 v23, 16, v23
	v_lshlrev_b32_e32 v41, 16, v41
	v_max_f32_e32 v41, v41, v41
	v_max_f32_e32 v23, v23, v23
	v_min_f32_e32 v60, v23, v41
	v_max_f32_e32 v23, v23, v41
	v_cndmask_b32_e32 v41, v23, v60, vcc
	v_and_b32_e32 v23, 0x7f800000, v41
	v_cmp_ne_u32_e64 s[24:25], s68, v23
                                        ; implicit-def: $vgpr23
	s_and_saveexec_b64 s[30:31], s[24:25]
	s_xor_b64 s[24:25], exec, s[30:31]
; %bb.846:                              ;   in Loop: Header=BB15_817 Depth=3
	v_bfe_u32 v23, v41, 16, 1
	v_add3_u32 v23, v41, v23, s69
                                        ; implicit-def: $vgpr41
; %bb.847:                              ;   in Loop: Header=BB15_817 Depth=3
	s_andn2_saveexec_b64 s[30:31], s[24:25]
	s_cbranch_execz .LBB15_816
; %bb.848:                              ;   in Loop: Header=BB15_817 Depth=3
	v_or_b32_e32 v23, 0x10000, v41
	v_cmp_eq_u32_sdwa s[24:25], v41, v3 src0_sel:WORD_0 src1_sel:DWORD
	s_nop 1
	v_cndmask_b32_e64 v23, v23, v41, s[24:25]
	s_branch .LBB15_816
.LBB15_849:                             ;   in Loop: Header=BB15_623 Depth=2
	s_or_b64 exec, exec, s[28:29]
.LBB15_850:                             ;   in Loop: Header=BB15_623 Depth=2
	s_or_b64 exec, exec, s[26:27]
	v_lshlrev_b32_e32 v8, 10, v21
	v_cmp_ne_u32_e32 vcc, v17, v8
	s_and_b64 exec, exec, vcc
	s_cbranch_execz .LBB15_860
; %bb.851:                              ;   in Loop: Header=BB15_623 Depth=2
	v_lshlrev_b32_e32 v9, 6, v19
	v_sub_u32_e32 v9, v18, v9
	v_lshlrev_b32_e32 v10, 6, v20
	v_sub_u32_e32 v9, v9, v10
	v_ashrrev_i32_e32 v10, 31, v9
	v_lshrrev_b32_e32 v10, 26, v10
	v_add_u32_e32 v10, v9, v10
	v_and_b32_e32 v11, 0x7fffffc0, v10
	v_sub_u32_e32 v9, v9, v11
	v_lshlrev_b32_e32 v10, 1, v10
	v_and_b32_e32 v10, 0xffffff80, v10
	v_lshlrev_b32_e32 v9, 1, v9
	v_add3_u32 v8, v10, v9, v8
	v_sub_u32_e32 v17, v17, v8
	v_cmp_lt_i32_e32 vcc, 1, v17
	s_and_b64 exec, exec, vcc
	s_cbranch_execz .LBB15_860
; %bb.852:                              ;   in Loop: Header=BB15_623 Depth=2
	s_trap 2
	ds_read_b64 v[18:19], v0
	v_add_u32_e32 v14, v8, v16
	s_and_b32 s46, s50, 1
	v_ashrrev_i32_e32 v15, 31, v14
	s_cmp_eq_u64 s[46:47], 0
	v_lshl_add_u64 v[8:9], v[14:15], 0, v[46:47]
	v_lshl_add_u64 v[10:11], v[14:15], 0, v[56:57]
	;; [unrolled: 1-line block ×3, first 2 shown]
	s_waitcnt lgkmcnt(0)
	v_lshl_add_u64 v[14:15], v[18:19], 0, v[14:15]
	s_mov_b64 s[30:31], 0
	s_cselect_b64 s[24:25], -1, 0
.LBB15_853:                             ;   Parent Loop BB15_47 Depth=1
                                        ;     Parent Loop BB15_623 Depth=2
                                        ; =>    This Loop Header: Depth=3
                                        ;         Child Loop BB15_858 Depth 4
	flat_load_ushort v16, v[14:15] nt
	flat_load_ushort v18, v[12:13] nt
	s_waitcnt vmcnt(0) lgkmcnt(0)
	v_lshlrev_b32_e32 v16, 16, v16
	v_lshlrev_b32_e32 v18, 16, v18
	v_max_f32_e32 v16, v16, v16
	v_max_f32_e32 v18, v18, v18
	v_min_f32_e32 v19, v18, v16
	v_max_f32_e32 v16, v18, v16
	v_cndmask_b32_e64 v16, v16, v19, s[24:25]
	v_and_b32_e32 v18, 0x7f800000, v16
	v_cmp_ne_u32_e32 vcc, s68, v18
                                        ; implicit-def: $vgpr18
	s_and_saveexec_b64 s[26:27], vcc
	s_xor_b64 s[26:27], exec, s[26:27]
; %bb.854:                              ;   in Loop: Header=BB15_853 Depth=3
	v_bfe_u32 v18, v16, 16, 1
	v_add3_u32 v18, v16, v18, s69
                                        ; implicit-def: $vgpr16
; %bb.855:                              ;   in Loop: Header=BB15_853 Depth=3
	s_andn2_saveexec_b64 s[26:27], s[26:27]
; %bb.856:                              ;   in Loop: Header=BB15_853 Depth=3
	v_or_b32_e32 v18, 0x10000, v16
	v_cmp_eq_u32_sdwa vcc, v16, v3 src0_sel:WORD_0 src1_sel:DWORD
	s_nop 1
	v_cndmask_b32_e32 v18, v18, v16, vcc
; %bb.857:                              ;   in Loop: Header=BB15_853 Depth=3
	s_or_b64 exec, exec, s[26:27]
	v_lshrrev_b32_e32 v16, 16, v18
	s_mov_b64 s[36:37], 0
	s_mov_b64 s[34:35], -1
.LBB15_858:                             ;   Parent Loop BB15_47 Depth=1
                                        ;     Parent Loop BB15_623 Depth=2
                                        ;       Parent Loop BB15_853 Depth=3
                                        ; =>      This Inner Loop Header: Depth=4
	s_cmp_eq_u32 s36, 1
	s_cselect_b64 vcc, -1, 0
	v_cndmask_b32_e32 v19, v9, v11, vcc
	s_cmp_eq_u32 s36, 0
	v_cndmask_b32_e32 v18, v8, v10, vcc
	flat_store_short v[18:19], v16 nt
	v_lshl_add_u64 v[18:19], v[18:19], 0, s[62:63]
	s_cselect_b64 s[26:27], -1, 0
	s_and_b64 s[28:29], exec, s[34:35]
	s_mov_b64 s[36:37], 1
	s_mov_b64 s[34:35], 0
	v_cndmask_b32_e32 v11, v11, v19, vcc
	v_cndmask_b32_e32 v10, v10, v18, vcc
	v_cndmask_b32_e64 v9, v9, v19, s[26:27]
	v_cndmask_b32_e64 v8, v8, v18, s[26:27]
	s_mov_b64 vcc, s[28:29]
	s_cbranch_vccnz .LBB15_858
; %bb.859:                              ;   in Loop: Header=BB15_853 Depth=3
	v_sub_u32_e32 v17, v17, v70
	v_cmp_gt_i32_e32 vcc, 2, v17
	v_lshl_add_u64 v[12:13], v[12:13], 0, v[100:101]
	v_lshl_add_u64 v[14:15], v[14:15], 0, v[100:101]
	;; [unrolled: 1-line block ×3, first 2 shown]
	s_or_b64 s[30:31], vcc, s[30:31]
	v_lshl_add_u64 v[10:11], v[10:11], 0, v[96:97]
	s_andn2_b64 exec, exec, s[30:31]
	s_cbranch_execnz .LBB15_853
.LBB15_860:                             ;   in Loop: Header=BB15_623 Depth=2
	s_or_b64 exec, exec, s[40:41]
	s_branch .LBB15_704
.LBB15_861:                             ;   in Loop: Header=BB15_623 Depth=2
	s_mov_b64 s[26:27], -1
	s_and_saveexec_b64 s[24:25], s[18:19]
	s_cbranch_execz .LBB15_863
; %bb.862:                              ;   in Loop: Header=BB15_623 Depth=2
	ds_read_b32 v8, v0 offset:720
	s_waitcnt lgkmcnt(0)
	v_and_b32_e32 v8, 15, v8
	v_cmp_eq_u32_e32 vcc, 0, v8
	s_orn2_b64 s[26:27], vcc, exec
.LBB15_863:                             ;   in Loop: Header=BB15_623 Depth=2
	s_or_b64 exec, exec, s[24:25]
	s_and_saveexec_b64 s[24:25], s[14:15]
	s_cbranch_execz .LBB15_865
; %bb.864:                              ;   in Loop: Header=BB15_623 Depth=2
	ds_read_b32 v8, v0 offset:784
	s_waitcnt lgkmcnt(0)
	v_and_b32_e32 v8, 15, v8
	v_cmp_eq_u32_e32 vcc, 0, v8
	s_and_b64 s[28:29], s[26:27], vcc
	s_andn2_b64 s[26:27], s[26:27], exec
	s_and_b64 s[28:29], s[28:29], exec
	s_or_b64 s[26:27], s[26:27], s[28:29]
.LBB15_865:                             ;   in Loop: Header=BB15_623 Depth=2
	s_or_b64 exec, exec, s[24:25]
	s_xor_b64 s[26:27], s[26:27], -1
	v_cndmask_b32_e64 v8, 0, 1, s[26:27]
	s_mov_b64 s[24:25], -1
	v_mov_b32_e32 v14, 0
	v_cmp_ne_u32_e32 vcc, 0, v8
	s_cbranch_vccz .LBB15_867
; %bb.866:                              ;   in Loop: Header=BB15_623 Depth=2
	v_mov_b32_e32 v15, v0
	s_and_saveexec_b64 s[26:27], s[24:25]
	s_cbranch_execnz .LBB15_974
	s_branch .LBB15_1018
.LBB15_867:                             ;   in Loop: Header=BB15_623 Depth=2
	v_ashrrev_i32_e32 v8, 31, v119
	v_lshrrev_b32_e32 v8, 21, v8
	v_add_u32_e32 v8, v119, v8
	v_ashrrev_i32_e32 v62, 11, v8
	v_sub_u32_e32 v41, v62, v76
	v_cmp_lt_i32_e32 vcc, 0, v41
	s_and_saveexec_b64 s[26:27], vcc
	s_cbranch_execz .LBB15_935
; %bb.868:                              ;   in Loop: Header=BB15_623 Depth=2
	s_trap 2
	ds_read_b64 v[8:9], v0
	s_and_b32 s46, s50, 1
	s_cmp_eq_u64 s[46:47], 0
	v_lshl_add_u64 v[56:57], v[44:45], 0, v[80:81]
	v_lshl_add_u64 v[58:59], v[46:47], 0, v[80:81]
	s_waitcnt lgkmcnt(0)
	v_lshl_add_u64 v[60:61], v[8:9], 0, v[80:81]
	s_mov_b64 s[28:29], 0
	s_cselect_b64 vcc, -1, 0
	s_branch .LBB15_870
.LBB15_869:                             ;   in Loop: Header=BB15_870 Depth=3
	s_or_b64 exec, exec, s[40:41]
	v_lshrrev_b32_e32 v15, 16, v20
	v_and_or_b32 v17, v17, s70, v15
	v_lshrrev_b32_e32 v15, 16, v63
	v_lshrrev_b32_e32 v12, 16, v12
	v_and_or_b32 v16, v16, s70, v15
	v_lshrrev_b32_e32 v15, 16, v21
	v_and_or_b32 v9, v9, s70, v12
	;; [unrolled: 2-line block ×4, first 2 shown]
	v_lshrrev_b32_e32 v12, 16, v13
	v_sub_u32_e32 v41, v41, v52
	v_and_or_b32 v19, v19, s70, v15
	v_and_or_b32 v10, v10, s70, v12
	v_lshrrev_b32_e32 v12, 16, v14
	v_cmp_gt_i32_e64 s[24:25], 1, v41
	v_and_or_b32 v11, v11, s70, v12
	global_store_dwordx4 v[58:59], v[16:19], off
	global_store_dwordx4 v[58:59], v[8:11], off offset:1024
	v_lshl_add_u64 v[56:57], v[56:57], 0, v[82:83]
	v_lshl_add_u64 v[60:61], v[60:61], 0, v[82:83]
	s_or_b64 s[28:29], s[24:25], s[28:29]
	v_lshl_add_u64 v[58:59], v[58:59], 0, v[82:83]
	s_andn2_b64 exec, exec, s[28:29]
	s_cbranch_execz .LBB15_934
.LBB15_870:                             ;   Parent Loop BB15_47 Depth=1
                                        ;     Parent Loop BB15_623 Depth=2
                                        ; =>    This Inner Loop Header: Depth=3
	global_load_dwordx4 v[16:19], v[56:57], off nt
	global_load_dwordx4 v[20:23], v[60:61], off nt
	global_load_dwordx4 v[8:11], v[56:57], off offset:1024 nt
	global_load_dwordx4 v[12:15], v[60:61], off offset:1024 nt
	s_waitcnt vmcnt(0)
	v_lshlrev_b32_e32 v63, 16, v16
	v_lshlrev_b32_e32 v72, 16, v20
	v_max_f32_e32 v72, v72, v72
	v_max_f32_e32 v63, v63, v63
	v_min_f32_e32 v73, v63, v72
	v_max_f32_e32 v63, v63, v72
	v_cndmask_b32_e32 v72, v63, v73, vcc
	v_and_b32_e32 v63, 0x7f800000, v72
	v_cmp_ne_u32_e64 s[24:25], s68, v63
                                        ; implicit-def: $vgpr63
	s_and_saveexec_b64 s[40:41], s[24:25]
	s_xor_b64 s[24:25], exec, s[40:41]
; %bb.871:                              ;   in Loop: Header=BB15_870 Depth=3
	v_bfe_u32 v63, v72, 16, 1
	v_add3_u32 v63, v72, v63, s69
                                        ; implicit-def: $vgpr72
; %bb.872:                              ;   in Loop: Header=BB15_870 Depth=3
	s_andn2_saveexec_b64 s[40:41], s[24:25]
; %bb.873:                              ;   in Loop: Header=BB15_870 Depth=3
	v_or_b32_e32 v63, 0x10000, v72
	v_cmp_eq_u32_sdwa s[24:25], v72, v3 src0_sel:WORD_0 src1_sel:DWORD
	s_nop 1
	v_cndmask_b32_e64 v63, v63, v72, s[24:25]
; %bb.874:                              ;   in Loop: Header=BB15_870 Depth=3
	s_or_b64 exec, exec, s[40:41]
	v_and_b32_e32 v16, 0xffff0000, v16
	v_and_b32_e32 v20, 0xffff0000, v20
	v_max_f32_e32 v20, v20, v20
	v_max_f32_e32 v16, v16, v16
	v_min_f32_e32 v72, v16, v20
	v_max_f32_e32 v16, v16, v20
	v_cndmask_b32_e32 v20, v16, v72, vcc
	v_and_b32_e32 v16, 0x7f800000, v20
	v_cmp_ne_u32_e64 s[24:25], s68, v16
                                        ; implicit-def: $vgpr16
	s_and_saveexec_b64 s[40:41], s[24:25]
	s_xor_b64 s[24:25], exec, s[40:41]
; %bb.875:                              ;   in Loop: Header=BB15_870 Depth=3
	v_bfe_u32 v16, v20, 16, 1
	v_add3_u32 v16, v20, v16, s69
                                        ; implicit-def: $vgpr20
; %bb.876:                              ;   in Loop: Header=BB15_870 Depth=3
	s_andn2_saveexec_b64 s[40:41], s[24:25]
; %bb.877:                              ;   in Loop: Header=BB15_870 Depth=3
	v_or_b32_e32 v16, 0x10000, v20
	v_cmp_eq_u32_sdwa s[24:25], v20, v3 src0_sel:WORD_0 src1_sel:DWORD
	s_nop 1
	v_cndmask_b32_e64 v16, v16, v20, s[24:25]
; %bb.878:                              ;   in Loop: Header=BB15_870 Depth=3
	s_or_b64 exec, exec, s[40:41]
	v_lshlrev_b32_e32 v20, 16, v17
	v_lshlrev_b32_e32 v72, 16, v21
	v_max_f32_e32 v72, v72, v72
	v_max_f32_e32 v20, v20, v20
	v_min_f32_e32 v73, v20, v72
	v_max_f32_e32 v20, v20, v72
	v_cndmask_b32_e32 v72, v20, v73, vcc
	v_and_b32_e32 v20, 0x7f800000, v72
	v_cmp_ne_u32_e64 s[24:25], s68, v20
                                        ; implicit-def: $vgpr20
	s_and_saveexec_b64 s[40:41], s[24:25]
	s_xor_b64 s[24:25], exec, s[40:41]
; %bb.879:                              ;   in Loop: Header=BB15_870 Depth=3
	v_bfe_u32 v20, v72, 16, 1
	v_add3_u32 v20, v72, v20, s69
                                        ; implicit-def: $vgpr72
; %bb.880:                              ;   in Loop: Header=BB15_870 Depth=3
	s_andn2_saveexec_b64 s[40:41], s[24:25]
; %bb.881:                              ;   in Loop: Header=BB15_870 Depth=3
	v_or_b32_e32 v20, 0x10000, v72
	v_cmp_eq_u32_sdwa s[24:25], v72, v3 src0_sel:WORD_0 src1_sel:DWORD
	s_nop 1
	v_cndmask_b32_e64 v20, v20, v72, s[24:25]
; %bb.882:                              ;   in Loop: Header=BB15_870 Depth=3
	s_or_b64 exec, exec, s[40:41]
	v_and_b32_e32 v17, 0xffff0000, v17
	v_and_b32_e32 v21, 0xffff0000, v21
	v_max_f32_e32 v21, v21, v21
	v_max_f32_e32 v17, v17, v17
	v_min_f32_e32 v72, v17, v21
	v_max_f32_e32 v17, v17, v21
	v_cndmask_b32_e32 v21, v17, v72, vcc
	v_and_b32_e32 v17, 0x7f800000, v21
	v_cmp_ne_u32_e64 s[24:25], s68, v17
                                        ; implicit-def: $vgpr17
	s_and_saveexec_b64 s[40:41], s[24:25]
	s_xor_b64 s[24:25], exec, s[40:41]
; %bb.883:                              ;   in Loop: Header=BB15_870 Depth=3
	v_bfe_u32 v17, v21, 16, 1
	v_add3_u32 v17, v21, v17, s69
                                        ; implicit-def: $vgpr21
; %bb.884:                              ;   in Loop: Header=BB15_870 Depth=3
	s_andn2_saveexec_b64 s[40:41], s[24:25]
; %bb.885:                              ;   in Loop: Header=BB15_870 Depth=3
	v_or_b32_e32 v17, 0x10000, v21
	v_cmp_eq_u32_sdwa s[24:25], v21, v3 src0_sel:WORD_0 src1_sel:DWORD
	s_nop 1
	v_cndmask_b32_e64 v17, v17, v21, s[24:25]
; %bb.886:                              ;   in Loop: Header=BB15_870 Depth=3
	s_or_b64 exec, exec, s[40:41]
	v_lshlrev_b32_e32 v21, 16, v18
	v_lshlrev_b32_e32 v72, 16, v22
	v_max_f32_e32 v72, v72, v72
	v_max_f32_e32 v21, v21, v21
	v_min_f32_e32 v73, v21, v72
	v_max_f32_e32 v21, v21, v72
	v_cndmask_b32_e32 v72, v21, v73, vcc
	v_and_b32_e32 v21, 0x7f800000, v72
	v_cmp_ne_u32_e64 s[24:25], s68, v21
                                        ; implicit-def: $vgpr21
	s_and_saveexec_b64 s[40:41], s[24:25]
	s_xor_b64 s[24:25], exec, s[40:41]
; %bb.887:                              ;   in Loop: Header=BB15_870 Depth=3
	v_bfe_u32 v21, v72, 16, 1
	v_add3_u32 v21, v72, v21, s69
                                        ; implicit-def: $vgpr72
; %bb.888:                              ;   in Loop: Header=BB15_870 Depth=3
	s_andn2_saveexec_b64 s[40:41], s[24:25]
; %bb.889:                              ;   in Loop: Header=BB15_870 Depth=3
	v_or_b32_e32 v21, 0x10000, v72
	v_cmp_eq_u32_sdwa s[24:25], v72, v3 src0_sel:WORD_0 src1_sel:DWORD
	s_nop 1
	v_cndmask_b32_e64 v21, v21, v72, s[24:25]
; %bb.890:                              ;   in Loop: Header=BB15_870 Depth=3
	s_or_b64 exec, exec, s[40:41]
	v_and_b32_e32 v18, 0xffff0000, v18
	v_and_b32_e32 v22, 0xffff0000, v22
	v_max_f32_e32 v22, v22, v22
	v_max_f32_e32 v18, v18, v18
	v_min_f32_e32 v72, v18, v22
	v_max_f32_e32 v18, v18, v22
	v_cndmask_b32_e32 v22, v18, v72, vcc
	v_and_b32_e32 v18, 0x7f800000, v22
	v_cmp_ne_u32_e64 s[24:25], s68, v18
                                        ; implicit-def: $vgpr18
	s_and_saveexec_b64 s[40:41], s[24:25]
	s_xor_b64 s[24:25], exec, s[40:41]
; %bb.891:                              ;   in Loop: Header=BB15_870 Depth=3
	v_bfe_u32 v18, v22, 16, 1
	v_add3_u32 v18, v22, v18, s69
                                        ; implicit-def: $vgpr22
; %bb.892:                              ;   in Loop: Header=BB15_870 Depth=3
	s_andn2_saveexec_b64 s[40:41], s[24:25]
; %bb.893:                              ;   in Loop: Header=BB15_870 Depth=3
	v_or_b32_e32 v18, 0x10000, v22
	v_cmp_eq_u32_sdwa s[24:25], v22, v3 src0_sel:WORD_0 src1_sel:DWORD
	s_nop 1
	v_cndmask_b32_e64 v18, v18, v22, s[24:25]
; %bb.894:                              ;   in Loop: Header=BB15_870 Depth=3
	s_or_b64 exec, exec, s[40:41]
	v_lshlrev_b32_e32 v22, 16, v19
	v_lshlrev_b32_e32 v72, 16, v23
	v_max_f32_e32 v72, v72, v72
	v_max_f32_e32 v22, v22, v22
	v_min_f32_e32 v73, v22, v72
	v_max_f32_e32 v22, v22, v72
	v_cndmask_b32_e32 v72, v22, v73, vcc
	v_and_b32_e32 v22, 0x7f800000, v72
	v_cmp_ne_u32_e64 s[24:25], s68, v22
                                        ; implicit-def: $vgpr22
	s_and_saveexec_b64 s[40:41], s[24:25]
	s_xor_b64 s[24:25], exec, s[40:41]
; %bb.895:                              ;   in Loop: Header=BB15_870 Depth=3
	v_bfe_u32 v22, v72, 16, 1
	v_add3_u32 v22, v72, v22, s69
                                        ; implicit-def: $vgpr72
; %bb.896:                              ;   in Loop: Header=BB15_870 Depth=3
	s_andn2_saveexec_b64 s[40:41], s[24:25]
; %bb.897:                              ;   in Loop: Header=BB15_870 Depth=3
	v_or_b32_e32 v22, 0x10000, v72
	v_cmp_eq_u32_sdwa s[24:25], v72, v3 src0_sel:WORD_0 src1_sel:DWORD
	s_nop 1
	v_cndmask_b32_e64 v22, v22, v72, s[24:25]
; %bb.898:                              ;   in Loop: Header=BB15_870 Depth=3
	s_or_b64 exec, exec, s[40:41]
	v_and_b32_e32 v19, 0xffff0000, v19
	v_and_b32_e32 v23, 0xffff0000, v23
	v_max_f32_e32 v23, v23, v23
	v_max_f32_e32 v19, v19, v19
	v_min_f32_e32 v72, v19, v23
	v_max_f32_e32 v19, v19, v23
	v_cndmask_b32_e32 v23, v19, v72, vcc
	v_and_b32_e32 v19, 0x7f800000, v23
	v_cmp_ne_u32_e64 s[24:25], s68, v19
                                        ; implicit-def: $vgpr19
	s_and_saveexec_b64 s[40:41], s[24:25]
	s_xor_b64 s[24:25], exec, s[40:41]
; %bb.899:                              ;   in Loop: Header=BB15_870 Depth=3
	v_bfe_u32 v19, v23, 16, 1
	v_add3_u32 v19, v23, v19, s69
                                        ; implicit-def: $vgpr23
; %bb.900:                              ;   in Loop: Header=BB15_870 Depth=3
	s_andn2_saveexec_b64 s[40:41], s[24:25]
; %bb.901:                              ;   in Loop: Header=BB15_870 Depth=3
	v_or_b32_e32 v19, 0x10000, v23
	v_cmp_eq_u32_sdwa s[24:25], v23, v3 src0_sel:WORD_0 src1_sel:DWORD
	s_nop 1
	v_cndmask_b32_e64 v19, v19, v23, s[24:25]
; %bb.902:                              ;   in Loop: Header=BB15_870 Depth=3
	s_or_b64 exec, exec, s[40:41]
	v_lshlrev_b32_e32 v23, 16, v8
	v_lshlrev_b32_e32 v72, 16, v12
	v_max_f32_e32 v72, v72, v72
	v_max_f32_e32 v23, v23, v23
	v_min_f32_e32 v73, v23, v72
	v_max_f32_e32 v23, v23, v72
	v_cndmask_b32_e32 v72, v23, v73, vcc
	v_and_b32_e32 v23, 0x7f800000, v72
	v_cmp_ne_u32_e64 s[24:25], s68, v23
                                        ; implicit-def: $vgpr23
	s_and_saveexec_b64 s[40:41], s[24:25]
	s_xor_b64 s[24:25], exec, s[40:41]
; %bb.903:                              ;   in Loop: Header=BB15_870 Depth=3
	v_bfe_u32 v23, v72, 16, 1
	v_add3_u32 v23, v72, v23, s69
                                        ; implicit-def: $vgpr72
; %bb.904:                              ;   in Loop: Header=BB15_870 Depth=3
	s_andn2_saveexec_b64 s[40:41], s[24:25]
; %bb.905:                              ;   in Loop: Header=BB15_870 Depth=3
	v_or_b32_e32 v23, 0x10000, v72
	v_cmp_eq_u32_sdwa s[24:25], v72, v3 src0_sel:WORD_0 src1_sel:DWORD
	s_nop 1
	v_cndmask_b32_e64 v23, v23, v72, s[24:25]
; %bb.906:                              ;   in Loop: Header=BB15_870 Depth=3
	s_or_b64 exec, exec, s[40:41]
	v_and_b32_e32 v8, 0xffff0000, v8
	v_and_b32_e32 v12, 0xffff0000, v12
	v_max_f32_e32 v12, v12, v12
	v_max_f32_e32 v8, v8, v8
	v_min_f32_e32 v72, v8, v12
	v_max_f32_e32 v8, v8, v12
	v_cndmask_b32_e32 v12, v8, v72, vcc
	v_and_b32_e32 v8, 0x7f800000, v12
	v_cmp_ne_u32_e64 s[24:25], s68, v8
                                        ; implicit-def: $vgpr8
	s_and_saveexec_b64 s[40:41], s[24:25]
	s_xor_b64 s[24:25], exec, s[40:41]
; %bb.907:                              ;   in Loop: Header=BB15_870 Depth=3
	v_bfe_u32 v8, v12, 16, 1
	v_add3_u32 v8, v12, v8, s69
                                        ; implicit-def: $vgpr12
; %bb.908:                              ;   in Loop: Header=BB15_870 Depth=3
	s_andn2_saveexec_b64 s[40:41], s[24:25]
; %bb.909:                              ;   in Loop: Header=BB15_870 Depth=3
	v_or_b32_e32 v8, 0x10000, v12
	v_cmp_eq_u32_sdwa s[24:25], v12, v3 src0_sel:WORD_0 src1_sel:DWORD
	s_nop 1
	v_cndmask_b32_e64 v8, v8, v12, s[24:25]
; %bb.910:                              ;   in Loop: Header=BB15_870 Depth=3
	s_or_b64 exec, exec, s[40:41]
	v_lshlrev_b32_e32 v12, 16, v9
	v_lshlrev_b32_e32 v72, 16, v13
	v_max_f32_e32 v72, v72, v72
	v_max_f32_e32 v12, v12, v12
	v_min_f32_e32 v73, v12, v72
	v_max_f32_e32 v12, v12, v72
	v_cndmask_b32_e32 v72, v12, v73, vcc
	v_and_b32_e32 v12, 0x7f800000, v72
	v_cmp_ne_u32_e64 s[24:25], s68, v12
                                        ; implicit-def: $vgpr12
	s_and_saveexec_b64 s[40:41], s[24:25]
	s_xor_b64 s[24:25], exec, s[40:41]
; %bb.911:                              ;   in Loop: Header=BB15_870 Depth=3
	v_bfe_u32 v12, v72, 16, 1
	v_add3_u32 v12, v72, v12, s69
                                        ; implicit-def: $vgpr72
; %bb.912:                              ;   in Loop: Header=BB15_870 Depth=3
	s_andn2_saveexec_b64 s[40:41], s[24:25]
; %bb.913:                              ;   in Loop: Header=BB15_870 Depth=3
	v_or_b32_e32 v12, 0x10000, v72
	v_cmp_eq_u32_sdwa s[24:25], v72, v3 src0_sel:WORD_0 src1_sel:DWORD
	s_nop 1
	v_cndmask_b32_e64 v12, v12, v72, s[24:25]
; %bb.914:                              ;   in Loop: Header=BB15_870 Depth=3
	s_or_b64 exec, exec, s[40:41]
	v_and_b32_e32 v9, 0xffff0000, v9
	v_and_b32_e32 v13, 0xffff0000, v13
	v_max_f32_e32 v13, v13, v13
	v_max_f32_e32 v9, v9, v9
	v_min_f32_e32 v72, v9, v13
	v_max_f32_e32 v9, v9, v13
	v_cndmask_b32_e32 v13, v9, v72, vcc
	v_and_b32_e32 v9, 0x7f800000, v13
	v_cmp_ne_u32_e64 s[24:25], s68, v9
                                        ; implicit-def: $vgpr9
	s_and_saveexec_b64 s[40:41], s[24:25]
	s_xor_b64 s[24:25], exec, s[40:41]
; %bb.915:                              ;   in Loop: Header=BB15_870 Depth=3
	v_bfe_u32 v9, v13, 16, 1
	v_add3_u32 v9, v13, v9, s69
                                        ; implicit-def: $vgpr13
; %bb.916:                              ;   in Loop: Header=BB15_870 Depth=3
	s_andn2_saveexec_b64 s[40:41], s[24:25]
; %bb.917:                              ;   in Loop: Header=BB15_870 Depth=3
	v_or_b32_e32 v9, 0x10000, v13
	v_cmp_eq_u32_sdwa s[24:25], v13, v3 src0_sel:WORD_0 src1_sel:DWORD
	s_nop 1
	v_cndmask_b32_e64 v9, v9, v13, s[24:25]
; %bb.918:                              ;   in Loop: Header=BB15_870 Depth=3
	s_or_b64 exec, exec, s[40:41]
	v_lshlrev_b32_e32 v13, 16, v10
	v_lshlrev_b32_e32 v72, 16, v14
	v_max_f32_e32 v72, v72, v72
	v_max_f32_e32 v13, v13, v13
	v_min_f32_e32 v73, v13, v72
	v_max_f32_e32 v13, v13, v72
	v_cndmask_b32_e32 v72, v13, v73, vcc
	v_and_b32_e32 v13, 0x7f800000, v72
	v_cmp_ne_u32_e64 s[24:25], s68, v13
                                        ; implicit-def: $vgpr13
	s_and_saveexec_b64 s[40:41], s[24:25]
	s_xor_b64 s[24:25], exec, s[40:41]
; %bb.919:                              ;   in Loop: Header=BB15_870 Depth=3
	v_bfe_u32 v13, v72, 16, 1
	v_add3_u32 v13, v72, v13, s69
                                        ; implicit-def: $vgpr72
; %bb.920:                              ;   in Loop: Header=BB15_870 Depth=3
	s_andn2_saveexec_b64 s[40:41], s[24:25]
; %bb.921:                              ;   in Loop: Header=BB15_870 Depth=3
	v_or_b32_e32 v13, 0x10000, v72
	v_cmp_eq_u32_sdwa s[24:25], v72, v3 src0_sel:WORD_0 src1_sel:DWORD
	s_nop 1
	v_cndmask_b32_e64 v13, v13, v72, s[24:25]
; %bb.922:                              ;   in Loop: Header=BB15_870 Depth=3
	s_or_b64 exec, exec, s[40:41]
	v_and_b32_e32 v10, 0xffff0000, v10
	v_and_b32_e32 v14, 0xffff0000, v14
	v_max_f32_e32 v14, v14, v14
	v_max_f32_e32 v10, v10, v10
	v_min_f32_e32 v72, v10, v14
	v_max_f32_e32 v10, v10, v14
	v_cndmask_b32_e32 v14, v10, v72, vcc
	v_and_b32_e32 v10, 0x7f800000, v14
	v_cmp_ne_u32_e64 s[24:25], s68, v10
                                        ; implicit-def: $vgpr10
	s_and_saveexec_b64 s[40:41], s[24:25]
	s_xor_b64 s[24:25], exec, s[40:41]
; %bb.923:                              ;   in Loop: Header=BB15_870 Depth=3
	v_bfe_u32 v10, v14, 16, 1
	v_add3_u32 v10, v14, v10, s69
                                        ; implicit-def: $vgpr14
; %bb.924:                              ;   in Loop: Header=BB15_870 Depth=3
	s_andn2_saveexec_b64 s[40:41], s[24:25]
; %bb.925:                              ;   in Loop: Header=BB15_870 Depth=3
	v_or_b32_e32 v10, 0x10000, v14
	v_cmp_eq_u32_sdwa s[24:25], v14, v3 src0_sel:WORD_0 src1_sel:DWORD
	s_nop 1
	v_cndmask_b32_e64 v10, v10, v14, s[24:25]
; %bb.926:                              ;   in Loop: Header=BB15_870 Depth=3
	s_or_b64 exec, exec, s[40:41]
	v_lshlrev_b32_e32 v14, 16, v11
	v_lshlrev_b32_e32 v72, 16, v15
	v_max_f32_e32 v72, v72, v72
	v_max_f32_e32 v14, v14, v14
	v_min_f32_e32 v73, v14, v72
	v_max_f32_e32 v14, v14, v72
	v_cndmask_b32_e32 v72, v14, v73, vcc
	v_and_b32_e32 v14, 0x7f800000, v72
	v_cmp_ne_u32_e64 s[24:25], s68, v14
                                        ; implicit-def: $vgpr14
	s_and_saveexec_b64 s[40:41], s[24:25]
	s_xor_b64 s[24:25], exec, s[40:41]
; %bb.927:                              ;   in Loop: Header=BB15_870 Depth=3
	v_bfe_u32 v14, v72, 16, 1
	v_add3_u32 v14, v72, v14, s69
                                        ; implicit-def: $vgpr72
; %bb.928:                              ;   in Loop: Header=BB15_870 Depth=3
	s_andn2_saveexec_b64 s[40:41], s[24:25]
; %bb.929:                              ;   in Loop: Header=BB15_870 Depth=3
	v_or_b32_e32 v14, 0x10000, v72
	v_cmp_eq_u32_sdwa s[24:25], v72, v3 src0_sel:WORD_0 src1_sel:DWORD
	s_nop 1
	v_cndmask_b32_e64 v14, v14, v72, s[24:25]
; %bb.930:                              ;   in Loop: Header=BB15_870 Depth=3
	s_or_b64 exec, exec, s[40:41]
	v_and_b32_e32 v11, 0xffff0000, v11
	v_and_b32_e32 v15, 0xffff0000, v15
	v_max_f32_e32 v15, v15, v15
	v_max_f32_e32 v11, v11, v11
	v_min_f32_e32 v72, v11, v15
	v_max_f32_e32 v11, v11, v15
	v_cndmask_b32_e32 v15, v11, v72, vcc
	v_and_b32_e32 v11, 0x7f800000, v15
	v_cmp_ne_u32_e64 s[24:25], s68, v11
                                        ; implicit-def: $vgpr11
	s_and_saveexec_b64 s[40:41], s[24:25]
	s_xor_b64 s[24:25], exec, s[40:41]
; %bb.931:                              ;   in Loop: Header=BB15_870 Depth=3
	v_bfe_u32 v11, v15, 16, 1
	v_add3_u32 v11, v15, v11, s69
                                        ; implicit-def: $vgpr15
; %bb.932:                              ;   in Loop: Header=BB15_870 Depth=3
	s_andn2_saveexec_b64 s[40:41], s[24:25]
	s_cbranch_execz .LBB15_869
; %bb.933:                              ;   in Loop: Header=BB15_870 Depth=3
	v_or_b32_e32 v11, 0x10000, v15
	v_cmp_eq_u32_sdwa s[24:25], v15, v3 src0_sel:WORD_0 src1_sel:DWORD
	s_nop 1
	v_cndmask_b32_e64 v11, v11, v15, s[24:25]
	s_branch .LBB15_869
.LBB15_934:                             ;   in Loop: Header=BB15_623 Depth=2
	s_or_b64 exec, exec, s[28:29]
.LBB15_935:                             ;   in Loop: Header=BB15_623 Depth=2
	s_or_b64 exec, exec, s[26:27]
	v_lshlrev_b32_e32 v22, 11, v62
	v_cmp_ne_u32_e32 vcc, v119, v22
	s_mov_b64 s[24:25], 0
	v_mov_b32_e32 v14, 0
                                        ; implicit-def: $vgpr15
	s_and_saveexec_b64 s[28:29], vcc
	s_cbranch_execz .LBB15_973
; %bb.936:                              ;   in Loop: Header=BB15_623 Depth=2
	v_lshlrev_b32_e32 v8, 6, v41
	v_sub_u32_e32 v8, v75, v8
	v_ashrrev_i32_e32 v10, 31, v8
	v_lshrrev_b32_e32 v10, 26, v10
	v_add_u32_e32 v10, v8, v10
	v_sub_u32_e32 v9, v119, v22
	v_ashrrev_i32_e32 v11, 6, v10
	v_and_b32_e32 v10, 0xffffffc0, v10
	v_sub_u32_e32 v23, v8, v10
	v_ashrrev_i32_e32 v10, 31, v9
	v_lshrrev_b32_e32 v10, 22, v10
	v_add_u32_e32 v10, v9, v10
	v_and_b32_e32 v41, 0xfffffc00, v10
	v_lshlrev_b32_e32 v8, 4, v23
	v_sub_u32_e32 v56, v9, v41
	v_lshl_add_u32 v8, v11, 10, v8
	v_ashrrev_i32_e32 v12, 10, v10
	v_cmp_lt_i32_e32 vcc, 15, v56
	v_sub_u32_e32 v58, v9, v8
	s_nop 0
	v_addc_co_u32_e64 v9, s[24:25], 0, v12, vcc
	v_sub_u32_e32 v57, v9, v11
	v_cmp_lt_i32_e64 s[24:25], 15, v58
	s_and_saveexec_b64 s[40:41], s[24:25]
	s_cbranch_execz .LBB15_972
; %bb.937:                              ;   in Loop: Header=BB15_623 Depth=2
	s_trap 2
	ds_read_b64 v[10:11], v0
	v_add_u32_e32 v8, v8, v22
	s_and_b32 s46, s50, 1
	v_ashrrev_i32_e32 v9, 31, v8
	s_cmp_eq_u64 s[46:47], 0
	v_lshl_add_u64 v[16:17], v[8:9], 0, v[44:45]
	s_waitcnt lgkmcnt(0)
	v_lshl_add_u64 v[18:19], v[10:11], 0, v[8:9]
	v_lshl_add_u64 v[20:21], v[8:9], 0, v[46:47]
	s_mov_b64 s[30:31], 0
	s_cselect_b64 s[24:25], -1, 0
	s_branch .LBB15_939
.LBB15_938:                             ;   in Loop: Header=BB15_939 Depth=3
	s_or_b64 exec, exec, s[34:35]
	v_lshrrev_b32_e32 v12, 16, v12
	v_and_or_b32 v9, v9, s70, v12
	v_lshrrev_b32_e32 v12, 16, v59
	v_and_or_b32 v8, v8, s70, v12
	;; [unrolled: 2-line block ×3, first 2 shown]
	v_lshrrev_b32_e32 v12, 16, v14
	v_sub_u32_e32 v58, v58, v68
	v_and_or_b32 v11, v11, s70, v12
	v_cmp_gt_i32_e64 s[26:27], 16, v58
	global_store_dwordx4 v[20:21], v[8:11], off
	v_lshl_add_u64 v[16:17], v[16:17], 0, v[68:69]
	v_lshl_add_u64 v[18:19], v[18:19], 0, v[68:69]
	;; [unrolled: 1-line block ×3, first 2 shown]
	s_or_b64 s[30:31], s[26:27], s[30:31]
	v_sub_u32_e32 v57, v57, v52
	s_andn2_b64 exec, exec, s[30:31]
	s_cbranch_execz .LBB15_971
.LBB15_939:                             ;   Parent Loop BB15_47 Depth=1
                                        ;     Parent Loop BB15_623 Depth=2
                                        ; =>    This Inner Loop Header: Depth=3
	global_load_dwordx4 v[8:11], v[18:19], off nt
	global_load_dwordx4 v[12:15], v[16:17], off nt
	s_waitcnt vmcnt(0)
	v_lshlrev_b32_e32 v59, 16, v8
	v_lshlrev_b32_e32 v60, 16, v12
	v_max_f32_e32 v59, v59, v59
	v_max_f32_e32 v60, v60, v60
	v_min_f32_e32 v61, v60, v59
	v_max_f32_e32 v59, v60, v59
	v_cndmask_b32_e64 v60, v59, v61, s[24:25]
	v_and_b32_e32 v59, 0x7f800000, v60
	v_cmp_ne_u32_e64 s[26:27], s68, v59
                                        ; implicit-def: $vgpr59
	s_and_saveexec_b64 s[34:35], s[26:27]
	s_xor_b64 s[26:27], exec, s[34:35]
; %bb.940:                              ;   in Loop: Header=BB15_939 Depth=3
	v_bfe_u32 v59, v60, 16, 1
	v_add3_u32 v59, v60, v59, s69
                                        ; implicit-def: $vgpr60
; %bb.941:                              ;   in Loop: Header=BB15_939 Depth=3
	s_andn2_saveexec_b64 s[34:35], s[26:27]
; %bb.942:                              ;   in Loop: Header=BB15_939 Depth=3
	v_or_b32_e32 v59, 0x10000, v60
	v_cmp_eq_u32_sdwa s[26:27], v60, v3 src0_sel:WORD_0 src1_sel:DWORD
	s_nop 1
	v_cndmask_b32_e64 v59, v59, v60, s[26:27]
; %bb.943:                              ;   in Loop: Header=BB15_939 Depth=3
	s_or_b64 exec, exec, s[34:35]
	v_and_b32_e32 v8, 0xffff0000, v8
	v_and_b32_e32 v12, 0xffff0000, v12
	v_max_f32_e32 v8, v8, v8
	v_max_f32_e32 v12, v12, v12
	v_min_f32_e32 v60, v12, v8
	v_max_f32_e32 v8, v12, v8
	v_cndmask_b32_e64 v12, v8, v60, s[24:25]
	v_and_b32_e32 v8, 0x7f800000, v12
	v_cmp_ne_u32_e64 s[26:27], s68, v8
                                        ; implicit-def: $vgpr8
	s_and_saveexec_b64 s[34:35], s[26:27]
	s_xor_b64 s[26:27], exec, s[34:35]
; %bb.944:                              ;   in Loop: Header=BB15_939 Depth=3
	v_bfe_u32 v8, v12, 16, 1
	v_add3_u32 v8, v12, v8, s69
                                        ; implicit-def: $vgpr12
; %bb.945:                              ;   in Loop: Header=BB15_939 Depth=3
	s_andn2_saveexec_b64 s[34:35], s[26:27]
; %bb.946:                              ;   in Loop: Header=BB15_939 Depth=3
	v_or_b32_e32 v8, 0x10000, v12
	v_cmp_eq_u32_sdwa s[26:27], v12, v3 src0_sel:WORD_0 src1_sel:DWORD
	s_nop 1
	v_cndmask_b32_e64 v8, v8, v12, s[26:27]
; %bb.947:                              ;   in Loop: Header=BB15_939 Depth=3
	s_or_b64 exec, exec, s[34:35]
	v_lshlrev_b32_e32 v12, 16, v9
	v_lshlrev_b32_e32 v60, 16, v13
	v_max_f32_e32 v12, v12, v12
	v_max_f32_e32 v60, v60, v60
	v_min_f32_e32 v61, v60, v12
	v_max_f32_e32 v12, v60, v12
	v_cndmask_b32_e64 v60, v12, v61, s[24:25]
	v_and_b32_e32 v12, 0x7f800000, v60
	v_cmp_ne_u32_e64 s[26:27], s68, v12
                                        ; implicit-def: $vgpr12
	s_and_saveexec_b64 s[34:35], s[26:27]
	s_xor_b64 s[26:27], exec, s[34:35]
; %bb.948:                              ;   in Loop: Header=BB15_939 Depth=3
	v_bfe_u32 v12, v60, 16, 1
	v_add3_u32 v12, v60, v12, s69
                                        ; implicit-def: $vgpr60
; %bb.949:                              ;   in Loop: Header=BB15_939 Depth=3
	s_andn2_saveexec_b64 s[34:35], s[26:27]
; %bb.950:                              ;   in Loop: Header=BB15_939 Depth=3
	v_or_b32_e32 v12, 0x10000, v60
	v_cmp_eq_u32_sdwa s[26:27], v60, v3 src0_sel:WORD_0 src1_sel:DWORD
	s_nop 1
	v_cndmask_b32_e64 v12, v12, v60, s[26:27]
; %bb.951:                              ;   in Loop: Header=BB15_939 Depth=3
	s_or_b64 exec, exec, s[34:35]
	v_and_b32_e32 v13, 0xffff0000, v13
	v_and_b32_e32 v9, 0xffff0000, v9
	v_max_f32_e32 v9, v9, v9
	v_max_f32_e32 v13, v13, v13
	v_min_f32_e32 v60, v13, v9
	v_max_f32_e32 v9, v13, v9
	v_cndmask_b32_e64 v13, v9, v60, s[24:25]
	v_and_b32_e32 v9, 0x7f800000, v13
	v_cmp_ne_u32_e64 s[26:27], s68, v9
                                        ; implicit-def: $vgpr9
	s_and_saveexec_b64 s[34:35], s[26:27]
	s_xor_b64 s[26:27], exec, s[34:35]
; %bb.952:                              ;   in Loop: Header=BB15_939 Depth=3
	v_bfe_u32 v9, v13, 16, 1
	v_add3_u32 v9, v13, v9, s69
                                        ; implicit-def: $vgpr13
; %bb.953:                              ;   in Loop: Header=BB15_939 Depth=3
	s_andn2_saveexec_b64 s[34:35], s[26:27]
; %bb.954:                              ;   in Loop: Header=BB15_939 Depth=3
	v_or_b32_e32 v9, 0x10000, v13
	v_cmp_eq_u32_sdwa s[26:27], v13, v3 src0_sel:WORD_0 src1_sel:DWORD
	s_nop 1
	v_cndmask_b32_e64 v9, v9, v13, s[26:27]
; %bb.955:                              ;   in Loop: Header=BB15_939 Depth=3
	s_or_b64 exec, exec, s[34:35]
	v_lshlrev_b32_e32 v13, 16, v10
	v_lshlrev_b32_e32 v60, 16, v14
	v_max_f32_e32 v13, v13, v13
	v_max_f32_e32 v60, v60, v60
	v_min_f32_e32 v61, v60, v13
	v_max_f32_e32 v13, v60, v13
	v_cndmask_b32_e64 v60, v13, v61, s[24:25]
	v_and_b32_e32 v13, 0x7f800000, v60
	v_cmp_ne_u32_e64 s[26:27], s68, v13
                                        ; implicit-def: $vgpr13
	s_and_saveexec_b64 s[34:35], s[26:27]
	s_xor_b64 s[26:27], exec, s[34:35]
; %bb.956:                              ;   in Loop: Header=BB15_939 Depth=3
	v_bfe_u32 v13, v60, 16, 1
	v_add3_u32 v13, v60, v13, s69
                                        ; implicit-def: $vgpr60
; %bb.957:                              ;   in Loop: Header=BB15_939 Depth=3
	s_andn2_saveexec_b64 s[34:35], s[26:27]
; %bb.958:                              ;   in Loop: Header=BB15_939 Depth=3
	v_or_b32_e32 v13, 0x10000, v60
	v_cmp_eq_u32_sdwa s[26:27], v60, v3 src0_sel:WORD_0 src1_sel:DWORD
	s_nop 1
	v_cndmask_b32_e64 v13, v13, v60, s[26:27]
; %bb.959:                              ;   in Loop: Header=BB15_939 Depth=3
	s_or_b64 exec, exec, s[34:35]
	v_and_b32_e32 v14, 0xffff0000, v14
	v_and_b32_e32 v10, 0xffff0000, v10
	v_max_f32_e32 v10, v10, v10
	v_max_f32_e32 v14, v14, v14
	v_min_f32_e32 v60, v14, v10
	v_max_f32_e32 v10, v14, v10
	v_cndmask_b32_e64 v14, v10, v60, s[24:25]
	v_and_b32_e32 v10, 0x7f800000, v14
	v_cmp_ne_u32_e64 s[26:27], s68, v10
                                        ; implicit-def: $vgpr10
	s_and_saveexec_b64 s[34:35], s[26:27]
	s_xor_b64 s[26:27], exec, s[34:35]
; %bb.960:                              ;   in Loop: Header=BB15_939 Depth=3
	v_bfe_u32 v10, v14, 16, 1
	v_add3_u32 v10, v14, v10, s69
                                        ; implicit-def: $vgpr14
; %bb.961:                              ;   in Loop: Header=BB15_939 Depth=3
	s_andn2_saveexec_b64 s[34:35], s[26:27]
; %bb.962:                              ;   in Loop: Header=BB15_939 Depth=3
	v_or_b32_e32 v10, 0x10000, v14
	v_cmp_eq_u32_sdwa s[26:27], v14, v3 src0_sel:WORD_0 src1_sel:DWORD
	s_nop 1
	v_cndmask_b32_e64 v10, v10, v14, s[26:27]
; %bb.963:                              ;   in Loop: Header=BB15_939 Depth=3
	s_or_b64 exec, exec, s[34:35]
	v_lshlrev_b32_e32 v14, 16, v11
	v_lshlrev_b32_e32 v60, 16, v15
	v_max_f32_e32 v14, v14, v14
	v_max_f32_e32 v60, v60, v60
	v_min_f32_e32 v61, v60, v14
	v_max_f32_e32 v14, v60, v14
	v_cndmask_b32_e64 v60, v14, v61, s[24:25]
	v_and_b32_e32 v14, 0x7f800000, v60
	v_cmp_ne_u32_e64 s[26:27], s68, v14
                                        ; implicit-def: $vgpr14
	s_and_saveexec_b64 s[34:35], s[26:27]
	s_xor_b64 s[26:27], exec, s[34:35]
; %bb.964:                              ;   in Loop: Header=BB15_939 Depth=3
	v_bfe_u32 v14, v60, 16, 1
	v_add3_u32 v14, v60, v14, s69
                                        ; implicit-def: $vgpr60
; %bb.965:                              ;   in Loop: Header=BB15_939 Depth=3
	s_andn2_saveexec_b64 s[34:35], s[26:27]
; %bb.966:                              ;   in Loop: Header=BB15_939 Depth=3
	v_or_b32_e32 v14, 0x10000, v60
	v_cmp_eq_u32_sdwa s[26:27], v60, v3 src0_sel:WORD_0 src1_sel:DWORD
	s_nop 1
	v_cndmask_b32_e64 v14, v14, v60, s[26:27]
; %bb.967:                              ;   in Loop: Header=BB15_939 Depth=3
	s_or_b64 exec, exec, s[34:35]
	v_and_b32_e32 v15, 0xffff0000, v15
	v_and_b32_e32 v11, 0xffff0000, v11
	v_max_f32_e32 v11, v11, v11
	v_max_f32_e32 v15, v15, v15
	v_min_f32_e32 v60, v15, v11
	v_max_f32_e32 v11, v15, v11
	v_cndmask_b32_e64 v15, v11, v60, s[24:25]
	v_and_b32_e32 v11, 0x7f800000, v15
	v_cmp_ne_u32_e64 s[26:27], s68, v11
                                        ; implicit-def: $vgpr11
	s_and_saveexec_b64 s[34:35], s[26:27]
	s_xor_b64 s[26:27], exec, s[34:35]
; %bb.968:                              ;   in Loop: Header=BB15_939 Depth=3
	v_bfe_u32 v11, v15, 16, 1
	v_add3_u32 v11, v15, v11, s69
                                        ; implicit-def: $vgpr15
; %bb.969:                              ;   in Loop: Header=BB15_939 Depth=3
	s_andn2_saveexec_b64 s[34:35], s[26:27]
	s_cbranch_execz .LBB15_938
; %bb.970:                              ;   in Loop: Header=BB15_939 Depth=3
	v_or_b32_e32 v11, 0x10000, v15
	v_cmp_eq_u32_sdwa s[26:27], v15, v3 src0_sel:WORD_0 src1_sel:DWORD
	s_nop 1
	v_cndmask_b32_e64 v11, v11, v15, s[26:27]
	s_branch .LBB15_938
.LBB15_971:                             ;   in Loop: Header=BB15_623 Depth=2
	s_or_b64 exec, exec, s[30:31]
.LBB15_972:                             ;   in Loop: Header=BB15_623 Depth=2
	s_or_b64 exec, exec, s[40:41]
	v_and_b32_e32 v8, 14, v119
	v_sub_u32_e32 v9, v56, v8
	v_cndmask_b32_e32 v9, 0, v9, vcc
	v_cndmask_b32_e32 v119, v56, v8, vcc
	v_cmp_lt_i32_e32 vcc, 0, v57
	v_add3_u32 v14, v41, v22, v9
	s_nop 0
	v_cndmask_b32_e32 v8, 0, v52, vcc
	v_sub_u32_e32 v8, v8, v57
	v_cmp_ne_u32_e32 vcc, 0, v119
	v_lshl_add_u32 v15, v8, 6, v23
	s_and_b64 s[24:25], vcc, exec
.LBB15_973:                             ;   in Loop: Header=BB15_623 Depth=2
	s_or_b64 exec, exec, s[28:29]
	s_and_saveexec_b64 s[26:27], s[24:25]
	s_cbranch_execz .LBB15_1018
.LBB15_974:                             ;   in Loop: Header=BB15_623 Depth=2
	v_ashrrev_i32_e32 v8, 31, v15
	v_ashrrev_i32_e32 v9, 31, v119
	v_lshrrev_b32_e32 v8, 26, v8
	v_lshrrev_b32_e32 v9, 22, v9
	v_add_u32_e32 v8, v15, v8
	v_add_u32_e32 v9, v119, v9
	v_ashrrev_i32_e32 v16, 6, v8
	v_ashrrev_i32_e32 v18, 10, v9
	v_sub_u32_e32 v17, v18, v16
	v_cmp_lt_i32_e32 vcc, 0, v17
	s_and_saveexec_b64 s[28:29], vcc
	s_cbranch_execz .LBB15_1010
; %bb.975:                              ;   in Loop: Header=BB15_623 Depth=2
	v_and_b32_e32 v8, 0x7fffffc0, v8
	s_trap 2
	ds_read_b64 v[10:11], v0
	v_sub_u32_e32 v8, v15, v8
	v_lshlrev_b32_e32 v8, 1, v8
	v_lshlrev_b32_e32 v9, 10, v16
	v_add3_u32 v12, v8, v14, v9
	s_and_b32 s46, s50, 1
	v_ashrrev_i32_e32 v13, 31, v12
	s_cmp_eq_u64 s[46:47], 0
	v_lshl_add_u64 v[20:21], v[46:47], 0, s[72:73]
	v_lshl_add_u64 v[8:9], v[12:13], 0, v[44:45]
	s_waitcnt lgkmcnt(0)
	v_lshl_add_u64 v[10:11], v[10:11], 0, v[12:13]
	s_mov_b64 s[40:41], 0
	s_cselect_b64 s[24:25], -1, 0
	v_lshl_add_u64 v[12:13], v[20:21], 0, v[12:13]
	s_branch .LBB15_977
.LBB15_976:                             ;   in Loop: Header=BB15_977 Depth=3
	s_or_b64 exec, exec, s[30:31]
	v_add_co_u32_e32 v62, vcc, 0xfffffc80, v12
	v_sub_u32_e32 v17, v17, v52
	s_nop 0
	v_addc_co_u32_e32 v63, vcc, -1, v13, vcc
	flat_store_short_d16_hi v[62:63], v19 nt
	v_add_co_u32_e32 v62, vcc, 0xfffffd00, v12
	v_lshl_add_u64 v[8:9], v[8:9], 0, v[68:69]
	s_nop 0
	v_addc_co_u32_e32 v63, vcc, -1, v13, vcc
	flat_store_short_d16_hi v[62:63], v22 nt
	v_add_co_u32_e32 v62, vcc, 0xfffffd80, v12
	v_lshl_add_u64 v[10:11], v[10:11], 0, v[68:69]
	s_nop 0
	v_addc_co_u32_e32 v63, vcc, -1, v13, vcc
	flat_store_short_d16_hi v[62:63], v56 nt
	v_add_co_u32_e32 v62, vcc, 0xfffffe00, v12
	s_nop 1
	v_addc_co_u32_e32 v63, vcc, -1, v13, vcc
	flat_store_short_d16_hi v[62:63], v58 nt
	v_add_co_u32_e32 v58, vcc, 0xfffffe80, v12
	;; [unrolled: 4-line block ×3, first 2 shown]
	s_nop 1
	v_addc_co_u32_e32 v59, vcc, -1, v13, vcc
	v_add_co_u32_e32 v56, vcc, 0xffffff80, v12
	flat_store_short_d16_hi v[58:59], v57 nt
	s_nop 0
	v_addc_co_u32_e32 v57, vcc, -1, v13, vcc
	v_cmp_gt_i32_e32 vcc, 1, v17
	flat_store_short_d16_hi v[56:57], v23 nt
	flat_store_short_d16_hi v[12:13], v20 nt
	s_or_b64 s[40:41], vcc, s[40:41]
	v_lshl_add_u64 v[12:13], v[12:13], 0, v[68:69]
	s_andn2_b64 exec, exec, s[40:41]
	s_cbranch_execz .LBB15_1009
.LBB15_977:                             ;   Parent Loop BB15_47 Depth=1
                                        ;     Parent Loop BB15_623 Depth=2
                                        ; =>    This Inner Loop Header: Depth=3
	flat_load_ushort v56, v[8:9] offset:256 nt
	flat_load_ushort v58, v[8:9] offset:384 nt
	;; [unrolled: 1-line block ×6, first 2 shown]
	flat_load_ushort v19, v[8:9] nt
	flat_load_ushort v63, v[10:11] offset:256 nt
	flat_load_ushort v62, v[10:11] offset:384 nt
	flat_load_ushort v61, v[10:11] offset:512 nt
	flat_load_ushort v59, v[10:11] offset:640 nt
	flat_load_ushort v41, v[10:11] offset:768 nt
	flat_load_ushort v21, v[10:11] offset:896 nt
	flat_load_ushort v73, v[10:11] nt
	flat_load_ushort v22, v[8:9] offset:128 nt
	flat_load_ushort v72, v[10:11] offset:128 nt
	s_waitcnt vmcnt(0) lgkmcnt(0)
	v_lshlrev_b32_e32 v19, 16, v19
	v_max_f32_e32 v19, v19, v19
	v_lshlrev_b32_e32 v73, 16, v73
	v_max_f32_e32 v73, v73, v73
	v_min_f32_e32 v91, v19, v73
	v_max_f32_e32 v19, v19, v73
	v_cndmask_b32_e64 v73, v19, v91, s[24:25]
	v_and_b32_e32 v19, 0x7f800000, v73
	v_cmp_ne_u32_e32 vcc, s68, v19
                                        ; implicit-def: $vgpr19
	s_and_saveexec_b64 s[30:31], vcc
	s_xor_b64 vcc, exec, s[30:31]
; %bb.978:                              ;   in Loop: Header=BB15_977 Depth=3
	v_bfe_u32 v19, v73, 16, 1
	v_add3_u32 v19, v73, v19, s69
                                        ; implicit-def: $vgpr73
; %bb.979:                              ;   in Loop: Header=BB15_977 Depth=3
	s_andn2_saveexec_b64 s[30:31], vcc
; %bb.980:                              ;   in Loop: Header=BB15_977 Depth=3
	v_or_b32_e32 v19, 0x10000, v73
	v_cmp_eq_u32_sdwa vcc, v73, v3 src0_sel:WORD_0 src1_sel:DWORD
	s_nop 1
	v_cndmask_b32_e32 v19, v19, v73, vcc
; %bb.981:                              ;   in Loop: Header=BB15_977 Depth=3
	s_or_b64 exec, exec, s[30:31]
	v_lshlrev_b32_e32 v22, 16, v22
	v_lshlrev_b32_e32 v72, 16, v72
	v_max_f32_e32 v72, v72, v72
	v_max_f32_e32 v22, v22, v22
	v_min_f32_e32 v73, v22, v72
	v_max_f32_e32 v22, v22, v72
	v_cndmask_b32_e64 v72, v22, v73, s[24:25]
	v_and_b32_e32 v22, 0x7f800000, v72
	v_cmp_ne_u32_e32 vcc, s68, v22
                                        ; implicit-def: $vgpr22
	s_and_saveexec_b64 s[30:31], vcc
	s_xor_b64 vcc, exec, s[30:31]
; %bb.982:                              ;   in Loop: Header=BB15_977 Depth=3
	v_bfe_u32 v22, v72, 16, 1
	v_add3_u32 v22, v72, v22, s69
                                        ; implicit-def: $vgpr72
; %bb.983:                              ;   in Loop: Header=BB15_977 Depth=3
	s_andn2_saveexec_b64 s[30:31], vcc
; %bb.984:                              ;   in Loop: Header=BB15_977 Depth=3
	v_or_b32_e32 v22, 0x10000, v72
	v_cmp_eq_u32_sdwa vcc, v72, v3 src0_sel:WORD_0 src1_sel:DWORD
	s_nop 1
	v_cndmask_b32_e32 v22, v22, v72, vcc
; %bb.985:                              ;   in Loop: Header=BB15_977 Depth=3
	s_or_b64 exec, exec, s[30:31]
	v_lshlrev_b32_e32 v56, 16, v56
	v_lshlrev_b32_e32 v63, 16, v63
	v_max_f32_e32 v63, v63, v63
	v_max_f32_e32 v56, v56, v56
	v_min_f32_e32 v72, v56, v63
	v_max_f32_e32 v56, v56, v63
	v_cndmask_b32_e64 v63, v56, v72, s[24:25]
	v_and_b32_e32 v56, 0x7f800000, v63
	v_cmp_ne_u32_e32 vcc, s68, v56
                                        ; implicit-def: $vgpr56
	s_and_saveexec_b64 s[30:31], vcc
	s_xor_b64 vcc, exec, s[30:31]
; %bb.986:                              ;   in Loop: Header=BB15_977 Depth=3
	v_bfe_u32 v56, v63, 16, 1
	v_add3_u32 v56, v63, v56, s69
                                        ; implicit-def: $vgpr63
; %bb.987:                              ;   in Loop: Header=BB15_977 Depth=3
	s_andn2_saveexec_b64 s[30:31], vcc
; %bb.988:                              ;   in Loop: Header=BB15_977 Depth=3
	v_or_b32_e32 v56, 0x10000, v63
	v_cmp_eq_u32_sdwa vcc, v63, v3 src0_sel:WORD_0 src1_sel:DWORD
	s_nop 1
	v_cndmask_b32_e32 v56, v56, v63, vcc
; %bb.989:                              ;   in Loop: Header=BB15_977 Depth=3
	s_or_b64 exec, exec, s[30:31]
	v_lshlrev_b32_e32 v58, 16, v58
	v_lshlrev_b32_e32 v62, 16, v62
	v_max_f32_e32 v62, v62, v62
	v_max_f32_e32 v58, v58, v58
	v_min_f32_e32 v63, v58, v62
	v_max_f32_e32 v58, v58, v62
	v_cndmask_b32_e64 v62, v58, v63, s[24:25]
	v_and_b32_e32 v58, 0x7f800000, v62
	v_cmp_ne_u32_e32 vcc, s68, v58
                                        ; implicit-def: $vgpr58
	s_and_saveexec_b64 s[30:31], vcc
	s_xor_b64 vcc, exec, s[30:31]
; %bb.990:                              ;   in Loop: Header=BB15_977 Depth=3
	v_bfe_u32 v58, v62, 16, 1
	v_add3_u32 v58, v62, v58, s69
                                        ; implicit-def: $vgpr62
; %bb.991:                              ;   in Loop: Header=BB15_977 Depth=3
	s_andn2_saveexec_b64 s[30:31], vcc
; %bb.992:                              ;   in Loop: Header=BB15_977 Depth=3
	v_or_b32_e32 v58, 0x10000, v62
	v_cmp_eq_u32_sdwa vcc, v62, v3 src0_sel:WORD_0 src1_sel:DWORD
	s_nop 1
	v_cndmask_b32_e32 v58, v58, v62, vcc
; %bb.993:                              ;   in Loop: Header=BB15_977 Depth=3
	s_or_b64 exec, exec, s[30:31]
	v_lshlrev_b32_e32 v60, 16, v60
	v_lshlrev_b32_e32 v61, 16, v61
	v_max_f32_e32 v61, v61, v61
	v_max_f32_e32 v60, v60, v60
	v_min_f32_e32 v62, v60, v61
	v_max_f32_e32 v60, v60, v61
	v_cndmask_b32_e64 v61, v60, v62, s[24:25]
	v_and_b32_e32 v60, 0x7f800000, v61
	v_cmp_ne_u32_e32 vcc, s68, v60
                                        ; implicit-def: $vgpr60
	s_and_saveexec_b64 s[30:31], vcc
	s_xor_b64 vcc, exec, s[30:31]
; %bb.994:                              ;   in Loop: Header=BB15_977 Depth=3
	v_bfe_u32 v60, v61, 16, 1
	v_add3_u32 v60, v61, v60, s69
                                        ; implicit-def: $vgpr61
; %bb.995:                              ;   in Loop: Header=BB15_977 Depth=3
	s_andn2_saveexec_b64 s[30:31], vcc
; %bb.996:                              ;   in Loop: Header=BB15_977 Depth=3
	v_or_b32_e32 v60, 0x10000, v61
	v_cmp_eq_u32_sdwa vcc, v61, v3 src0_sel:WORD_0 src1_sel:DWORD
	s_nop 1
	v_cndmask_b32_e32 v60, v60, v61, vcc
; %bb.997:                              ;   in Loop: Header=BB15_977 Depth=3
	s_or_b64 exec, exec, s[30:31]
	v_lshlrev_b32_e32 v57, 16, v57
	v_lshlrev_b32_e32 v59, 16, v59
	v_max_f32_e32 v59, v59, v59
	v_max_f32_e32 v57, v57, v57
	v_min_f32_e32 v61, v57, v59
	v_max_f32_e32 v57, v57, v59
	v_cndmask_b32_e64 v59, v57, v61, s[24:25]
	v_and_b32_e32 v57, 0x7f800000, v59
	v_cmp_ne_u32_e32 vcc, s68, v57
                                        ; implicit-def: $vgpr57
	s_and_saveexec_b64 s[30:31], vcc
	s_xor_b64 vcc, exec, s[30:31]
; %bb.998:                              ;   in Loop: Header=BB15_977 Depth=3
	v_bfe_u32 v57, v59, 16, 1
	v_add3_u32 v57, v59, v57, s69
                                        ; implicit-def: $vgpr59
; %bb.999:                              ;   in Loop: Header=BB15_977 Depth=3
	s_andn2_saveexec_b64 s[30:31], vcc
; %bb.1000:                             ;   in Loop: Header=BB15_977 Depth=3
	v_or_b32_e32 v57, 0x10000, v59
	v_cmp_eq_u32_sdwa vcc, v59, v3 src0_sel:WORD_0 src1_sel:DWORD
	s_nop 1
	v_cndmask_b32_e32 v57, v57, v59, vcc
; %bb.1001:                             ;   in Loop: Header=BB15_977 Depth=3
	s_or_b64 exec, exec, s[30:31]
	v_lshlrev_b32_e32 v23, 16, v23
	v_lshlrev_b32_e32 v41, 16, v41
	v_max_f32_e32 v41, v41, v41
	v_max_f32_e32 v23, v23, v23
	v_min_f32_e32 v59, v23, v41
	v_max_f32_e32 v23, v23, v41
	v_cndmask_b32_e64 v41, v23, v59, s[24:25]
	v_and_b32_e32 v23, 0x7f800000, v41
	v_cmp_ne_u32_e32 vcc, s68, v23
                                        ; implicit-def: $vgpr23
	s_and_saveexec_b64 s[30:31], vcc
	s_xor_b64 vcc, exec, s[30:31]
; %bb.1002:                             ;   in Loop: Header=BB15_977 Depth=3
	v_bfe_u32 v23, v41, 16, 1
	v_add3_u32 v23, v41, v23, s69
                                        ; implicit-def: $vgpr41
; %bb.1003:                             ;   in Loop: Header=BB15_977 Depth=3
	s_andn2_saveexec_b64 s[30:31], vcc
; %bb.1004:                             ;   in Loop: Header=BB15_977 Depth=3
	v_or_b32_e32 v23, 0x10000, v41
	v_cmp_eq_u32_sdwa vcc, v41, v3 src0_sel:WORD_0 src1_sel:DWORD
	s_nop 1
	v_cndmask_b32_e32 v23, v23, v41, vcc
; %bb.1005:                             ;   in Loop: Header=BB15_977 Depth=3
	s_or_b64 exec, exec, s[30:31]
	v_lshlrev_b32_e32 v20, 16, v20
	v_lshlrev_b32_e32 v21, 16, v21
	v_max_f32_e32 v21, v21, v21
	v_max_f32_e32 v20, v20, v20
	v_min_f32_e32 v41, v20, v21
	v_max_f32_e32 v20, v20, v21
	v_cndmask_b32_e64 v21, v20, v41, s[24:25]
	v_and_b32_e32 v20, 0x7f800000, v21
	v_cmp_ne_u32_e32 vcc, s68, v20
                                        ; implicit-def: $vgpr20
	s_and_saveexec_b64 s[30:31], vcc
	s_xor_b64 vcc, exec, s[30:31]
; %bb.1006:                             ;   in Loop: Header=BB15_977 Depth=3
	v_bfe_u32 v20, v21, 16, 1
	v_add3_u32 v20, v21, v20, s69
                                        ; implicit-def: $vgpr21
; %bb.1007:                             ;   in Loop: Header=BB15_977 Depth=3
	s_andn2_saveexec_b64 s[30:31], vcc
	s_cbranch_execz .LBB15_976
; %bb.1008:                             ;   in Loop: Header=BB15_977 Depth=3
	v_or_b32_e32 v20, 0x10000, v21
	v_cmp_eq_u32_sdwa vcc, v21, v3 src0_sel:WORD_0 src1_sel:DWORD
	s_nop 1
	v_cndmask_b32_e32 v20, v20, v21, vcc
	s_branch .LBB15_976
.LBB15_1009:                            ;   in Loop: Header=BB15_623 Depth=2
	s_or_b64 exec, exec, s[40:41]
.LBB15_1010:                            ;   in Loop: Header=BB15_623 Depth=2
	s_or_b64 exec, exec, s[28:29]
	v_lshlrev_b32_e32 v8, 10, v18
	v_cmp_ne_u32_e32 vcc, v119, v8
	s_and_b64 exec, exec, vcc
	s_cbranch_execz .LBB15_1018
; %bb.1011:                             ;   in Loop: Header=BB15_623 Depth=2
	v_lshlrev_b32_e32 v9, 6, v16
	v_sub_u32_e32 v9, v15, v9
	v_lshlrev_b32_e32 v10, 6, v17
	v_sub_u32_e32 v9, v9, v10
	v_ashrrev_i32_e32 v10, 31, v9
	v_lshrrev_b32_e32 v10, 26, v10
	v_add_u32_e32 v10, v9, v10
	v_and_b32_e32 v11, 0x7fffffc0, v10
	v_sub_u32_e32 v9, v9, v11
	v_lshlrev_b32_e32 v10, 1, v10
	v_and_b32_e32 v10, 0xffffff80, v10
	v_lshlrev_b32_e32 v9, 1, v9
	v_add3_u32 v8, v10, v9, v8
	v_sub_u32_e32 v15, v119, v8
	v_cmp_lt_i32_e32 vcc, 1, v15
	s_and_b64 exec, exec, vcc
	s_cbranch_execz .LBB15_1018
; %bb.1012:                             ;   in Loop: Header=BB15_623 Depth=2
	s_trap 2
	ds_read_b64 v[10:11], v0
	v_add_u32_e32 v12, v8, v14
	s_and_b32 s46, s50, 1
	v_ashrrev_i32_e32 v13, 31, v12
	s_cmp_eq_u64 s[46:47], 0
	v_lshl_add_u64 v[8:9], v[12:13], 0, v[44:45]
	s_waitcnt lgkmcnt(0)
	v_lshl_add_u64 v[10:11], v[10:11], 0, v[12:13]
	v_lshl_add_u64 v[12:13], v[12:13], 0, v[46:47]
	s_mov_b64 s[28:29], 0
	s_cselect_b64 vcc, -1, 0
	s_branch .LBB15_1014
.LBB15_1013:                            ;   in Loop: Header=BB15_1014 Depth=3
	s_or_b64 exec, exec, s[40:41]
	v_sub_u32_e32 v15, v15, v70
	v_cmp_gt_i32_e64 s[24:25], 2, v15
	flat_store_short_d16_hi v[12:13], v16 nt
	v_lshl_add_u64 v[8:9], v[8:9], 0, v[70:71]
	v_lshl_add_u64 v[10:11], v[10:11], 0, v[70:71]
	s_or_b64 s[28:29], s[24:25], s[28:29]
	v_lshl_add_u64 v[12:13], v[12:13], 0, v[70:71]
	s_andn2_b64 exec, exec, s[28:29]
	s_cbranch_execz .LBB15_1018
.LBB15_1014:                            ;   Parent Loop BB15_47 Depth=1
                                        ;     Parent Loop BB15_623 Depth=2
                                        ; =>    This Inner Loop Header: Depth=3
	flat_load_ushort v14, v[10:11] nt
	flat_load_ushort v16, v[8:9] nt
	s_waitcnt vmcnt(0) lgkmcnt(0)
	v_lshlrev_b32_e32 v14, 16, v14
	v_lshlrev_b32_e32 v16, 16, v16
	v_max_f32_e32 v14, v14, v14
	v_max_f32_e32 v16, v16, v16
	v_min_f32_e32 v17, v16, v14
	v_max_f32_e32 v14, v16, v14
	v_cndmask_b32_e32 v14, v14, v17, vcc
	v_and_b32_e32 v16, 0x7f800000, v14
	v_cmp_ne_u32_e64 s[24:25], s68, v16
                                        ; implicit-def: $vgpr16
	s_and_saveexec_b64 s[40:41], s[24:25]
	s_xor_b64 s[24:25], exec, s[40:41]
; %bb.1015:                             ;   in Loop: Header=BB15_1014 Depth=3
	v_bfe_u32 v16, v14, 16, 1
	v_add3_u32 v16, v14, v16, s69
                                        ; implicit-def: $vgpr14
; %bb.1016:                             ;   in Loop: Header=BB15_1014 Depth=3
	s_andn2_saveexec_b64 s[40:41], s[24:25]
	s_cbranch_execz .LBB15_1013
; %bb.1017:                             ;   in Loop: Header=BB15_1014 Depth=3
	v_or_b32_e32 v16, 0x10000, v14
	v_cmp_eq_u32_sdwa s[24:25], v14, v3 src0_sel:WORD_0 src1_sel:DWORD
	s_nop 1
	v_cndmask_b32_e64 v16, v16, v14, s[24:25]
	s_branch .LBB15_1013
.LBB15_1018:                            ;   in Loop: Header=BB15_623 Depth=2
	s_or_b64 exec, exec, s[26:27]
	v_cmp_lt_i32_e64 s[24:25], 0, v2
	s_and_saveexec_b64 s[26:27], s[4:5]
	s_cbranch_execz .LBB15_699
.LBB15_1019:                            ;   in Loop: Header=BB15_623 Depth=2
	s_and_saveexec_b64 s[28:29], s[56:57]
	s_xor_b64 s[28:29], exec, s[28:29]
	s_cbranch_execz .LBB15_1034
; %bb.1020:                             ;   in Loop: Header=BB15_623 Depth=2
	s_and_saveexec_b64 s[40:41], s[12:13]
	s_cbranch_execz .LBB15_1033
; %bb.1021:                             ;   in Loop: Header=BB15_623 Depth=2
	s_mov_b64 s[34:35], exec
	v_mbcnt_lo_u32_b32 v2, s34, 0
	v_mbcnt_hi_u32_b32 v2, s35, v2
	v_cmp_eq_u32_e32 vcc, 0, v2
	s_waitcnt lgkmcnt(0)
	s_and_saveexec_b64 s[30:31], vcc
	s_cbranch_execz .LBB15_1023
; %bb.1022:                             ;   in Loop: Header=BB15_623 Depth=2
	s_bcnt1_i32_b64 s46, s[34:35]
	v_mov_b32_e32 v2, s46
	ds_add_u64 v0, v[2:3]
	s_trap 2
.LBB15_1023:                            ;   in Loop: Header=BB15_623 Depth=2
	s_or_b64 exec, exec, s[30:31]
	s_trap 2
	ds_read_b64 v[8:9], v0
	s_waitcnt lgkmcnt(0)
	v_lshl_add_u64 v[38:39], v[38:39], 0, v[52:53]
	v_cmp_lt_u64_e32 vcc, v[8:9], v[38:39]
	s_and_saveexec_b64 s[30:31], vcc
	s_cbranch_execz .LBB15_1032
; %bb.1024:                             ;   in Loop: Header=BB15_623 Depth=2
	s_mov_b32 s46, 0
	s_mov_b64 s[34:35], 0
                                        ; implicit-def: $sgpr36_sgpr37
                                        ; implicit-def: $sgpr38_sgpr39
	s_branch .LBB15_1026
.LBB15_1025:                            ;   in Loop: Header=BB15_1026 Depth=3
	s_or_b64 exec, exec, s[50:51]
	s_and_b64 vcc, exec, vcc
	s_or_b64 s[34:35], vcc, s[34:35]
	s_andn2_b64 vcc, s[36:37], exec
	s_and_b64 s[36:37], s[38:39], exec
	s_or_b64 s[36:37], vcc, s[36:37]
	s_andn2_b64 exec, exec, s[34:35]
	s_cbranch_execz .LBB15_1030
.LBB15_1026:                            ;   Parent Loop BB15_47 Depth=1
                                        ;     Parent Loop BB15_623 Depth=2
                                        ; =>    This Inner Loop Header: Depth=3
	s_add_i32 s46, s46, 1
	s_cmpk_lg_i32 s46, 0x2710
	s_cselect_b64 s[48:49], -1, 0
	s_and_b64 vcc, exec, s[48:49]
	s_cbranch_vccz .LBB15_1028
; %bb.1027:                             ;   in Loop: Header=BB15_1026 Depth=3
	s_mov_b64 vcc, -1
	s_or_b64 s[38:39], s[38:39], exec
	s_and_saveexec_b64 s[50:51], s[48:49]
	s_cbranch_execz .LBB15_1025
	s_branch .LBB15_1029
.LBB15_1028:                            ;   in Loop: Header=BB15_1026 Depth=3
	s_trap 2
	ds_read_b64 v[8:9], v0
	s_andn2_b64 s[48:49], s[48:49], exec
	s_mov_b32 s46, 0
	s_waitcnt vmcnt(0) lgkmcnt(0)
	flat_load_dword v2, v[8:9] sc0 sc1
	s_waitcnt vmcnt(0) lgkmcnt(0)
	buffer_inv sc0 sc1
	v_cmp_eq_u32_e32 vcc, 0, v2
	s_and_b64 vcc, vcc, exec
	s_or_b64 s[48:49], s[48:49], vcc
	s_mov_b64 vcc, -1
	s_or_b64 s[38:39], s[38:39], exec
	s_and_saveexec_b64 s[50:51], s[48:49]
	s_cbranch_execz .LBB15_1025
.LBB15_1029:                            ;   in Loop: Header=BB15_1026 Depth=3
	s_sleep 1
	s_trap 2
	ds_read_b64 v[8:9], v0
	s_waitcnt lgkmcnt(0)
	s_andn2_b64 s[38:39], s[38:39], exec
	v_cmp_ge_u64_e32 vcc, v[8:9], v[38:39]
	s_orn2_b64 vcc, vcc, exec
	s_branch .LBB15_1025
.LBB15_1030:                            ;   in Loop: Header=BB15_623 Depth=2
	s_or_b64 exec, exec, s[34:35]
	s_and_saveexec_b64 vcc, s[36:37]
	s_xor_b64 vcc, exec, vcc
	s_cbranch_execz .LBB15_1032
; %bb.1031:                             ;   in Loop: Header=BB15_623 Depth=2
	ds_write_b32 v0, v77
	s_trap 2
.LBB15_1032:                            ;   in Loop: Header=BB15_623 Depth=2
	s_or_b64 exec, exec, s[30:31]
	;;#ASMSTART
	s_wakeup
	;;#ASMEND
.LBB15_1033:                            ;   in Loop: Header=BB15_623 Depth=2
	s_or_b64 exec, exec, s[40:41]
.LBB15_1034:                            ;   in Loop: Header=BB15_623 Depth=2
	s_andn2_saveexec_b64 s[28:29], s[28:29]
	s_cbranch_execz .LBB15_1036
; %bb.1035:                             ;   in Loop: Header=BB15_623 Depth=2
	s_waitcnt lgkmcnt(0)
	s_barrier
.LBB15_1036:                            ;   in Loop: Header=BB15_623 Depth=2
	s_or_b64 exec, exec, s[28:29]
	s_or_b64 exec, exec, s[26:27]
                                        ; implicit-def: $vgpr2
	s_and_saveexec_b64 s[26:27], s[20:21]
	s_xor_b64 s[26:27], exec, s[26:27]
	s_cbranch_execnz .LBB15_700
.LBB15_1037:                            ;   in Loop: Header=BB15_623 Depth=2
	s_andn2_saveexec_b64 s[24:25], s[26:27]
	s_cbranch_execz .LBB15_1056
.LBB15_1038:                            ;   in Loop: Header=BB15_623 Depth=2
	s_and_saveexec_b64 s[26:27], s[56:57]
	s_xor_b64 s[26:27], exec, s[26:27]
	s_cbranch_execz .LBB15_1053
; %bb.1039:                             ;   in Loop: Header=BB15_623 Depth=2
	s_and_saveexec_b64 s[28:29], s[12:13]
	s_cbranch_execz .LBB15_1052
; %bb.1040:                             ;   in Loop: Header=BB15_623 Depth=2
	s_mov_b64 s[30:31], exec
	v_mbcnt_lo_u32_b32 v2, s30, 0
	v_mbcnt_hi_u32_b32 v2, s31, v2
	v_cmp_eq_u32_e32 vcc, 0, v2
	;;#ASMSTART
	s_waitcnt lgkmcnt(0) vmcnt(0)
	;;#ASMEND
	s_and_saveexec_b64 s[40:41], vcc
	s_cbranch_execz .LBB15_1042
; %bb.1041:                             ;   in Loop: Header=BB15_623 Depth=2
	s_bcnt1_i32_b64 s46, s[30:31]
	v_mov_b32_e32 v2, s46
	s_waitcnt lgkmcnt(0)
	ds_add_u64 v0, v[2:3]
	s_trap 2
.LBB15_1042:                            ;   in Loop: Header=BB15_623 Depth=2
	s_or_b64 exec, exec, s[40:41]
	s_trap 2
	ds_read_b64 v[8:9], v0
	s_waitcnt lgkmcnt(0)
	v_lshl_add_u64 v[38:39], v[38:39], 0, v[52:53]
	v_cmp_lt_u64_e32 vcc, v[8:9], v[38:39]
	s_and_saveexec_b64 s[40:41], vcc
	s_cbranch_execz .LBB15_1051
; %bb.1043:                             ;   in Loop: Header=BB15_623 Depth=2
	s_mov_b32 s46, 0
	s_mov_b64 s[30:31], 0
                                        ; implicit-def: $sgpr34_sgpr35
                                        ; implicit-def: $sgpr36_sgpr37
	s_branch .LBB15_1045
.LBB15_1044:                            ;   in Loop: Header=BB15_1045 Depth=3
	s_or_b64 exec, exec, s[48:49]
	s_and_b64 vcc, exec, vcc
	s_or_b64 s[30:31], vcc, s[30:31]
	s_andn2_b64 vcc, s[34:35], exec
	s_and_b64 s[34:35], s[36:37], exec
	s_or_b64 s[34:35], vcc, s[34:35]
	s_andn2_b64 exec, exec, s[30:31]
	s_cbranch_execz .LBB15_1049
.LBB15_1045:                            ;   Parent Loop BB15_47 Depth=1
                                        ;     Parent Loop BB15_623 Depth=2
                                        ; =>    This Inner Loop Header: Depth=3
	s_add_i32 s46, s46, 1
	s_cmpk_lg_i32 s46, 0x2710
	s_cselect_b64 s[38:39], -1, 0
	s_and_b64 vcc, exec, s[38:39]
	s_cbranch_vccz .LBB15_1047
; %bb.1046:                             ;   in Loop: Header=BB15_1045 Depth=3
	s_mov_b64 vcc, -1
	s_or_b64 s[36:37], s[36:37], exec
	s_and_saveexec_b64 s[48:49], s[38:39]
	s_cbranch_execz .LBB15_1044
	s_branch .LBB15_1048
.LBB15_1047:                            ;   in Loop: Header=BB15_1045 Depth=3
	s_trap 2
	ds_read_b64 v[8:9], v0
	s_andn2_b64 s[38:39], s[38:39], exec
	s_mov_b32 s46, 0
	s_waitcnt vmcnt(0) lgkmcnt(0)
	flat_load_dword v2, v[8:9] sc0 sc1
	s_waitcnt vmcnt(0) lgkmcnt(0)
	buffer_inv sc0 sc1
	v_cmp_eq_u32_e32 vcc, 0, v2
	s_and_b64 vcc, vcc, exec
	s_or_b64 s[38:39], s[38:39], vcc
	s_mov_b64 vcc, -1
	s_or_b64 s[36:37], s[36:37], exec
	s_and_saveexec_b64 s[48:49], s[38:39]
	s_cbranch_execz .LBB15_1044
.LBB15_1048:                            ;   in Loop: Header=BB15_1045 Depth=3
	s_sleep 1
	s_trap 2
	ds_read_b64 v[8:9], v0
	s_waitcnt lgkmcnt(0)
	s_andn2_b64 s[36:37], s[36:37], exec
	v_cmp_ge_u64_e32 vcc, v[8:9], v[38:39]
	s_orn2_b64 vcc, vcc, exec
	s_branch .LBB15_1044
.LBB15_1049:                            ;   in Loop: Header=BB15_623 Depth=2
	s_or_b64 exec, exec, s[30:31]
	s_and_saveexec_b64 vcc, s[34:35]
	s_xor_b64 vcc, exec, vcc
	s_cbranch_execz .LBB15_1051
; %bb.1050:                             ;   in Loop: Header=BB15_623 Depth=2
	ds_write_b32 v0, v77
	s_trap 2
.LBB15_1051:                            ;   in Loop: Header=BB15_623 Depth=2
	s_or_b64 exec, exec, s[40:41]
	;;#ASMSTART
	s_wakeup
	;;#ASMEND
.LBB15_1052:                            ;   in Loop: Header=BB15_623 Depth=2
	s_or_b64 exec, exec, s[28:29]
.LBB15_1053:                            ;   in Loop: Header=BB15_623 Depth=2
	s_andn2_saveexec_b64 s[26:27], s[26:27]
	s_cbranch_execz .LBB15_1055
; %bb.1054:                             ;   in Loop: Header=BB15_623 Depth=2
	;;#ASMSTART
	s_waitcnt lgkmcnt(0) vmcnt(0)
	;;#ASMEND
	s_barrier
.LBB15_1055:                            ;   in Loop: Header=BB15_623 Depth=2
	s_or_b64 exec, exec, s[26:27]
	v_and_b32_e32 v2, 16, v74
.LBB15_1056:                            ;   in Loop: Header=BB15_623 Depth=2
	s_or_b64 exec, exec, s[24:25]
	v_cmp_ne_u32_e32 vcc, 0, v2
	s_xor_b64 s[24:25], s[6:7], -1
	s_and_b64 s[26:27], vcc, s[24:25]
	s_and_saveexec_b64 s[24:25], s[26:27]
	s_cbranch_execz .LBB15_1058
; %bb.1057:                             ;   in Loop: Header=BB15_623 Depth=2
	flat_store_dword v[36:37], v77 sc0 sc1
.LBB15_1058:                            ;   in Loop: Header=BB15_623 Depth=2
	s_or_b64 exec, exec, s[24:25]
	v_and_b32_e32 v2, 48, v74
	v_cmp_ne_u32_e32 vcc, 0, v2
	s_and_saveexec_b64 s[24:25], vcc
	s_cbranch_execz .LBB15_622
; %bb.1059:                             ;   in Loop: Header=BB15_623 Depth=2
	v_lshl_add_u64 v[112:113], v[112:113], 0, 2
	flat_store_dwordx2 v[32:33], v[112:113] sc0 sc1
	s_branch .LBB15_622
.LBB15_1060:                            ;   in Loop: Header=BB15_47 Depth=1
	s_or_b64 exec, exec, s[90:91]
	v_cmp_gt_i32_e32 vcc, 2, v2
	s_and_saveexec_b64 s[26:27], vcc
	s_cbranch_execz .LBB15_1136
.LBB15_1061:                            ;   in Loop: Header=BB15_47 Depth=1
	v_cmp_eq_u32_e64 s[40:41], 0, v2
	s_mov_b64 s[28:29], 0
	s_branch .LBB15_1063
.LBB15_1062:                            ;   in Loop: Header=BB15_1063 Depth=2
	s_or_b64 exec, exec, s[24:25]
	v_add_u32_e32 v40, v118, v40
	s_mov_b64 s[40:41], 0
	s_andn2_b64 exec, exec, s[28:29]
	s_cbranch_execz .LBB15_1137
.LBB15_1063:                            ;   Parent Loop BB15_47 Depth=1
                                        ; =>  This Loop Header: Depth=2
                                        ;       Child Loop BB15_1069 Depth 3
                                        ;       Child Loop BB15_1097 Depth 3
	;; [unrolled: 1-line block ×3, first 2 shown]
	v_sub_u32_e32 v2, v90, v40
	v_min_i32_e32 v118, v118, v2
	v_and_b32_e32 v2, 12, v74
	v_cmp_ne_u32_e32 vcc, 0, v2
	s_and_saveexec_b64 s[90:91], vcc
	s_cbranch_execz .LBB15_1089
; %bb.1064:                             ;   in Loop: Header=BB15_1063 Depth=2
	v_and_b32_e32 v2, 8, v74
	s_waitcnt vmcnt(0) lgkmcnt(0)
	v_lshl_add_u64 v[10:11], v[48:49], 0, v[2:3]
	v_lshl_add_u64 v[8:9], v[112:113], 0, 2
	v_cmp_lt_u64_e32 vcc, v[10:11], v[8:9]
	s_and_saveexec_b64 s[92:93], vcc
	s_cbranch_execz .LBB15_1076
; %bb.1065:                             ;   in Loop: Header=BB15_1063 Depth=2
	v_and_b32_e32 v10, 64, v74
	s_mov_b32 s46, 0
	v_cmp_eq_u32_e32 vcc, 0, v10
	s_mov_b64 s[94:95], 0
                                        ; implicit-def: $sgpr30_sgpr31
                                        ; implicit-def: $sgpr34_sgpr35
                                        ; implicit-def: $sgpr36_sgpr37
	s_branch .LBB15_1069
.LBB15_1066:                            ;   in Loop: Header=BB15_1069 Depth=3
	s_waitcnt vmcnt(0) lgkmcnt(0)
	v_lshl_add_u64 v[12:13], v[48:49], 0, v[2:3]
	v_cmp_ge_u64_e64 s[24:25], v[12:13], v[8:9]
	s_or_b64 s[50:51], s[50:51], exec
	s_orn2_b64 s[48:49], s[24:25], exec
.LBB15_1067:                            ;   in Loop: Header=BB15_1069 Depth=3
	s_or_b64 exec, exec, s[54:55]
	s_andn2_b64 s[24:25], s[36:37], exec
	s_and_b64 s[36:37], s[50:51], exec
	s_or_b64 s[36:37], s[24:25], s[36:37]
	s_andn2_b64 s[24:25], s[34:35], exec
	s_and_b64 s[34:35], s[48:49], exec
	s_or_b64 s[34:35], s[24:25], s[34:35]
.LBB15_1068:                            ;   in Loop: Header=BB15_1069 Depth=3
	s_or_b64 exec, exec, s[38:39]
	s_and_b64 s[24:25], exec, s[34:35]
	s_or_b64 s[94:95], s[24:25], s[94:95]
	s_andn2_b64 s[24:25], s[30:31], exec
	s_and_b64 s[30:31], s[36:37], exec
	s_or_b64 s[30:31], s[24:25], s[30:31]
	s_andn2_b64 exec, exec, s[94:95]
	s_cbranch_execz .LBB15_1073
.LBB15_1069:                            ;   Parent Loop BB15_47 Depth=1
                                        ;     Parent Loop BB15_1063 Depth=2
                                        ; =>    This Inner Loop Header: Depth=3
	s_sleep 1
	s_waitcnt vmcnt(0) lgkmcnt(0)
	flat_load_dwordx2 v[48:49], v[32:33] sc0 sc1
	s_or_b64 s[36:37], s[36:37], exec
	s_or_b64 s[34:35], s[34:35], exec
                                        ; implicit-def: $vgpr10
	s_and_saveexec_b64 s[38:39], vcc
	s_cbranch_execz .LBB15_1068
; %bb.1070:                             ;   in Loop: Header=BB15_1069 Depth=3
	s_cmpk_lt_i32 s46, 0x270f
	s_cselect_b64 s[52:53], -1, 0
	s_cmpk_gt_i32 s46, 0x270e
	s_mov_b64 s[48:49], -1
	s_cbranch_scc0 .LBB15_1072
; %bb.1071:                             ;   in Loop: Header=BB15_1069 Depth=3
	s_trap 2
	ds_read_b64 v[10:11], v0
	s_andn2_b64 s[52:53], s[52:53], exec
	s_mov_b32 s46, 0
	s_mov_b64 s[50:51], 0
	s_waitcnt vmcnt(0) lgkmcnt(0)
	flat_load_dword v10, v[10:11] sc0 sc1
	s_waitcnt vmcnt(0) lgkmcnt(0)
	buffer_inv sc0 sc1
	v_cmp_eq_u32_e64 s[24:25], 0, v10
	s_and_b64 s[24:25], s[24:25], exec
	s_or_b64 s[52:53], s[52:53], s[24:25]
	s_and_saveexec_b64 s[54:55], s[52:53]
	s_cbranch_execz .LBB15_1067
	s_branch .LBB15_1066
.LBB15_1072:                            ;   in Loop: Header=BB15_1069 Depth=3
	s_add_i32 s46, s46, 1
	s_mov_b64 s[50:51], -1
                                        ; implicit-def: $vgpr10
	s_and_saveexec_b64 s[54:55], s[52:53]
	s_cbranch_execz .LBB15_1067
	s_branch .LBB15_1066
.LBB15_1073:                            ;   in Loop: Header=BB15_1063 Depth=2
	s_or_b64 exec, exec, s[94:95]
	s_xor_b64 s[24:25], s[30:31], -1
	s_and_saveexec_b64 s[94:95], s[24:25]
	s_xor_b64 s[24:25], exec, s[94:95]
	s_cbranch_execz .LBB15_1075
; %bb.1074:                             ;   in Loop: Header=BB15_1063 Depth=2
	v_or_b32_e32 v74, 64, v74
	s_waitcnt lgkmcnt(0)
	ds_write_b32 v0, v10
	s_trap 2
.LBB15_1075:                            ;   in Loop: Header=BB15_1063 Depth=2
	s_or_b64 exec, exec, s[24:25]
.LBB15_1076:                            ;   in Loop: Header=BB15_1063 Depth=2
	s_or_b64 exec, exec, s[92:93]
	v_and_b32_e32 v10, 0x108, v74
	v_cmp_ne_u32_e32 vcc, s67, v10
	;;#ASMSTART
	s_wakeup
	;;#ASMEND
                                        ; implicit-def: $vgpr10_vgpr11
	s_and_saveexec_b64 s[24:25], vcc
	s_xor_b64 s[24:25], exec, s[24:25]
; %bb.1077:                             ;   in Loop: Header=BB15_1063 Depth=2
	v_and_b32_e32 v10, 7, v112
	v_mov_b32_e32 v11, v3
                                        ; implicit-def: $vgpr112_vgpr113
; %bb.1078:                             ;   in Loop: Header=BB15_1063 Depth=2
	s_andn2_saveexec_b64 s[24:25], s[24:25]
	s_cbranch_execz .LBB15_1080
; %bb.1079:                             ;   in Loop: Header=BB15_1063 Depth=2
	v_and_b32_e32 v10, 7, v112
	v_ashrrev_i32_e32 v119, 31, v118
	v_mov_b32_e32 v11, v3
	v_mad_u64_u32 v[12:13], s[92:93], v10, 24, v[6:7]
	v_lshlrev_b64 v[14:15], 1, v[118:119]
	flat_store_dwordx2 v[12:13], v[14:15] offset:8
.LBB15_1080:                            ;   in Loop: Header=BB15_1063 Depth=2
	s_or_b64 exec, exec, s[24:25]
	v_and_b32_e32 v12, 0x100, v74
	v_cmp_ne_u32_e32 vcc, 0, v12
	s_mov_b64 s[24:25], -1
                                        ; implicit-def: $vgpr12_vgpr13
	s_and_saveexec_b64 s[92:93], vcc
	s_cbranch_execz .LBB15_1084
; %bb.1081:                             ;   in Loop: Header=BB15_1063 Depth=2
	v_mad_u64_u32 v[14:15], s[24:25], v10, 24, v[6:7]
	v_mov_b32_e32 v12, v15
	v_mad_u64_u32 v[12:13], s[24:25], v11, 24, v[12:13]
	v_mov_b32_e32 v15, v12
	flat_load_dword v12, v[14:15]
	s_waitcnt vmcnt(0) lgkmcnt(0)
	v_cmp_ne_u32_e32 vcc, 1, v12
	v_cmp_eq_u32_e64 s[24:25], 1, v12
                                        ; implicit-def: $vgpr12_vgpr13
	s_and_saveexec_b64 s[94:95], s[24:25]
	s_cbranch_execz .LBB15_1083
; %bb.1082:                             ;   in Loop: Header=BB15_1063 Depth=2
	flat_load_dword v12, v[14:15] offset:4 sc0 sc1
	s_waitcnt vmcnt(0) lgkmcnt(0)
	v_ashrrev_i32_e32 v13, 31, v12
	v_lshrrev_b64 v[12:13], 1, v[12:13]
.LBB15_1083:                            ;   in Loop: Header=BB15_1063 Depth=2
	s_or_b64 exec, exec, s[94:95]
	s_orn2_b64 s[24:25], vcc, exec
.LBB15_1084:                            ;   in Loop: Header=BB15_1063 Depth=2
	s_or_b64 exec, exec, s[92:93]
	s_and_saveexec_b64 s[92:93], s[24:25]
; %bb.1085:                             ;   in Loop: Header=BB15_1063 Depth=2
	v_mul_lo_u32 v11, v11, v30
	v_mul_lo_u32 v14, v10, v51
	v_mad_u64_u32 v[12:13], s[24:25], v10, v30, 0
	v_add3_u32 v13, v13, v14, v11
; %bb.1086:                             ;   in Loop: Header=BB15_1063 Depth=2
	s_or_b64 exec, exec, s[92:93]
	v_cmp_eq_u32_e32 vcc, 0, v2
	v_lshl_add_u64 v[10:11], v[12:13], 1, v[34:35]
	s_nop 0
	v_cndmask_b32_e32 v2, v88, v79, vcc
	v_add_u32_e32 v2, v0, v2
	ds_write_b64 v2, v[10:11] offset:584
	v_and_b32_e32 v2, 0x2000, v74
	v_cmp_ne_u32_e32 vcc, 0, v2
	s_and_saveexec_b64 s[24:25], vcc
	s_cbranch_execz .LBB15_1088
; %bb.1087:                             ;   in Loop: Header=BB15_1063 Depth=2
	ds_read_b64 v[10:11], v0 offset:872
	s_waitcnt lgkmcnt(0)
	v_lshl_add_u64 v[10:11], v[10:11], 0, 1
	ds_write_b64 v0, v[10:11] offset:872
.LBB15_1088:                            ;   in Loop: Header=BB15_1063 Depth=2
	s_or_b64 exec, exec, s[24:25]
	v_mov_b64_e32 v[112:113], v[8:9]
.LBB15_1089:                            ;   in Loop: Header=BB15_1063 Depth=2
	s_or_b64 exec, exec, s[90:91]
	s_xor_b64 s[24:25], s[40:41], -1
	s_and_b64 s[24:25], exec, s[24:25]
	s_or_b64 s[28:29], s[24:25], s[28:29]
	s_and_saveexec_b64 s[24:25], s[4:5]
	s_cbranch_execz .LBB15_1108
; %bb.1090:                             ;   in Loop: Header=BB15_1063 Depth=2
	s_and_saveexec_b64 s[40:41], s[56:57]
	s_xor_b64 s[40:41], exec, s[40:41]
	s_cbranch_execz .LBB15_1105
; %bb.1091:                             ;   in Loop: Header=BB15_1063 Depth=2
	s_and_saveexec_b64 s[90:91], s[12:13]
	s_cbranch_execz .LBB15_1104
; %bb.1092:                             ;   in Loop: Header=BB15_1063 Depth=2
	s_mov_b64 s[94:95], exec
	v_mbcnt_lo_u32_b32 v2, s94, 0
	v_mbcnt_hi_u32_b32 v2, s95, v2
	v_cmp_eq_u32_e32 vcc, 0, v2
	s_waitcnt lgkmcnt(0)
	s_and_saveexec_b64 s[92:93], vcc
	s_cbranch_execz .LBB15_1094
; %bb.1093:                             ;   in Loop: Header=BB15_1063 Depth=2
	s_bcnt1_i32_b64 s46, s[94:95]
	v_mov_b32_e32 v2, s46
	ds_add_u64 v0, v[2:3]
	s_trap 2
.LBB15_1094:                            ;   in Loop: Header=BB15_1063 Depth=2
	s_or_b64 exec, exec, s[92:93]
	s_trap 2
	ds_read_b64 v[8:9], v0
	s_waitcnt lgkmcnt(0)
	v_lshl_add_u64 v[38:39], v[38:39], 0, v[52:53]
	v_cmp_lt_u64_e32 vcc, v[8:9], v[38:39]
	s_and_saveexec_b64 s[92:93], vcc
	s_cbranch_execz .LBB15_1103
; %bb.1095:                             ;   in Loop: Header=BB15_1063 Depth=2
	s_mov_b32 s46, 0
	s_mov_b64 s[94:95], 0
                                        ; implicit-def: $sgpr30_sgpr31
                                        ; implicit-def: $sgpr34_sgpr35
	s_branch .LBB15_1097
.LBB15_1096:                            ;   in Loop: Header=BB15_1097 Depth=3
	s_or_b64 exec, exec, s[38:39]
	s_and_b64 vcc, exec, vcc
	s_or_b64 s[94:95], vcc, s[94:95]
	s_andn2_b64 vcc, s[30:31], exec
	s_and_b64 s[30:31], s[34:35], exec
	s_or_b64 s[30:31], vcc, s[30:31]
	s_andn2_b64 exec, exec, s[94:95]
	s_cbranch_execz .LBB15_1101
.LBB15_1097:                            ;   Parent Loop BB15_47 Depth=1
                                        ;     Parent Loop BB15_1063 Depth=2
                                        ; =>    This Inner Loop Header: Depth=3
	s_add_i32 s46, s46, 1
	s_cmpk_lg_i32 s46, 0x2710
	s_cselect_b64 s[36:37], -1, 0
	s_and_b64 vcc, exec, s[36:37]
	s_cbranch_vccz .LBB15_1099
; %bb.1098:                             ;   in Loop: Header=BB15_1097 Depth=3
	s_mov_b64 vcc, -1
	s_or_b64 s[34:35], s[34:35], exec
	s_and_saveexec_b64 s[38:39], s[36:37]
	s_cbranch_execz .LBB15_1096
	s_branch .LBB15_1100
.LBB15_1099:                            ;   in Loop: Header=BB15_1097 Depth=3
	s_trap 2
	ds_read_b64 v[8:9], v0
	s_andn2_b64 s[36:37], s[36:37], exec
	s_mov_b32 s46, 0
	s_waitcnt vmcnt(0) lgkmcnt(0)
	flat_load_dword v2, v[8:9] sc0 sc1
	s_waitcnt vmcnt(0) lgkmcnt(0)
	buffer_inv sc0 sc1
	v_cmp_eq_u32_e32 vcc, 0, v2
	s_and_b64 vcc, vcc, exec
	s_or_b64 s[36:37], s[36:37], vcc
	s_mov_b64 vcc, -1
	s_or_b64 s[34:35], s[34:35], exec
	s_and_saveexec_b64 s[38:39], s[36:37]
	s_cbranch_execz .LBB15_1096
.LBB15_1100:                            ;   in Loop: Header=BB15_1097 Depth=3
	s_sleep 1
	s_trap 2
	ds_read_b64 v[8:9], v0
	s_waitcnt lgkmcnt(0)
	s_andn2_b64 s[34:35], s[34:35], exec
	v_cmp_ge_u64_e32 vcc, v[8:9], v[38:39]
	s_orn2_b64 vcc, vcc, exec
	s_branch .LBB15_1096
.LBB15_1101:                            ;   in Loop: Header=BB15_1063 Depth=2
	s_or_b64 exec, exec, s[94:95]
	s_and_saveexec_b64 s[94:95], s[30:31]
	s_xor_b64 s[94:95], exec, s[94:95]
	s_cbranch_execz .LBB15_1103
; %bb.1102:                             ;   in Loop: Header=BB15_1063 Depth=2
	ds_write_b32 v0, v77
	s_trap 2
.LBB15_1103:                            ;   in Loop: Header=BB15_1063 Depth=2
	s_or_b64 exec, exec, s[92:93]
	;;#ASMSTART
	s_wakeup
	;;#ASMEND
.LBB15_1104:                            ;   in Loop: Header=BB15_1063 Depth=2
	s_or_b64 exec, exec, s[90:91]
.LBB15_1105:                            ;   in Loop: Header=BB15_1063 Depth=2
	s_andn2_saveexec_b64 s[40:41], s[40:41]
	s_cbranch_execz .LBB15_1107
; %bb.1106:                             ;   in Loop: Header=BB15_1063 Depth=2
	s_waitcnt lgkmcnt(0)
	s_barrier
.LBB15_1107:                            ;   in Loop: Header=BB15_1063 Depth=2
	s_or_b64 exec, exec, s[40:41]
.LBB15_1108:                            ;   in Loop: Header=BB15_1063 Depth=2
	s_or_b64 exec, exec, s[24:25]
                                        ; implicit-def: $vgpr2
	s_and_saveexec_b64 s[24:25], s[20:21]
	s_xor_b64 s[24:25], exec, s[24:25]
	s_cbranch_execz .LBB15_1112
; %bb.1109:                             ;   in Loop: Header=BB15_1063 Depth=2
	s_trap 2
	ds_read_b32 v8, v0
	v_cmp_lt_i32_e32 vcc, 0, v118
	v_and_b32_e32 v9, 16, v74
	v_and_b32_e32 v2, 16, v74
	s_waitcnt lgkmcnt(0)
	v_readfirstlane_b32 s40, v8
	s_cmp_eq_u32 s40, 0
	s_cselect_b64 s[40:41], -1, 0
	s_and_b64 s[40:41], vcc, s[40:41]
	v_cmp_ne_u32_e32 vcc, 0, v9
	s_and_b64 s[90:91], vcc, s[40:41]
	s_and_saveexec_b64 s[40:41], s[90:91]
	s_cbranch_execz .LBB15_1111
; %bb.1110:                             ;   in Loop: Header=BB15_1063 Depth=2
	v_mov_b32_e32 v2, 1
	buffer_wbl2 sc1
	s_waitcnt vmcnt(0)
	buffer_inv sc1
.LBB15_1111:                            ;   in Loop: Header=BB15_1063 Depth=2
	s_or_b64 exec, exec, s[40:41]
	s_andn2_saveexec_b64 s[24:25], s[24:25]
	s_cbranch_execz .LBB15_1131
	s_branch .LBB15_1113
.LBB15_1112:                            ;   in Loop: Header=BB15_1063 Depth=2
	s_andn2_saveexec_b64 s[24:25], s[24:25]
	s_cbranch_execz .LBB15_1131
.LBB15_1113:                            ;   in Loop: Header=BB15_1063 Depth=2
	s_and_saveexec_b64 s[40:41], s[56:57]
	s_xor_b64 s[40:41], exec, s[40:41]
	s_cbranch_execz .LBB15_1128
; %bb.1114:                             ;   in Loop: Header=BB15_1063 Depth=2
	s_and_saveexec_b64 s[90:91], s[12:13]
	s_cbranch_execz .LBB15_1127
; %bb.1115:                             ;   in Loop: Header=BB15_1063 Depth=2
	s_mov_b64 s[94:95], exec
	v_mbcnt_lo_u32_b32 v2, s94, 0
	v_mbcnt_hi_u32_b32 v2, s95, v2
	v_cmp_eq_u32_e32 vcc, 0, v2
	;;#ASMSTART
	s_waitcnt lgkmcnt(0) vmcnt(0)
	;;#ASMEND
	s_and_saveexec_b64 s[92:93], vcc
	s_cbranch_execz .LBB15_1117
; %bb.1116:                             ;   in Loop: Header=BB15_1063 Depth=2
	s_bcnt1_i32_b64 s46, s[94:95]
	v_mov_b32_e32 v2, s46
	s_waitcnt lgkmcnt(0)
	ds_add_u64 v0, v[2:3]
	s_trap 2
.LBB15_1117:                            ;   in Loop: Header=BB15_1063 Depth=2
	s_or_b64 exec, exec, s[92:93]
	s_trap 2
	ds_read_b64 v[8:9], v0
	s_waitcnt lgkmcnt(0)
	v_lshl_add_u64 v[38:39], v[38:39], 0, v[52:53]
	v_cmp_lt_u64_e32 vcc, v[8:9], v[38:39]
	s_and_saveexec_b64 s[92:93], vcc
	s_cbranch_execz .LBB15_1126
; %bb.1118:                             ;   in Loop: Header=BB15_1063 Depth=2
	s_mov_b32 s46, 0
	s_mov_b64 s[94:95], 0
                                        ; implicit-def: $sgpr30_sgpr31
                                        ; implicit-def: $sgpr34_sgpr35
	s_branch .LBB15_1120
.LBB15_1119:                            ;   in Loop: Header=BB15_1120 Depth=3
	s_or_b64 exec, exec, s[38:39]
	s_and_b64 vcc, exec, vcc
	s_or_b64 s[94:95], vcc, s[94:95]
	s_andn2_b64 vcc, s[30:31], exec
	s_and_b64 s[30:31], s[34:35], exec
	s_or_b64 s[30:31], vcc, s[30:31]
	s_andn2_b64 exec, exec, s[94:95]
	s_cbranch_execz .LBB15_1124
.LBB15_1120:                            ;   Parent Loop BB15_47 Depth=1
                                        ;     Parent Loop BB15_1063 Depth=2
                                        ; =>    This Inner Loop Header: Depth=3
	s_add_i32 s46, s46, 1
	s_cmpk_lg_i32 s46, 0x2710
	s_cselect_b64 s[36:37], -1, 0
	s_and_b64 vcc, exec, s[36:37]
	s_cbranch_vccz .LBB15_1122
; %bb.1121:                             ;   in Loop: Header=BB15_1120 Depth=3
	s_mov_b64 vcc, -1
	s_or_b64 s[34:35], s[34:35], exec
	s_and_saveexec_b64 s[38:39], s[36:37]
	s_cbranch_execz .LBB15_1119
	s_branch .LBB15_1123
.LBB15_1122:                            ;   in Loop: Header=BB15_1120 Depth=3
	s_trap 2
	ds_read_b64 v[8:9], v0
	s_andn2_b64 s[36:37], s[36:37], exec
	s_mov_b32 s46, 0
	s_waitcnt vmcnt(0) lgkmcnt(0)
	flat_load_dword v2, v[8:9] sc0 sc1
	s_waitcnt vmcnt(0) lgkmcnt(0)
	buffer_inv sc0 sc1
	v_cmp_eq_u32_e32 vcc, 0, v2
	s_and_b64 vcc, vcc, exec
	s_or_b64 s[36:37], s[36:37], vcc
	s_mov_b64 vcc, -1
	s_or_b64 s[34:35], s[34:35], exec
	s_and_saveexec_b64 s[38:39], s[36:37]
	s_cbranch_execz .LBB15_1119
.LBB15_1123:                            ;   in Loop: Header=BB15_1120 Depth=3
	s_sleep 1
	s_trap 2
	ds_read_b64 v[8:9], v0
	s_waitcnt lgkmcnt(0)
	s_andn2_b64 s[34:35], s[34:35], exec
	v_cmp_ge_u64_e32 vcc, v[8:9], v[38:39]
	s_orn2_b64 vcc, vcc, exec
	s_branch .LBB15_1119
.LBB15_1124:                            ;   in Loop: Header=BB15_1063 Depth=2
	s_or_b64 exec, exec, s[94:95]
	s_and_saveexec_b64 s[94:95], s[30:31]
	s_xor_b64 s[94:95], exec, s[94:95]
	s_cbranch_execz .LBB15_1126
; %bb.1125:                             ;   in Loop: Header=BB15_1063 Depth=2
	ds_write_b32 v0, v77
	s_trap 2
.LBB15_1126:                            ;   in Loop: Header=BB15_1063 Depth=2
	s_or_b64 exec, exec, s[92:93]
	;;#ASMSTART
	s_wakeup
	;;#ASMEND
.LBB15_1127:                            ;   in Loop: Header=BB15_1063 Depth=2
	s_or_b64 exec, exec, s[90:91]
.LBB15_1128:                            ;   in Loop: Header=BB15_1063 Depth=2
	s_andn2_saveexec_b64 s[40:41], s[40:41]
	s_cbranch_execz .LBB15_1130
; %bb.1129:                             ;   in Loop: Header=BB15_1063 Depth=2
	;;#ASMSTART
	s_waitcnt lgkmcnt(0) vmcnt(0)
	;;#ASMEND
	s_barrier
.LBB15_1130:                            ;   in Loop: Header=BB15_1063 Depth=2
	s_or_b64 exec, exec, s[40:41]
	v_and_b32_e32 v2, 16, v74
.LBB15_1131:                            ;   in Loop: Header=BB15_1063 Depth=2
	s_or_b64 exec, exec, s[24:25]
	v_cmp_ne_u32_e32 vcc, 0, v2
	s_xor_b64 s[24:25], s[6:7], -1
	s_and_b64 s[40:41], vcc, s[24:25]
	s_and_saveexec_b64 s[24:25], s[40:41]
	s_cbranch_execz .LBB15_1133
; %bb.1132:                             ;   in Loop: Header=BB15_1063 Depth=2
	flat_store_dword v[36:37], v77 sc0 sc1
.LBB15_1133:                            ;   in Loop: Header=BB15_1063 Depth=2
	s_or_b64 exec, exec, s[24:25]
	v_and_b32_e32 v2, 48, v74
	v_cmp_ne_u32_e32 vcc, 0, v2
	s_and_saveexec_b64 s[24:25], vcc
	s_cbranch_execz .LBB15_1062
; %bb.1134:                             ;   in Loop: Header=BB15_1063 Depth=2
	v_lshl_add_u64 v[112:113], v[112:113], 0, 2
	flat_store_dwordx2 v[32:33], v[112:113] sc0 sc1
	s_branch .LBB15_1062
.LBB15_1135:                            ;   in Loop: Header=BB15_47 Depth=1
	s_or_b64 exec, exec, s[92:93]
	s_or_b64 exec, exec, s[90:91]
	v_cmp_gt_i32_e32 vcc, 2, v2
	s_and_saveexec_b64 s[26:27], vcc
	s_cbranch_execnz .LBB15_1061
.LBB15_1136:                            ;   in Loop: Header=BB15_47 Depth=1
	s_or_b64 exec, exec, s[26:27]
	s_and_b64 vcc, exec, s[22:23]
	s_cbranch_vccz .LBB15_1138
	s_branch .LBB15_1394
.LBB15_1137:                            ;   in Loop: Header=BB15_47 Depth=1
	s_or_b64 exec, exec, s[28:29]
	s_or_b64 exec, exec, s[26:27]
	s_and_b64 vcc, exec, s[22:23]
	s_cbranch_vccnz .LBB15_1394
.LBB15_1138:                            ;   in Loop: Header=BB15_47 Depth=1
	s_mov_b32 s46, 1
.LBB15_1139:                            ;   Parent Loop BB15_47 Depth=1
                                        ; =>  This Loop Header: Depth=2
                                        ;       Child Loop BB15_1142 Depth 3
                                        ;         Child Loop BB15_1150 Depth 4
                                        ;         Child Loop BB15_1178 Depth 4
	;; [unrolled: 1-line block ×9, first 2 shown]
                                        ;           Child Loop BB15_1232 Depth 5
                                        ;         Child Loop BB15_1239 Depth 4
                                        ;         Child Loop BB15_1244 Depth 4
                                        ;           Child Loop BB15_1245 Depth 5
                                        ;         Child Loop BB15_1281 Depth 4
                                        ;         Child Loop BB15_1300 Depth 4
                                        ;       Child Loop BB15_1318 Depth 3
                                        ;         Child Loop BB15_1324 Depth 4
                                        ;         Child Loop BB15_1352 Depth 4
	;; [unrolled: 1-line block ×3, first 2 shown]
	s_sub_i32 s22, s71, s46
	s_cmp_ge_i32 s22, s64
	s_cselect_b32 s23, s64, 0
	s_sub_i32 s22, s22, s23
	s_ashr_i32 s23, s22, 31
	v_mul_lo_u32 v2, v102, s23
	v_mul_lo_u32 v10, v103, s22
	v_mad_u64_u32 v[8:9], s[22:23], v102, s22, 0
	v_add3_u32 v9, v9, v2, v10
	v_sub_co_u32_e32 v10, vcc, v114, v8
	v_mov_b32_e32 v14, 0
	s_nop 0
	v_subb_co_u32_e32 v11, vcc, v115, v9, vcc
	v_cmp_lt_i64_e32 vcc, v[102:103], v[10:11]
	s_nop 1
	v_cndmask_b32_e32 v2, v10, v102, vcc
	v_max_i32_e32 v44, 0, v2
	v_add_u32_e32 v10, 31, v44
	v_ashrrev_i32_e32 v11, 31, v10
	v_lshrrev_b32_e32 v11, 27, v11
	v_add_u32_e32 v10, v10, v11
	v_ashrrev_i32_e32 v10, 5, v10
	v_lshlrev_b32_e32 v10, 4, v10
	v_cmp_lt_i32_e32 vcc, 0, v2
	v_max_i32_e32 v12, s82, v10
	s_and_b64 s[22:23], s[88:89], vcc
	v_mov_b32_e32 v2, 0
	s_and_saveexec_b64 s[28:29], s[22:23]
	s_cbranch_execz .LBB15_1315
; %bb.1140:                             ;   in Loop: Header=BB15_1139 Depth=2
	v_lshl_add_u64 v[8:9], v[8:9], 0, v[116:117]
	s_mov_b32 s54, 1
	s_mov_b64 s[90:91], -1
	v_mov_b32_e32 v14, 0
	s_mov_b64 s[40:41], 0
	v_lshlrev_b64 v[16:17], 1, v[8:9]
	s_branch .LBB15_1142
.LBB15_1141:                            ;   in Loop: Header=BB15_1142 Depth=3
	s_or_b64 exec, exec, s[22:23]
	v_add_u32_e32 v14, v12, v14
	v_cmp_ge_i32_e32 vcc, v14, v44
	s_xor_b64 s[22:23], s[90:91], -1
	s_or_b64 s[22:23], s[22:23], vcc
	s_and_b64 s[22:23], exec, s[22:23]
	s_or_b64 s[40:41], s[22:23], s[40:41]
	s_mov_b64 s[90:91], 0
	v_mov_b32_e32 v2, s54
	s_mov_b32 s54, 2
	s_andn2_b64 exec, exec, s[40:41]
	s_cbranch_execz .LBB15_1390
.LBB15_1142:                            ;   Parent Loop BB15_47 Depth=1
                                        ;     Parent Loop BB15_1139 Depth=2
                                        ; =>    This Loop Header: Depth=3
                                        ;         Child Loop BB15_1150 Depth 4
                                        ;         Child Loop BB15_1178 Depth 4
	;; [unrolled: 1-line block ×9, first 2 shown]
                                        ;           Child Loop BB15_1232 Depth 5
                                        ;         Child Loop BB15_1239 Depth 4
                                        ;         Child Loop BB15_1244 Depth 4
                                        ;           Child Loop BB15_1245 Depth 5
                                        ;         Child Loop BB15_1281 Depth 4
                                        ;         Child Loop BB15_1300 Depth 4
	s_and_saveexec_b64 s[22:23], s[0:1]
	s_cbranch_execz .LBB15_1144
; %bb.1143:                             ;   in Loop: Header=BB15_1142 Depth=3
	s_trap 2
	ds_read_b128 v[8:11], v0
	v_ashrrev_i32_e32 v15, 31, v14
	v_lshlrev_b64 v[18:19], 1, v[14:15]
	s_waitcnt lgkmcnt(0)
	v_lshl_add_u64 v[8:9], v[8:9], 0, v[16:17]
	v_lshl_add_u64 v[20:21], v[10:11], 0, v[16:17]
	;; [unrolled: 1-line block ×3, first 2 shown]
	ds_write_b64 v0, v[8:9]
	v_lshl_add_u64 v[8:9], v[20:21], 0, v[18:19]
	v_cmp_ne_u64_e32 vcc, 0, v[10:11]
	s_nop 1
	v_cndmask_b32_e32 v9, 0, v9, vcc
	v_cndmask_b32_e32 v8, 0, v8, vcc
	ds_write_b64 v0, v[8:9]
.LBB15_1144:                            ;   in Loop: Header=BB15_1142 Depth=3
	s_or_b64 exec, exec, s[22:23]
	v_sub_u32_e32 v2, v44, v14
	v_min_i32_e32 v12, v12, v2
	v_and_b32_e32 v2, 12, v74
	v_cmp_ne_u32_e32 vcc, 0, v2
	s_and_saveexec_b64 s[24:25], vcc
	s_cbranch_execz .LBB15_1170
; %bb.1145:                             ;   in Loop: Header=BB15_1142 Depth=3
	v_and_b32_e32 v2, 8, v74
	s_waitcnt vmcnt(0) lgkmcnt(0)
	v_lshl_add_u64 v[10:11], v[48:49], 0, v[2:3]
	v_lshl_add_u64 v[8:9], v[112:113], 0, 2
	v_cmp_lt_u64_e32 vcc, v[10:11], v[8:9]
	s_and_saveexec_b64 s[26:27], vcc
	s_cbranch_execz .LBB15_1157
; %bb.1146:                             ;   in Loop: Header=BB15_1142 Depth=3
	v_and_b32_e32 v10, 64, v74
	s_mov_b32 s55, 0
	v_cmp_eq_u32_e32 vcc, 0, v10
	s_mov_b64 s[92:93], 0
                                        ; implicit-def: $sgpr94_sgpr95
                                        ; implicit-def: $sgpr30_sgpr31
                                        ; implicit-def: $sgpr34_sgpr35
	s_branch .LBB15_1150
.LBB15_1147:                            ;   in Loop: Header=BB15_1150 Depth=4
	s_waitcnt vmcnt(0) lgkmcnt(0)
	v_lshl_add_u64 v[18:19], v[48:49], 0, v[2:3]
	v_cmp_ge_u64_e64 s[22:23], v[18:19], v[8:9]
	s_or_b64 s[48:49], s[48:49], exec
	s_orn2_b64 s[38:39], s[22:23], exec
.LBB15_1148:                            ;   in Loop: Header=BB15_1150 Depth=4
	s_or_b64 exec, exec, s[52:53]
	s_andn2_b64 s[22:23], s[34:35], exec
	s_and_b64 s[34:35], s[48:49], exec
	s_or_b64 s[34:35], s[22:23], s[34:35]
	s_andn2_b64 s[22:23], s[30:31], exec
	s_and_b64 s[30:31], s[38:39], exec
	s_or_b64 s[30:31], s[22:23], s[30:31]
.LBB15_1149:                            ;   in Loop: Header=BB15_1150 Depth=4
	s_or_b64 exec, exec, s[36:37]
	s_and_b64 s[22:23], exec, s[30:31]
	s_or_b64 s[92:93], s[22:23], s[92:93]
	s_andn2_b64 s[22:23], s[94:95], exec
	s_and_b64 s[94:95], s[34:35], exec
	s_or_b64 s[94:95], s[22:23], s[94:95]
	s_andn2_b64 exec, exec, s[92:93]
	s_cbranch_execz .LBB15_1154
.LBB15_1150:                            ;   Parent Loop BB15_47 Depth=1
                                        ;     Parent Loop BB15_1139 Depth=2
                                        ;       Parent Loop BB15_1142 Depth=3
                                        ; =>      This Inner Loop Header: Depth=4
	s_sleep 1
	s_waitcnt vmcnt(0) lgkmcnt(0)
	flat_load_dwordx2 v[48:49], v[32:33] sc0 sc1
	s_or_b64 s[34:35], s[34:35], exec
	s_or_b64 s[30:31], s[30:31], exec
                                        ; implicit-def: $vgpr10
	s_and_saveexec_b64 s[36:37], vcc
	s_cbranch_execz .LBB15_1149
; %bb.1151:                             ;   in Loop: Header=BB15_1150 Depth=4
	s_cmpk_lt_i32 s55, 0x270f
	s_cselect_b64 s[50:51], -1, 0
	s_cmpk_gt_i32 s55, 0x270e
	s_mov_b64 s[38:39], -1
	s_cbranch_scc0 .LBB15_1153
; %bb.1152:                             ;   in Loop: Header=BB15_1150 Depth=4
	s_trap 2
	ds_read_b64 v[10:11], v0
	s_andn2_b64 s[50:51], s[50:51], exec
	s_mov_b32 s55, 0
	s_mov_b64 s[48:49], 0
	s_waitcnt vmcnt(0) lgkmcnt(0)
	flat_load_dword v10, v[10:11] sc0 sc1
	s_waitcnt vmcnt(0) lgkmcnt(0)
	buffer_inv sc0 sc1
	v_cmp_eq_u32_e64 s[22:23], 0, v10
	s_and_b64 s[22:23], s[22:23], exec
	s_or_b64 s[50:51], s[50:51], s[22:23]
	s_and_saveexec_b64 s[52:53], s[50:51]
	s_cbranch_execz .LBB15_1148
	s_branch .LBB15_1147
.LBB15_1153:                            ;   in Loop: Header=BB15_1150 Depth=4
	s_add_i32 s55, s55, 1
	s_mov_b64 s[48:49], -1
                                        ; implicit-def: $vgpr10
	s_and_saveexec_b64 s[52:53], s[50:51]
	s_cbranch_execz .LBB15_1148
	s_branch .LBB15_1147
.LBB15_1154:                            ;   in Loop: Header=BB15_1142 Depth=3
	s_or_b64 exec, exec, s[92:93]
	s_xor_b64 s[22:23], s[94:95], -1
	s_and_saveexec_b64 s[92:93], s[22:23]
	s_xor_b64 s[22:23], exec, s[92:93]
	s_cbranch_execz .LBB15_1156
; %bb.1155:                             ;   in Loop: Header=BB15_1142 Depth=3
	v_or_b32_e32 v74, 64, v74
	s_waitcnt lgkmcnt(0)
	ds_write_b32 v0, v10
	s_trap 2
.LBB15_1156:                            ;   in Loop: Header=BB15_1142 Depth=3
	s_or_b64 exec, exec, s[22:23]
.LBB15_1157:                            ;   in Loop: Header=BB15_1142 Depth=3
	s_or_b64 exec, exec, s[26:27]
	v_and_b32_e32 v10, 0x108, v74
	v_cmp_ne_u32_e32 vcc, s67, v10
	;;#ASMSTART
	s_wakeup
	;;#ASMEND
                                        ; implicit-def: $vgpr10_vgpr11
	s_and_saveexec_b64 s[22:23], vcc
	s_xor_b64 s[22:23], exec, s[22:23]
; %bb.1158:                             ;   in Loop: Header=BB15_1142 Depth=3
	v_and_b32_e32 v10, 7, v112
	v_mov_b32_e32 v11, v3
                                        ; implicit-def: $vgpr112_vgpr113
; %bb.1159:                             ;   in Loop: Header=BB15_1142 Depth=3
	s_andn2_saveexec_b64 s[22:23], s[22:23]
	s_cbranch_execz .LBB15_1161
; %bb.1160:                             ;   in Loop: Header=BB15_1142 Depth=3
	v_and_b32_e32 v10, 7, v112
	v_ashrrev_i32_e32 v13, 31, v12
	v_mov_b32_e32 v11, v3
	v_mad_u64_u32 v[18:19], s[26:27], v10, 24, v[6:7]
	v_lshlrev_b64 v[20:21], 1, v[12:13]
	flat_store_dwordx2 v[18:19], v[20:21] offset:8
.LBB15_1161:                            ;   in Loop: Header=BB15_1142 Depth=3
	s_or_b64 exec, exec, s[22:23]
	v_and_b32_e32 v13, 0x100, v74
	v_cmp_ne_u32_e32 vcc, 0, v13
	s_mov_b64 s[22:23], -1
                                        ; implicit-def: $vgpr18_vgpr19
	s_and_saveexec_b64 s[26:27], vcc
	s_cbranch_execz .LBB15_1165
; %bb.1162:                             ;   in Loop: Header=BB15_1142 Depth=3
	v_mad_u64_u32 v[20:21], s[22:23], v10, 24, v[6:7]
	v_mov_b32_e32 v18, v21
	v_mad_u64_u32 v[18:19], s[22:23], v11, 24, v[18:19]
	v_mov_b32_e32 v21, v18
	flat_load_dword v13, v[20:21]
                                        ; implicit-def: $vgpr18_vgpr19
	s_waitcnt vmcnt(0) lgkmcnt(0)
	v_cmp_ne_u32_e32 vcc, 1, v13
	v_cmp_eq_u32_e64 s[22:23], 1, v13
	s_and_saveexec_b64 s[92:93], s[22:23]
	s_cbranch_execz .LBB15_1164
; %bb.1163:                             ;   in Loop: Header=BB15_1142 Depth=3
	flat_load_dword v18, v[20:21] offset:4 sc0 sc1
	s_waitcnt vmcnt(0) lgkmcnt(0)
	v_ashrrev_i32_e32 v19, 31, v18
	v_lshrrev_b64 v[18:19], 1, v[18:19]
.LBB15_1164:                            ;   in Loop: Header=BB15_1142 Depth=3
	s_or_b64 exec, exec, s[92:93]
	s_orn2_b64 s[22:23], vcc, exec
.LBB15_1165:                            ;   in Loop: Header=BB15_1142 Depth=3
	s_or_b64 exec, exec, s[26:27]
	s_and_saveexec_b64 s[26:27], s[22:23]
; %bb.1166:                             ;   in Loop: Header=BB15_1142 Depth=3
	v_mul_lo_u32 v11, v11, v30
	v_mul_lo_u32 v13, v10, v51
	v_mad_u64_u32 v[18:19], s[22:23], v10, v30, 0
	v_add3_u32 v19, v19, v13, v11
; %bb.1167:                             ;   in Loop: Header=BB15_1142 Depth=3
	s_or_b64 exec, exec, s[26:27]
	v_cmp_eq_u32_e32 vcc, 0, v2
	v_lshl_add_u64 v[10:11], v[18:19], 1, v[34:35]
	s_nop 0
	v_cndmask_b32_e32 v2, v88, v89, vcc
	v_add_u32_e32 v2, v0, v2
	ds_write_b64 v2, v[10:11] offset:584
	v_and_b32_e32 v2, 0x2000, v74
	v_cmp_ne_u32_e32 vcc, 0, v2
	s_and_saveexec_b64 s[22:23], vcc
	s_cbranch_execz .LBB15_1169
; %bb.1168:                             ;   in Loop: Header=BB15_1142 Depth=3
	ds_read_b64 v[10:11], v0 offset:872
	s_waitcnt lgkmcnt(0)
	v_lshl_add_u64 v[10:11], v[10:11], 0, 1
	ds_write_b64 v0, v[10:11] offset:872
.LBB15_1169:                            ;   in Loop: Header=BB15_1142 Depth=3
	s_or_b64 exec, exec, s[22:23]
	v_mov_b64_e32 v[112:113], v[8:9]
.LBB15_1170:                            ;   in Loop: Header=BB15_1142 Depth=3
	s_or_b64 exec, exec, s[24:25]
	s_and_saveexec_b64 s[22:23], s[4:5]
	s_cbranch_execz .LBB15_1189
; %bb.1171:                             ;   in Loop: Header=BB15_1142 Depth=3
	s_and_saveexec_b64 s[24:25], s[56:57]
	s_xor_b64 s[24:25], exec, s[24:25]
	s_cbranch_execz .LBB15_1186
; %bb.1172:                             ;   in Loop: Header=BB15_1142 Depth=3
	s_and_saveexec_b64 s[26:27], s[12:13]
	s_cbranch_execz .LBB15_1185
; %bb.1173:                             ;   in Loop: Header=BB15_1142 Depth=3
	s_mov_b64 s[94:95], exec
	v_mbcnt_lo_u32_b32 v2, s94, 0
	v_mbcnt_hi_u32_b32 v2, s95, v2
	v_cmp_eq_u32_e32 vcc, 0, v2
	s_waitcnt lgkmcnt(0)
	s_and_saveexec_b64 s[92:93], vcc
	s_cbranch_execz .LBB15_1175
; %bb.1174:                             ;   in Loop: Header=BB15_1142 Depth=3
	s_bcnt1_i32_b64 s94, s[94:95]
	v_mov_b32_e32 v2, s94
	ds_add_u64 v0, v[2:3]
	s_trap 2
.LBB15_1175:                            ;   in Loop: Header=BB15_1142 Depth=3
	s_or_b64 exec, exec, s[92:93]
	s_trap 2
	ds_read_b64 v[8:9], v0
	s_waitcnt lgkmcnt(0)
	v_lshl_add_u64 v[38:39], v[38:39], 0, v[52:53]
	v_cmp_lt_u64_e32 vcc, v[8:9], v[38:39]
	s_and_saveexec_b64 s[92:93], vcc
	s_cbranch_execz .LBB15_1184
; %bb.1176:                             ;   in Loop: Header=BB15_1142 Depth=3
	s_mov_b32 s48, 0
	s_mov_b64 s[94:95], 0
                                        ; implicit-def: $sgpr30_sgpr31
                                        ; implicit-def: $sgpr34_sgpr35
	s_branch .LBB15_1178
.LBB15_1177:                            ;   in Loop: Header=BB15_1178 Depth=4
	s_or_b64 exec, exec, s[38:39]
	s_and_b64 vcc, exec, vcc
	s_or_b64 s[94:95], vcc, s[94:95]
	s_andn2_b64 vcc, s[30:31], exec
	s_and_b64 s[30:31], s[34:35], exec
	s_or_b64 s[30:31], vcc, s[30:31]
	s_andn2_b64 exec, exec, s[94:95]
	s_cbranch_execz .LBB15_1182
.LBB15_1178:                            ;   Parent Loop BB15_47 Depth=1
                                        ;     Parent Loop BB15_1139 Depth=2
                                        ;       Parent Loop BB15_1142 Depth=3
                                        ; =>      This Inner Loop Header: Depth=4
	s_add_i32 s48, s48, 1
	s_cmpk_lg_i32 s48, 0x2710
	s_cselect_b64 s[36:37], -1, 0
	s_and_b64 vcc, exec, s[36:37]
	s_cbranch_vccz .LBB15_1180
; %bb.1179:                             ;   in Loop: Header=BB15_1178 Depth=4
	s_mov_b64 vcc, -1
	s_or_b64 s[34:35], s[34:35], exec
	s_and_saveexec_b64 s[38:39], s[36:37]
	s_cbranch_execz .LBB15_1177
	s_branch .LBB15_1181
.LBB15_1180:                            ;   in Loop: Header=BB15_1178 Depth=4
	s_trap 2
	ds_read_b64 v[8:9], v0
	s_andn2_b64 s[36:37], s[36:37], exec
	s_mov_b32 s48, 0
	s_waitcnt vmcnt(0) lgkmcnt(0)
	flat_load_dword v2, v[8:9] sc0 sc1
	s_waitcnt vmcnt(0) lgkmcnt(0)
	buffer_inv sc0 sc1
	v_cmp_eq_u32_e32 vcc, 0, v2
	s_and_b64 vcc, vcc, exec
	s_or_b64 s[36:37], s[36:37], vcc
	s_mov_b64 vcc, -1
	s_or_b64 s[34:35], s[34:35], exec
	s_and_saveexec_b64 s[38:39], s[36:37]
	s_cbranch_execz .LBB15_1177
.LBB15_1181:                            ;   in Loop: Header=BB15_1178 Depth=4
	s_sleep 1
	s_trap 2
	ds_read_b64 v[8:9], v0
	s_waitcnt lgkmcnt(0)
	s_andn2_b64 s[34:35], s[34:35], exec
	v_cmp_ge_u64_e32 vcc, v[8:9], v[38:39]
	s_orn2_b64 vcc, vcc, exec
	s_branch .LBB15_1177
.LBB15_1182:                            ;   in Loop: Header=BB15_1142 Depth=3
	s_or_b64 exec, exec, s[94:95]
	s_and_saveexec_b64 s[94:95], s[30:31]
	s_xor_b64 s[94:95], exec, s[94:95]
	s_cbranch_execz .LBB15_1184
; %bb.1183:                             ;   in Loop: Header=BB15_1142 Depth=3
	ds_write_b32 v0, v77
	s_trap 2
.LBB15_1184:                            ;   in Loop: Header=BB15_1142 Depth=3
	s_or_b64 exec, exec, s[92:93]
	;;#ASMSTART
	s_wakeup
	;;#ASMEND
.LBB15_1185:                            ;   in Loop: Header=BB15_1142 Depth=3
	s_or_b64 exec, exec, s[26:27]
.LBB15_1186:                            ;   in Loop: Header=BB15_1142 Depth=3
	s_andn2_saveexec_b64 s[24:25], s[24:25]
	s_cbranch_execz .LBB15_1188
; %bb.1187:                             ;   in Loop: Header=BB15_1142 Depth=3
	s_waitcnt lgkmcnt(0)
	s_barrier
.LBB15_1188:                            ;   in Loop: Header=BB15_1142 Depth=3
	s_or_b64 exec, exec, s[24:25]
.LBB15_1189:                            ;   in Loop: Header=BB15_1142 Depth=3
	s_or_b64 exec, exec, s[22:23]
	s_trap 2
	ds_read_b32 v8, v0
	v_and_b32_e32 v2, 0x4000, v74
	v_cmp_ne_u32_e32 vcc, 0, v2
	s_xor_b64 s[22:23], s[2:3], -1
	s_and_b64 s[24:25], s[22:23], vcc
	s_and_saveexec_b64 s[22:23], s[24:25]
	s_cbranch_execz .LBB15_1208
; %bb.1190:                             ;   in Loop: Header=BB15_1142 Depth=3
	s_and_saveexec_b64 s[24:25], s[56:57]
	s_xor_b64 s[24:25], exec, s[24:25]
	s_cbranch_execz .LBB15_1205
; %bb.1191:                             ;   in Loop: Header=BB15_1142 Depth=3
	s_and_saveexec_b64 s[26:27], s[12:13]
	s_cbranch_execz .LBB15_1204
; %bb.1192:                             ;   in Loop: Header=BB15_1142 Depth=3
	s_mov_b64 s[94:95], exec
	v_mbcnt_lo_u32_b32 v2, s94, 0
	v_mbcnt_hi_u32_b32 v2, s95, v2
	v_cmp_eq_u32_e32 vcc, 0, v2
	s_waitcnt lgkmcnt(0)
	s_and_saveexec_b64 s[92:93], vcc
	s_cbranch_execz .LBB15_1194
; %bb.1193:                             ;   in Loop: Header=BB15_1142 Depth=3
	s_bcnt1_i32_b64 s94, s[94:95]
	v_mov_b32_e32 v2, s94
	ds_add_u64 v0, v[2:3]
	s_trap 2
.LBB15_1194:                            ;   in Loop: Header=BB15_1142 Depth=3
	s_or_b64 exec, exec, s[92:93]
	s_trap 2
	ds_read_b64 v[10:11], v0
	s_waitcnt lgkmcnt(0)
	v_lshl_add_u64 v[38:39], v[38:39], 0, v[52:53]
	v_cmp_lt_u64_e32 vcc, v[10:11], v[38:39]
	s_and_saveexec_b64 s[92:93], vcc
	s_cbranch_execz .LBB15_1203
; %bb.1195:                             ;   in Loop: Header=BB15_1142 Depth=3
	s_mov_b32 s48, 0
	s_mov_b64 s[94:95], 0
                                        ; implicit-def: $sgpr30_sgpr31
                                        ; implicit-def: $sgpr34_sgpr35
	s_branch .LBB15_1197
.LBB15_1196:                            ;   in Loop: Header=BB15_1197 Depth=4
	s_or_b64 exec, exec, s[38:39]
	s_and_b64 vcc, exec, vcc
	s_or_b64 s[94:95], vcc, s[94:95]
	s_andn2_b64 vcc, s[30:31], exec
	s_and_b64 s[30:31], s[34:35], exec
	s_or_b64 s[30:31], vcc, s[30:31]
	s_andn2_b64 exec, exec, s[94:95]
	s_cbranch_execz .LBB15_1201
.LBB15_1197:                            ;   Parent Loop BB15_47 Depth=1
                                        ;     Parent Loop BB15_1139 Depth=2
                                        ;       Parent Loop BB15_1142 Depth=3
                                        ; =>      This Inner Loop Header: Depth=4
	s_add_i32 s48, s48, 1
	s_cmpk_lg_i32 s48, 0x2710
	s_cselect_b64 s[36:37], -1, 0
	s_and_b64 vcc, exec, s[36:37]
	s_cbranch_vccz .LBB15_1199
; %bb.1198:                             ;   in Loop: Header=BB15_1197 Depth=4
	s_mov_b64 vcc, -1
	s_or_b64 s[34:35], s[34:35], exec
	s_and_saveexec_b64 s[38:39], s[36:37]
	s_cbranch_execz .LBB15_1196
	s_branch .LBB15_1200
.LBB15_1199:                            ;   in Loop: Header=BB15_1197 Depth=4
	s_trap 2
	ds_read_b64 v[10:11], v0
	s_andn2_b64 s[36:37], s[36:37], exec
	s_mov_b32 s48, 0
	s_waitcnt vmcnt(0) lgkmcnt(0)
	flat_load_dword v2, v[10:11] sc0 sc1
	s_waitcnt vmcnt(0) lgkmcnt(0)
	buffer_inv sc0 sc1
	v_cmp_eq_u32_e32 vcc, 0, v2
	s_and_b64 vcc, vcc, exec
	s_or_b64 s[36:37], s[36:37], vcc
	s_mov_b64 vcc, -1
	s_or_b64 s[34:35], s[34:35], exec
	s_and_saveexec_b64 s[38:39], s[36:37]
	s_cbranch_execz .LBB15_1196
.LBB15_1200:                            ;   in Loop: Header=BB15_1197 Depth=4
	s_sleep 1
	s_trap 2
	ds_read_b64 v[10:11], v0
	s_waitcnt lgkmcnt(0)
	s_andn2_b64 s[34:35], s[34:35], exec
	v_cmp_ge_u64_e32 vcc, v[10:11], v[38:39]
	s_orn2_b64 vcc, vcc, exec
	s_branch .LBB15_1196
.LBB15_1201:                            ;   in Loop: Header=BB15_1142 Depth=3
	s_or_b64 exec, exec, s[94:95]
	s_and_saveexec_b64 s[94:95], s[30:31]
	s_xor_b64 s[94:95], exec, s[94:95]
	s_cbranch_execz .LBB15_1203
; %bb.1202:                             ;   in Loop: Header=BB15_1142 Depth=3
	ds_write_b32 v0, v77
	s_trap 2
.LBB15_1203:                            ;   in Loop: Header=BB15_1142 Depth=3
	s_or_b64 exec, exec, s[92:93]
	;;#ASMSTART
	s_wakeup
	;;#ASMEND
.LBB15_1204:                            ;   in Loop: Header=BB15_1142 Depth=3
	s_or_b64 exec, exec, s[26:27]
.LBB15_1205:                            ;   in Loop: Header=BB15_1142 Depth=3
	s_andn2_saveexec_b64 s[24:25], s[24:25]
	s_cbranch_execz .LBB15_1207
; %bb.1206:                             ;   in Loop: Header=BB15_1142 Depth=3
	s_waitcnt lgkmcnt(0)
	s_barrier
.LBB15_1207:                            ;   in Loop: Header=BB15_1142 Depth=3
	s_or_b64 exec, exec, s[24:25]
.LBB15_1208:                            ;   in Loop: Header=BB15_1142 Depth=3
	s_or_b64 exec, exec, s[22:23]
	s_trap 2
	ds_read_b64 v[18:19], v0
	s_waitcnt lgkmcnt(0)
	v_cmp_eq_u64_e32 vcc, 0, v[18:19]
	s_cbranch_vccnz .LBB15_1217
; %bb.1209:                             ;   in Loop: Header=BB15_1142 Depth=3
	s_trap 2
	ds_read_b64 v[20:21], v0
	s_waitcnt lgkmcnt(0)
	v_cmp_eq_u64_e32 vcc, 0, v[20:21]
	s_cbranch_vccnz .LBB15_1217
; %bb.1210:                             ;   in Loop: Header=BB15_1142 Depth=3
	s_trap 2
	ds_read_b64 v[22:23], v0
	v_cmp_eq_u32_e32 vcc, 0, v8
	s_nop 1
	v_cndmask_b32_e32 v2, 0, v12, vcc
	s_waitcnt lgkmcnt(0)
	v_cmp_ne_u64_e32 vcc, 0, v[22:23]
	v_lshlrev_b32_e32 v13, 1, v2
	s_cbranch_vccz .LBB15_1222
; %bb.1211:                             ;   in Loop: Header=BB15_1142 Depth=3
	s_mov_b64 s[24:25], -1
	s_and_saveexec_b64 s[22:23], s[16:17]
	s_cbranch_execz .LBB15_1213
; %bb.1212:                             ;   in Loop: Header=BB15_1142 Depth=3
	ds_read_b32 v8, v0 offset:720
	s_waitcnt lgkmcnt(0)
	v_and_b32_e32 v8, 15, v8
	v_cmp_eq_u32_e32 vcc, 0, v8
	s_orn2_b64 s[24:25], vcc, exec
.LBB15_1213:                            ;   in Loop: Header=BB15_1142 Depth=3
	s_or_b64 exec, exec, s[22:23]
	s_and_saveexec_b64 s[22:23], s[18:19]
	s_cbranch_execz .LBB15_1215
; %bb.1214:                             ;   in Loop: Header=BB15_1142 Depth=3
	ds_read_b32 v8, v0 offset:784
	s_waitcnt lgkmcnt(0)
	v_and_b32_e32 v8, 15, v8
	v_cmp_eq_u32_e32 vcc, 0, v8
	s_and_b64 s[26:27], s[24:25], vcc
	s_andn2_b64 s[24:25], s[24:25], exec
	s_and_b64 s[26:27], s[26:27], exec
	s_or_b64 s[24:25], s[24:25], s[26:27]
.LBB15_1215:                            ;   in Loop: Header=BB15_1142 Depth=3
	s_or_b64 exec, exec, s[22:23]
	s_xor_b64 s[24:25], s[24:25], -1
	v_cndmask_b32_e64 v8, 0, 1, s[24:25]
	s_mov_b64 s[22:23], -1
	v_mov_b32_e32 v15, 0
	v_cmp_ne_u32_e32 vcc, 0, v8
	v_mov_b32_e32 v40, v13
	v_mov_b32_e32 v41, v0
	s_cbranch_vccz .LBB15_1224
; %bb.1216:                             ;   in Loop: Header=BB15_1142 Depth=3
	s_and_saveexec_b64 s[26:27], s[22:23]
	s_cbranch_execnz .LBB15_1237
	s_branch .LBB15_1247
.LBB15_1217:                            ;   in Loop: Header=BB15_1142 Depth=3
	s_mov_b64 s[22:23], 0
	s_and_saveexec_b64 s[24:25], s[4:5]
	s_cbranch_execnz .LBB15_1274
.LBB15_1218:                            ;   in Loop: Header=BB15_1142 Depth=3
	s_or_b64 exec, exec, s[24:25]
                                        ; implicit-def: $vgpr2
	s_and_saveexec_b64 s[24:25], s[20:21]
	s_xor_b64 s[24:25], exec, s[24:25]
	s_cbranch_execz .LBB15_1292
.LBB15_1219:                            ;   in Loop: Header=BB15_1142 Depth=3
	v_and_b32_e32 v8, 16, v74
	v_cmp_ne_u32_e32 vcc, 0, v8
	v_and_b32_e32 v2, 16, v74
	s_and_b64 s[26:27], vcc, s[22:23]
	s_and_saveexec_b64 s[22:23], s[26:27]
	s_cbranch_execz .LBB15_1221
; %bb.1220:                             ;   in Loop: Header=BB15_1142 Depth=3
	v_mov_b32_e32 v2, 1
	buffer_wbl2 sc1
	s_waitcnt vmcnt(0) lgkmcnt(0)
	buffer_inv sc1
.LBB15_1221:                            ;   in Loop: Header=BB15_1142 Depth=3
	s_or_b64 exec, exec, s[22:23]
	s_andn2_saveexec_b64 s[22:23], s[24:25]
	s_cbranch_execz .LBB15_1311
	s_branch .LBB15_1293
.LBB15_1222:                            ;   in Loop: Header=BB15_1142 Depth=3
	s_cbranch_execnz .LBB15_1248
.LBB15_1223:                            ;   in Loop: Header=BB15_1142 Depth=3
	v_cmp_lt_i32_e64 s[22:23], 0, v2
	s_and_saveexec_b64 s[24:25], s[4:5]
	s_cbranch_execnz .LBB15_1274
	s_branch .LBB15_1218
.LBB15_1224:                            ;   in Loop: Header=BB15_1142 Depth=3
	v_ashrrev_i32_e32 v8, 31, v13
	v_lshrrev_b32_e32 v8, 21, v8
	v_add_u32_e32 v8, v13, v8
	v_ashrrev_i32_e32 v15, 11, v8
	v_sub_u32_e32 v42, v15, v76
	v_cmp_lt_i32_e32 vcc, 0, v42
	s_and_saveexec_b64 s[22:23], vcc
	s_cbranch_execz .LBB15_1228
; %bb.1225:                             ;   in Loop: Header=BB15_1142 Depth=3
	v_lshl_add_u64 v[8:9], v[18:19], 0, v[80:81]
	v_lshl_add_u64 v[10:11], v[20:21], 0, v[80:81]
	;; [unrolled: 1-line block ×3, first 2 shown]
	s_mov_b64 s[24:25], 0
.LBB15_1226:                            ;   Parent Loop BB15_47 Depth=1
                                        ;     Parent Loop BB15_1139 Depth=2
                                        ;       Parent Loop BB15_1142 Depth=3
                                        ; =>      This Inner Loop Header: Depth=4
	global_load_dwordx4 v[56:59], v[8:9], off nt
	global_load_dwordx4 v[60:63], v[8:9], off offset:1024 nt
	v_sub_u32_e32 v42, v42, v52
	v_cmp_gt_i32_e32 vcc, 1, v42
	v_lshl_add_u64 v[8:9], v[8:9], 0, v[82:83]
	s_or_b64 s[24:25], vcc, s[24:25]
	s_waitcnt vmcnt(0)
	global_store_dwordx4 v[10:11], v[56:59], off
	global_store_dwordx4 v[10:11], v[60:63], off offset:1024
	global_store_dwordx4 v[118:119], v[56:59], off
	global_store_dwordx4 v[118:119], v[60:63], off offset:1024
	v_lshl_add_u64 v[10:11], v[10:11], 0, v[82:83]
	v_lshl_add_u64 v[118:119], v[118:119], 0, v[82:83]
	s_andn2_b64 exec, exec, s[24:25]
	s_cbranch_execnz .LBB15_1226
; %bb.1227:                             ;   in Loop: Header=BB15_1142 Depth=3
	s_or_b64 exec, exec, s[24:25]
.LBB15_1228:                            ;   in Loop: Header=BB15_1142 Depth=3
	s_or_b64 exec, exec, s[22:23]
	v_lshlrev_b32_e32 v45, 11, v15
	v_cmp_ne_u32_e32 vcc, v13, v45
	s_mov_b64 s[22:23], 0
	v_mov_b32_e32 v15, 0
                                        ; implicit-def: $vgpr40
                                        ; implicit-def: $vgpr41
	s_and_saveexec_b64 s[92:93], vcc
	s_cbranch_execz .LBB15_1236
; %bb.1229:                             ;   in Loop: Header=BB15_1142 Depth=3
	v_lshlrev_b32_e32 v8, 6, v42
	v_sub_u32_e32 v8, v75, v8
	v_ashrrev_i32_e32 v10, 31, v8
	v_lshrrev_b32_e32 v10, 26, v10
	v_add_u32_e32 v10, v8, v10
	v_sub_u32_e32 v9, v13, v45
	v_ashrrev_i32_e32 v11, 6, v10
	v_and_b32_e32 v10, 0xffffffc0, v10
	v_sub_u32_e32 v46, v8, v10
	v_ashrrev_i32_e32 v10, 31, v9
	v_lshrrev_b32_e32 v10, 22, v10
	v_add_u32_e32 v10, v9, v10
	v_and_b32_e32 v15, 0xfffffc00, v10
	v_lshlrev_b32_e32 v8, 4, v46
	v_sub_u32_e32 v47, v9, v15
	v_lshl_add_u32 v8, v11, 10, v8
	v_ashrrev_i32_e32 v118, 10, v10
	v_cmp_lt_i32_e64 s[22:23], 15, v47
	v_sub_u32_e32 v57, v9, v8
	s_nop 0
	v_addc_co_u32_e64 v9, vcc, 0, v118, s[22:23]
	v_sub_u32_e32 v56, v9, v11
	v_cmp_lt_i32_e32 vcc, 15, v57
	s_and_saveexec_b64 s[94:95], vcc
	s_cbranch_execz .LBB15_1235
; %bb.1230:                             ;   in Loop: Header=BB15_1142 Depth=3
	v_add_u32_e32 v8, v8, v45
	v_ashrrev_i32_e32 v9, 31, v8
	v_lshl_add_u64 v[118:119], v[8:9], 0, v[18:19]
	v_lshl_add_u64 v[40:41], v[8:9], 0, v[20:21]
	;; [unrolled: 1-line block ×3, first 2 shown]
	s_mov_b64 s[30:31], 0
.LBB15_1231:                            ;   Parent Loop BB15_47 Depth=1
                                        ;     Parent Loop BB15_1139 Depth=2
                                        ;       Parent Loop BB15_1142 Depth=3
                                        ; =>      This Loop Header: Depth=4
                                        ;           Child Loop BB15_1232 Depth 5
	global_load_dwordx4 v[8:11], v[118:119], off nt
	s_mov_b64 s[34:35], -1
	s_mov_b64 s[36:37], 0
	s_waitcnt vmcnt(0)
.LBB15_1232:                            ;   Parent Loop BB15_47 Depth=1
                                        ;     Parent Loop BB15_1139 Depth=2
                                        ;       Parent Loop BB15_1142 Depth=3
                                        ;         Parent Loop BB15_1231 Depth=4
                                        ; =>        This Inner Loop Header: Depth=5
	s_cmp_eq_u32 s36, 1
	s_cselect_b64 vcc, -1, 0
	v_cndmask_b32_e32 v59, v41, v43, vcc
	s_cmp_eq_u32 s36, 0
	v_cndmask_b32_e32 v58, v40, v42, vcc
	global_store_dwordx4 v[58:59], v[8:11], off
	v_lshl_add_u64 v[58:59], v[58:59], 0, s[60:61]
	s_cselect_b64 s[24:25], -1, 0
	s_and_b64 s[26:27], exec, s[34:35]
	s_mov_b64 s[36:37], 1
	s_mov_b64 s[34:35], 0
	v_cndmask_b32_e32 v43, v43, v59, vcc
	v_cndmask_b32_e32 v42, v42, v58, vcc
	v_cndmask_b32_e64 v41, v41, v59, s[24:25]
	v_cndmask_b32_e64 v40, v40, v58, s[24:25]
	s_mov_b64 vcc, s[26:27]
	s_cbranch_vccnz .LBB15_1232
; %bb.1233:                             ;   in Loop: Header=BB15_1231 Depth=4
	v_sub_u32_e32 v57, v57, v68
	v_cmp_gt_i32_e32 vcc, 16, v57
	v_lshl_add_u64 v[40:41], v[40:41], 0, v[86:87]
	v_lshl_add_u64 v[42:43], v[42:43], 0, v[86:87]
	;; [unrolled: 1-line block ×3, first 2 shown]
	s_or_b64 s[30:31], vcc, s[30:31]
	v_sub_u32_e32 v56, v56, v52
	s_andn2_b64 exec, exec, s[30:31]
	s_cbranch_execnz .LBB15_1231
; %bb.1234:                             ;   in Loop: Header=BB15_1142 Depth=3
	s_or_b64 exec, exec, s[30:31]
.LBB15_1235:                            ;   in Loop: Header=BB15_1142 Depth=3
	s_or_b64 exec, exec, s[94:95]
	v_and_b32_e32 v8, 14, v13
	v_cmp_lt_i32_e32 vcc, 0, v56
	v_sub_u32_e32 v9, v47, v8
	v_cndmask_b32_e64 v40, v47, v8, s[22:23]
	v_cndmask_b32_e32 v8, 0, v52, vcc
	v_cndmask_b32_e64 v9, 0, v9, s[22:23]
	v_sub_u32_e32 v8, v8, v56
	v_cmp_ne_u32_e32 vcc, 0, v40
	v_add3_u32 v15, v15, v45, v9
	v_lshl_add_u32 v41, v8, 6, v46
	s_and_b64 s[22:23], vcc, exec
.LBB15_1236:                            ;   in Loop: Header=BB15_1142 Depth=3
	s_or_b64 exec, exec, s[92:93]
	s_and_saveexec_b64 s[26:27], s[22:23]
	s_cbranch_execz .LBB15_1247
.LBB15_1237:                            ;   in Loop: Header=BB15_1142 Depth=3
	v_ashrrev_i32_e32 v8, 31, v41
	v_ashrrev_i32_e32 v9, 31, v40
	v_lshrrev_b32_e32 v8, 26, v8
	v_lshrrev_b32_e32 v9, 22, v9
	v_add_u32_e32 v8, v41, v8
	v_add_u32_e32 v9, v40, v9
	v_ashrrev_i32_e32 v42, 6, v8
	v_ashrrev_i32_e32 v45, 10, v9
	v_sub_u32_e32 v43, v45, v42
	v_cmp_lt_i32_e32 vcc, 0, v43
	s_and_saveexec_b64 s[22:23], vcc
	s_cbranch_execz .LBB15_1241
; %bb.1238:                             ;   in Loop: Header=BB15_1142 Depth=3
	v_and_b32_e32 v8, 0x7fffffc0, v8
	v_sub_u32_e32 v8, v41, v8
	v_lshlrev_b32_e32 v8, 1, v8
	v_lshlrev_b32_e32 v9, 10, v42
	v_add3_u32 v118, v8, v15, v9
	v_ashrrev_i32_e32 v119, 31, v118
	v_lshl_add_u64 v[46:47], v[18:19], 0, s[72:73]
	v_lshl_add_u64 v[8:9], v[118:119], 0, v[20:21]
	v_lshl_add_u64 v[10:11], v[118:119], 0, v[22:23]
	v_lshl_add_u64 v[118:119], v[46:47], 0, v[118:119]
	s_mov_b64 s[24:25], 0
.LBB15_1239:                            ;   Parent Loop BB15_47 Depth=1
                                        ;     Parent Loop BB15_1139 Depth=2
                                        ;       Parent Loop BB15_1142 Depth=3
                                        ; =>      This Inner Loop Header: Depth=4
	v_add_co_u32_e32 v46, vcc, 0xfffffc80, v118
	flat_load_ushort v58, v[118:119] nt
	s_nop 0
	v_addc_co_u32_e32 v47, vcc, -1, v119, vcc
	v_add_co_u32_e32 v56, vcc, 0xfffffd00, v118
	flat_load_ushort v59, v[46:47] nt
	s_nop 0
	v_addc_co_u32_e32 v57, vcc, -1, v119, vcc
	;; [unrolled: 4-line block ×7, first 2 shown]
	flat_load_ushort v46, v[46:47] nt
	v_sub_u32_e32 v43, v43, v52
	v_cmp_gt_i32_e32 vcc, 1, v43
	s_or_b64 s[24:25], vcc, s[24:25]
	v_lshl_add_u64 v[118:119], v[118:119], 0, v[68:69]
	s_waitcnt vmcnt(0) lgkmcnt(0)
	flat_store_short v[8:9], v58 offset:896 nt
	flat_store_short v[8:9], v59 nt
	flat_store_short v[8:9], v60 offset:128 nt
	flat_store_short v[8:9], v61 offset:256 nt
	;; [unrolled: 1-line block ×6, first 2 shown]
	flat_store_short v[10:11], v59 nt
	flat_store_short v[10:11], v60 offset:128 nt
	flat_store_short v[10:11], v61 offset:256 nt
	;; [unrolled: 1-line block ×7, first 2 shown]
	v_lshl_add_u64 v[8:9], v[8:9], 0, v[68:69]
	v_lshl_add_u64 v[10:11], v[10:11], 0, v[68:69]
	s_andn2_b64 exec, exec, s[24:25]
	s_cbranch_execnz .LBB15_1239
; %bb.1240:                             ;   in Loop: Header=BB15_1142 Depth=3
	s_or_b64 exec, exec, s[24:25]
.LBB15_1241:                            ;   in Loop: Header=BB15_1142 Depth=3
	s_or_b64 exec, exec, s[22:23]
	v_lshlrev_b32_e32 v8, 10, v45
	v_cmp_ne_u32_e32 vcc, v40, v8
	s_and_b64 exec, exec, vcc
	s_cbranch_execz .LBB15_1247
; %bb.1242:                             ;   in Loop: Header=BB15_1142 Depth=3
	v_lshlrev_b32_e32 v9, 6, v42
	v_sub_u32_e32 v9, v41, v9
	v_lshlrev_b32_e32 v10, 6, v43
	v_sub_u32_e32 v9, v9, v10
	v_ashrrev_i32_e32 v10, 31, v9
	v_lshrrev_b32_e32 v10, 26, v10
	v_add_u32_e32 v10, v9, v10
	v_and_b32_e32 v11, 0x7fffffc0, v10
	v_sub_u32_e32 v9, v9, v11
	v_lshlrev_b32_e32 v10, 1, v10
	v_and_b32_e32 v10, 0xffffff80, v10
	v_lshlrev_b32_e32 v9, 1, v9
	v_add3_u32 v8, v10, v9, v8
	v_sub_u32_e32 v118, v40, v8
	v_cmp_lt_i32_e32 vcc, 1, v118
	s_and_b64 exec, exec, vcc
	s_cbranch_execz .LBB15_1247
; %bb.1243:                             ;   in Loop: Header=BB15_1142 Depth=3
	v_add_u32_e32 v40, v8, v15
	v_ashrrev_i32_e32 v41, 31, v40
	v_lshl_add_u64 v[8:9], v[40:41], 0, v[18:19]
	v_lshl_add_u64 v[10:11], v[40:41], 0, v[20:21]
	;; [unrolled: 1-line block ×3, first 2 shown]
	s_mov_b64 s[92:93], 0
.LBB15_1244:                            ;   Parent Loop BB15_47 Depth=1
                                        ;     Parent Loop BB15_1139 Depth=2
                                        ;       Parent Loop BB15_1142 Depth=3
                                        ; =>      This Loop Header: Depth=4
                                        ;           Child Loop BB15_1245 Depth 5
	flat_load_ushort v15, v[8:9] nt
	s_mov_b64 s[94:95], -1
	s_mov_b64 s[30:31], 0
	s_waitcnt vmcnt(0)
.LBB15_1245:                            ;   Parent Loop BB15_47 Depth=1
                                        ;     Parent Loop BB15_1139 Depth=2
                                        ;       Parent Loop BB15_1142 Depth=3
                                        ;         Parent Loop BB15_1244 Depth=4
                                        ; =>        This Inner Loop Header: Depth=5
	s_cmp_eq_u32 s30, 1
	s_cselect_b64 vcc, -1, 0
	v_cndmask_b32_e32 v41, v11, v23, vcc
	s_cmp_eq_u32 s30, 0
	v_cndmask_b32_e32 v40, v10, v22, vcc
	s_waitcnt lgkmcnt(0)
	flat_store_short v[40:41], v15 nt
	v_lshl_add_u64 v[40:41], v[40:41], 0, s[62:63]
	s_cselect_b64 s[22:23], -1, 0
	s_and_b64 s[24:25], exec, s[94:95]
	s_mov_b64 s[30:31], 1
	s_mov_b64 s[94:95], 0
	v_cndmask_b32_e32 v23, v23, v41, vcc
	v_cndmask_b32_e32 v22, v22, v40, vcc
	v_cndmask_b32_e64 v11, v11, v41, s[22:23]
	v_cndmask_b32_e64 v10, v10, v40, s[22:23]
	s_mov_b64 vcc, s[24:25]
	s_cbranch_vccnz .LBB15_1245
; %bb.1246:                             ;   in Loop: Header=BB15_1244 Depth=4
	v_sub_u32_e32 v118, v118, v70
	v_cmp_gt_i32_e32 vcc, 2, v118
	v_lshl_add_u64 v[10:11], v[10:11], 0, v[96:97]
	v_lshl_add_u64 v[22:23], v[22:23], 0, v[96:97]
	s_or_b64 s[92:93], vcc, s[92:93]
	v_lshl_add_u64 v[8:9], v[100:101], 0, v[8:9]
	s_andn2_b64 exec, exec, s[92:93]
	s_cbranch_execnz .LBB15_1244
.LBB15_1247:                            ;   in Loop: Header=BB15_1142 Depth=3
	s_or_b64 exec, exec, s[26:27]
	s_branch .LBB15_1223
.LBB15_1248:                            ;   in Loop: Header=BB15_1142 Depth=3
	s_mov_b64 s[22:23], -1
	s_and_saveexec_b64 s[24:25], s[16:17]
	s_cbranch_execz .LBB15_1250
; %bb.1249:                             ;   in Loop: Header=BB15_1142 Depth=3
	ds_read_b32 v8, v0 offset:720
	s_waitcnt lgkmcnt(0)
	v_and_b32_e32 v8, 15, v8
	v_cmp_eq_u32_e32 vcc, 0, v8
	s_orn2_b64 s[22:23], vcc, exec
.LBB15_1250:                            ;   in Loop: Header=BB15_1142 Depth=3
	s_or_b64 exec, exec, s[24:25]
	s_and_saveexec_b64 s[24:25], s[14:15]
	s_cbranch_execz .LBB15_1252
; %bb.1251:                             ;   in Loop: Header=BB15_1142 Depth=3
	ds_read_b32 v8, v0 offset:784
	s_waitcnt lgkmcnt(0)
	v_and_b32_e32 v8, 15, v8
	v_cmp_eq_u32_e32 vcc, 0, v8
	s_and_b64 s[26:27], s[22:23], vcc
	s_andn2_b64 s[22:23], s[22:23], exec
	s_and_b64 s[26:27], s[26:27], exec
	s_or_b64 s[22:23], s[22:23], s[26:27]
.LBB15_1252:                            ;   in Loop: Header=BB15_1142 Depth=3
	s_or_b64 exec, exec, s[24:25]
	s_xor_b64 s[22:23], s[22:23], -1
	v_cndmask_b32_e64 v8, 0, 1, s[22:23]
	s_mov_b64 s[26:27], -1
	v_mov_b32_e32 v15, 0
	v_cmp_ne_u32_e32 vcc, 0, v8
	s_cbranch_vccz .LBB15_1254
; %bb.1253:                             ;   in Loop: Header=BB15_1142 Depth=3
	v_mov_b32_e32 v118, v0
	s_and_saveexec_b64 s[22:23], s[26:27]
	s_cbranch_execnz .LBB15_1265
	s_branch .LBB15_1273
.LBB15_1254:                            ;   in Loop: Header=BB15_1142 Depth=3
	v_ashrrev_i32_e32 v8, 31, v13
	v_lshrrev_b32_e32 v8, 20, v8
	v_add_u32_e32 v8, v13, v8
	v_ashrrev_i32_e32 v15, 12, v8
	v_sub_u32_e32 v22, v15, v76
	v_cmp_lt_i32_e32 vcc, 0, v22
	s_and_saveexec_b64 s[22:23], vcc
	s_cbranch_execz .LBB15_1258
; %bb.1255:                             ;   in Loop: Header=BB15_1142 Depth=3
	s_mov_b64 s[24:25], 0
	v_mov_b64_e32 v[8:9], v[20:21]
	v_mov_b64_e32 v[10:11], v[18:19]
.LBB15_1256:                            ;   Parent Loop BB15_47 Depth=1
                                        ;     Parent Loop BB15_1139 Depth=2
                                        ;       Parent Loop BB15_1142 Depth=3
                                        ; =>      This Inner Loop Header: Depth=4
	v_lshl_add_u64 v[118:119], v[84:85], 0, v[10:11]
	global_load_dwordx4 v[40:43], v[118:119], off nt
	global_load_dwordx4 v[56:59], v[118:119], off offset:1024 nt
	global_load_dwordx4 v[60:63], v[118:119], off offset:2048 nt
	;; [unrolled: 1-line block ×3, first 2 shown]
	v_sub_u32_e32 v22, v22, v52
	v_cmp_gt_i32_e32 vcc, 1, v22
	v_lshl_add_u64 v[118:119], v[84:85], 0, v[8:9]
	v_lshl_add_u64 v[10:11], v[10:11], 0, v[66:67]
	;; [unrolled: 1-line block ×3, first 2 shown]
	s_or_b64 s[24:25], vcc, s[24:25]
	s_waitcnt vmcnt(0)
	global_store_dwordx4 v[118:119], v[40:43], off
	global_store_dwordx4 v[118:119], v[56:59], off offset:1024
	global_store_dwordx4 v[118:119], v[60:63], off offset:2048
	;; [unrolled: 1-line block ×3, first 2 shown]
	s_andn2_b64 exec, exec, s[24:25]
	s_cbranch_execnz .LBB15_1256
; %bb.1257:                             ;   in Loop: Header=BB15_1142 Depth=3
	s_or_b64 exec, exec, s[24:25]
.LBB15_1258:                            ;   in Loop: Header=BB15_1142 Depth=3
	s_or_b64 exec, exec, s[22:23]
	v_lshlrev_b32_e32 v10, 12, v15
	v_cmp_ne_u32_e32 vcc, v13, v10
	s_mov_b64 s[26:27], 0
	v_mov_b32_e32 v15, 0
                                        ; implicit-def: $vgpr118
	s_and_saveexec_b64 s[24:25], vcc
	s_cbranch_execz .LBB15_1264
; %bb.1259:                             ;   in Loop: Header=BB15_1142 Depth=3
	v_lshlrev_b32_e32 v8, 6, v22
	v_sub_u32_e32 v8, v75, v8
	v_sub_u32_e32 v9, v13, v10
	v_ashrrev_i32_e32 v11, 31, v8
	v_lshrrev_b32_e32 v11, 26, v11
	v_ashrrev_i32_e32 v15, 31, v9
	v_add_u32_e32 v11, v8, v11
	v_lshrrev_b32_e32 v15, 22, v15
	v_ashrrev_i32_e32 v23, 6, v11
	v_and_b32_e32 v11, 0xffffffc0, v11
	v_add_u32_e32 v15, v9, v15
	v_sub_u32_e32 v11, v8, v11
	v_ashrrev_i32_e32 v119, 10, v15
	v_and_b32_e32 v15, 0xfffffc00, v15
	v_lshlrev_b32_e32 v8, 4, v11
	v_sub_u32_e32 v22, v9, v15
	v_lshl_add_u32 v8, v23, 10, v8
	v_cmp_lt_i32_e32 vcc, 15, v22
	v_sub_u32_e32 v118, v9, v8
	s_nop 0
	v_addc_co_u32_e64 v9, s[22:23], 0, v119, vcc
	v_sub_u32_e32 v23, v9, v23
	v_cmp_lt_i32_e64 s[22:23], 15, v118
	s_and_saveexec_b64 s[26:27], s[22:23]
	s_cbranch_execz .LBB15_1263
; %bb.1260:                             ;   in Loop: Header=BB15_1142 Depth=3
	v_add_u32_e32 v8, v8, v10
	v_ashrrev_i32_e32 v9, 31, v8
	s_mov_b64 s[92:93], 0
.LBB15_1261:                            ;   Parent Loop BB15_47 Depth=1
                                        ;     Parent Loop BB15_1139 Depth=2
                                        ;       Parent Loop BB15_1142 Depth=3
                                        ; =>      This Inner Loop Header: Depth=4
	v_lshl_add_u64 v[40:41], v[18:19], 0, v[8:9]
	global_load_dwordx4 v[40:43], v[40:41], off nt
	v_sub_u32_e32 v118, v118, v68
	v_cmp_gt_i32_e64 s[22:23], 16, v118
	v_lshl_add_u64 v[46:47], v[20:21], 0, v[8:9]
	v_sub_u32_e32 v23, v23, v52
	v_lshl_add_u64 v[8:9], v[8:9], 0, v[68:69]
	s_or_b64 s[92:93], s[22:23], s[92:93]
	s_waitcnt vmcnt(0)
	global_store_dwordx4 v[46:47], v[40:43], off
	s_andn2_b64 exec, exec, s[92:93]
	s_cbranch_execnz .LBB15_1261
; %bb.1262:                             ;   in Loop: Header=BB15_1142 Depth=3
	s_or_b64 exec, exec, s[92:93]
.LBB15_1263:                            ;   in Loop: Header=BB15_1142 Depth=3
	s_or_b64 exec, exec, s[26:27]
	v_and_b32_e32 v8, 14, v13
	v_sub_u32_e32 v9, v22, v8
	v_cndmask_b32_e32 v9, 0, v9, vcc
	v_cndmask_b32_e32 v13, v22, v8, vcc
	v_cmp_lt_i32_e32 vcc, 0, v23
	v_add3_u32 v15, v15, v10, v9
	s_nop 0
	v_cndmask_b32_e32 v8, 0, v52, vcc
	v_sub_u32_e32 v8, v8, v23
	v_cmp_ne_u32_e32 vcc, 0, v13
	v_lshl_add_u32 v118, v8, 6, v11
	s_and_b64 s[26:27], vcc, exec
.LBB15_1264:                            ;   in Loop: Header=BB15_1142 Depth=3
	s_or_b64 exec, exec, s[24:25]
	s_and_saveexec_b64 s[22:23], s[26:27]
	s_cbranch_execz .LBB15_1273
.LBB15_1265:                            ;   in Loop: Header=BB15_1142 Depth=3
	v_ashrrev_i32_e32 v8, 31, v118
	v_ashrrev_i32_e32 v9, 31, v13
	v_lshrrev_b32_e32 v8, 26, v8
	v_lshrrev_b32_e32 v9, 22, v9
	v_add_u32_e32 v8, v118, v8
	v_add_u32_e32 v9, v13, v9
	v_ashrrev_i32_e32 v119, 6, v8
	v_ashrrev_i32_e32 v41, 10, v9
	v_sub_u32_e32 v40, v41, v119
	v_cmp_lt_i32_e32 vcc, 0, v40
	s_and_saveexec_b64 s[24:25], vcc
	s_cbranch_execz .LBB15_1269
; %bb.1266:                             ;   in Loop: Header=BB15_1142 Depth=3
	v_and_b32_e32 v8, 0x7fffffc0, v8
	v_sub_u32_e32 v8, v118, v8
	v_lshlrev_b32_e32 v8, 1, v8
	v_lshlrev_b32_e32 v9, 10, v119
	v_add3_u32 v8, v8, v15, v9
	v_ashrrev_i32_e32 v9, 31, v8
	s_mov_b64 s[26:27], 0
	v_mov_b64_e32 v[10:11], v[20:21]
	v_mov_b64_e32 v[22:23], v[18:19]
.LBB15_1267:                            ;   Parent Loop BB15_47 Depth=1
                                        ;     Parent Loop BB15_1139 Depth=2
                                        ;       Parent Loop BB15_1142 Depth=3
                                        ; =>      This Inner Loop Header: Depth=4
	v_lshl_add_u64 v[42:43], v[8:9], 0, v[22:23]
	flat_load_ushort v45, v[42:43] nt
	flat_load_ushort v46, v[42:43] offset:128 nt
	flat_load_ushort v47, v[42:43] offset:256 nt
	;; [unrolled: 1-line block ×7, first 2 shown]
	v_sub_u32_e32 v40, v40, v52
	v_cmp_gt_i32_e32 vcc, 1, v40
	v_lshl_add_u64 v[42:43], v[8:9], 0, v[10:11]
	v_lshl_add_u64 v[22:23], v[22:23], 0, v[68:69]
	;; [unrolled: 1-line block ×3, first 2 shown]
	s_or_b64 s[26:27], vcc, s[26:27]
	s_waitcnt vmcnt(0) lgkmcnt(0)
	flat_store_short v[42:43], v45 nt
	flat_store_short v[42:43], v46 offset:128 nt
	flat_store_short v[42:43], v47 offset:256 nt
	;; [unrolled: 1-line block ×7, first 2 shown]
	s_andn2_b64 exec, exec, s[26:27]
	s_cbranch_execnz .LBB15_1267
; %bb.1268:                             ;   in Loop: Header=BB15_1142 Depth=3
	s_or_b64 exec, exec, s[26:27]
.LBB15_1269:                            ;   in Loop: Header=BB15_1142 Depth=3
	s_or_b64 exec, exec, s[24:25]
	v_lshlrev_b32_e32 v8, 10, v41
	v_cmp_ne_u32_e32 vcc, v13, v8
	s_and_b64 exec, exec, vcc
	s_cbranch_execz .LBB15_1273
; %bb.1270:                             ;   in Loop: Header=BB15_1142 Depth=3
	v_lshlrev_b32_e32 v9, 6, v119
	v_sub_u32_e32 v9, v118, v9
	v_lshlrev_b32_e32 v10, 6, v40
	v_sub_u32_e32 v9, v9, v10
	v_ashrrev_i32_e32 v10, 31, v9
	v_lshrrev_b32_e32 v10, 26, v10
	v_add_u32_e32 v10, v9, v10
	v_and_b32_e32 v11, 0x7fffffc0, v10
	v_sub_u32_e32 v9, v9, v11
	v_lshlrev_b32_e32 v10, 1, v10
	v_and_b32_e32 v10, 0xffffff80, v10
	v_lshlrev_b32_e32 v9, 1, v9
	v_add3_u32 v8, v10, v9, v8
	v_sub_u32_e32 v10, v13, v8
	v_cmp_lt_i32_e32 vcc, 1, v10
	s_and_b64 exec, exec, vcc
	s_cbranch_execz .LBB15_1273
; %bb.1271:                             ;   in Loop: Header=BB15_1142 Depth=3
	v_add_u32_e32 v8, v8, v15
	v_ashrrev_i32_e32 v9, 31, v8
	s_mov_b64 s[24:25], 0
.LBB15_1272:                            ;   Parent Loop BB15_47 Depth=1
                                        ;     Parent Loop BB15_1139 Depth=2
                                        ;       Parent Loop BB15_1142 Depth=3
                                        ; =>      This Inner Loop Header: Depth=4
	v_lshl_add_u64 v[22:23], v[18:19], 0, v[8:9]
	flat_load_ushort v11, v[22:23] nt
	v_sub_u32_e32 v10, v10, v70
	v_cmp_gt_i32_e32 vcc, 2, v10
	v_lshl_add_u64 v[22:23], v[20:21], 0, v[8:9]
	v_lshl_add_u64 v[8:9], v[8:9], 0, v[70:71]
	s_or_b64 s[24:25], vcc, s[24:25]
	s_waitcnt vmcnt(0) lgkmcnt(0)
	flat_store_short v[22:23], v11 nt
	s_andn2_b64 exec, exec, s[24:25]
	s_cbranch_execnz .LBB15_1272
.LBB15_1273:                            ;   in Loop: Header=BB15_1142 Depth=3
	s_or_b64 exec, exec, s[22:23]
	v_cmp_lt_i32_e64 s[22:23], 0, v2
	s_and_saveexec_b64 s[24:25], s[4:5]
	s_cbranch_execz .LBB15_1218
.LBB15_1274:                            ;   in Loop: Header=BB15_1142 Depth=3
	s_and_saveexec_b64 s[26:27], s[56:57]
	s_xor_b64 s[26:27], exec, s[26:27]
	s_cbranch_execz .LBB15_1289
; %bb.1275:                             ;   in Loop: Header=BB15_1142 Depth=3
	s_and_saveexec_b64 s[92:93], s[12:13]
	s_cbranch_execz .LBB15_1288
; %bb.1276:                             ;   in Loop: Header=BB15_1142 Depth=3
	s_mov_b64 s[30:31], exec
	v_mbcnt_lo_u32_b32 v2, s30, 0
	v_mbcnt_hi_u32_b32 v2, s31, v2
	v_cmp_eq_u32_e32 vcc, 0, v2
	s_waitcnt lgkmcnt(0)
	s_and_saveexec_b64 s[94:95], vcc
	s_cbranch_execz .LBB15_1278
; %bb.1277:                             ;   in Loop: Header=BB15_1142 Depth=3
	s_bcnt1_i32_b64 vcc_lo, s[30:31]
	v_mov_b32_e32 v2, vcc_lo
	ds_add_u64 v0, v[2:3]
	s_trap 2
.LBB15_1278:                            ;   in Loop: Header=BB15_1142 Depth=3
	s_or_b64 exec, exec, s[94:95]
	s_trap 2
	ds_read_b64 v[8:9], v0
	s_waitcnt lgkmcnt(0)
	v_lshl_add_u64 v[38:39], v[38:39], 0, v[52:53]
	v_cmp_lt_u64_e32 vcc, v[8:9], v[38:39]
	s_and_saveexec_b64 s[94:95], vcc
	s_cbranch_execz .LBB15_1287
; %bb.1279:                             ;   in Loop: Header=BB15_1142 Depth=3
	s_mov_b32 s50, 0
	s_mov_b64 s[30:31], 0
                                        ; implicit-def: $sgpr34_sgpr35
                                        ; implicit-def: $sgpr36_sgpr37
	s_branch .LBB15_1281
.LBB15_1280:                            ;   in Loop: Header=BB15_1281 Depth=4
	s_or_b64 exec, exec, s[48:49]
	s_and_b64 vcc, exec, vcc
	s_or_b64 s[30:31], vcc, s[30:31]
	s_andn2_b64 vcc, s[34:35], exec
	s_and_b64 s[34:35], s[36:37], exec
	s_or_b64 s[34:35], vcc, s[34:35]
	s_andn2_b64 exec, exec, s[30:31]
	s_cbranch_execz .LBB15_1285
.LBB15_1281:                            ;   Parent Loop BB15_47 Depth=1
                                        ;     Parent Loop BB15_1139 Depth=2
                                        ;       Parent Loop BB15_1142 Depth=3
                                        ; =>      This Inner Loop Header: Depth=4
	s_add_i32 s50, s50, 1
	s_cmpk_lg_i32 s50, 0x2710
	s_cselect_b64 s[38:39], -1, 0
	s_and_b64 vcc, exec, s[38:39]
	s_cbranch_vccz .LBB15_1283
; %bb.1282:                             ;   in Loop: Header=BB15_1281 Depth=4
	s_mov_b64 vcc, -1
	s_or_b64 s[36:37], s[36:37], exec
	s_and_saveexec_b64 s[48:49], s[38:39]
	s_cbranch_execz .LBB15_1280
	s_branch .LBB15_1284
.LBB15_1283:                            ;   in Loop: Header=BB15_1281 Depth=4
	s_trap 2
	ds_read_b64 v[8:9], v0
	s_andn2_b64 s[38:39], s[38:39], exec
	s_mov_b32 s50, 0
	s_waitcnt vmcnt(0) lgkmcnt(0)
	flat_load_dword v2, v[8:9] sc0 sc1
	s_waitcnt vmcnt(0) lgkmcnt(0)
	buffer_inv sc0 sc1
	v_cmp_eq_u32_e32 vcc, 0, v2
	s_and_b64 vcc, vcc, exec
	s_or_b64 s[38:39], s[38:39], vcc
	s_mov_b64 vcc, -1
	s_or_b64 s[36:37], s[36:37], exec
	s_and_saveexec_b64 s[48:49], s[38:39]
	s_cbranch_execz .LBB15_1280
.LBB15_1284:                            ;   in Loop: Header=BB15_1281 Depth=4
	s_sleep 1
	s_trap 2
	ds_read_b64 v[8:9], v0
	s_waitcnt lgkmcnt(0)
	s_andn2_b64 s[36:37], s[36:37], exec
	v_cmp_ge_u64_e32 vcc, v[8:9], v[38:39]
	s_orn2_b64 vcc, vcc, exec
	s_branch .LBB15_1280
.LBB15_1285:                            ;   in Loop: Header=BB15_1142 Depth=3
	s_or_b64 exec, exec, s[30:31]
	s_and_saveexec_b64 vcc, s[34:35]
	s_xor_b64 vcc, exec, vcc
	s_cbranch_execz .LBB15_1287
; %bb.1286:                             ;   in Loop: Header=BB15_1142 Depth=3
	ds_write_b32 v0, v77
	s_trap 2
.LBB15_1287:                            ;   in Loop: Header=BB15_1142 Depth=3
	s_or_b64 exec, exec, s[94:95]
	;;#ASMSTART
	s_wakeup
	;;#ASMEND
.LBB15_1288:                            ;   in Loop: Header=BB15_1142 Depth=3
	s_or_b64 exec, exec, s[92:93]
.LBB15_1289:                            ;   in Loop: Header=BB15_1142 Depth=3
	s_andn2_saveexec_b64 s[26:27], s[26:27]
	s_cbranch_execz .LBB15_1291
; %bb.1290:                             ;   in Loop: Header=BB15_1142 Depth=3
	s_waitcnt lgkmcnt(0)
	s_barrier
.LBB15_1291:                            ;   in Loop: Header=BB15_1142 Depth=3
	s_or_b64 exec, exec, s[26:27]
	s_or_b64 exec, exec, s[24:25]
                                        ; implicit-def: $vgpr2
	s_and_saveexec_b64 s[24:25], s[20:21]
	s_xor_b64 s[24:25], exec, s[24:25]
	s_cbranch_execnz .LBB15_1219
.LBB15_1292:                            ;   in Loop: Header=BB15_1142 Depth=3
	s_andn2_saveexec_b64 s[22:23], s[24:25]
	s_cbranch_execz .LBB15_1311
.LBB15_1293:                            ;   in Loop: Header=BB15_1142 Depth=3
	s_and_saveexec_b64 s[24:25], s[56:57]
	s_xor_b64 s[24:25], exec, s[24:25]
	s_cbranch_execz .LBB15_1308
; %bb.1294:                             ;   in Loop: Header=BB15_1142 Depth=3
	s_and_saveexec_b64 s[26:27], s[12:13]
	s_cbranch_execz .LBB15_1307
; %bb.1295:                             ;   in Loop: Header=BB15_1142 Depth=3
	s_mov_b64 s[94:95], exec
	v_mbcnt_lo_u32_b32 v2, s94, 0
	v_mbcnt_hi_u32_b32 v2, s95, v2
	v_cmp_eq_u32_e32 vcc, 0, v2
	;;#ASMSTART
	s_waitcnt lgkmcnt(0) vmcnt(0)
	;;#ASMEND
	s_and_saveexec_b64 s[92:93], vcc
	s_cbranch_execz .LBB15_1297
; %bb.1296:                             ;   in Loop: Header=BB15_1142 Depth=3
	s_bcnt1_i32_b64 s94, s[94:95]
	v_mov_b32_e32 v2, s94
	s_waitcnt lgkmcnt(0)
	ds_add_u64 v0, v[2:3]
	s_trap 2
.LBB15_1297:                            ;   in Loop: Header=BB15_1142 Depth=3
	s_or_b64 exec, exec, s[92:93]
	s_trap 2
	ds_read_b64 v[8:9], v0
	s_waitcnt lgkmcnt(0)
	v_lshl_add_u64 v[38:39], v[38:39], 0, v[52:53]
	v_cmp_lt_u64_e32 vcc, v[8:9], v[38:39]
	s_and_saveexec_b64 s[92:93], vcc
	s_cbranch_execz .LBB15_1306
; %bb.1298:                             ;   in Loop: Header=BB15_1142 Depth=3
	s_mov_b32 s48, 0
	s_mov_b64 s[94:95], 0
                                        ; implicit-def: $sgpr30_sgpr31
                                        ; implicit-def: $sgpr34_sgpr35
	s_branch .LBB15_1300
.LBB15_1299:                            ;   in Loop: Header=BB15_1300 Depth=4
	s_or_b64 exec, exec, s[38:39]
	s_and_b64 vcc, exec, vcc
	s_or_b64 s[94:95], vcc, s[94:95]
	s_andn2_b64 vcc, s[30:31], exec
	s_and_b64 s[30:31], s[34:35], exec
	s_or_b64 s[30:31], vcc, s[30:31]
	s_andn2_b64 exec, exec, s[94:95]
	s_cbranch_execz .LBB15_1304
.LBB15_1300:                            ;   Parent Loop BB15_47 Depth=1
                                        ;     Parent Loop BB15_1139 Depth=2
                                        ;       Parent Loop BB15_1142 Depth=3
                                        ; =>      This Inner Loop Header: Depth=4
	s_add_i32 s48, s48, 1
	s_cmpk_lg_i32 s48, 0x2710
	s_cselect_b64 s[36:37], -1, 0
	s_and_b64 vcc, exec, s[36:37]
	s_cbranch_vccz .LBB15_1302
; %bb.1301:                             ;   in Loop: Header=BB15_1300 Depth=4
	s_mov_b64 vcc, -1
	s_or_b64 s[34:35], s[34:35], exec
	s_and_saveexec_b64 s[38:39], s[36:37]
	s_cbranch_execz .LBB15_1299
	s_branch .LBB15_1303
.LBB15_1302:                            ;   in Loop: Header=BB15_1300 Depth=4
	s_trap 2
	ds_read_b64 v[8:9], v0
	s_andn2_b64 s[36:37], s[36:37], exec
	s_mov_b32 s48, 0
	s_waitcnt vmcnt(0) lgkmcnt(0)
	flat_load_dword v2, v[8:9] sc0 sc1
	s_waitcnt vmcnt(0) lgkmcnt(0)
	buffer_inv sc0 sc1
	v_cmp_eq_u32_e32 vcc, 0, v2
	s_and_b64 vcc, vcc, exec
	s_or_b64 s[36:37], s[36:37], vcc
	s_mov_b64 vcc, -1
	s_or_b64 s[34:35], s[34:35], exec
	s_and_saveexec_b64 s[38:39], s[36:37]
	s_cbranch_execz .LBB15_1299
.LBB15_1303:                            ;   in Loop: Header=BB15_1300 Depth=4
	s_sleep 1
	s_trap 2
	ds_read_b64 v[8:9], v0
	s_waitcnt lgkmcnt(0)
	s_andn2_b64 s[34:35], s[34:35], exec
	v_cmp_ge_u64_e32 vcc, v[8:9], v[38:39]
	s_orn2_b64 vcc, vcc, exec
	s_branch .LBB15_1299
.LBB15_1304:                            ;   in Loop: Header=BB15_1142 Depth=3
	s_or_b64 exec, exec, s[94:95]
	s_and_saveexec_b64 s[94:95], s[30:31]
	s_xor_b64 s[94:95], exec, s[94:95]
	s_cbranch_execz .LBB15_1306
; %bb.1305:                             ;   in Loop: Header=BB15_1142 Depth=3
	ds_write_b32 v0, v77
	s_trap 2
.LBB15_1306:                            ;   in Loop: Header=BB15_1142 Depth=3
	s_or_b64 exec, exec, s[92:93]
	;;#ASMSTART
	s_wakeup
	;;#ASMEND
.LBB15_1307:                            ;   in Loop: Header=BB15_1142 Depth=3
	s_or_b64 exec, exec, s[26:27]
.LBB15_1308:                            ;   in Loop: Header=BB15_1142 Depth=3
	s_andn2_saveexec_b64 s[24:25], s[24:25]
	s_cbranch_execz .LBB15_1310
; %bb.1309:                             ;   in Loop: Header=BB15_1142 Depth=3
	;;#ASMSTART
	s_waitcnt lgkmcnt(0) vmcnt(0)
	;;#ASMEND
	s_barrier
.LBB15_1310:                            ;   in Loop: Header=BB15_1142 Depth=3
	s_or_b64 exec, exec, s[24:25]
	v_and_b32_e32 v2, 16, v74
.LBB15_1311:                            ;   in Loop: Header=BB15_1142 Depth=3
	s_or_b64 exec, exec, s[22:23]
	v_cmp_ne_u32_e32 vcc, 0, v2
	s_xor_b64 s[22:23], s[6:7], -1
	s_and_b64 s[24:25], vcc, s[22:23]
	s_and_saveexec_b64 s[22:23], s[24:25]
	s_cbranch_execz .LBB15_1313
; %bb.1312:                             ;   in Loop: Header=BB15_1142 Depth=3
	flat_store_dword v[36:37], v77 sc0 sc1
.LBB15_1313:                            ;   in Loop: Header=BB15_1142 Depth=3
	s_or_b64 exec, exec, s[22:23]
	v_and_b32_e32 v2, 48, v74
	v_cmp_ne_u32_e32 vcc, 0, v2
	s_and_saveexec_b64 s[22:23], vcc
	s_cbranch_execz .LBB15_1141
; %bb.1314:                             ;   in Loop: Header=BB15_1142 Depth=3
	v_lshl_add_u64 v[112:113], v[112:113], 0, 2
	flat_store_dwordx2 v[32:33], v[112:113] sc0 sc1
	s_branch .LBB15_1141
.LBB15_1315:                            ;   in Loop: Header=BB15_1139 Depth=2
	s_or_b64 exec, exec, s[28:29]
	v_cmp_gt_i32_e32 vcc, 2, v2
	s_and_saveexec_b64 s[24:25], vcc
	s_cbranch_execz .LBB15_1391
.LBB15_1316:                            ;   in Loop: Header=BB15_1139 Depth=2
	v_cmp_eq_u32_e64 s[28:29], 0, v2
	s_mov_b64 s[26:27], 0
	s_branch .LBB15_1318
.LBB15_1317:                            ;   in Loop: Header=BB15_1318 Depth=3
	s_or_b64 exec, exec, s[22:23]
	v_add_u32_e32 v14, v12, v14
	s_mov_b64 s[28:29], 0
	s_andn2_b64 exec, exec, s[26:27]
	s_cbranch_execz .LBB15_1392
.LBB15_1318:                            ;   Parent Loop BB15_47 Depth=1
                                        ;     Parent Loop BB15_1139 Depth=2
                                        ; =>    This Loop Header: Depth=3
                                        ;         Child Loop BB15_1324 Depth 4
                                        ;         Child Loop BB15_1352 Depth 4
	;; [unrolled: 1-line block ×3, first 2 shown]
	v_sub_u32_e32 v2, v44, v14
	v_min_i32_e32 v12, v12, v2
	v_and_b32_e32 v2, 12, v74
	v_cmp_ne_u32_e32 vcc, 0, v2
	s_and_saveexec_b64 s[40:41], vcc
	s_cbranch_execz .LBB15_1344
; %bb.1319:                             ;   in Loop: Header=BB15_1318 Depth=3
	v_and_b32_e32 v2, 8, v74
	s_waitcnt vmcnt(0) lgkmcnt(0)
	v_lshl_add_u64 v[10:11], v[48:49], 0, v[2:3]
	v_lshl_add_u64 v[8:9], v[112:113], 0, 2
	v_cmp_lt_u64_e32 vcc, v[10:11], v[8:9]
	s_and_saveexec_b64 s[90:91], vcc
	s_cbranch_execz .LBB15_1331
; %bb.1320:                             ;   in Loop: Header=BB15_1318 Depth=3
	v_and_b32_e32 v10, 64, v74
	s_mov_b32 s54, 0
	v_cmp_eq_u32_e32 vcc, 0, v10
	s_mov_b64 s[92:93], 0
                                        ; implicit-def: $sgpr94_sgpr95
                                        ; implicit-def: $sgpr30_sgpr31
                                        ; implicit-def: $sgpr34_sgpr35
	s_branch .LBB15_1324
.LBB15_1321:                            ;   in Loop: Header=BB15_1324 Depth=4
	s_waitcnt vmcnt(0) lgkmcnt(0)
	v_lshl_add_u64 v[16:17], v[48:49], 0, v[2:3]
	v_cmp_ge_u64_e64 s[22:23], v[16:17], v[8:9]
	s_or_b64 s[48:49], s[48:49], exec
	s_orn2_b64 s[38:39], s[22:23], exec
.LBB15_1322:                            ;   in Loop: Header=BB15_1324 Depth=4
	s_or_b64 exec, exec, s[52:53]
	s_andn2_b64 s[22:23], s[34:35], exec
	s_and_b64 s[34:35], s[48:49], exec
	s_or_b64 s[34:35], s[22:23], s[34:35]
	s_andn2_b64 s[22:23], s[30:31], exec
	s_and_b64 s[30:31], s[38:39], exec
	s_or_b64 s[30:31], s[22:23], s[30:31]
.LBB15_1323:                            ;   in Loop: Header=BB15_1324 Depth=4
	s_or_b64 exec, exec, s[36:37]
	s_and_b64 s[22:23], exec, s[30:31]
	s_or_b64 s[92:93], s[22:23], s[92:93]
	s_andn2_b64 s[22:23], s[94:95], exec
	s_and_b64 s[94:95], s[34:35], exec
	s_or_b64 s[94:95], s[22:23], s[94:95]
	s_andn2_b64 exec, exec, s[92:93]
	s_cbranch_execz .LBB15_1328
.LBB15_1324:                            ;   Parent Loop BB15_47 Depth=1
                                        ;     Parent Loop BB15_1139 Depth=2
                                        ;       Parent Loop BB15_1318 Depth=3
                                        ; =>      This Inner Loop Header: Depth=4
	s_sleep 1
	s_waitcnt vmcnt(0) lgkmcnt(0)
	flat_load_dwordx2 v[48:49], v[32:33] sc0 sc1
	s_or_b64 s[34:35], s[34:35], exec
	s_or_b64 s[30:31], s[30:31], exec
                                        ; implicit-def: $vgpr10
	s_and_saveexec_b64 s[36:37], vcc
	s_cbranch_execz .LBB15_1323
; %bb.1325:                             ;   in Loop: Header=BB15_1324 Depth=4
	s_cmpk_lt_i32 s54, 0x270f
	s_cselect_b64 s[50:51], -1, 0
	s_cmpk_gt_i32 s54, 0x270e
	s_mov_b64 s[38:39], -1
	s_cbranch_scc0 .LBB15_1327
; %bb.1326:                             ;   in Loop: Header=BB15_1324 Depth=4
	s_trap 2
	ds_read_b64 v[10:11], v0
	s_andn2_b64 s[50:51], s[50:51], exec
	s_mov_b32 s54, 0
	s_mov_b64 s[48:49], 0
	s_waitcnt vmcnt(0) lgkmcnt(0)
	flat_load_dword v10, v[10:11] sc0 sc1
	s_waitcnt vmcnt(0) lgkmcnt(0)
	buffer_inv sc0 sc1
	v_cmp_eq_u32_e64 s[22:23], 0, v10
	s_and_b64 s[22:23], s[22:23], exec
	s_or_b64 s[50:51], s[50:51], s[22:23]
	s_and_saveexec_b64 s[52:53], s[50:51]
	s_cbranch_execz .LBB15_1322
	s_branch .LBB15_1321
.LBB15_1327:                            ;   in Loop: Header=BB15_1324 Depth=4
	s_add_i32 s54, s54, 1
	s_mov_b64 s[48:49], -1
                                        ; implicit-def: $vgpr10
	s_and_saveexec_b64 s[52:53], s[50:51]
	s_cbranch_execz .LBB15_1322
	s_branch .LBB15_1321
.LBB15_1328:                            ;   in Loop: Header=BB15_1318 Depth=3
	s_or_b64 exec, exec, s[92:93]
	s_xor_b64 s[22:23], s[94:95], -1
	s_and_saveexec_b64 s[92:93], s[22:23]
	s_xor_b64 s[22:23], exec, s[92:93]
	s_cbranch_execz .LBB15_1330
; %bb.1329:                             ;   in Loop: Header=BB15_1318 Depth=3
	v_or_b32_e32 v74, 64, v74
	s_waitcnt lgkmcnt(0)
	ds_write_b32 v0, v10
	s_trap 2
.LBB15_1330:                            ;   in Loop: Header=BB15_1318 Depth=3
	s_or_b64 exec, exec, s[22:23]
.LBB15_1331:                            ;   in Loop: Header=BB15_1318 Depth=3
	s_or_b64 exec, exec, s[90:91]
	v_and_b32_e32 v10, 0x108, v74
	v_cmp_ne_u32_e32 vcc, s67, v10
	;;#ASMSTART
	s_wakeup
	;;#ASMEND
                                        ; implicit-def: $vgpr10_vgpr11
	s_and_saveexec_b64 s[22:23], vcc
	s_xor_b64 s[22:23], exec, s[22:23]
; %bb.1332:                             ;   in Loop: Header=BB15_1318 Depth=3
	v_and_b32_e32 v10, 7, v112
	v_mov_b32_e32 v11, v3
                                        ; implicit-def: $vgpr112_vgpr113
; %bb.1333:                             ;   in Loop: Header=BB15_1318 Depth=3
	s_andn2_saveexec_b64 s[22:23], s[22:23]
	s_cbranch_execz .LBB15_1335
; %bb.1334:                             ;   in Loop: Header=BB15_1318 Depth=3
	v_and_b32_e32 v10, 7, v112
	v_ashrrev_i32_e32 v13, 31, v12
	v_mov_b32_e32 v11, v3
	v_mad_u64_u32 v[16:17], s[90:91], v10, 24, v[6:7]
	v_lshlrev_b64 v[18:19], 1, v[12:13]
	flat_store_dwordx2 v[16:17], v[18:19] offset:8
.LBB15_1335:                            ;   in Loop: Header=BB15_1318 Depth=3
	s_or_b64 exec, exec, s[22:23]
	v_and_b32_e32 v13, 0x100, v74
	v_cmp_ne_u32_e32 vcc, 0, v13
	s_mov_b64 s[22:23], -1
                                        ; implicit-def: $vgpr16_vgpr17
	s_and_saveexec_b64 s[90:91], vcc
	s_cbranch_execz .LBB15_1339
; %bb.1336:                             ;   in Loop: Header=BB15_1318 Depth=3
	v_mad_u64_u32 v[18:19], s[22:23], v10, 24, v[6:7]
	v_mov_b32_e32 v16, v19
	v_mad_u64_u32 v[16:17], s[22:23], v11, 24, v[16:17]
	v_mov_b32_e32 v19, v16
	flat_load_dword v13, v[18:19]
                                        ; implicit-def: $vgpr16_vgpr17
	s_waitcnt vmcnt(0) lgkmcnt(0)
	v_cmp_ne_u32_e32 vcc, 1, v13
	v_cmp_eq_u32_e64 s[22:23], 1, v13
	s_and_saveexec_b64 s[92:93], s[22:23]
	s_cbranch_execz .LBB15_1338
; %bb.1337:                             ;   in Loop: Header=BB15_1318 Depth=3
	flat_load_dword v16, v[18:19] offset:4 sc0 sc1
	s_waitcnt vmcnt(0) lgkmcnt(0)
	v_ashrrev_i32_e32 v17, 31, v16
	v_lshrrev_b64 v[16:17], 1, v[16:17]
.LBB15_1338:                            ;   in Loop: Header=BB15_1318 Depth=3
	s_or_b64 exec, exec, s[92:93]
	s_orn2_b64 s[22:23], vcc, exec
.LBB15_1339:                            ;   in Loop: Header=BB15_1318 Depth=3
	s_or_b64 exec, exec, s[90:91]
	s_and_saveexec_b64 s[90:91], s[22:23]
; %bb.1340:                             ;   in Loop: Header=BB15_1318 Depth=3
	v_mul_lo_u32 v11, v11, v30
	v_mul_lo_u32 v13, v10, v51
	v_mad_u64_u32 v[16:17], s[22:23], v10, v30, 0
	v_add3_u32 v17, v17, v13, v11
; %bb.1341:                             ;   in Loop: Header=BB15_1318 Depth=3
	s_or_b64 exec, exec, s[90:91]
	v_cmp_eq_u32_e32 vcc, 0, v2
	v_lshl_add_u64 v[10:11], v[16:17], 1, v[34:35]
	s_nop 0
	v_cndmask_b32_e32 v2, v88, v89, vcc
	v_add_u32_e32 v2, v0, v2
	ds_write_b64 v2, v[10:11] offset:584
	v_and_b32_e32 v2, 0x2000, v74
	v_cmp_ne_u32_e32 vcc, 0, v2
	s_and_saveexec_b64 s[22:23], vcc
	s_cbranch_execz .LBB15_1343
; %bb.1342:                             ;   in Loop: Header=BB15_1318 Depth=3
	ds_read_b64 v[10:11], v0 offset:872
	s_waitcnt lgkmcnt(0)
	v_lshl_add_u64 v[10:11], v[10:11], 0, 1
	ds_write_b64 v0, v[10:11] offset:872
.LBB15_1343:                            ;   in Loop: Header=BB15_1318 Depth=3
	s_or_b64 exec, exec, s[22:23]
	v_mov_b64_e32 v[112:113], v[8:9]
.LBB15_1344:                            ;   in Loop: Header=BB15_1318 Depth=3
	s_or_b64 exec, exec, s[40:41]
	s_xor_b64 s[22:23], s[28:29], -1
	s_and_b64 s[22:23], exec, s[22:23]
	s_or_b64 s[26:27], s[22:23], s[26:27]
	s_and_saveexec_b64 s[22:23], s[4:5]
	s_cbranch_execz .LBB15_1363
; %bb.1345:                             ;   in Loop: Header=BB15_1318 Depth=3
	s_and_saveexec_b64 s[28:29], s[56:57]
	s_xor_b64 s[28:29], exec, s[28:29]
	s_cbranch_execz .LBB15_1360
; %bb.1346:                             ;   in Loop: Header=BB15_1318 Depth=3
	s_and_saveexec_b64 s[40:41], s[12:13]
	s_cbranch_execz .LBB15_1359
; %bb.1347:                             ;   in Loop: Header=BB15_1318 Depth=3
	s_mov_b64 s[92:93], exec
	v_mbcnt_lo_u32_b32 v2, s92, 0
	v_mbcnt_hi_u32_b32 v2, s93, v2
	v_cmp_eq_u32_e32 vcc, 0, v2
	s_waitcnt lgkmcnt(0)
	s_and_saveexec_b64 s[90:91], vcc
	s_cbranch_execz .LBB15_1349
; %bb.1348:                             ;   in Loop: Header=BB15_1318 Depth=3
	s_bcnt1_i32_b64 s92, s[92:93]
	v_mov_b32_e32 v2, s92
	ds_add_u64 v0, v[2:3]
	s_trap 2
.LBB15_1349:                            ;   in Loop: Header=BB15_1318 Depth=3
	s_or_b64 exec, exec, s[90:91]
	s_trap 2
	ds_read_b64 v[8:9], v0
	s_waitcnt lgkmcnt(0)
	v_lshl_add_u64 v[38:39], v[38:39], 0, v[52:53]
	v_cmp_lt_u64_e32 vcc, v[8:9], v[38:39]
	s_and_saveexec_b64 s[90:91], vcc
	s_cbranch_execz .LBB15_1358
; %bb.1350:                             ;   in Loop: Header=BB15_1318 Depth=3
	s_mov_b32 s38, 0
	s_mov_b64 s[92:93], 0
                                        ; implicit-def: $sgpr94_sgpr95
                                        ; implicit-def: $sgpr30_sgpr31
	s_branch .LBB15_1352
.LBB15_1351:                            ;   in Loop: Header=BB15_1352 Depth=4
	s_or_b64 exec, exec, s[36:37]
	s_and_b64 vcc, exec, vcc
	s_or_b64 s[92:93], vcc, s[92:93]
	s_andn2_b64 s[94:95], s[94:95], exec
	s_and_b64 vcc, s[30:31], exec
	s_or_b64 s[94:95], s[94:95], vcc
	s_andn2_b64 exec, exec, s[92:93]
	s_cbranch_execz .LBB15_1356
.LBB15_1352:                            ;   Parent Loop BB15_47 Depth=1
                                        ;     Parent Loop BB15_1139 Depth=2
                                        ;       Parent Loop BB15_1318 Depth=3
                                        ; =>      This Inner Loop Header: Depth=4
	s_add_i32 s38, s38, 1
	s_cmpk_lg_i32 s38, 0x2710
	s_cselect_b64 s[34:35], -1, 0
	s_and_b64 vcc, exec, s[34:35]
	s_cbranch_vccz .LBB15_1354
; %bb.1353:                             ;   in Loop: Header=BB15_1352 Depth=4
	s_mov_b64 vcc, -1
	s_or_b64 s[30:31], s[30:31], exec
	s_and_saveexec_b64 s[36:37], s[34:35]
	s_cbranch_execz .LBB15_1351
	s_branch .LBB15_1355
.LBB15_1354:                            ;   in Loop: Header=BB15_1352 Depth=4
	s_trap 2
	ds_read_b64 v[8:9], v0
	s_andn2_b64 s[34:35], s[34:35], exec
	s_mov_b32 s38, 0
	s_waitcnt vmcnt(0) lgkmcnt(0)
	flat_load_dword v2, v[8:9] sc0 sc1
	s_waitcnt vmcnt(0) lgkmcnt(0)
	buffer_inv sc0 sc1
	v_cmp_eq_u32_e32 vcc, 0, v2
	s_and_b64 vcc, vcc, exec
	s_or_b64 s[34:35], s[34:35], vcc
	s_mov_b64 vcc, -1
	s_or_b64 s[30:31], s[30:31], exec
	s_and_saveexec_b64 s[36:37], s[34:35]
	s_cbranch_execz .LBB15_1351
.LBB15_1355:                            ;   in Loop: Header=BB15_1352 Depth=4
	s_sleep 1
	s_trap 2
	ds_read_b64 v[8:9], v0
	s_waitcnt lgkmcnt(0)
	s_andn2_b64 s[30:31], s[30:31], exec
	v_cmp_ge_u64_e32 vcc, v[8:9], v[38:39]
	s_orn2_b64 vcc, vcc, exec
	s_branch .LBB15_1351
.LBB15_1356:                            ;   in Loop: Header=BB15_1318 Depth=3
	s_or_b64 exec, exec, s[92:93]
	s_and_saveexec_b64 s[92:93], s[94:95]
	s_xor_b64 s[92:93], exec, s[92:93]
	s_cbranch_execz .LBB15_1358
; %bb.1357:                             ;   in Loop: Header=BB15_1318 Depth=3
	ds_write_b32 v0, v77
	s_trap 2
.LBB15_1358:                            ;   in Loop: Header=BB15_1318 Depth=3
	s_or_b64 exec, exec, s[90:91]
	;;#ASMSTART
	s_wakeup
	;;#ASMEND
.LBB15_1359:                            ;   in Loop: Header=BB15_1318 Depth=3
	s_or_b64 exec, exec, s[40:41]
.LBB15_1360:                            ;   in Loop: Header=BB15_1318 Depth=3
	s_andn2_saveexec_b64 s[28:29], s[28:29]
	s_cbranch_execz .LBB15_1362
; %bb.1361:                             ;   in Loop: Header=BB15_1318 Depth=3
	s_waitcnt lgkmcnt(0)
	s_barrier
.LBB15_1362:                            ;   in Loop: Header=BB15_1318 Depth=3
	s_or_b64 exec, exec, s[28:29]
.LBB15_1363:                            ;   in Loop: Header=BB15_1318 Depth=3
	s_or_b64 exec, exec, s[22:23]
                                        ; implicit-def: $vgpr2
	s_and_saveexec_b64 s[22:23], s[20:21]
	s_xor_b64 s[22:23], exec, s[22:23]
	s_cbranch_execz .LBB15_1367
; %bb.1364:                             ;   in Loop: Header=BB15_1318 Depth=3
	s_trap 2
	ds_read_b32 v8, v0
	v_cmp_lt_i32_e32 vcc, 0, v12
	v_and_b32_e32 v9, 16, v74
	v_and_b32_e32 v2, 16, v74
	s_waitcnt lgkmcnt(0)
	v_readfirstlane_b32 s28, v8
	s_cmp_eq_u32 s28, 0
	s_cselect_b64 s[28:29], -1, 0
	s_and_b64 s[28:29], vcc, s[28:29]
	v_cmp_ne_u32_e32 vcc, 0, v9
	s_and_b64 s[40:41], vcc, s[28:29]
	s_and_saveexec_b64 s[28:29], s[40:41]
	s_cbranch_execz .LBB15_1366
; %bb.1365:                             ;   in Loop: Header=BB15_1318 Depth=3
	v_mov_b32_e32 v2, 1
	buffer_wbl2 sc1
	s_waitcnt vmcnt(0)
	buffer_inv sc1
.LBB15_1366:                            ;   in Loop: Header=BB15_1318 Depth=3
	s_or_b64 exec, exec, s[28:29]
	s_andn2_saveexec_b64 s[22:23], s[22:23]
	s_cbranch_execz .LBB15_1386
	s_branch .LBB15_1368
.LBB15_1367:                            ;   in Loop: Header=BB15_1318 Depth=3
	s_andn2_saveexec_b64 s[22:23], s[22:23]
	s_cbranch_execz .LBB15_1386
.LBB15_1368:                            ;   in Loop: Header=BB15_1318 Depth=3
	s_and_saveexec_b64 s[28:29], s[56:57]
	s_xor_b64 s[28:29], exec, s[28:29]
	s_cbranch_execz .LBB15_1383
; %bb.1369:                             ;   in Loop: Header=BB15_1318 Depth=3
	s_and_saveexec_b64 s[40:41], s[12:13]
	s_cbranch_execz .LBB15_1382
; %bb.1370:                             ;   in Loop: Header=BB15_1318 Depth=3
	s_mov_b64 s[92:93], exec
	v_mbcnt_lo_u32_b32 v2, s92, 0
	v_mbcnt_hi_u32_b32 v2, s93, v2
	v_cmp_eq_u32_e32 vcc, 0, v2
	;;#ASMSTART
	s_waitcnt lgkmcnt(0) vmcnt(0)
	;;#ASMEND
	s_and_saveexec_b64 s[90:91], vcc
	s_cbranch_execz .LBB15_1372
; %bb.1371:                             ;   in Loop: Header=BB15_1318 Depth=3
	s_bcnt1_i32_b64 s92, s[92:93]
	v_mov_b32_e32 v2, s92
	s_waitcnt lgkmcnt(0)
	ds_add_u64 v0, v[2:3]
	s_trap 2
.LBB15_1372:                            ;   in Loop: Header=BB15_1318 Depth=3
	s_or_b64 exec, exec, s[90:91]
	s_trap 2
	ds_read_b64 v[8:9], v0
	s_waitcnt lgkmcnt(0)
	v_lshl_add_u64 v[38:39], v[38:39], 0, v[52:53]
	v_cmp_lt_u64_e32 vcc, v[8:9], v[38:39]
	s_and_saveexec_b64 s[90:91], vcc
	s_cbranch_execz .LBB15_1381
; %bb.1373:                             ;   in Loop: Header=BB15_1318 Depth=3
	s_mov_b32 s38, 0
	s_mov_b64 s[92:93], 0
                                        ; implicit-def: $sgpr94_sgpr95
                                        ; implicit-def: $sgpr30_sgpr31
	s_branch .LBB15_1375
.LBB15_1374:                            ;   in Loop: Header=BB15_1375 Depth=4
	s_or_b64 exec, exec, s[36:37]
	s_and_b64 vcc, exec, vcc
	s_or_b64 s[92:93], vcc, s[92:93]
	s_andn2_b64 s[94:95], s[94:95], exec
	s_and_b64 vcc, s[30:31], exec
	s_or_b64 s[94:95], s[94:95], vcc
	s_andn2_b64 exec, exec, s[92:93]
	s_cbranch_execz .LBB15_1379
.LBB15_1375:                            ;   Parent Loop BB15_47 Depth=1
                                        ;     Parent Loop BB15_1139 Depth=2
                                        ;       Parent Loop BB15_1318 Depth=3
                                        ; =>      This Inner Loop Header: Depth=4
	s_add_i32 s38, s38, 1
	s_cmpk_lg_i32 s38, 0x2710
	s_cselect_b64 s[34:35], -1, 0
	s_and_b64 vcc, exec, s[34:35]
	s_cbranch_vccz .LBB15_1377
; %bb.1376:                             ;   in Loop: Header=BB15_1375 Depth=4
	s_mov_b64 vcc, -1
	s_or_b64 s[30:31], s[30:31], exec
	s_and_saveexec_b64 s[36:37], s[34:35]
	s_cbranch_execz .LBB15_1374
	s_branch .LBB15_1378
.LBB15_1377:                            ;   in Loop: Header=BB15_1375 Depth=4
	s_trap 2
	ds_read_b64 v[8:9], v0
	s_andn2_b64 s[34:35], s[34:35], exec
	s_mov_b32 s38, 0
	s_waitcnt vmcnt(0) lgkmcnt(0)
	flat_load_dword v2, v[8:9] sc0 sc1
	s_waitcnt vmcnt(0) lgkmcnt(0)
	buffer_inv sc0 sc1
	v_cmp_eq_u32_e32 vcc, 0, v2
	s_and_b64 vcc, vcc, exec
	s_or_b64 s[34:35], s[34:35], vcc
	s_mov_b64 vcc, -1
	s_or_b64 s[30:31], s[30:31], exec
	s_and_saveexec_b64 s[36:37], s[34:35]
	s_cbranch_execz .LBB15_1374
.LBB15_1378:                            ;   in Loop: Header=BB15_1375 Depth=4
	s_sleep 1
	s_trap 2
	ds_read_b64 v[8:9], v0
	s_waitcnt lgkmcnt(0)
	s_andn2_b64 s[30:31], s[30:31], exec
	v_cmp_ge_u64_e32 vcc, v[8:9], v[38:39]
	s_orn2_b64 vcc, vcc, exec
	s_branch .LBB15_1374
.LBB15_1379:                            ;   in Loop: Header=BB15_1318 Depth=3
	s_or_b64 exec, exec, s[92:93]
	s_and_saveexec_b64 s[92:93], s[94:95]
	s_xor_b64 s[92:93], exec, s[92:93]
	s_cbranch_execz .LBB15_1381
; %bb.1380:                             ;   in Loop: Header=BB15_1318 Depth=3
	ds_write_b32 v0, v77
	s_trap 2
.LBB15_1381:                            ;   in Loop: Header=BB15_1318 Depth=3
	s_or_b64 exec, exec, s[90:91]
	;;#ASMSTART
	s_wakeup
	;;#ASMEND
.LBB15_1382:                            ;   in Loop: Header=BB15_1318 Depth=3
	s_or_b64 exec, exec, s[40:41]
.LBB15_1383:                            ;   in Loop: Header=BB15_1318 Depth=3
	s_andn2_saveexec_b64 s[28:29], s[28:29]
	s_cbranch_execz .LBB15_1385
; %bb.1384:                             ;   in Loop: Header=BB15_1318 Depth=3
	;;#ASMSTART
	s_waitcnt lgkmcnt(0) vmcnt(0)
	;;#ASMEND
	s_barrier
.LBB15_1385:                            ;   in Loop: Header=BB15_1318 Depth=3
	s_or_b64 exec, exec, s[28:29]
	v_and_b32_e32 v2, 16, v74
.LBB15_1386:                            ;   in Loop: Header=BB15_1318 Depth=3
	s_or_b64 exec, exec, s[22:23]
	v_cmp_ne_u32_e32 vcc, 0, v2
	s_xor_b64 s[22:23], s[6:7], -1
	s_and_b64 s[28:29], vcc, s[22:23]
	s_and_saveexec_b64 s[22:23], s[28:29]
	s_cbranch_execz .LBB15_1388
; %bb.1387:                             ;   in Loop: Header=BB15_1318 Depth=3
	flat_store_dword v[36:37], v77 sc0 sc1
.LBB15_1388:                            ;   in Loop: Header=BB15_1318 Depth=3
	s_or_b64 exec, exec, s[22:23]
	v_and_b32_e32 v2, 48, v74
	v_cmp_ne_u32_e32 vcc, 0, v2
	s_and_saveexec_b64 s[22:23], vcc
	s_cbranch_execz .LBB15_1317
; %bb.1389:                             ;   in Loop: Header=BB15_1318 Depth=3
	v_lshl_add_u64 v[112:113], v[112:113], 0, 2
	flat_store_dwordx2 v[32:33], v[112:113] sc0 sc1
	s_branch .LBB15_1317
.LBB15_1390:                            ;   in Loop: Header=BB15_1139 Depth=2
	s_or_b64 exec, exec, s[40:41]
	s_or_b64 exec, exec, s[28:29]
	v_cmp_gt_i32_e32 vcc, 2, v2
	s_and_saveexec_b64 s[24:25], vcc
	s_cbranch_execnz .LBB15_1316
.LBB15_1391:                            ;   in Loop: Header=BB15_1139 Depth=2
	s_or_b64 exec, exec, s[24:25]
	s_add_i32 s22, s46, 1
	s_cmp_eq_u32 s46, s83
	s_cbranch_scc0 .LBB15_1393
	s_branch .LBB15_1394
.LBB15_1392:                            ;   in Loop: Header=BB15_1139 Depth=2
	s_or_b64 exec, exec, s[26:27]
	s_or_b64 exec, exec, s[24:25]
	s_add_i32 s22, s46, 1
	s_cmp_eq_u32 s46, s83
	s_cbranch_scc1 .LBB15_1394
.LBB15_1393:                            ;   in Loop: Header=BB15_1139 Depth=2
	s_mov_b32 s46, s22
	s_branch .LBB15_1139
.LBB15_1394:                            ;   in Loop: Header=BB15_47 Depth=1
	v_mul_lo_u32 v2, v103, s84
	v_mul_lo_u32 v8, v102, s85
	v_mad_u64_u32 v[10:11], s[22:23], v102, s84, 0
	v_add3_u32 v11, v11, v8, v2
	v_sub_co_u32_e32 v8, vcc, v114, v10
	v_mov_b32_e32 v2, 0
	s_nop 0
	v_subb_co_u32_e32 v9, vcc, v115, v11, vcc
	v_cmp_lt_i64_e32 vcc, v[102:103], v[8:9]
	s_nop 1
	v_cndmask_b32_e32 v8, v8, v102, vcc
	v_max_i32_e32 v22, 0, v8
	v_add_u32_e32 v9, 31, v22
	v_ashrrev_i32_e32 v12, 31, v9
	v_lshrrev_b32_e32 v12, 27, v12
	v_add_u32_e32 v9, v9, v12
	v_ashrrev_i32_e32 v9, 5, v9
	v_lshlrev_b32_e32 v9, 4, v9
	v_cmp_lt_i32_e32 vcc, 0, v8
	v_max_i32_e32 v23, s82, v9
	s_and_b64 s[22:23], s[88:89], vcc
	v_mov_b32_e32 v8, 0
	s_and_saveexec_b64 s[24:25], s[22:23]
	s_cbranch_execz .LBB15_1532
; %bb.1395:                             ;   in Loop: Header=BB15_47 Depth=1
	v_lshl_add_u64 v[10:11], v[10:11], 0, v[116:117]
	s_mov_b32 s46, 1
	s_mov_b64 s[28:29], -1
	v_mov_b32_e32 v8, 0
	s_mov_b64 s[26:27], 0
	v_lshlrev_b64 v[10:11], 1, v[10:11]
	s_branch .LBB15_1397
.LBB15_1396:                            ;   in Loop: Header=BB15_1397 Depth=2
	s_or_b64 exec, exec, s[22:23]
	v_add_u32_e32 v8, v23, v8
	v_cmp_ge_i32_e32 vcc, v8, v22
	s_xor_b64 s[22:23], s[28:29], -1
	s_or_b64 s[22:23], s[22:23], vcc
	s_and_b64 s[22:23], exec, s[22:23]
	s_or_b64 s[26:27], s[22:23], s[26:27]
	s_mov_b64 s[28:29], 0
	v_mov_b32_e32 v2, s46
	s_mov_b32 s46, 2
	s_andn2_b64 exec, exec, s[26:27]
	s_cbranch_execz .LBB15_1531
.LBB15_1397:                            ;   Parent Loop BB15_47 Depth=1
                                        ; =>  This Loop Header: Depth=2
                                        ;       Child Loop BB15_1405 Depth 3
                                        ;       Child Loop BB15_1429 Depth 3
	;; [unrolled: 1-line block ×9, first 2 shown]
	s_and_saveexec_b64 s[22:23], s[0:1]
	s_cbranch_execz .LBB15_1399
; %bb.1398:                             ;   in Loop: Header=BB15_1397 Depth=2
	s_trap 2
	ds_read_b128 v[12:15], v0
	v_ashrrev_i32_e32 v9, 31, v8
	v_lshlrev_b64 v[16:17], 1, v[8:9]
	s_waitcnt lgkmcnt(0)
	v_lshl_add_u64 v[12:13], v[12:13], 0, v[10:11]
	v_lshl_add_u64 v[18:19], v[14:15], 0, v[10:11]
	;; [unrolled: 1-line block ×3, first 2 shown]
	ds_write_b64 v0, v[12:13]
	v_lshl_add_u64 v[12:13], v[18:19], 0, v[16:17]
	v_cmp_ne_u64_e32 vcc, 0, v[14:15]
	s_nop 1
	v_cndmask_b32_e32 v13, 0, v13, vcc
	v_cndmask_b32_e32 v12, 0, v12, vcc
	ds_write_b64 v0, v[12:13]
.LBB15_1399:                            ;   in Loop: Header=BB15_1397 Depth=2
	s_or_b64 exec, exec, s[22:23]
	v_and_b32_e32 v2, 4, v74
	v_cmp_ne_u32_e32 vcc, 0, v2
	s_and_saveexec_b64 s[40:41], vcc
	s_cbranch_execz .LBB15_1421
; %bb.1400:                             ;   in Loop: Header=BB15_1397 Depth=2
	v_lshl_add_u64 v[12:13], v[112:113], 0, 2
	s_waitcnt vmcnt(0) lgkmcnt(0)
	v_cmp_lt_u64_e32 vcc, v[48:49], v[12:13]
	s_and_saveexec_b64 s[90:91], vcc
	s_cbranch_execz .LBB15_1412
; %bb.1401:                             ;   in Loop: Header=BB15_1397 Depth=2
	v_and_b32_e32 v2, 64, v74
	s_mov_b32 s54, 0
	v_cmp_eq_u32_e32 vcc, 0, v2
	s_mov_b64 s[92:93], 0
                                        ; implicit-def: $sgpr94_sgpr95
                                        ; implicit-def: $sgpr30_sgpr31
                                        ; implicit-def: $sgpr34_sgpr35
	s_branch .LBB15_1405
.LBB15_1402:                            ;   in Loop: Header=BB15_1405 Depth=3
	s_waitcnt vmcnt(0) lgkmcnt(0)
	v_cmp_ge_u64_e64 s[22:23], v[48:49], v[12:13]
	s_or_b64 s[48:49], s[48:49], exec
	s_orn2_b64 s[38:39], s[22:23], exec
.LBB15_1403:                            ;   in Loop: Header=BB15_1405 Depth=3
	s_or_b64 exec, exec, s[52:53]
	s_andn2_b64 s[22:23], s[34:35], exec
	s_and_b64 s[34:35], s[48:49], exec
	s_or_b64 s[34:35], s[22:23], s[34:35]
	s_andn2_b64 s[22:23], s[30:31], exec
	s_and_b64 s[30:31], s[38:39], exec
	s_or_b64 s[30:31], s[22:23], s[30:31]
.LBB15_1404:                            ;   in Loop: Header=BB15_1405 Depth=3
	s_or_b64 exec, exec, s[36:37]
	s_and_b64 s[22:23], exec, s[30:31]
	s_or_b64 s[92:93], s[22:23], s[92:93]
	s_andn2_b64 s[22:23], s[94:95], exec
	s_and_b64 s[94:95], s[34:35], exec
	s_or_b64 s[94:95], s[22:23], s[94:95]
	s_andn2_b64 exec, exec, s[92:93]
	s_cbranch_execz .LBB15_1409
.LBB15_1405:                            ;   Parent Loop BB15_47 Depth=1
                                        ;     Parent Loop BB15_1397 Depth=2
                                        ; =>    This Inner Loop Header: Depth=3
	s_sleep 1
	s_waitcnt vmcnt(0) lgkmcnt(0)
	flat_load_dwordx2 v[48:49], v[32:33] sc0 sc1
	s_or_b64 s[34:35], s[34:35], exec
	s_or_b64 s[30:31], s[30:31], exec
                                        ; implicit-def: $vgpr2
	s_and_saveexec_b64 s[36:37], vcc
	s_cbranch_execz .LBB15_1404
; %bb.1406:                             ;   in Loop: Header=BB15_1405 Depth=3
	s_cmpk_lt_i32 s54, 0x270f
	s_cselect_b64 s[50:51], -1, 0
	s_cmpk_gt_i32 s54, 0x270e
	s_mov_b64 s[38:39], -1
	s_cbranch_scc0 .LBB15_1408
; %bb.1407:                             ;   in Loop: Header=BB15_1405 Depth=3
	s_trap 2
	ds_read_b64 v[14:15], v0
	s_andn2_b64 s[50:51], s[50:51], exec
	s_mov_b32 s54, 0
	s_mov_b64 s[48:49], 0
	s_waitcnt vmcnt(0) lgkmcnt(0)
	flat_load_dword v2, v[14:15] sc0 sc1
	s_waitcnt vmcnt(0) lgkmcnt(0)
	buffer_inv sc0 sc1
	v_cmp_eq_u32_e64 s[22:23], 0, v2
	s_and_b64 s[22:23], s[22:23], exec
	s_or_b64 s[50:51], s[50:51], s[22:23]
	s_and_saveexec_b64 s[52:53], s[50:51]
	s_cbranch_execz .LBB15_1403
	s_branch .LBB15_1402
.LBB15_1408:                            ;   in Loop: Header=BB15_1405 Depth=3
	s_add_i32 s54, s54, 1
	s_mov_b64 s[48:49], -1
                                        ; implicit-def: $vgpr2
	s_and_saveexec_b64 s[52:53], s[50:51]
	s_cbranch_execz .LBB15_1403
	s_branch .LBB15_1402
.LBB15_1409:                            ;   in Loop: Header=BB15_1397 Depth=2
	s_or_b64 exec, exec, s[92:93]
	s_xor_b64 s[22:23], s[94:95], -1
	s_and_saveexec_b64 s[92:93], s[22:23]
	s_xor_b64 s[22:23], exec, s[92:93]
	s_cbranch_execz .LBB15_1411
; %bb.1410:                             ;   in Loop: Header=BB15_1397 Depth=2
	v_or_b32_e32 v74, 64, v74
	s_waitcnt lgkmcnt(0)
	ds_write_b32 v0, v2
	s_trap 2
.LBB15_1411:                            ;   in Loop: Header=BB15_1397 Depth=2
	s_or_b64 exec, exec, s[22:23]
.LBB15_1412:                            ;   in Loop: Header=BB15_1397 Depth=2
	s_or_b64 exec, exec, s[90:91]
	v_and_b32_e32 v2, 0x100, v74
	v_cmp_ne_u32_e32 vcc, 0, v2
	v_and_b32_e32 v2, 7, v112
	s_mov_b64 s[22:23], -1
	;;#ASMSTART
	s_wakeup
	;;#ASMEND
                                        ; implicit-def: $vgpr14_vgpr15
	s_and_saveexec_b64 s[90:91], vcc
	s_cbranch_execz .LBB15_1416
; %bb.1413:                             ;   in Loop: Header=BB15_1397 Depth=2
	v_mad_u64_u32 v[16:17], s[22:23], v2, 24, v[6:7]
	flat_load_dword v9, v[16:17]
                                        ; implicit-def: $vgpr14_vgpr15
	s_waitcnt vmcnt(0) lgkmcnt(0)
	v_cmp_ne_u32_e32 vcc, 1, v9
	v_cmp_eq_u32_e64 s[22:23], 1, v9
	s_and_saveexec_b64 s[92:93], s[22:23]
	s_cbranch_execz .LBB15_1415
; %bb.1414:                             ;   in Loop: Header=BB15_1397 Depth=2
	flat_load_dword v14, v[16:17] offset:4 sc0 sc1
	s_waitcnt vmcnt(0) lgkmcnt(0)
	v_ashrrev_i32_e32 v15, 31, v14
	v_lshrrev_b64 v[14:15], 1, v[14:15]
.LBB15_1415:                            ;   in Loop: Header=BB15_1397 Depth=2
	s_or_b64 exec, exec, s[92:93]
	s_orn2_b64 s[22:23], vcc, exec
.LBB15_1416:                            ;   in Loop: Header=BB15_1397 Depth=2
	s_or_b64 exec, exec, s[90:91]
	s_and_saveexec_b64 s[90:91], s[22:23]
; %bb.1417:                             ;   in Loop: Header=BB15_1397 Depth=2
	v_mad_i64_i32 v[14:15], s[22:23], v2, v30, 0
; %bb.1418:                             ;   in Loop: Header=BB15_1397 Depth=2
	s_or_b64 exec, exec, s[90:91]
	v_and_b32_e32 v2, 0x2000, v74
	v_lshl_add_u64 v[14:15], v[14:15], 1, v[34:35]
	v_cmp_ne_u32_e32 vcc, 0, v2
	ds_write_b64 v0, v[14:15] offset:720
	s_and_saveexec_b64 s[22:23], vcc
	s_cbranch_execz .LBB15_1420
; %bb.1419:                             ;   in Loop: Header=BB15_1397 Depth=2
	ds_read_b64 v[14:15], v0 offset:872
	s_waitcnt lgkmcnt(0)
	v_lshl_add_u64 v[14:15], v[14:15], 0, 1
	ds_write_b64 v0, v[14:15] offset:872
.LBB15_1420:                            ;   in Loop: Header=BB15_1397 Depth=2
	s_or_b64 exec, exec, s[22:23]
	v_mov_b64_e32 v[112:113], v[12:13]
.LBB15_1421:                            ;   in Loop: Header=BB15_1397 Depth=2
	s_or_b64 exec, exec, s[40:41]
	s_and_saveexec_b64 s[22:23], s[4:5]
	s_cbranch_execz .LBB15_1440
; %bb.1422:                             ;   in Loop: Header=BB15_1397 Depth=2
	s_and_saveexec_b64 s[40:41], s[56:57]
	s_xor_b64 s[40:41], exec, s[40:41]
	s_cbranch_execz .LBB15_1437
; %bb.1423:                             ;   in Loop: Header=BB15_1397 Depth=2
	s_and_saveexec_b64 s[90:91], s[12:13]
	s_cbranch_execz .LBB15_1436
; %bb.1424:                             ;   in Loop: Header=BB15_1397 Depth=2
	s_mov_b64 s[94:95], exec
	v_mbcnt_lo_u32_b32 v2, s94, 0
	v_mbcnt_hi_u32_b32 v2, s95, v2
	v_cmp_eq_u32_e32 vcc, 0, v2
	s_waitcnt lgkmcnt(0)
	s_and_saveexec_b64 s[92:93], vcc
	s_cbranch_execz .LBB15_1426
; %bb.1425:                             ;   in Loop: Header=BB15_1397 Depth=2
	s_bcnt1_i32_b64 s94, s[94:95]
	v_mov_b32_e32 v2, s94
	ds_add_u64 v0, v[2:3]
	s_trap 2
.LBB15_1426:                            ;   in Loop: Header=BB15_1397 Depth=2
	s_or_b64 exec, exec, s[92:93]
	s_trap 2
	ds_read_b64 v[12:13], v0
	s_waitcnt lgkmcnt(0)
	v_lshl_add_u64 v[38:39], v[38:39], 0, v[52:53]
	v_cmp_lt_u64_e32 vcc, v[12:13], v[38:39]
	s_and_saveexec_b64 s[92:93], vcc
	s_cbranch_execz .LBB15_1435
; %bb.1427:                             ;   in Loop: Header=BB15_1397 Depth=2
	s_mov_b32 s48, 0
	s_mov_b64 s[94:95], 0
                                        ; implicit-def: $sgpr30_sgpr31
                                        ; implicit-def: $sgpr34_sgpr35
	s_branch .LBB15_1429
.LBB15_1428:                            ;   in Loop: Header=BB15_1429 Depth=3
	s_or_b64 exec, exec, s[38:39]
	s_and_b64 vcc, exec, vcc
	s_or_b64 s[94:95], vcc, s[94:95]
	s_andn2_b64 vcc, s[30:31], exec
	s_and_b64 s[30:31], s[34:35], exec
	s_or_b64 s[30:31], vcc, s[30:31]
	s_andn2_b64 exec, exec, s[94:95]
	s_cbranch_execz .LBB15_1433
.LBB15_1429:                            ;   Parent Loop BB15_47 Depth=1
                                        ;     Parent Loop BB15_1397 Depth=2
                                        ; =>    This Inner Loop Header: Depth=3
	s_add_i32 s48, s48, 1
	s_cmpk_lg_i32 s48, 0x2710
	s_cselect_b64 s[36:37], -1, 0
	s_and_b64 vcc, exec, s[36:37]
	s_cbranch_vccz .LBB15_1431
; %bb.1430:                             ;   in Loop: Header=BB15_1429 Depth=3
	s_mov_b64 vcc, -1
	s_or_b64 s[34:35], s[34:35], exec
	s_and_saveexec_b64 s[38:39], s[36:37]
	s_cbranch_execz .LBB15_1428
	s_branch .LBB15_1432
.LBB15_1431:                            ;   in Loop: Header=BB15_1429 Depth=3
	s_trap 2
	ds_read_b64 v[12:13], v0
	s_andn2_b64 s[36:37], s[36:37], exec
	s_mov_b32 s48, 0
	s_waitcnt vmcnt(0) lgkmcnt(0)
	flat_load_dword v2, v[12:13] sc0 sc1
	s_waitcnt vmcnt(0) lgkmcnt(0)
	buffer_inv sc0 sc1
	v_cmp_eq_u32_e32 vcc, 0, v2
	s_and_b64 vcc, vcc, exec
	s_or_b64 s[36:37], s[36:37], vcc
	s_mov_b64 vcc, -1
	s_or_b64 s[34:35], s[34:35], exec
	s_and_saveexec_b64 s[38:39], s[36:37]
	s_cbranch_execz .LBB15_1428
.LBB15_1432:                            ;   in Loop: Header=BB15_1429 Depth=3
	s_sleep 1
	s_trap 2
	ds_read_b64 v[12:13], v0
	s_waitcnt lgkmcnt(0)
	s_andn2_b64 s[34:35], s[34:35], exec
	v_cmp_ge_u64_e32 vcc, v[12:13], v[38:39]
	s_orn2_b64 vcc, vcc, exec
	s_branch .LBB15_1428
.LBB15_1433:                            ;   in Loop: Header=BB15_1397 Depth=2
	s_or_b64 exec, exec, s[94:95]
	s_and_saveexec_b64 s[94:95], s[30:31]
	s_xor_b64 s[94:95], exec, s[94:95]
	s_cbranch_execz .LBB15_1435
; %bb.1434:                             ;   in Loop: Header=BB15_1397 Depth=2
	ds_write_b32 v0, v77
	s_trap 2
.LBB15_1435:                            ;   in Loop: Header=BB15_1397 Depth=2
	s_or_b64 exec, exec, s[92:93]
	;;#ASMSTART
	s_wakeup
	;;#ASMEND
.LBB15_1436:                            ;   in Loop: Header=BB15_1397 Depth=2
	s_or_b64 exec, exec, s[90:91]
.LBB15_1437:                            ;   in Loop: Header=BB15_1397 Depth=2
	s_andn2_saveexec_b64 s[40:41], s[40:41]
	s_cbranch_execz .LBB15_1439
; %bb.1438:                             ;   in Loop: Header=BB15_1397 Depth=2
	s_waitcnt lgkmcnt(0)
	s_barrier
.LBB15_1439:                            ;   in Loop: Header=BB15_1397 Depth=2
	s_or_b64 exec, exec, s[40:41]
.LBB15_1440:                            ;   in Loop: Header=BB15_1397 Depth=2
	s_or_b64 exec, exec, s[22:23]
	s_trap 2
	ds_read_b32 v9, v0
	v_and_b32_e32 v2, 0x4000, v74
	v_cmp_ne_u32_e32 vcc, 0, v2
	s_xor_b64 s[22:23], s[2:3], -1
	s_and_b64 s[40:41], s[22:23], vcc
	s_and_saveexec_b64 s[22:23], s[40:41]
	s_cbranch_execz .LBB15_1459
; %bb.1441:                             ;   in Loop: Header=BB15_1397 Depth=2
	s_and_saveexec_b64 s[40:41], s[56:57]
	s_xor_b64 s[40:41], exec, s[40:41]
	s_cbranch_execz .LBB15_1456
; %bb.1442:                             ;   in Loop: Header=BB15_1397 Depth=2
	s_and_saveexec_b64 s[90:91], s[12:13]
	s_cbranch_execz .LBB15_1455
; %bb.1443:                             ;   in Loop: Header=BB15_1397 Depth=2
	s_mov_b64 s[94:95], exec
	v_mbcnt_lo_u32_b32 v2, s94, 0
	v_mbcnt_hi_u32_b32 v2, s95, v2
	v_cmp_eq_u32_e32 vcc, 0, v2
	s_waitcnt lgkmcnt(0)
	s_and_saveexec_b64 s[92:93], vcc
	s_cbranch_execz .LBB15_1445
; %bb.1444:                             ;   in Loop: Header=BB15_1397 Depth=2
	s_bcnt1_i32_b64 s94, s[94:95]
	v_mov_b32_e32 v2, s94
	ds_add_u64 v0, v[2:3]
	s_trap 2
.LBB15_1445:                            ;   in Loop: Header=BB15_1397 Depth=2
	s_or_b64 exec, exec, s[92:93]
	s_trap 2
	ds_read_b64 v[12:13], v0
	s_waitcnt lgkmcnt(0)
	v_lshl_add_u64 v[38:39], v[38:39], 0, v[52:53]
	v_cmp_lt_u64_e32 vcc, v[12:13], v[38:39]
	s_and_saveexec_b64 s[92:93], vcc
	s_cbranch_execz .LBB15_1454
; %bb.1446:                             ;   in Loop: Header=BB15_1397 Depth=2
	s_mov_b32 s48, 0
	s_mov_b64 s[94:95], 0
                                        ; implicit-def: $sgpr30_sgpr31
                                        ; implicit-def: $sgpr34_sgpr35
	s_branch .LBB15_1448
.LBB15_1447:                            ;   in Loop: Header=BB15_1448 Depth=3
	s_or_b64 exec, exec, s[38:39]
	s_and_b64 vcc, exec, vcc
	s_or_b64 s[94:95], vcc, s[94:95]
	s_andn2_b64 vcc, s[30:31], exec
	s_and_b64 s[30:31], s[34:35], exec
	s_or_b64 s[30:31], vcc, s[30:31]
	s_andn2_b64 exec, exec, s[94:95]
	s_cbranch_execz .LBB15_1452
.LBB15_1448:                            ;   Parent Loop BB15_47 Depth=1
                                        ;     Parent Loop BB15_1397 Depth=2
                                        ; =>    This Inner Loop Header: Depth=3
	s_add_i32 s48, s48, 1
	s_cmpk_lg_i32 s48, 0x2710
	s_cselect_b64 s[36:37], -1, 0
	s_and_b64 vcc, exec, s[36:37]
	s_cbranch_vccz .LBB15_1450
; %bb.1449:                             ;   in Loop: Header=BB15_1448 Depth=3
	s_mov_b64 vcc, -1
	s_or_b64 s[34:35], s[34:35], exec
	s_and_saveexec_b64 s[38:39], s[36:37]
	s_cbranch_execz .LBB15_1447
	s_branch .LBB15_1451
.LBB15_1450:                            ;   in Loop: Header=BB15_1448 Depth=3
	s_trap 2
	ds_read_b64 v[12:13], v0
	s_andn2_b64 s[36:37], s[36:37], exec
	s_mov_b32 s48, 0
	s_waitcnt vmcnt(0) lgkmcnt(0)
	flat_load_dword v2, v[12:13] sc0 sc1
	s_waitcnt vmcnt(0) lgkmcnt(0)
	buffer_inv sc0 sc1
	v_cmp_eq_u32_e32 vcc, 0, v2
	s_and_b64 vcc, vcc, exec
	s_or_b64 s[36:37], s[36:37], vcc
	s_mov_b64 vcc, -1
	s_or_b64 s[34:35], s[34:35], exec
	s_and_saveexec_b64 s[38:39], s[36:37]
	s_cbranch_execz .LBB15_1447
.LBB15_1451:                            ;   in Loop: Header=BB15_1448 Depth=3
	s_sleep 1
	s_trap 2
	ds_read_b64 v[12:13], v0
	s_waitcnt lgkmcnt(0)
	s_andn2_b64 s[34:35], s[34:35], exec
	v_cmp_ge_u64_e32 vcc, v[12:13], v[38:39]
	s_orn2_b64 vcc, vcc, exec
	s_branch .LBB15_1447
.LBB15_1452:                            ;   in Loop: Header=BB15_1397 Depth=2
	s_or_b64 exec, exec, s[94:95]
	s_and_saveexec_b64 s[94:95], s[30:31]
	s_xor_b64 s[94:95], exec, s[94:95]
	s_cbranch_execz .LBB15_1454
; %bb.1453:                             ;   in Loop: Header=BB15_1397 Depth=2
	ds_write_b32 v0, v77
	s_trap 2
.LBB15_1454:                            ;   in Loop: Header=BB15_1397 Depth=2
	s_or_b64 exec, exec, s[92:93]
	;;#ASMSTART
	s_wakeup
	;;#ASMEND
.LBB15_1455:                            ;   in Loop: Header=BB15_1397 Depth=2
	s_or_b64 exec, exec, s[90:91]
.LBB15_1456:                            ;   in Loop: Header=BB15_1397 Depth=2
	s_andn2_saveexec_b64 s[40:41], s[40:41]
	s_cbranch_execz .LBB15_1458
; %bb.1457:                             ;   in Loop: Header=BB15_1397 Depth=2
	s_waitcnt lgkmcnt(0)
	s_barrier
.LBB15_1458:                            ;   in Loop: Header=BB15_1397 Depth=2
	s_or_b64 exec, exec, s[40:41]
.LBB15_1459:                            ;   in Loop: Header=BB15_1397 Depth=2
	s_or_b64 exec, exec, s[22:23]
	s_trap 2
	ds_read_b64 v[12:13], v0
	v_sub_u32_e32 v2, v22, v8
	v_min_i32_e32 v23, v23, v2
	s_waitcnt lgkmcnt(0)
	v_cmp_eq_u64_e32 vcc, 0, v[12:13]
	s_cbranch_vccnz .LBB15_1467
; %bb.1460:                             ;   in Loop: Header=BB15_1397 Depth=2
	s_trap 2
	ds_read_b64 v[14:15], v0
	s_waitcnt lgkmcnt(0)
	v_cmp_eq_u64_e32 vcc, 0, v[14:15]
	s_cbranch_vccnz .LBB15_1467
; %bb.1461:                             ;   in Loop: Header=BB15_1397 Depth=2
	s_mov_b64 s[22:23], -1
	s_and_saveexec_b64 s[40:41], s[16:17]
	s_cbranch_execz .LBB15_1463
; %bb.1462:                             ;   in Loop: Header=BB15_1397 Depth=2
	ds_read_b32 v2, v0 offset:720
	s_waitcnt lgkmcnt(0)
	v_and_b32_e32 v2, 15, v2
	v_cmp_eq_u32_e32 vcc, 0, v2
	s_orn2_b64 s[22:23], vcc, exec
.LBB15_1463:                            ;   in Loop: Header=BB15_1397 Depth=2
	s_or_b64 exec, exec, s[40:41]
	s_and_saveexec_b64 s[40:41], s[14:15]
	s_cbranch_execz .LBB15_1465
; %bb.1464:                             ;   in Loop: Header=BB15_1397 Depth=2
	ds_read_b32 v2, v0 offset:784
	s_waitcnt lgkmcnt(0)
	v_and_b32_e32 v2, 15, v2
	v_cmp_eq_u32_e32 vcc, 0, v2
	s_and_b64 s[90:91], s[22:23], vcc
	s_andn2_b64 s[22:23], s[22:23], exec
	s_and_b64 s[90:91], s[90:91], exec
	s_or_b64 s[22:23], s[22:23], s[90:91]
.LBB15_1465:                            ;   in Loop: Header=BB15_1397 Depth=2
	s_or_b64 exec, exec, s[40:41]
	v_cmp_eq_u32_e32 vcc, 0, v9
	s_xor_b64 s[22:23], s[22:23], -1
	v_cndmask_b32_e64 v16, 0, 1, s[22:23]
	v_cndmask_b32_e32 v2, 0, v23, vcc
	v_lshlrev_b32_e32 v9, 1, v2
	s_mov_b64 s[90:91], -1
	v_cmp_ne_u32_e32 vcc, 0, v16
	v_mov_b32_e32 v114, 0
	s_cbranch_vccz .LBB15_1472
; %bb.1466:                             ;   in Loop: Header=BB15_1397 Depth=2
	v_mov_b32_e32 v115, v0
	s_and_saveexec_b64 s[22:23], s[90:91]
	s_cbranch_execnz .LBB15_1483
	s_branch .LBB15_1491
.LBB15_1467:                            ;   in Loop: Header=BB15_1397 Depth=2
	s_mov_b64 s[22:23], 0
	s_and_saveexec_b64 s[40:41], s[4:5]
	s_cbranch_execnz .LBB15_1492
.LBB15_1468:                            ;   in Loop: Header=BB15_1397 Depth=2
	s_or_b64 exec, exec, s[40:41]
	s_and_saveexec_b64 s[40:41], s[20:21]
	s_xor_b64 s[40:41], exec, s[40:41]
	s_cbranch_execz .LBB15_1510
.LBB15_1469:                            ;   in Loop: Header=BB15_1397 Depth=2
	v_and_b32_e32 v2, 16, v74
	v_cmp_ne_u32_e32 vcc, 0, v2
	s_and_b64 s[90:91], vcc, s[22:23]
	s_and_saveexec_b64 s[22:23], s[90:91]
	s_cbranch_execz .LBB15_1471
; %bb.1470:                             ;   in Loop: Header=BB15_1397 Depth=2
	buffer_wbl2 sc1
	s_waitcnt vmcnt(0) lgkmcnt(0)
	buffer_inv sc1
.LBB15_1471:                            ;   in Loop: Header=BB15_1397 Depth=2
	s_or_b64 exec, exec, s[22:23]
	s_andn2_saveexec_b64 s[22:23], s[40:41]
	s_cbranch_execz .LBB15_1529
	s_branch .LBB15_1511
.LBB15_1472:                            ;   in Loop: Header=BB15_1397 Depth=2
	v_ashrrev_i32_e32 v16, 31, v9
	v_lshrrev_b32_e32 v16, 20, v16
	v_add_u32_e32 v16, v9, v16
	v_ashrrev_i32_e32 v21, 12, v16
	v_sub_u32_e32 v20, v21, v76
	v_cmp_lt_i32_e32 vcc, 0, v20
	s_and_saveexec_b64 s[22:23], vcc
	s_cbranch_execz .LBB15_1476
; %bb.1473:                             ;   in Loop: Header=BB15_1397 Depth=2
	s_mov_b64 s[40:41], 0
	v_mov_b64_e32 v[16:17], v[14:15]
	v_mov_b64_e32 v[18:19], v[12:13]
.LBB15_1474:                            ;   Parent Loop BB15_47 Depth=1
                                        ;     Parent Loop BB15_1397 Depth=2
                                        ; =>    This Inner Loop Header: Depth=3
	v_lshl_add_u64 v[118:119], v[84:85], 0, v[18:19]
	global_load_dwordx4 v[114:117], v[118:119], off nt
	global_load_dwordx4 v[40:43], v[118:119], off offset:1024 nt
	global_load_dwordx4 v[44:47], v[118:119], off offset:2048 nt
	global_load_dwordx4 v[56:59], v[118:119], off offset:3072 nt
	v_sub_u32_e32 v20, v20, v52
	v_cmp_gt_i32_e32 vcc, 1, v20
	v_lshl_add_u64 v[118:119], v[84:85], 0, v[16:17]
	v_lshl_add_u64 v[18:19], v[18:19], 0, v[66:67]
	;; [unrolled: 1-line block ×3, first 2 shown]
	s_or_b64 s[40:41], vcc, s[40:41]
	s_waitcnt vmcnt(0)
	global_store_dwordx4 v[118:119], v[114:117], off
	global_store_dwordx4 v[118:119], v[40:43], off offset:1024
	global_store_dwordx4 v[118:119], v[44:47], off offset:2048
	;; [unrolled: 1-line block ×3, first 2 shown]
	s_andn2_b64 exec, exec, s[40:41]
	s_cbranch_execnz .LBB15_1474
; %bb.1475:                             ;   in Loop: Header=BB15_1397 Depth=2
	s_or_b64 exec, exec, s[40:41]
.LBB15_1476:                            ;   in Loop: Header=BB15_1397 Depth=2
	s_or_b64 exec, exec, s[22:23]
	v_lshlrev_b32_e32 v18, 12, v21
	v_cmp_ne_u32_e32 vcc, v9, v18
	s_mov_b64 s[90:91], 0
	v_mov_b32_e32 v114, 0
                                        ; implicit-def: $vgpr115
	s_and_saveexec_b64 s[40:41], vcc
	s_cbranch_execz .LBB15_1482
; %bb.1477:                             ;   in Loop: Header=BB15_1397 Depth=2
	v_lshlrev_b32_e32 v16, 6, v20
	v_sub_u32_e32 v16, v75, v16
	v_sub_u32_e32 v17, v9, v18
	v_ashrrev_i32_e32 v19, 31, v16
	v_lshrrev_b32_e32 v19, 26, v19
	v_ashrrev_i32_e32 v20, 31, v17
	v_add_u32_e32 v19, v16, v19
	v_lshrrev_b32_e32 v20, 22, v20
	v_ashrrev_i32_e32 v115, 6, v19
	v_and_b32_e32 v19, 0xffffffc0, v19
	v_add_u32_e32 v20, v17, v20
	v_sub_u32_e32 v19, v16, v19
	v_ashrrev_i32_e32 v116, 10, v20
	v_and_b32_e32 v20, 0xfffffc00, v20
	v_lshlrev_b32_e32 v16, 4, v19
	v_sub_u32_e32 v21, v17, v20
	v_lshl_add_u32 v16, v115, 10, v16
	v_cmp_lt_i32_e32 vcc, 15, v21
	v_sub_u32_e32 v114, v17, v16
	s_nop 0
	v_addc_co_u32_e64 v17, s[22:23], 0, v116, vcc
	v_sub_u32_e32 v115, v17, v115
	v_cmp_lt_i32_e64 s[22:23], 15, v114
	s_and_saveexec_b64 s[90:91], s[22:23]
	s_cbranch_execz .LBB15_1481
; %bb.1478:                             ;   in Loop: Header=BB15_1397 Depth=2
	v_add_u32_e32 v16, v16, v18
	v_ashrrev_i32_e32 v17, 31, v16
	s_mov_b64 s[92:93], 0
.LBB15_1479:                            ;   Parent Loop BB15_47 Depth=1
                                        ;     Parent Loop BB15_1397 Depth=2
                                        ; =>    This Inner Loop Header: Depth=3
	v_lshl_add_u64 v[116:117], v[12:13], 0, v[16:17]
	global_load_dwordx4 v[116:119], v[116:117], off nt
	v_sub_u32_e32 v114, v114, v68
	v_cmp_gt_i32_e64 s[22:23], 16, v114
	v_lshl_add_u64 v[40:41], v[14:15], 0, v[16:17]
	v_sub_u32_e32 v115, v115, v52
	v_lshl_add_u64 v[16:17], v[16:17], 0, v[68:69]
	s_or_b64 s[92:93], s[22:23], s[92:93]
	s_waitcnt vmcnt(0)
	global_store_dwordx4 v[40:41], v[116:119], off
	s_andn2_b64 exec, exec, s[92:93]
	s_cbranch_execnz .LBB15_1479
; %bb.1480:                             ;   in Loop: Header=BB15_1397 Depth=2
	s_or_b64 exec, exec, s[92:93]
.LBB15_1481:                            ;   in Loop: Header=BB15_1397 Depth=2
	s_or_b64 exec, exec, s[90:91]
	v_and_b32_e32 v9, 14, v9
	v_sub_u32_e32 v16, v21, v9
	v_cndmask_b32_e32 v16, 0, v16, vcc
	v_cndmask_b32_e32 v9, v21, v9, vcc
	v_cmp_lt_i32_e32 vcc, 0, v115
	v_add3_u32 v114, v20, v18, v16
	s_nop 0
	v_cndmask_b32_e32 v16, 0, v52, vcc
	v_sub_u32_e32 v16, v16, v115
	v_cmp_ne_u32_e32 vcc, 0, v9
	v_lshl_add_u32 v115, v16, 6, v19
	s_and_b64 s[90:91], vcc, exec
.LBB15_1482:                            ;   in Loop: Header=BB15_1397 Depth=2
	s_or_b64 exec, exec, s[40:41]
	s_and_saveexec_b64 s[22:23], s[90:91]
	s_cbranch_execz .LBB15_1491
.LBB15_1483:                            ;   in Loop: Header=BB15_1397 Depth=2
	v_ashrrev_i32_e32 v16, 31, v115
	v_ashrrev_i32_e32 v17, 31, v9
	v_lshrrev_b32_e32 v16, 26, v16
	v_lshrrev_b32_e32 v17, 22, v17
	v_add_u32_e32 v16, v115, v16
	v_add_u32_e32 v17, v9, v17
	v_ashrrev_i32_e32 v116, 6, v16
	v_ashrrev_i32_e32 v118, 10, v17
	v_sub_u32_e32 v117, v118, v116
	v_cmp_lt_i32_e32 vcc, 0, v117
	s_and_saveexec_b64 s[40:41], vcc
	s_cbranch_execz .LBB15_1487
; %bb.1484:                             ;   in Loop: Header=BB15_1397 Depth=2
	v_and_b32_e32 v16, 0x7fffffc0, v16
	v_sub_u32_e32 v16, v115, v16
	v_lshlrev_b32_e32 v16, 1, v16
	v_lshlrev_b32_e32 v17, 10, v116
	v_add3_u32 v16, v16, v114, v17
	v_ashrrev_i32_e32 v17, 31, v16
	s_mov_b64 s[90:91], 0
	v_mov_b64_e32 v[18:19], v[14:15]
	v_mov_b64_e32 v[20:21], v[12:13]
.LBB15_1485:                            ;   Parent Loop BB15_47 Depth=1
                                        ;     Parent Loop BB15_1397 Depth=2
                                        ; =>    This Inner Loop Header: Depth=3
	v_lshl_add_u64 v[40:41], v[16:17], 0, v[20:21]
	flat_load_ushort v119, v[40:41] nt
	flat_load_ushort v42, v[40:41] offset:128 nt
	flat_load_ushort v43, v[40:41] offset:256 nt
	;; [unrolled: 1-line block ×7, first 2 shown]
	v_sub_u32_e32 v117, v117, v52
	v_cmp_gt_i32_e32 vcc, 1, v117
	v_lshl_add_u64 v[40:41], v[16:17], 0, v[18:19]
	v_lshl_add_u64 v[20:21], v[20:21], 0, v[68:69]
	;; [unrolled: 1-line block ×3, first 2 shown]
	s_or_b64 s[90:91], vcc, s[90:91]
	s_waitcnt vmcnt(0) lgkmcnt(0)
	flat_store_short v[40:41], v119 nt
	flat_store_short v[40:41], v42 offset:128 nt
	flat_store_short v[40:41], v43 offset:256 nt
	;; [unrolled: 1-line block ×7, first 2 shown]
	s_andn2_b64 exec, exec, s[90:91]
	s_cbranch_execnz .LBB15_1485
; %bb.1486:                             ;   in Loop: Header=BB15_1397 Depth=2
	s_or_b64 exec, exec, s[90:91]
.LBB15_1487:                            ;   in Loop: Header=BB15_1397 Depth=2
	s_or_b64 exec, exec, s[40:41]
	v_lshlrev_b32_e32 v16, 10, v118
	v_cmp_ne_u32_e32 vcc, v9, v16
	s_and_b64 exec, exec, vcc
	s_cbranch_execz .LBB15_1491
; %bb.1488:                             ;   in Loop: Header=BB15_1397 Depth=2
	v_lshlrev_b32_e32 v17, 6, v116
	v_sub_u32_e32 v17, v115, v17
	v_lshlrev_b32_e32 v18, 6, v117
	v_sub_u32_e32 v17, v17, v18
	v_ashrrev_i32_e32 v18, 31, v17
	v_lshrrev_b32_e32 v18, 26, v18
	v_add_u32_e32 v18, v17, v18
	v_and_b32_e32 v19, 0x7fffffc0, v18
	v_sub_u32_e32 v17, v17, v19
	v_lshlrev_b32_e32 v18, 1, v18
	v_and_b32_e32 v18, 0xffffff80, v18
	v_lshlrev_b32_e32 v17, 1, v17
	v_add3_u32 v16, v18, v17, v16
	v_sub_u32_e32 v9, v9, v16
	v_cmp_lt_i32_e32 vcc, 1, v9
	s_and_b64 exec, exec, vcc
	s_cbranch_execz .LBB15_1491
; %bb.1489:                             ;   in Loop: Header=BB15_1397 Depth=2
	v_add_u32_e32 v16, v16, v114
	v_ashrrev_i32_e32 v17, 31, v16
	s_mov_b64 s[40:41], 0
.LBB15_1490:                            ;   Parent Loop BB15_47 Depth=1
                                        ;     Parent Loop BB15_1397 Depth=2
                                        ; =>    This Inner Loop Header: Depth=3
	v_lshl_add_u64 v[18:19], v[12:13], 0, v[16:17]
	flat_load_ushort v20, v[18:19] nt
	v_sub_u32_e32 v9, v9, v70
	v_cmp_gt_i32_e32 vcc, 2, v9
	v_lshl_add_u64 v[18:19], v[14:15], 0, v[16:17]
	v_lshl_add_u64 v[16:17], v[16:17], 0, v[70:71]
	s_or_b64 s[40:41], vcc, s[40:41]
	s_waitcnt vmcnt(0) lgkmcnt(0)
	flat_store_short v[18:19], v20 nt
	s_andn2_b64 exec, exec, s[40:41]
	s_cbranch_execnz .LBB15_1490
.LBB15_1491:                            ;   in Loop: Header=BB15_1397 Depth=2
	s_or_b64 exec, exec, s[22:23]
	v_cmp_lt_i32_e64 s[22:23], 0, v2
	s_and_saveexec_b64 s[40:41], s[4:5]
	s_cbranch_execz .LBB15_1468
.LBB15_1492:                            ;   in Loop: Header=BB15_1397 Depth=2
	s_and_saveexec_b64 s[90:91], s[56:57]
	s_xor_b64 s[90:91], exec, s[90:91]
	s_cbranch_execz .LBB15_1507
; %bb.1493:                             ;   in Loop: Header=BB15_1397 Depth=2
	s_and_saveexec_b64 s[92:93], s[12:13]
	s_cbranch_execz .LBB15_1506
; %bb.1494:                             ;   in Loop: Header=BB15_1397 Depth=2
	s_mov_b64 s[30:31], exec
	v_mbcnt_lo_u32_b32 v2, s30, 0
	v_mbcnt_hi_u32_b32 v2, s31, v2
	v_cmp_eq_u32_e32 vcc, 0, v2
	s_waitcnt lgkmcnt(0)
	s_and_saveexec_b64 s[94:95], vcc
	s_cbranch_execz .LBB15_1496
; %bb.1495:                             ;   in Loop: Header=BB15_1397 Depth=2
	s_bcnt1_i32_b64 vcc_lo, s[30:31]
	v_mov_b32_e32 v2, vcc_lo
	ds_add_u64 v0, v[2:3]
	s_trap 2
.LBB15_1496:                            ;   in Loop: Header=BB15_1397 Depth=2
	s_or_b64 exec, exec, s[94:95]
	s_trap 2
	ds_read_b64 v[12:13], v0
	s_waitcnt lgkmcnt(0)
	v_lshl_add_u64 v[38:39], v[38:39], 0, v[52:53]
	v_cmp_lt_u64_e32 vcc, v[12:13], v[38:39]
	s_and_saveexec_b64 s[94:95], vcc
	s_cbranch_execz .LBB15_1505
; %bb.1497:                             ;   in Loop: Header=BB15_1397 Depth=2
	s_mov_b32 s50, 0
	s_mov_b64 s[30:31], 0
                                        ; implicit-def: $sgpr34_sgpr35
                                        ; implicit-def: $sgpr36_sgpr37
	s_branch .LBB15_1499
.LBB15_1498:                            ;   in Loop: Header=BB15_1499 Depth=3
	s_or_b64 exec, exec, s[48:49]
	s_and_b64 vcc, exec, vcc
	s_or_b64 s[30:31], vcc, s[30:31]
	s_andn2_b64 vcc, s[34:35], exec
	s_and_b64 s[34:35], s[36:37], exec
	s_or_b64 s[34:35], vcc, s[34:35]
	s_andn2_b64 exec, exec, s[30:31]
	s_cbranch_execz .LBB15_1503
.LBB15_1499:                            ;   Parent Loop BB15_47 Depth=1
                                        ;     Parent Loop BB15_1397 Depth=2
                                        ; =>    This Inner Loop Header: Depth=3
	s_add_i32 s50, s50, 1
	s_cmpk_lg_i32 s50, 0x2710
	s_cselect_b64 s[38:39], -1, 0
	s_and_b64 vcc, exec, s[38:39]
	s_cbranch_vccz .LBB15_1501
; %bb.1500:                             ;   in Loop: Header=BB15_1499 Depth=3
	s_mov_b64 vcc, -1
	s_or_b64 s[36:37], s[36:37], exec
	s_and_saveexec_b64 s[48:49], s[38:39]
	s_cbranch_execz .LBB15_1498
	s_branch .LBB15_1502
.LBB15_1501:                            ;   in Loop: Header=BB15_1499 Depth=3
	s_trap 2
	ds_read_b64 v[12:13], v0
	s_andn2_b64 s[38:39], s[38:39], exec
	s_mov_b32 s50, 0
	s_waitcnt vmcnt(0) lgkmcnt(0)
	flat_load_dword v2, v[12:13] sc0 sc1
	s_waitcnt vmcnt(0) lgkmcnt(0)
	buffer_inv sc0 sc1
	v_cmp_eq_u32_e32 vcc, 0, v2
	s_and_b64 vcc, vcc, exec
	s_or_b64 s[38:39], s[38:39], vcc
	s_mov_b64 vcc, -1
	s_or_b64 s[36:37], s[36:37], exec
	s_and_saveexec_b64 s[48:49], s[38:39]
	s_cbranch_execz .LBB15_1498
.LBB15_1502:                            ;   in Loop: Header=BB15_1499 Depth=3
	s_sleep 1
	s_trap 2
	ds_read_b64 v[12:13], v0
	s_waitcnt lgkmcnt(0)
	s_andn2_b64 s[36:37], s[36:37], exec
	v_cmp_ge_u64_e32 vcc, v[12:13], v[38:39]
	s_orn2_b64 vcc, vcc, exec
	s_branch .LBB15_1498
.LBB15_1503:                            ;   in Loop: Header=BB15_1397 Depth=2
	s_or_b64 exec, exec, s[30:31]
	s_and_saveexec_b64 vcc, s[34:35]
	s_xor_b64 vcc, exec, vcc
	s_cbranch_execz .LBB15_1505
; %bb.1504:                             ;   in Loop: Header=BB15_1397 Depth=2
	ds_write_b32 v0, v77
	s_trap 2
.LBB15_1505:                            ;   in Loop: Header=BB15_1397 Depth=2
	s_or_b64 exec, exec, s[94:95]
	;;#ASMSTART
	s_wakeup
	;;#ASMEND
.LBB15_1506:                            ;   in Loop: Header=BB15_1397 Depth=2
	s_or_b64 exec, exec, s[92:93]
.LBB15_1507:                            ;   in Loop: Header=BB15_1397 Depth=2
	s_andn2_saveexec_b64 s[90:91], s[90:91]
	s_cbranch_execz .LBB15_1509
; %bb.1508:                             ;   in Loop: Header=BB15_1397 Depth=2
	s_waitcnt lgkmcnt(0)
	s_barrier
.LBB15_1509:                            ;   in Loop: Header=BB15_1397 Depth=2
	s_or_b64 exec, exec, s[90:91]
	s_or_b64 exec, exec, s[40:41]
	s_and_saveexec_b64 s[40:41], s[20:21]
	s_xor_b64 s[40:41], exec, s[40:41]
	s_cbranch_execnz .LBB15_1469
.LBB15_1510:                            ;   in Loop: Header=BB15_1397 Depth=2
	s_andn2_saveexec_b64 s[22:23], s[40:41]
	s_cbranch_execz .LBB15_1529
.LBB15_1511:                            ;   in Loop: Header=BB15_1397 Depth=2
	s_and_saveexec_b64 s[40:41], s[56:57]
	s_xor_b64 s[40:41], exec, s[40:41]
	s_cbranch_execz .LBB15_1526
; %bb.1512:                             ;   in Loop: Header=BB15_1397 Depth=2
	s_and_saveexec_b64 s[90:91], s[12:13]
	s_cbranch_execz .LBB15_1525
; %bb.1513:                             ;   in Loop: Header=BB15_1397 Depth=2
	s_mov_b64 s[94:95], exec
	v_mbcnt_lo_u32_b32 v2, s94, 0
	v_mbcnt_hi_u32_b32 v2, s95, v2
	v_cmp_eq_u32_e32 vcc, 0, v2
	;;#ASMSTART
	s_waitcnt lgkmcnt(0) vmcnt(0)
	;;#ASMEND
	s_and_saveexec_b64 s[92:93], vcc
	s_cbranch_execz .LBB15_1515
; %bb.1514:                             ;   in Loop: Header=BB15_1397 Depth=2
	s_bcnt1_i32_b64 s94, s[94:95]
	v_mov_b32_e32 v2, s94
	s_waitcnt lgkmcnt(0)
	ds_add_u64 v0, v[2:3]
	s_trap 2
.LBB15_1515:                            ;   in Loop: Header=BB15_1397 Depth=2
	s_or_b64 exec, exec, s[92:93]
	s_trap 2
	ds_read_b64 v[12:13], v0
	s_waitcnt lgkmcnt(0)
	v_lshl_add_u64 v[38:39], v[38:39], 0, v[52:53]
	v_cmp_lt_u64_e32 vcc, v[12:13], v[38:39]
	s_and_saveexec_b64 s[92:93], vcc
	s_cbranch_execz .LBB15_1524
; %bb.1516:                             ;   in Loop: Header=BB15_1397 Depth=2
	s_mov_b32 s48, 0
	s_mov_b64 s[94:95], 0
                                        ; implicit-def: $sgpr30_sgpr31
                                        ; implicit-def: $sgpr34_sgpr35
	s_branch .LBB15_1518
.LBB15_1517:                            ;   in Loop: Header=BB15_1518 Depth=3
	s_or_b64 exec, exec, s[38:39]
	s_and_b64 vcc, exec, vcc
	s_or_b64 s[94:95], vcc, s[94:95]
	s_andn2_b64 vcc, s[30:31], exec
	s_and_b64 s[30:31], s[34:35], exec
	s_or_b64 s[30:31], vcc, s[30:31]
	s_andn2_b64 exec, exec, s[94:95]
	s_cbranch_execz .LBB15_1522
.LBB15_1518:                            ;   Parent Loop BB15_47 Depth=1
                                        ;     Parent Loop BB15_1397 Depth=2
                                        ; =>    This Inner Loop Header: Depth=3
	s_add_i32 s48, s48, 1
	s_cmpk_lg_i32 s48, 0x2710
	s_cselect_b64 s[36:37], -1, 0
	s_and_b64 vcc, exec, s[36:37]
	s_cbranch_vccz .LBB15_1520
; %bb.1519:                             ;   in Loop: Header=BB15_1518 Depth=3
	s_mov_b64 vcc, -1
	s_or_b64 s[34:35], s[34:35], exec
	s_and_saveexec_b64 s[38:39], s[36:37]
	s_cbranch_execz .LBB15_1517
	s_branch .LBB15_1521
.LBB15_1520:                            ;   in Loop: Header=BB15_1518 Depth=3
	s_trap 2
	ds_read_b64 v[12:13], v0
	s_andn2_b64 s[36:37], s[36:37], exec
	s_mov_b32 s48, 0
	s_waitcnt vmcnt(0) lgkmcnt(0)
	flat_load_dword v2, v[12:13] sc0 sc1
	s_waitcnt vmcnt(0) lgkmcnt(0)
	buffer_inv sc0 sc1
	v_cmp_eq_u32_e32 vcc, 0, v2
	s_and_b64 vcc, vcc, exec
	s_or_b64 s[36:37], s[36:37], vcc
	s_mov_b64 vcc, -1
	s_or_b64 s[34:35], s[34:35], exec
	s_and_saveexec_b64 s[38:39], s[36:37]
	s_cbranch_execz .LBB15_1517
.LBB15_1521:                            ;   in Loop: Header=BB15_1518 Depth=3
	s_sleep 1
	s_trap 2
	ds_read_b64 v[12:13], v0
	s_waitcnt lgkmcnt(0)
	s_andn2_b64 s[34:35], s[34:35], exec
	v_cmp_ge_u64_e32 vcc, v[12:13], v[38:39]
	s_orn2_b64 vcc, vcc, exec
	s_branch .LBB15_1517
.LBB15_1522:                            ;   in Loop: Header=BB15_1397 Depth=2
	s_or_b64 exec, exec, s[94:95]
	s_and_saveexec_b64 s[94:95], s[30:31]
	s_xor_b64 s[94:95], exec, s[94:95]
	s_cbranch_execz .LBB15_1524
; %bb.1523:                             ;   in Loop: Header=BB15_1397 Depth=2
	ds_write_b32 v0, v77
	s_trap 2
.LBB15_1524:                            ;   in Loop: Header=BB15_1397 Depth=2
	s_or_b64 exec, exec, s[92:93]
	;;#ASMSTART
	s_wakeup
	;;#ASMEND
.LBB15_1525:                            ;   in Loop: Header=BB15_1397 Depth=2
	s_or_b64 exec, exec, s[90:91]
.LBB15_1526:                            ;   in Loop: Header=BB15_1397 Depth=2
	s_andn2_saveexec_b64 s[40:41], s[40:41]
	s_cbranch_execz .LBB15_1528
; %bb.1527:                             ;   in Loop: Header=BB15_1397 Depth=2
	;;#ASMSTART
	s_waitcnt lgkmcnt(0) vmcnt(0)
	;;#ASMEND
	s_barrier
.LBB15_1528:                            ;   in Loop: Header=BB15_1397 Depth=2
	s_or_b64 exec, exec, s[40:41]
.LBB15_1529:                            ;   in Loop: Header=BB15_1397 Depth=2
	s_or_b64 exec, exec, s[22:23]
	v_and_b32_e32 v2, 32, v74
	v_cmp_ne_u32_e32 vcc, 0, v2
	s_and_saveexec_b64 s[22:23], vcc
	s_cbranch_execz .LBB15_1396
; %bb.1530:                             ;   in Loop: Header=BB15_1397 Depth=2
	v_lshl_add_u64 v[112:113], v[112:113], 0, 2
	flat_store_dwordx2 v[32:33], v[112:113] sc0 sc1
	s_branch .LBB15_1396
.LBB15_1531:                            ;   in Loop: Header=BB15_47 Depth=1
	s_or_b64 exec, exec, s[26:27]
.LBB15_1532:                            ;   in Loop: Header=BB15_47 Depth=1
	s_or_b64 exec, exec, s[24:25]
	v_cmp_gt_i32_e32 vcc, 2, v2
	s_and_saveexec_b64 s[24:25], vcc
	s_cbranch_execz .LBB15_46
; %bb.1533:                             ;   in Loop: Header=BB15_47 Depth=1
	v_cmp_eq_u32_e64 s[28:29], 0, v2
	s_mov_b64 s[26:27], 0
	s_branch .LBB15_1535
.LBB15_1534:                            ;   in Loop: Header=BB15_1535 Depth=2
	s_or_b64 exec, exec, s[22:23]
	v_add_u32_e32 v8, v23, v8
	s_mov_b64 s[28:29], 0
	s_andn2_b64 exec, exec, s[26:27]
	s_cbranch_execz .LBB15_45
.LBB15_1535:                            ;   Parent Loop BB15_47 Depth=1
                                        ; =>  This Loop Header: Depth=2
                                        ;       Child Loop BB15_1541 Depth 3
                                        ;       Child Loop BB15_1565 Depth 3
	;; [unrolled: 1-line block ×3, first 2 shown]
	v_and_b32_e32 v2, 4, v74
	v_cmp_ne_u32_e32 vcc, 0, v2
	s_and_saveexec_b64 s[40:41], vcc
	s_cbranch_execz .LBB15_1557
; %bb.1536:                             ;   in Loop: Header=BB15_1535 Depth=2
	v_lshl_add_u64 v[10:11], v[112:113], 0, 2
	s_waitcnt vmcnt(0) lgkmcnt(0)
	v_cmp_lt_u64_e32 vcc, v[48:49], v[10:11]
	s_and_saveexec_b64 s[90:91], vcc
	s_cbranch_execz .LBB15_1548
; %bb.1537:                             ;   in Loop: Header=BB15_1535 Depth=2
	v_and_b32_e32 v2, 64, v74
	s_mov_b32 s46, 0
	v_cmp_eq_u32_e32 vcc, 0, v2
	s_mov_b64 s[92:93], 0
                                        ; implicit-def: $sgpr94_sgpr95
                                        ; implicit-def: $sgpr30_sgpr31
                                        ; implicit-def: $sgpr34_sgpr35
	s_branch .LBB15_1541
.LBB15_1538:                            ;   in Loop: Header=BB15_1541 Depth=3
	s_waitcnt vmcnt(0) lgkmcnt(0)
	v_cmp_ge_u64_e64 s[22:23], v[48:49], v[10:11]
	s_or_b64 s[48:49], s[48:49], exec
	s_orn2_b64 s[38:39], s[22:23], exec
.LBB15_1539:                            ;   in Loop: Header=BB15_1541 Depth=3
	s_or_b64 exec, exec, s[52:53]
	s_andn2_b64 s[22:23], s[34:35], exec
	s_and_b64 s[34:35], s[48:49], exec
	s_or_b64 s[34:35], s[22:23], s[34:35]
	s_andn2_b64 s[22:23], s[30:31], exec
	s_and_b64 s[30:31], s[38:39], exec
	s_or_b64 s[30:31], s[22:23], s[30:31]
.LBB15_1540:                            ;   in Loop: Header=BB15_1541 Depth=3
	s_or_b64 exec, exec, s[36:37]
	s_and_b64 s[22:23], exec, s[30:31]
	s_or_b64 s[92:93], s[22:23], s[92:93]
	s_andn2_b64 s[22:23], s[94:95], exec
	s_and_b64 s[94:95], s[34:35], exec
	s_or_b64 s[94:95], s[22:23], s[94:95]
	s_andn2_b64 exec, exec, s[92:93]
	s_cbranch_execz .LBB15_1545
.LBB15_1541:                            ;   Parent Loop BB15_47 Depth=1
                                        ;     Parent Loop BB15_1535 Depth=2
                                        ; =>    This Inner Loop Header: Depth=3
	s_sleep 1
	s_waitcnt vmcnt(0) lgkmcnt(0)
	flat_load_dwordx2 v[48:49], v[32:33] sc0 sc1
	s_or_b64 s[34:35], s[34:35], exec
	s_or_b64 s[30:31], s[30:31], exec
                                        ; implicit-def: $vgpr2
	s_and_saveexec_b64 s[36:37], vcc
	s_cbranch_execz .LBB15_1540
; %bb.1542:                             ;   in Loop: Header=BB15_1541 Depth=3
	s_cmpk_lt_i32 s46, 0x270f
	s_cselect_b64 s[50:51], -1, 0
	s_cmpk_gt_i32 s46, 0x270e
	s_mov_b64 s[38:39], -1
	s_cbranch_scc0 .LBB15_1544
; %bb.1543:                             ;   in Loop: Header=BB15_1541 Depth=3
	s_trap 2
	ds_read_b64 v[12:13], v0
	s_andn2_b64 s[50:51], s[50:51], exec
	s_mov_b32 s46, 0
	s_mov_b64 s[48:49], 0
	s_waitcnt vmcnt(0) lgkmcnt(0)
	flat_load_dword v2, v[12:13] sc0 sc1
	s_waitcnt vmcnt(0) lgkmcnt(0)
	buffer_inv sc0 sc1
	v_cmp_eq_u32_e64 s[22:23], 0, v2
	s_and_b64 s[22:23], s[22:23], exec
	s_or_b64 s[50:51], s[50:51], s[22:23]
	s_and_saveexec_b64 s[52:53], s[50:51]
	s_cbranch_execz .LBB15_1539
	s_branch .LBB15_1538
.LBB15_1544:                            ;   in Loop: Header=BB15_1541 Depth=3
	s_add_i32 s46, s46, 1
	s_mov_b64 s[48:49], -1
                                        ; implicit-def: $vgpr2
	s_and_saveexec_b64 s[52:53], s[50:51]
	s_cbranch_execz .LBB15_1539
	s_branch .LBB15_1538
.LBB15_1545:                            ;   in Loop: Header=BB15_1535 Depth=2
	s_or_b64 exec, exec, s[92:93]
	s_xor_b64 s[22:23], s[94:95], -1
	s_and_saveexec_b64 s[92:93], s[22:23]
	s_xor_b64 s[22:23], exec, s[92:93]
	s_cbranch_execz .LBB15_1547
; %bb.1546:                             ;   in Loop: Header=BB15_1535 Depth=2
	v_or_b32_e32 v74, 64, v74
	s_waitcnt lgkmcnt(0)
	ds_write_b32 v0, v2
	s_trap 2
.LBB15_1547:                            ;   in Loop: Header=BB15_1535 Depth=2
	s_or_b64 exec, exec, s[22:23]
.LBB15_1548:                            ;   in Loop: Header=BB15_1535 Depth=2
	s_or_b64 exec, exec, s[90:91]
	v_and_b32_e32 v2, 0x100, v74
	v_cmp_ne_u32_e32 vcc, 0, v2
	v_and_b32_e32 v2, 7, v112
	s_mov_b64 s[22:23], -1
	;;#ASMSTART
	s_wakeup
	;;#ASMEND
                                        ; implicit-def: $vgpr12_vgpr13
	s_and_saveexec_b64 s[90:91], vcc
	s_cbranch_execz .LBB15_1552
; %bb.1549:                             ;   in Loop: Header=BB15_1535 Depth=2
	v_mad_u64_u32 v[14:15], s[22:23], v2, 24, v[6:7]
	flat_load_dword v9, v[14:15]
                                        ; implicit-def: $vgpr12_vgpr13
	s_waitcnt vmcnt(0) lgkmcnt(0)
	v_cmp_ne_u32_e32 vcc, 1, v9
	v_cmp_eq_u32_e64 s[22:23], 1, v9
	s_and_saveexec_b64 s[92:93], s[22:23]
	s_cbranch_execz .LBB15_1551
; %bb.1550:                             ;   in Loop: Header=BB15_1535 Depth=2
	flat_load_dword v12, v[14:15] offset:4 sc0 sc1
	s_waitcnt vmcnt(0) lgkmcnt(0)
	v_ashrrev_i32_e32 v13, 31, v12
	v_lshrrev_b64 v[12:13], 1, v[12:13]
.LBB15_1551:                            ;   in Loop: Header=BB15_1535 Depth=2
	s_or_b64 exec, exec, s[92:93]
	s_orn2_b64 s[22:23], vcc, exec
.LBB15_1552:                            ;   in Loop: Header=BB15_1535 Depth=2
	s_or_b64 exec, exec, s[90:91]
	s_and_saveexec_b64 s[90:91], s[22:23]
; %bb.1553:                             ;   in Loop: Header=BB15_1535 Depth=2
	v_mad_i64_i32 v[12:13], s[22:23], v2, v30, 0
; %bb.1554:                             ;   in Loop: Header=BB15_1535 Depth=2
	s_or_b64 exec, exec, s[90:91]
	v_and_b32_e32 v2, 0x2000, v74
	v_lshl_add_u64 v[12:13], v[12:13], 1, v[34:35]
	v_cmp_ne_u32_e32 vcc, 0, v2
	ds_write_b64 v0, v[12:13] offset:720
	s_and_saveexec_b64 s[22:23], vcc
	s_cbranch_execz .LBB15_1556
; %bb.1555:                             ;   in Loop: Header=BB15_1535 Depth=2
	ds_read_b64 v[12:13], v0 offset:872
	s_waitcnt lgkmcnt(0)
	v_lshl_add_u64 v[12:13], v[12:13], 0, 1
	ds_write_b64 v0, v[12:13] offset:872
.LBB15_1556:                            ;   in Loop: Header=BB15_1535 Depth=2
	s_or_b64 exec, exec, s[22:23]
	v_mov_b64_e32 v[112:113], v[10:11]
.LBB15_1557:                            ;   in Loop: Header=BB15_1535 Depth=2
	s_or_b64 exec, exec, s[40:41]
	s_xor_b64 s[22:23], s[28:29], -1
	s_and_b64 s[22:23], exec, s[22:23]
	s_or_b64 s[26:27], s[22:23], s[26:27]
	s_and_saveexec_b64 s[22:23], s[4:5]
	s_cbranch_execz .LBB15_1576
; %bb.1558:                             ;   in Loop: Header=BB15_1535 Depth=2
	s_and_saveexec_b64 s[28:29], s[56:57]
	s_xor_b64 s[28:29], exec, s[28:29]
	s_cbranch_execz .LBB15_1573
; %bb.1559:                             ;   in Loop: Header=BB15_1535 Depth=2
	s_and_saveexec_b64 s[40:41], s[12:13]
	s_cbranch_execz .LBB15_1572
; %bb.1560:                             ;   in Loop: Header=BB15_1535 Depth=2
	s_mov_b64 s[92:93], exec
	v_mbcnt_lo_u32_b32 v2, s92, 0
	v_mbcnt_hi_u32_b32 v2, s93, v2
	v_cmp_eq_u32_e32 vcc, 0, v2
	s_waitcnt lgkmcnt(0)
	s_and_saveexec_b64 s[90:91], vcc
	s_cbranch_execz .LBB15_1562
; %bb.1561:                             ;   in Loop: Header=BB15_1535 Depth=2
	s_bcnt1_i32_b64 s46, s[92:93]
	v_mov_b32_e32 v2, s46
	ds_add_u64 v0, v[2:3]
	s_trap 2
.LBB15_1562:                            ;   in Loop: Header=BB15_1535 Depth=2
	s_or_b64 exec, exec, s[90:91]
	s_trap 2
	ds_read_b64 v[10:11], v0
	s_waitcnt lgkmcnt(0)
	v_lshl_add_u64 v[38:39], v[38:39], 0, v[52:53]
	v_cmp_lt_u64_e32 vcc, v[10:11], v[38:39]
	s_and_saveexec_b64 s[90:91], vcc
	s_cbranch_execz .LBB15_1571
; %bb.1563:                             ;   in Loop: Header=BB15_1535 Depth=2
	s_mov_b32 s46, 0
	s_mov_b64 s[92:93], 0
                                        ; implicit-def: $sgpr94_sgpr95
                                        ; implicit-def: $sgpr30_sgpr31
	s_branch .LBB15_1565
.LBB15_1564:                            ;   in Loop: Header=BB15_1565 Depth=3
	s_or_b64 exec, exec, s[36:37]
	s_and_b64 vcc, exec, vcc
	s_or_b64 s[92:93], vcc, s[92:93]
	s_andn2_b64 s[94:95], s[94:95], exec
	s_and_b64 vcc, s[30:31], exec
	s_or_b64 s[94:95], s[94:95], vcc
	s_andn2_b64 exec, exec, s[92:93]
	s_cbranch_execz .LBB15_1569
.LBB15_1565:                            ;   Parent Loop BB15_47 Depth=1
                                        ;     Parent Loop BB15_1535 Depth=2
                                        ; =>    This Inner Loop Header: Depth=3
	s_add_i32 s46, s46, 1
	s_cmpk_lg_i32 s46, 0x2710
	s_cselect_b64 s[34:35], -1, 0
	s_and_b64 vcc, exec, s[34:35]
	s_cbranch_vccz .LBB15_1567
; %bb.1566:                             ;   in Loop: Header=BB15_1565 Depth=3
	s_mov_b64 vcc, -1
	s_or_b64 s[30:31], s[30:31], exec
	s_and_saveexec_b64 s[36:37], s[34:35]
	s_cbranch_execz .LBB15_1564
	s_branch .LBB15_1568
.LBB15_1567:                            ;   in Loop: Header=BB15_1565 Depth=3
	s_trap 2
	ds_read_b64 v[10:11], v0
	s_andn2_b64 s[34:35], s[34:35], exec
	s_mov_b32 s46, 0
	s_waitcnt vmcnt(0) lgkmcnt(0)
	flat_load_dword v2, v[10:11] sc0 sc1
	s_waitcnt vmcnt(0) lgkmcnt(0)
	buffer_inv sc0 sc1
	v_cmp_eq_u32_e32 vcc, 0, v2
	s_and_b64 vcc, vcc, exec
	s_or_b64 s[34:35], s[34:35], vcc
	s_mov_b64 vcc, -1
	s_or_b64 s[30:31], s[30:31], exec
	s_and_saveexec_b64 s[36:37], s[34:35]
	s_cbranch_execz .LBB15_1564
.LBB15_1568:                            ;   in Loop: Header=BB15_1565 Depth=3
	s_sleep 1
	s_trap 2
	ds_read_b64 v[10:11], v0
	s_waitcnt lgkmcnt(0)
	s_andn2_b64 s[30:31], s[30:31], exec
	v_cmp_ge_u64_e32 vcc, v[10:11], v[38:39]
	s_orn2_b64 vcc, vcc, exec
	s_branch .LBB15_1564
.LBB15_1569:                            ;   in Loop: Header=BB15_1535 Depth=2
	s_or_b64 exec, exec, s[92:93]
	s_and_saveexec_b64 s[92:93], s[94:95]
	s_xor_b64 s[92:93], exec, s[92:93]
	s_cbranch_execz .LBB15_1571
; %bb.1570:                             ;   in Loop: Header=BB15_1535 Depth=2
	ds_write_b32 v0, v77
	s_trap 2
.LBB15_1571:                            ;   in Loop: Header=BB15_1535 Depth=2
	s_or_b64 exec, exec, s[90:91]
	;;#ASMSTART
	s_wakeup
	;;#ASMEND
.LBB15_1572:                            ;   in Loop: Header=BB15_1535 Depth=2
	s_or_b64 exec, exec, s[40:41]
.LBB15_1573:                            ;   in Loop: Header=BB15_1535 Depth=2
	s_andn2_saveexec_b64 s[28:29], s[28:29]
	s_cbranch_execz .LBB15_1575
; %bb.1574:                             ;   in Loop: Header=BB15_1535 Depth=2
	s_waitcnt lgkmcnt(0)
	s_barrier
.LBB15_1575:                            ;   in Loop: Header=BB15_1535 Depth=2
	s_or_b64 exec, exec, s[28:29]
.LBB15_1576:                            ;   in Loop: Header=BB15_1535 Depth=2
	s_or_b64 exec, exec, s[22:23]
	v_sub_u32_e32 v2, v22, v8
	v_min_i32_e32 v23, v23, v2
	s_and_saveexec_b64 s[22:23], s[20:21]
	s_xor_b64 s[22:23], exec, s[22:23]
	s_cbranch_execz .LBB15_1580
; %bb.1577:                             ;   in Loop: Header=BB15_1535 Depth=2
	s_trap 2
	ds_read_b32 v2, v0
	v_cmp_lt_i32_e32 vcc, 0, v23
	v_and_b32_e32 v9, 16, v74
	s_waitcnt lgkmcnt(0)
	v_readfirstlane_b32 s28, v2
	s_cmp_eq_u32 s28, 0
	s_cselect_b64 s[28:29], -1, 0
	s_and_b64 s[28:29], vcc, s[28:29]
	v_cmp_ne_u32_e32 vcc, 0, v9
	s_and_b64 s[40:41], vcc, s[28:29]
	s_and_saveexec_b64 s[28:29], s[40:41]
	s_cbranch_execz .LBB15_1579
; %bb.1578:                             ;   in Loop: Header=BB15_1535 Depth=2
	buffer_wbl2 sc1
	s_waitcnt vmcnt(0)
	buffer_inv sc1
.LBB15_1579:                            ;   in Loop: Header=BB15_1535 Depth=2
	s_or_b64 exec, exec, s[28:29]
.LBB15_1580:                            ;   in Loop: Header=BB15_1535 Depth=2
	s_andn2_saveexec_b64 s[22:23], s[22:23]
	s_cbranch_execz .LBB15_1599
; %bb.1581:                             ;   in Loop: Header=BB15_1535 Depth=2
	s_and_saveexec_b64 s[28:29], s[56:57]
	s_xor_b64 s[28:29], exec, s[28:29]
	s_cbranch_execz .LBB15_1596
; %bb.1582:                             ;   in Loop: Header=BB15_1535 Depth=2
	s_and_saveexec_b64 s[40:41], s[12:13]
	s_cbranch_execz .LBB15_1595
; %bb.1583:                             ;   in Loop: Header=BB15_1535 Depth=2
	s_mov_b64 s[92:93], exec
	v_mbcnt_lo_u32_b32 v2, s92, 0
	v_mbcnt_hi_u32_b32 v2, s93, v2
	v_cmp_eq_u32_e32 vcc, 0, v2
	;;#ASMSTART
	s_waitcnt lgkmcnt(0) vmcnt(0)
	;;#ASMEND
	s_and_saveexec_b64 s[90:91], vcc
	s_cbranch_execz .LBB15_1585
; %bb.1584:                             ;   in Loop: Header=BB15_1535 Depth=2
	s_bcnt1_i32_b64 s46, s[92:93]
	v_mov_b32_e32 v2, s46
	s_waitcnt lgkmcnt(0)
	ds_add_u64 v0, v[2:3]
	s_trap 2
.LBB15_1585:                            ;   in Loop: Header=BB15_1535 Depth=2
	s_or_b64 exec, exec, s[90:91]
	s_trap 2
	ds_read_b64 v[10:11], v0
	s_waitcnt lgkmcnt(0)
	v_lshl_add_u64 v[38:39], v[38:39], 0, v[52:53]
	v_cmp_lt_u64_e32 vcc, v[10:11], v[38:39]
	s_and_saveexec_b64 s[90:91], vcc
	s_cbranch_execz .LBB15_1594
; %bb.1586:                             ;   in Loop: Header=BB15_1535 Depth=2
	s_mov_b32 s46, 0
	s_mov_b64 s[92:93], 0
                                        ; implicit-def: $sgpr94_sgpr95
                                        ; implicit-def: $sgpr30_sgpr31
	s_branch .LBB15_1588
.LBB15_1587:                            ;   in Loop: Header=BB15_1588 Depth=3
	s_or_b64 exec, exec, s[36:37]
	s_and_b64 vcc, exec, vcc
	s_or_b64 s[92:93], vcc, s[92:93]
	s_andn2_b64 s[94:95], s[94:95], exec
	s_and_b64 vcc, s[30:31], exec
	s_or_b64 s[94:95], s[94:95], vcc
	s_andn2_b64 exec, exec, s[92:93]
	s_cbranch_execz .LBB15_1592
.LBB15_1588:                            ;   Parent Loop BB15_47 Depth=1
                                        ;     Parent Loop BB15_1535 Depth=2
                                        ; =>    This Inner Loop Header: Depth=3
	s_add_i32 s46, s46, 1
	s_cmpk_lg_i32 s46, 0x2710
	s_cselect_b64 s[34:35], -1, 0
	s_and_b64 vcc, exec, s[34:35]
	s_cbranch_vccz .LBB15_1590
; %bb.1589:                             ;   in Loop: Header=BB15_1588 Depth=3
	s_mov_b64 vcc, -1
	s_or_b64 s[30:31], s[30:31], exec
	s_and_saveexec_b64 s[36:37], s[34:35]
	s_cbranch_execz .LBB15_1587
	s_branch .LBB15_1591
.LBB15_1590:                            ;   in Loop: Header=BB15_1588 Depth=3
	s_trap 2
	ds_read_b64 v[10:11], v0
	s_andn2_b64 s[34:35], s[34:35], exec
	s_mov_b32 s46, 0
	s_waitcnt vmcnt(0) lgkmcnt(0)
	flat_load_dword v2, v[10:11] sc0 sc1
	s_waitcnt vmcnt(0) lgkmcnt(0)
	buffer_inv sc0 sc1
	v_cmp_eq_u32_e32 vcc, 0, v2
	s_and_b64 vcc, vcc, exec
	s_or_b64 s[34:35], s[34:35], vcc
	s_mov_b64 vcc, -1
	s_or_b64 s[30:31], s[30:31], exec
	s_and_saveexec_b64 s[36:37], s[34:35]
	s_cbranch_execz .LBB15_1587
.LBB15_1591:                            ;   in Loop: Header=BB15_1588 Depth=3
	s_sleep 1
	s_trap 2
	ds_read_b64 v[10:11], v0
	s_waitcnt lgkmcnt(0)
	s_andn2_b64 s[30:31], s[30:31], exec
	v_cmp_ge_u64_e32 vcc, v[10:11], v[38:39]
	s_orn2_b64 vcc, vcc, exec
	s_branch .LBB15_1587
.LBB15_1592:                            ;   in Loop: Header=BB15_1535 Depth=2
	s_or_b64 exec, exec, s[92:93]
	s_and_saveexec_b64 s[92:93], s[94:95]
	s_xor_b64 s[92:93], exec, s[92:93]
	s_cbranch_execz .LBB15_1594
; %bb.1593:                             ;   in Loop: Header=BB15_1535 Depth=2
	ds_write_b32 v0, v77
	s_trap 2
.LBB15_1594:                            ;   in Loop: Header=BB15_1535 Depth=2
	s_or_b64 exec, exec, s[90:91]
	;;#ASMSTART
	s_wakeup
	;;#ASMEND
.LBB15_1595:                            ;   in Loop: Header=BB15_1535 Depth=2
	s_or_b64 exec, exec, s[40:41]
.LBB15_1596:                            ;   in Loop: Header=BB15_1535 Depth=2
	s_andn2_saveexec_b64 s[28:29], s[28:29]
	s_cbranch_execz .LBB15_1598
; %bb.1597:                             ;   in Loop: Header=BB15_1535 Depth=2
	;;#ASMSTART
	s_waitcnt lgkmcnt(0) vmcnt(0)
	;;#ASMEND
	s_barrier
.LBB15_1598:                            ;   in Loop: Header=BB15_1535 Depth=2
	s_or_b64 exec, exec, s[28:29]
.LBB15_1599:                            ;   in Loop: Header=BB15_1535 Depth=2
	s_or_b64 exec, exec, s[22:23]
	v_and_b32_e32 v2, 32, v74
	v_cmp_ne_u32_e32 vcc, 0, v2
	s_and_saveexec_b64 s[22:23], vcc
	s_cbranch_execz .LBB15_1534
; %bb.1600:                             ;   in Loop: Header=BB15_1535 Depth=2
	v_lshl_add_u64 v[112:113], v[112:113], 0, 2
	flat_store_dwordx2 v[32:33], v[112:113] sc0 sc1
	s_branch .LBB15_1534
.LBB15_1601:
	s_or_b64 exec, exec, s[58:59]
.LBB15_1602:
	s_or_b64 exec, exec, s[44:45]
	v_and_b32_e32 v0, 0x800, v74
	v_cmp_eq_u32_e32 vcc, 0, v0
	s_and_saveexec_b64 s[2:3], vcc
	s_cbranch_execz .LBB15_1635
; %bb.1603:
	v_and_b32_e32 v0, 48, v74
	v_cmp_ne_u32_e32 vcc, 0, v0
	s_and_saveexec_b64 s[0:1], vcc
	s_cbranch_execz .LBB15_1605
; %bb.1604:
	flat_store_dwordx2 v[28:29], v[112:113] offset:104
.LBB15_1605:
	s_or_b64 exec, exec, s[0:1]
	s_movk_i32 s0, 0x88
	v_and_b32_e32 v0, 0x88, v74
	v_cmp_eq_u32_e32 vcc, s0, v0
	s_and_saveexec_b64 s[4:5], vcc
	s_cbranch_execz .LBB15_1615
; %bb.1606:
	v_add_u32_e32 v0, 6, v112
	v_and_b32_e32 v0, 7, v0
	v_mad_u64_u32 v[2:3], s[0:1], v0, 24, v[6:7]
	flat_load_dwordx2 v[4:5], v[2:3] offset:8 sc0 sc1
	s_waitcnt vmcnt(0)
	v_and_b32_e32 v0, 64, v74
	v_cmp_eq_u32_e64 s[0:1], 0, v0
	s_mov_b32 s18, 0
	s_waitcnt lgkmcnt(0)
	v_cmp_ne_u64_e32 vcc, -1, v[4:5]
	s_and_b64 s[0:1], vcc, s[0:1]
	s_and_b64 exec, exec, s[0:1]
	s_cbranch_execz .LBB15_1615
; %bb.1607:
	s_mov_b64 s[0:1], 0
                                        ; implicit-def: $sgpr6_sgpr7
                                        ; implicit-def: $sgpr10_sgpr11
	s_branch .LBB15_1610
.LBB15_1608:                            ;   in Loop: Header=BB15_1610 Depth=1
	flat_load_dwordx2 v[4:5], v[2:3] offset:8 sc0 sc1
	s_waitcnt vmcnt(0)
	s_andn2_b64 s[10:11], s[10:11], exec
	s_waitcnt lgkmcnt(0)
	v_cmp_eq_u64_e32 vcc, -1, v[4:5]
	s_orn2_b64 s[14:15], vcc, exec
.LBB15_1609:                            ;   in Loop: Header=BB15_1610 Depth=1
	s_or_b64 exec, exec, s[16:17]
	s_and_b64 s[12:13], exec, s[14:15]
	s_or_b64 s[0:1], s[12:13], s[0:1]
	s_andn2_b64 s[6:7], s[6:7], exec
	s_and_b64 s[12:13], s[10:11], exec
	s_or_b64 s[6:7], s[6:7], s[12:13]
	s_andn2_b64 exec, exec, s[0:1]
	s_cbranch_execz .LBB15_1613
.LBB15_1610:                            ; =>This Inner Loop Header: Depth=1
	s_cmpk_lt_i32 s18, 0x270f
	s_cselect_b64 s[12:13], -1, 0
	s_and_b64 vcc, exec, s[12:13]
	s_cbranch_vccnz .LBB15_1612
; %bb.1611:                             ;   in Loop: Header=BB15_1610 Depth=1
	s_trap 2
	ds_read_b64 v[4:5], v0
	s_andn2_b64 s[12:13], s[12:13], exec
	s_mov_b32 s18, 0
	s_waitcnt lgkmcnt(0)
	flat_load_dword v0, v[4:5] sc0 sc1
	s_waitcnt vmcnt(0) lgkmcnt(0)
	buffer_inv sc0 sc1
	v_cmp_eq_u32_e32 vcc, 0, v0
	s_and_b64 s[14:15], vcc, exec
	s_or_b64 s[12:13], s[12:13], s[14:15]
	s_mov_b64 s[14:15], -1
	s_or_b64 s[10:11], s[10:11], exec
	s_and_saveexec_b64 s[16:17], s[12:13]
	s_cbranch_execz .LBB15_1609
	s_branch .LBB15_1608
.LBB15_1612:                            ;   in Loop: Header=BB15_1610 Depth=1
	s_add_i32 s18, s18, 1
                                        ; implicit-def: $vgpr0
	s_mov_b64 s[14:15], -1
	s_or_b64 s[10:11], s[10:11], exec
	s_and_saveexec_b64 s[16:17], s[12:13]
	s_cbranch_execz .LBB15_1609
	s_branch .LBB15_1608
.LBB15_1613:
	s_or_b64 exec, exec, s[0:1]
	s_and_saveexec_b64 s[0:1], s[6:7]
	s_xor_b64 s[0:1], exec, s[0:1]
	s_cbranch_execz .LBB15_1615
; %bb.1614:
	ds_write_b32 v0, v0
	s_trap 2
.LBB15_1615:
	s_or_b64 exec, exec, s[4:5]
	v_and_b32_e32 v0, 0x2000, v74
	v_cmp_ne_u32_e32 vcc, 0, v0
	s_and_saveexec_b64 s[0:1], vcc
	s_cbranch_execz .LBB15_1617
; %bb.1616:
	s_trap 2
	ds_read_b64 v[2:3], v0
	s_waitcnt lgkmcnt(0)
	flat_store_dwordx2 v[26:27], v[2:3] offset:16
.LBB15_1617:
	s_or_b64 exec, exec, s[0:1]
	v_cmp_ne_u32_e32 vcc, 64, v1
	s_and_b64 exec, exec, vcc
	s_cbranch_execz .LBB15_1635
; %bb.1618:
	v_cmp_ne_u32_sdwa s[0:1], v1, v50 src0_sel:DWORD src1_sel:WORD_0
	s_and_saveexec_b64 s[4:5], s[0:1]
	s_xor_b64 s[0:1], exec, s[4:5]
	s_cbranch_execz .LBB15_1633
; %bb.1619:
	v_and_b32_e32 v0, 63, v31
	v_cmp_eq_u32_e32 vcc, 0, v0
	s_and_saveexec_b64 s[4:5], vcc
	s_cbranch_execz .LBB15_1632
; %bb.1620:
	s_mov_b64 s[10:11], exec
	v_mbcnt_lo_u32_b32 v0, s10, 0
	v_mbcnt_hi_u32_b32 v0, s11, v0
	v_cmp_eq_u32_e32 vcc, 0, v0
	s_waitcnt lgkmcnt(0)
	s_and_saveexec_b64 s[6:7], vcc
	s_cbranch_execz .LBB15_1622
; %bb.1621:
	s_bcnt1_i32_b64 s10, s[10:11]
	v_mov_b32_e32 v2, s10
	v_mov_b32_e32 v3, 0
	ds_add_u64 v0, v[2:3]
	s_trap 2
.LBB15_1622:
	s_or_b64 exec, exec, s[6:7]
	s_trap 2
	ds_read_b64 v[2:3], v0
	s_waitcnt lgkmcnt(0)
	v_lshrrev_b32_e32 v0, 6, v1
	v_mov_b32_e32 v1, 0
	v_lshl_add_u64 v[0:1], v[38:39], 0, v[0:1]
	v_cmp_lt_u64_e32 vcc, v[2:3], v[0:1]
	s_and_saveexec_b64 s[6:7], vcc
	s_cbranch_execz .LBB15_1631
; %bb.1623:
	s_mov_b32 s22, 0
	s_mov_b64 s[10:11], 0
                                        ; implicit-def: $sgpr12_sgpr13
                                        ; implicit-def: $sgpr14_sgpr15
	s_branch .LBB15_1625
.LBB15_1624:                            ;   in Loop: Header=BB15_1625 Depth=1
	s_or_b64 exec, exec, s[18:19]
	s_and_b64 s[16:17], exec, s[20:21]
	s_or_b64 s[10:11], s[16:17], s[10:11]
	s_andn2_b64 s[12:13], s[12:13], exec
	s_and_b64 s[16:17], s[14:15], exec
	s_or_b64 s[12:13], s[12:13], s[16:17]
	s_andn2_b64 exec, exec, s[10:11]
	s_cbranch_execz .LBB15_1629
.LBB15_1625:                            ; =>This Inner Loop Header: Depth=1
	s_add_i32 s22, s22, 1
	s_cmpk_lg_i32 s22, 0x2710
	s_cselect_b64 s[16:17], -1, 0
	s_and_b64 vcc, exec, s[16:17]
	s_cbranch_vccz .LBB15_1627
; %bb.1626:                             ;   in Loop: Header=BB15_1625 Depth=1
	s_mov_b64 s[20:21], -1
	s_or_b64 s[14:15], s[14:15], exec
	s_and_saveexec_b64 s[18:19], s[16:17]
	s_cbranch_execz .LBB15_1624
	s_branch .LBB15_1628
.LBB15_1627:                            ;   in Loop: Header=BB15_1625 Depth=1
	s_trap 2
	ds_read_b64 v[2:3], v0
	s_andn2_b64 s[16:17], s[16:17], exec
	s_mov_b32 s22, 0
	s_waitcnt vmcnt(0) lgkmcnt(0)
	flat_load_dword v2, v[2:3] sc0 sc1
	s_waitcnt vmcnt(0) lgkmcnt(0)
	buffer_inv sc0 sc1
	v_cmp_eq_u32_e32 vcc, 0, v2
	s_and_b64 s[18:19], vcc, exec
	s_or_b64 s[16:17], s[16:17], s[18:19]
	s_mov_b64 s[20:21], -1
	s_or_b64 s[14:15], s[14:15], exec
	s_and_saveexec_b64 s[18:19], s[16:17]
	s_cbranch_execz .LBB15_1624
.LBB15_1628:                            ;   in Loop: Header=BB15_1625 Depth=1
	s_sleep 1
	s_trap 2
	ds_read_b64 v[2:3], v0
	s_waitcnt lgkmcnt(0)
	s_andn2_b64 s[14:15], s[14:15], exec
	v_cmp_ge_u64_e32 vcc, v[2:3], v[0:1]
	s_orn2_b64 s[20:21], vcc, exec
	s_branch .LBB15_1624
.LBB15_1629:
	s_or_b64 exec, exec, s[10:11]
	s_and_saveexec_b64 s[10:11], s[12:13]
	s_xor_b64 s[10:11], exec, s[10:11]
	s_cbranch_execz .LBB15_1631
; %bb.1630:
	v_mov_b32_e32 v0, 1
	ds_write_b32 v0, v0
	s_trap 2
.LBB15_1631:
	s_or_b64 exec, exec, s[6:7]
	;;#ASMSTART
	s_wakeup
	;;#ASMEND
.LBB15_1632:
	s_or_b64 exec, exec, s[4:5]
.LBB15_1633:
	s_andn2_saveexec_b64 s[0:1], s[0:1]
	s_cbranch_execz .LBB15_1635
; %bb.1634:
	s_waitcnt lgkmcnt(0)
	s_barrier
.LBB15_1635:
	s_or_b64 exec, exec, s[2:3]
.LBB15_1636:
	s_andn2_saveexec_b64 s[22:23], s[42:43]
	s_cbranch_execz .LBB15_1638
; %bb.1637:
	s_getpc_b64 s[0:1]
	s_add_u32 s0, s0, __PRETTY_FUNCTION__._ZN10PrimitivesI12hip_bfloat1610FuncMinMaxIS0_E12FanSymmetricILi1EELi0E11ProtoSimpleILi2ELi2ELi0ELi2ELi0ELi0EELi0ELb0ELi0ELi0ELi0EEC2EiiPKiS9_PKvPvmhhhP15ncclDevWorkCollP14ncclDevWorkP2pii@rel32@lo+4
	s_addc_u32 s1, s1, __PRETTY_FUNCTION__._ZN10PrimitivesI12hip_bfloat1610FuncMinMaxIS0_E12FanSymmetricILi1EELi0E11ProtoSimpleILi2ELi2ELi0ELi2ELi0ELi0EELi0ELb0ELi0ELi0ELi0EEC2EiiPKiS9_PKvPvmhhhP15ncclDevWorkCollP14ncclDevWorkP2pii@rel32@hi+12
	s_getpc_b64 s[2:3]
	s_add_u32 s2, s2, __assert_fail@rel32@lo+4
	s_addc_u32 s3, s3, __assert_fail@rel32@hi+12
	v_mov_b32_e32 v0, s0
	v_mov_b32_e32 v1, s1
	s_swappc_b64 s[30:31], s[2:3]
	; divergent unreachable
.LBB15_1638:
	s_or_b64 exec, exec, s[22:23]
	scratch_load_dword v106, off, s33       ; 4-byte Folded Reload
	scratch_load_dword v105, off, s33 offset:4 ; 4-byte Folded Reload
	scratch_load_dword v104, off, s33 offset:8 ; 4-byte Folded Reload
	;; [unrolled: 1-line block ×34, first 2 shown]
	v_readlane_b32 s30, v107, 30
	v_readlane_b32 s31, v107, 31
	;; [unrolled: 1-line block ×32, first 2 shown]
	s_mov_b32 s32, s33
	v_readlane_b32 s0, v107, 32
	s_or_saveexec_b64 s[2:3], -1
	scratch_load_dword v107, off, s33 offset:140 ; 4-byte Folded Reload
	s_mov_b64 exec, s[2:3]
	s_mov_b32 s33, s0
	s_waitcnt vmcnt(0) lgkmcnt(0)
	s_setpc_b64 s[30:31]
.Lfunc_end15:
	.size	_ZN12_GLOBAL__N_17runRingI12hip_bfloat1610FuncMinMaxIS1_E11ProtoSimpleILi2ELi2ELi0ELi2ELi0ELi0EELi0ELi0ELi2ELi0EEEviiP15ncclDevWorkColl, .Lfunc_end15-_ZN12_GLOBAL__N_17runRingI12hip_bfloat1610FuncMinMaxIS1_E11ProtoSimpleILi2ELi2ELi0ELi2ELi0ELi0EELi0ELi0ELi2ELi0EEEviiP15ncclDevWorkColl
                                        ; -- End function
	.set .L_ZN12_GLOBAL__N_17runRingI12hip_bfloat1610FuncMinMaxIS1_E11ProtoSimpleILi2ELi2ELi0ELi2ELi0ELi0EELi0ELi0ELi2ELi0EEEviiP15ncclDevWorkColl.num_vgpr, max(120, .L__assert_fail.num_vgpr)
	.set .L_ZN12_GLOBAL__N_17runRingI12hip_bfloat1610FuncMinMaxIS1_E11ProtoSimpleILi2ELi2ELi0ELi2ELi0ELi0EELi0ELi0ELi2ELi0EEEviiP15ncclDevWorkColl.num_agpr, max(0, .L__assert_fail.num_agpr)
	.set .L_ZN12_GLOBAL__N_17runRingI12hip_bfloat1610FuncMinMaxIS1_E11ProtoSimpleILi2ELi2ELi0ELi2ELi0ELi0EELi0ELi0ELi2ELi0EEEviiP15ncclDevWorkColl.numbered_sgpr, max(96, .L__assert_fail.numbered_sgpr)
	.set .L_ZN12_GLOBAL__N_17runRingI12hip_bfloat1610FuncMinMaxIS1_E11ProtoSimpleILi2ELi2ELi0ELi2ELi0ELi0EELi0ELi0ELi2ELi0EEEviiP15ncclDevWorkColl.num_named_barrier, max(0, .L__assert_fail.num_named_barrier)
	.set .L_ZN12_GLOBAL__N_17runRingI12hip_bfloat1610FuncMinMaxIS1_E11ProtoSimpleILi2ELi2ELi0ELi2ELi0ELi0EELi0ELi0ELi2ELi0EEEviiP15ncclDevWorkColl.private_seg_size, 160+max(.L__assert_fail.private_seg_size)
	.set .L_ZN12_GLOBAL__N_17runRingI12hip_bfloat1610FuncMinMaxIS1_E11ProtoSimpleILi2ELi2ELi0ELi2ELi0ELi0EELi0ELi0ELi2ELi0EEEviiP15ncclDevWorkColl.uses_vcc, or(1, .L__assert_fail.uses_vcc)
	.set .L_ZN12_GLOBAL__N_17runRingI12hip_bfloat1610FuncMinMaxIS1_E11ProtoSimpleILi2ELi2ELi0ELi2ELi0ELi0EELi0ELi0ELi2ELi0EEEviiP15ncclDevWorkColl.uses_flat_scratch, or(0, .L__assert_fail.uses_flat_scratch)
	.set .L_ZN12_GLOBAL__N_17runRingI12hip_bfloat1610FuncMinMaxIS1_E11ProtoSimpleILi2ELi2ELi0ELi2ELi0ELi0EELi0ELi0ELi2ELi0EEEviiP15ncclDevWorkColl.has_dyn_sized_stack, or(0, .L__assert_fail.has_dyn_sized_stack)
	.set .L_ZN12_GLOBAL__N_17runRingI12hip_bfloat1610FuncMinMaxIS1_E11ProtoSimpleILi2ELi2ELi0ELi2ELi0ELi0EELi0ELi0ELi2ELi0EEEviiP15ncclDevWorkColl.has_recursion, or(1, .L__assert_fail.has_recursion)
	.set .L_ZN12_GLOBAL__N_17runRingI12hip_bfloat1610FuncMinMaxIS1_E11ProtoSimpleILi2ELi2ELi0ELi2ELi0ELi0EELi0ELi0ELi2ELi0EEEviiP15ncclDevWorkColl.has_indirect_call, or(0, .L__assert_fail.has_indirect_call)
	.section	.AMDGPU.csdata,"",@progbits
; Function info:
; codeLenInByte = 48028
; TotalNumSgprs: 102
; NumVgprs: 120
; NumAgprs: 0
; TotalNumVgprs: 120
; ScratchSize: 224
; MemoryBound: 1
	.text
	.p2align	2                               ; -- Begin function _Z51ncclDevFunc_AllReduce_RING_SIMPLE_MinMax_bf16_0_0_2v
	.type	_Z51ncclDevFunc_AllReduce_RING_SIMPLE_MinMax_bf16_0_0_2v,@function
_Z51ncclDevFunc_AllReduce_RING_SIMPLE_MinMax_bf16_0_0_2v: ; @_Z51ncclDevFunc_AllReduce_RING_SIMPLE_MinMax_bf16_0_0_2v
; %bb.0:
	s_waitcnt vmcnt(0) expcnt(0) lgkmcnt(0)
	s_mov_b32 s0, s33
	s_mov_b32 s33, s32
	s_or_saveexec_b64 s[2:3], -1
	scratch_store_dword off, v44, s33 offset:24 ; 4-byte Folded Spill
	scratch_store_dword off, v45, s33 offset:28 ; 4-byte Folded Spill
	s_mov_b64 exec, s[2:3]
	v_writelane_b32 v44, s0, 36
	s_add_i32 s32, s32, 48
	scratch_store_dword off, v40, s33 offset:20 ; 4-byte Folded Spill
	scratch_store_dword off, v41, s33 offset:16 ; 4-byte Folded Spill
	;; [unrolled: 1-line block ×5, first 2 shown]
	scratch_store_dword off, v107, s33      ; 4-byte Folded Spill
	v_writelane_b32 v44, s34, 0
	v_writelane_b32 v44, s35, 1
	;; [unrolled: 1-line block ×35, first 2 shown]
	s_nop 1
	v_writelane_b32 v44, s31, 35
	s_trap 2
	ds_read_b32 v0, v0
	v_mov_b32_e32 v40, v31
                                        ; implicit-def: $vgpr45 : SGPR spill to VGPR lane
	v_and_b32_e32 v41, 0x3ff, v40
	s_mov_b32 s97, s12
	v_writelane_b32 v45, s8, 0
	s_waitcnt lgkmcnt(0)
	v_cmp_lt_i32_e32 vcc, v41, v0
	v_writelane_b32 v45, s9, 1
	s_and_saveexec_b64 s[0:1], vcc
	s_cbranch_execz .LBB16_5
; %bb.1:
	v_readlane_b32 s4, v45, 0
	v_readlane_b32 s5, v45, 1
	s_load_dword s2, s[4:5], 0x0
	v_mov_b32_e32 v1, 0
	s_mov_b32 s6, 0
	v_mov_b32_e32 v4, v41
                                        ; implicit-def: $vgpr2
	s_waitcnt lgkmcnt(0)
	s_cmp_lt_u32 s97, s2
	s_cselect_b32 s2, 12, 18
	s_add_u32 s2, s4, s2
	s_addc_u32 s3, s5, 0
	global_load_ushort v1, v1, s[2:3]
	s_trap 2
	ds_read_b32 v3, v0
	s_mov_b64 s[2:3], 0
	s_waitcnt vmcnt(0) lgkmcnt(0)
	v_mul_lo_u32 v3, v3, v1
	s_branch .LBB16_3
.LBB16_2:                               ;   in Loop: Header=BB16_3 Depth=1
	s_or_b64 exec, exec, s[4:5]
	v_add_u32_e32 v4, v4, v1
	v_cmp_ge_i32_e32 vcc, v4, v0
	s_or_b64 s[2:3], vcc, s[2:3]
	v_add_u32_e32 v2, v2, v3
	s_andn2_b64 exec, exec, s[2:3]
	s_cbranch_execz .LBB16_5
.LBB16_3:                               ; =>This Inner Loop Header: Depth=1
	ds_read_b32 v5, v2
	s_waitcnt lgkmcnt(0)
	v_and_b32_e32 v5, 0x1000000, v5
	v_cmp_ne_u32_e32 vcc, 0, v5
	s_and_saveexec_b64 s[4:5], vcc
	s_cbranch_execz .LBB16_2
; %bb.4:                                ;   in Loop: Header=BB16_3 Depth=1
	ds_read_b64 v[6:7], v2 offset:104
	s_waitcnt lgkmcnt(0)
	flat_load_ushort v5, v[6:7]
	v_mov_b32_e32 v7, s6
	s_waitcnt vmcnt(0) lgkmcnt(0)
	v_and_b32_e32 v6, 0xffff, v5
	ds_write_b64 v2, v[6:7] offset:104
	s_branch .LBB16_2
.LBB16_5:
	s_or_b64 exec, exec, s[0:1]
	s_waitcnt lgkmcnt(0)
	s_barrier
	s_trap 2
	ds_read_b32 v0, v0
	s_waitcnt lgkmcnt(0)
	v_cmp_gt_i32_e32 vcc, 1, v0
	s_cbranch_vccnz .LBB16_16
; %bb.6:
	s_mov_b32 s96, 0
	v_mov_b32_e32 v43, 6
	s_branch .LBB16_8
.LBB16_7:                               ;   in Loop: Header=BB16_8 Depth=1
	s_or_b64 exec, exec, s[98:99]
	s_trap 2
	ds_read_b32 v0, v0
	s_add_i32 s96, s96, 1
	s_waitcnt lgkmcnt(0)
	v_cmp_lt_i32_e32 vcc, s96, v0
	s_cbranch_vccz .LBB16_16
.LBB16_8:                               ; =>This Inner Loop Header: Depth=1
	s_trap 2
	ds_read_b32 v0, v0
	s_cmp_eq_u32 s96, 0
	s_cbranch_scc1 .LBB16_11
; %bb.9:                                ;   in Loop: Header=BB16_8 Depth=1
	s_trap 2
	s_waitcnt lgkmcnt(0)
	ds_read_b32 v1, v0
	s_waitcnt lgkmcnt(0)
	v_xor_b32_e32 v1, v1, v0
	v_and_b32_e32 v1, 0xff0000, v1
	v_cmp_eq_u32_e32 vcc, 0, v1
	s_cbranch_vccnz .LBB16_11
; %bb.10:                               ;   in Loop: Header=BB16_8 Depth=1
	s_barrier
	ds_read_b32 v0, v0
.LBB16_11:                              ;   in Loop: Header=BB16_8 Depth=1
	s_waitcnt lgkmcnt(0)
	v_lshlrev_b32_sdwa v42, v43, v0 dst_sel:DWORD dst_unused:UNUSED_PAD src0_sel:DWORD src1_sel:BYTE_2
	v_cmp_lt_u32_e32 vcc, v41, v42
	s_and_saveexec_b64 s[98:99], vcc
	s_cbranch_execz .LBB16_7
; %bb.12:                               ;   in Loop: Header=BB16_8 Depth=1
	v_cmp_lt_i32_e32 vcc, -1, v0
	s_mov_b64 s[86:87], src_shared_base
	s_mov_b64 s[0:1], -1
	s_cbranch_vccnz .LBB16_14
; %bb.13:                               ;   in Loop: Header=BB16_8 Depth=1
	v_readlane_b32 s8, v45, 0
	s_getpc_b64 s[0:1]
	s_add_u32 s0, s0, _ZN12_GLOBAL__N_17runRingI12hip_bfloat1610FuncMinMaxIS1_E11ProtoSimpleILi1ELi4ELi0ELi2ELi0ELi0EELi0ELi0ELi2ELi0EEEviiP15ncclDevWorkColl@rel32@lo+4
	s_addc_u32 s1, s1, _ZN12_GLOBAL__N_17runRingI12hip_bfloat1610FuncMinMaxIS1_E11ProtoSimpleILi1ELi4ELi0ELi2ELi0ELi0EELi0ELi0ELi2ELi0EEEviiP15ncclDevWorkColl@rel32@hi+12
	v_readlane_b32 s9, v45, 1
	s_mov_b32 s12, s97
	v_mov_b32_e32 v31, v40
	v_mov_b32_e32 v0, v41
	;; [unrolled: 1-line block ×4, first 2 shown]
	s_swappc_b64 s[30:31], s[0:1]
	s_mov_b64 s[0:1], 0
.LBB16_14:                              ;   in Loop: Header=BB16_8 Depth=1
	s_andn2_b64 vcc, exec, s[0:1]
	s_cbranch_vccnz .LBB16_7
; %bb.15:                               ;   in Loop: Header=BB16_8 Depth=1
	v_readlane_b32 s8, v45, 0
	s_getpc_b64 s[0:1]
	s_add_u32 s0, s0, _ZN12_GLOBAL__N_17runRingI12hip_bfloat1610FuncMinMaxIS1_E11ProtoSimpleILi2ELi2ELi0ELi2ELi0ELi0EELi0ELi0ELi2ELi0EEEviiP15ncclDevWorkColl@rel32@lo+4
	s_addc_u32 s1, s1, _ZN12_GLOBAL__N_17runRingI12hip_bfloat1610FuncMinMaxIS1_E11ProtoSimpleILi2ELi2ELi0ELi2ELi0ELi0EELi0ELi0ELi2ELi0EEEviiP15ncclDevWorkColl@rel32@hi+12
	v_readlane_b32 s9, v45, 1
	s_mov_b32 s12, s97
	v_mov_b32_e32 v31, v40
	v_mov_b32_e32 v0, v41
	;; [unrolled: 1-line block ×4, first 2 shown]
	s_swappc_b64 s[30:31], s[0:1]
	s_branch .LBB16_7
.LBB16_16:
	scratch_load_dword v107, off, s33       ; 4-byte Folded Reload
	scratch_load_dword v104, off, s33 offset:4 ; 4-byte Folded Reload
	scratch_load_dword v43, off, s33 offset:8 ; 4-byte Folded Reload
	;; [unrolled: 1-line block ×5, first 2 shown]
	v_readlane_b32 s30, v44, 34
	v_readlane_b32 s31, v44, 35
	;; [unrolled: 1-line block ×36, first 2 shown]
	s_mov_b32 s32, s33
	v_readlane_b32 s0, v44, 36
	s_or_saveexec_b64 s[2:3], -1
	scratch_load_dword v44, off, s33 offset:24 ; 4-byte Folded Reload
	scratch_load_dword v45, off, s33 offset:28 ; 4-byte Folded Reload
	s_mov_b64 exec, s[2:3]
	s_mov_b32 s33, s0
	s_waitcnt vmcnt(0)
	s_setpc_b64 s[30:31]
.Lfunc_end16:
	.size	_Z51ncclDevFunc_AllReduce_RING_SIMPLE_MinMax_bf16_0_0_2v, .Lfunc_end16-_Z51ncclDevFunc_AllReduce_RING_SIMPLE_MinMax_bf16_0_0_2v
                                        ; -- End function
	.set .L_Z51ncclDevFunc_AllReduce_RING_SIMPLE_MinMax_bf16_0_0_2v.num_vgpr, max(108, .L_ZN12_GLOBAL__N_17runRingI12hip_bfloat1610FuncMinMaxIS1_E11ProtoSimpleILi1ELi4ELi0ELi2ELi0ELi0EELi0ELi0ELi2ELi0EEEviiP15ncclDevWorkColl.num_vgpr, .L_ZN12_GLOBAL__N_17runRingI12hip_bfloat1610FuncMinMaxIS1_E11ProtoSimpleILi2ELi2ELi0ELi2ELi0ELi0EELi0ELi0ELi2ELi0EEEviiP15ncclDevWorkColl.num_vgpr)
	.set .L_Z51ncclDevFunc_AllReduce_RING_SIMPLE_MinMax_bf16_0_0_2v.num_agpr, max(0, .L_ZN12_GLOBAL__N_17runRingI12hip_bfloat1610FuncMinMaxIS1_E11ProtoSimpleILi1ELi4ELi0ELi2ELi0ELi0EELi0ELi0ELi2ELi0EEEviiP15ncclDevWorkColl.num_agpr, .L_ZN12_GLOBAL__N_17runRingI12hip_bfloat1610FuncMinMaxIS1_E11ProtoSimpleILi2ELi2ELi0ELi2ELi0ELi0EELi0ELi0ELi2ELi0EEEviiP15ncclDevWorkColl.num_agpr)
	.set .L_Z51ncclDevFunc_AllReduce_RING_SIMPLE_MinMax_bf16_0_0_2v.numbered_sgpr, max(100, .L_ZN12_GLOBAL__N_17runRingI12hip_bfloat1610FuncMinMaxIS1_E11ProtoSimpleILi1ELi4ELi0ELi2ELi0ELi0EELi0ELi0ELi2ELi0EEEviiP15ncclDevWorkColl.numbered_sgpr, .L_ZN12_GLOBAL__N_17runRingI12hip_bfloat1610FuncMinMaxIS1_E11ProtoSimpleILi2ELi2ELi0ELi2ELi0ELi0EELi0ELi0ELi2ELi0EEEviiP15ncclDevWorkColl.numbered_sgpr)
	.set .L_Z51ncclDevFunc_AllReduce_RING_SIMPLE_MinMax_bf16_0_0_2v.num_named_barrier, max(0, .L_ZN12_GLOBAL__N_17runRingI12hip_bfloat1610FuncMinMaxIS1_E11ProtoSimpleILi1ELi4ELi0ELi2ELi0ELi0EELi0ELi0ELi2ELi0EEEviiP15ncclDevWorkColl.num_named_barrier, .L_ZN12_GLOBAL__N_17runRingI12hip_bfloat1610FuncMinMaxIS1_E11ProtoSimpleILi2ELi2ELi0ELi2ELi0ELi0EELi0ELi0ELi2ELi0EEEviiP15ncclDevWorkColl.num_named_barrier)
	.set .L_Z51ncclDevFunc_AllReduce_RING_SIMPLE_MinMax_bf16_0_0_2v.private_seg_size, 48+max(.L_ZN12_GLOBAL__N_17runRingI12hip_bfloat1610FuncMinMaxIS1_E11ProtoSimpleILi1ELi4ELi0ELi2ELi0ELi0EELi0ELi0ELi2ELi0EEEviiP15ncclDevWorkColl.private_seg_size, .L_ZN12_GLOBAL__N_17runRingI12hip_bfloat1610FuncMinMaxIS1_E11ProtoSimpleILi2ELi2ELi0ELi2ELi0ELi0EELi0ELi0ELi2ELi0EEEviiP15ncclDevWorkColl.private_seg_size)
	.set .L_Z51ncclDevFunc_AllReduce_RING_SIMPLE_MinMax_bf16_0_0_2v.uses_vcc, or(1, .L_ZN12_GLOBAL__N_17runRingI12hip_bfloat1610FuncMinMaxIS1_E11ProtoSimpleILi1ELi4ELi0ELi2ELi0ELi0EELi0ELi0ELi2ELi0EEEviiP15ncclDevWorkColl.uses_vcc, .L_ZN12_GLOBAL__N_17runRingI12hip_bfloat1610FuncMinMaxIS1_E11ProtoSimpleILi2ELi2ELi0ELi2ELi0ELi0EELi0ELi0ELi2ELi0EEEviiP15ncclDevWorkColl.uses_vcc)
	.set .L_Z51ncclDevFunc_AllReduce_RING_SIMPLE_MinMax_bf16_0_0_2v.uses_flat_scratch, or(0, .L_ZN12_GLOBAL__N_17runRingI12hip_bfloat1610FuncMinMaxIS1_E11ProtoSimpleILi1ELi4ELi0ELi2ELi0ELi0EELi0ELi0ELi2ELi0EEEviiP15ncclDevWorkColl.uses_flat_scratch, .L_ZN12_GLOBAL__N_17runRingI12hip_bfloat1610FuncMinMaxIS1_E11ProtoSimpleILi2ELi2ELi0ELi2ELi0ELi0EELi0ELi0ELi2ELi0EEEviiP15ncclDevWorkColl.uses_flat_scratch)
	.set .L_Z51ncclDevFunc_AllReduce_RING_SIMPLE_MinMax_bf16_0_0_2v.has_dyn_sized_stack, or(0, .L_ZN12_GLOBAL__N_17runRingI12hip_bfloat1610FuncMinMaxIS1_E11ProtoSimpleILi1ELi4ELi0ELi2ELi0ELi0EELi0ELi0ELi2ELi0EEEviiP15ncclDevWorkColl.has_dyn_sized_stack, .L_ZN12_GLOBAL__N_17runRingI12hip_bfloat1610FuncMinMaxIS1_E11ProtoSimpleILi2ELi2ELi0ELi2ELi0ELi0EELi0ELi0ELi2ELi0EEEviiP15ncclDevWorkColl.has_dyn_sized_stack)
	.set .L_Z51ncclDevFunc_AllReduce_RING_SIMPLE_MinMax_bf16_0_0_2v.has_recursion, or(1, .L_ZN12_GLOBAL__N_17runRingI12hip_bfloat1610FuncMinMaxIS1_E11ProtoSimpleILi1ELi4ELi0ELi2ELi0ELi0EELi0ELi0ELi2ELi0EEEviiP15ncclDevWorkColl.has_recursion, .L_ZN12_GLOBAL__N_17runRingI12hip_bfloat1610FuncMinMaxIS1_E11ProtoSimpleILi2ELi2ELi0ELi2ELi0ELi0EELi0ELi0ELi2ELi0EEEviiP15ncclDevWorkColl.has_recursion)
	.set .L_Z51ncclDevFunc_AllReduce_RING_SIMPLE_MinMax_bf16_0_0_2v.has_indirect_call, or(0, .L_ZN12_GLOBAL__N_17runRingI12hip_bfloat1610FuncMinMaxIS1_E11ProtoSimpleILi1ELi4ELi0ELi2ELi0ELi0EELi0ELi0ELi2ELi0EEEviiP15ncclDevWorkColl.has_indirect_call, .L_ZN12_GLOBAL__N_17runRingI12hip_bfloat1610FuncMinMaxIS1_E11ProtoSimpleILi2ELi2ELi0ELi2ELi0ELi0EELi0ELi0ELi2ELi0EEEviiP15ncclDevWorkColl.has_indirect_call)
	.section	.AMDGPU.csdata,"",@progbits
; Function info:
; codeLenInByte = 1364
; TotalNumSgprs: 106
; NumVgprs: 120
; NumAgprs: 0
; TotalNumVgprs: 120
; ScratchSize: 272
; MemoryBound: 0
	.text
	.p2align	2                               ; -- Begin function _ZN12_GLOBAL__N_17runRingI12hip_bfloat1610FuncMinMaxIS1_E11ProtoSimpleILi1ELi4ELi0ELi2ELi0ELi0EELi0ELi0ELi2ELi1EEEviiP15ncclDevWorkColl
	.type	_ZN12_GLOBAL__N_17runRingI12hip_bfloat1610FuncMinMaxIS1_E11ProtoSimpleILi1ELi4ELi0ELi2ELi0ELi0EELi0ELi0ELi2ELi1EEEviiP15ncclDevWorkColl,@function
_ZN12_GLOBAL__N_17runRingI12hip_bfloat1610FuncMinMaxIS1_E11ProtoSimpleILi1ELi4ELi0ELi2ELi0ELi0EELi0ELi0ELi2ELi1EEEviiP15ncclDevWorkColl: ; @_ZN12_GLOBAL__N_17runRingI12hip_bfloat1610FuncMinMaxIS1_E11ProtoSimpleILi1ELi4ELi0ELi2ELi0ELi0EELi0ELi0ELi2ELi1EEEviiP15ncclDevWorkColl
; %bb.0:
	s_waitcnt vmcnt(0) expcnt(0) lgkmcnt(0)
	s_mov_b32 s0, s33
	s_mov_b32 s33, s32
	s_or_saveexec_b64 s[2:3], -1
	scratch_store_dword off, v127, s33 offset:304 ; 4-byte Folded Spill
	scratch_store_dword off, v126, s33 offset:308 ; 4-byte Folded Spill
	s_mov_b64 exec, s[2:3]
	v_writelane_b32 v127, s0, 34
	s_addk_i32 s32, 0x140
	scratch_store_dword off, v40, s33 offset:180 ; 4-byte Folded Spill
	scratch_store_dword off, v41, s33 offset:176 ; 4-byte Folded Spill
	;; [unrolled: 1-line block ×45, first 2 shown]
	scratch_store_dword off, v125, s33      ; 4-byte Folded Spill
	v_writelane_b32 v127, s34, 0
	v_writelane_b32 v127, s35, 1
	;; [unrolled: 1-line block ×33, first 2 shown]
	s_nop 1
	v_writelane_b32 v127, s31, 33
	s_trap 2
	flat_load_dword v9, v[2:3]
	ds_read_b32 v6, v0
                                        ; implicit-def: $vgpr14_vgpr15
                                        ; implicit-def: $vgpr124_vgpr125
                                        ; implicit-def: $vgpr4_vgpr5
	s_waitcnt lgkmcnt(0)
	v_readfirstlane_b32 s64, v6
	s_waitcnt vmcnt(0)
	v_cmp_ne_u32_sdwa s[0:1], v6, v9 src0_sel:DWORD src1_sel:BYTE_0
	s_and_saveexec_b64 s[2:3], s[0:1]
	s_xor_b64 s[0:1], exec, s[2:3]
	s_cbranch_execz .LBB17_6
; %bb.1:
	v_not_b32_sdwa v8, v9 dst_sel:DWORD dst_unused:UNUSED_PAD src0_sel:BYTE_0
	v_cmp_ne_u32_sdwa s[2:3], v6, v9 src0_sel:DWORD src1_sel:BYTE_1
                                        ; implicit-def: $vgpr14_vgpr15
                                        ; implicit-def: $vgpr124_vgpr125
                                        ; implicit-def: $vgpr4_vgpr5
	s_and_saveexec_b64 s[4:5], s[2:3]
	s_xor_b64 s[2:3], exec, s[4:5]
	s_cbranch_execz .LBB17_3
; %bb.2:
	flat_load_dwordx4 v[10:13], v[2:3] offset:72
	flat_load_dwordx2 v[4:5], v[2:3] offset:96
	v_add_u32_e32 v6, v6, v8
	v_ashrrev_i32_e32 v7, 31, v6
                                        ; implicit-def: $vgpr9
                                        ; implicit-def: $vgpr8
	s_waitcnt vmcnt(0) lgkmcnt(0)
	v_mul_lo_u32 v7, v12, v7
	v_mad_u64_u32 v[124:125], s[4:5], v12, v6, v[10:11]
	v_mul_lo_u32 v6, v13, v6
	v_lshrrev_b64 v[14:15], 13, v[4:5]
	v_add3_u32 v125, v6, v125, v7
	v_mov_b64_e32 v[4:5], v[12:13]
.LBB17_3:
	s_andn2_saveexec_b64 s[2:3], s[2:3]
	s_cbranch_execz .LBB17_5
; %bb.4:
	flat_load_dwordx4 v[10:13], v[2:3] offset:72
	flat_load_dwordx4 v[4:7], v[2:3] offset:88
	s_waitcnt vmcnt(0) lgkmcnt(0)
	v_add_u32_sdwa v6, v9, v8 dst_sel:DWORD dst_unused:UNUSED_PAD src0_sel:BYTE_1 src1_sel:DWORD
	v_ashrrev_i32_e32 v8, 31, v6
	v_mul_lo_u32 v8, v12, v8
	v_mad_u64_u32 v[124:125], s[4:5], v12, v6, v[10:11]
	v_mul_lo_u32 v6, v13, v6
	v_add3_u32 v125, v6, v125, v8
	v_lshrrev_b32_e32 v14, 2, v7
.LBB17_5:
	s_or_b64 exec, exec, s[2:3]
.LBB17_6:
	s_andn2_saveexec_b64 s[0:1], s[0:1]
	s_cbranch_execz .LBB17_8
; %bb.7:
	flat_load_dwordx2 v[6:7], v[2:3] offset:96
	flat_load_dwordx2 v[4:5], v[2:3] offset:72
	v_mov_b64_e32 v[124:125], 0
	s_waitcnt vmcnt(0) lgkmcnt(0)
	v_lshlrev_b64 v[14:15], 8, v[6:7]
.LBB17_8:
	s_or_b64 exec, exec, s[0:1]
	s_trap 2
	ds_read_b64 v[6:7], v0
	s_waitcnt lgkmcnt(0)
	v_cmp_ne_u32_e32 vcc, -1, v6
	s_nop 1
	v_cndmask_b32_e64 v15, 0, 1, vcc
	v_cmp_ne_u32_e32 vcc, -1, v7
	s_nop 1
	v_addc_co_u32_e64 v8, s[0:1], 0, v15, vcc
	v_lshlrev_b32_e32 v6, 1, v8
	v_cmp_le_u32_e64 s[0:1], v6, v1
	s_and_saveexec_b64 s[2:3], s[0:1]
	s_xor_b64 s[24:25], exec, s[2:3]
	s_cbranch_execz .LBB17_2657
; %bb.9:
	flat_load_dwordx4 v[10:13], v[2:3] offset:16
	flat_load_dwordx2 v[16:17], v[2:3] offset:104
	flat_load_ushort v7, v[2:3] offset:8
	flat_load_dword v6, v[2:3] offset:4
	s_trap 2
	s_load_dword s0, s[8:9], 0x0
	v_mov_b32_e32 v9, 0
	v_mov_b32_e32 v94, 4
	s_waitcnt lgkmcnt(0)
	s_cmp_lt_u32 s12, s0
	s_cselect_b32 s0, 12, 18
	s_add_u32 s0, s8, s0
	s_addc_u32 s1, s9, 0
	global_load_ushort v22, v9, s[0:1]
	ds_read_b32 v9, v0
	v_cmp_ge_u32_e64 s[0:1], v0, v15
	s_waitcnt lgkmcnt(0)
	v_readfirstlane_b32 s22, v9
	s_and_saveexec_b64 s[2:3], s[0:1]
	s_cbranch_execz .LBB17_19
; %bb.10:
	v_cmp_ge_u32_e64 s[0:1], v0, v8
                                        ; implicit-def: $vgpr94
	s_and_saveexec_b64 s[4:5], s[0:1]
	s_xor_b64 s[0:1], exec, s[4:5]
	s_cbranch_execz .LBB17_16
; %bb.11:
	v_cndmask_b32_e64 v9, 0, 1, vcc
	v_sub_u32_e32 v9, v1, v9
	v_cmp_ge_u32_e32 vcc, v0, v9
	s_and_saveexec_b64 s[4:5], vcc
	s_xor_b64 s[4:5], exec, s[4:5]
; %bb.12:
                                        ; implicit-def: $vgpr8
; %bb.13:
	s_or_saveexec_b64 s[4:5], s[4:5]
	v_mov_b32_e32 v94, 16
	s_xor_b64 exec, exec, s[4:5]
; %bb.14:
	v_sub_u32_e32 v8, v1, v8
	v_cmp_lt_i32_e32 vcc, v0, v8
	s_nop 1
	v_cndmask_b32_e64 v94, 32, 0, vcc
; %bb.15:
	s_or_b64 exec, exec, s[4:5]
.LBB17_16:
	s_andn2_saveexec_b64 s[0:1], s[0:1]
; %bb.17:
	v_mov_b32_e32 v94, 8
; %bb.18:
	s_or_b64 exec, exec, s[0:1]
.LBB17_19:
	s_or_b64 exec, exec, s[2:3]
	v_and_b32_e32 v8, 36, v94
	v_cmp_ne_u32_e32 vcc, 0, v8
	v_mov_b32_e32 v8, -1
	s_and_saveexec_b64 s[0:1], vcc
	s_cbranch_execz .LBB17_21
; %bb.20:
	s_trap 2
	ds_read_b32 v8, v0
.LBB17_21:
	s_or_b64 exec, exec, s[0:1]
	v_and_b32_e32 v9, 24, v94
	v_cmp_ne_u32_e64 s[0:1], 0, v9
	s_and_saveexec_b64 s[2:3], s[0:1]
	s_cbranch_execz .LBB17_23
; %bb.22:
	s_trap 2
	s_waitcnt lgkmcnt(0)
	ds_read_b32 v8, v0
.LBB17_23:
	s_or_b64 exec, exec, s[2:3]
	s_waitcnt vmcnt(0)
	v_lshrrev_b64 v[6:7], 31, v[6:7]
	v_and_b32_e32 v20, 3, v6
	v_mov_b64_e32 v[6:7], 0
	scratch_store_dwordx2 off, v[6:7], s33 offset:272 ; 8-byte Folded Spill
                                        ; implicit-def: $vgpr6_vgpr7
	s_waitcnt lgkmcnt(0)
	v_ashrrev_i32_e32 v9, 31, v8
                                        ; kill: killed $vgpr6_vgpr7
	v_mov_b64_e32 v[6:7], 0
                                        ; implicit-def: $vgpr30
                                        ; implicit-def: $vgpr56_vgpr57
                                        ; implicit-def: $vgpr66_vgpr67
                                        ; implicit-def: $vgpr80_vgpr81
                                        ; implicit-def: $vgpr64_vgpr65
	s_and_saveexec_b64 s[0:1], vcc
	s_cbranch_execz .LBB17_33
; %bb.24:
	s_trap 2
	ds_read_b64 v[6:7], v0
	v_and_b32_e32 v18, 0xffff, v20
	s_movk_i32 s2, 0xa8
	s_waitcnt lgkmcnt(0)
	v_lshl_add_u64 v[6:7], v[8:9], 3, v[6:7]
	flat_load_dwordx2 v[6:7], v[6:7]
	s_waitcnt vmcnt(0) lgkmcnt(0)
	v_mad_u64_u32 v[18:19], s[2:3], v18, s2, v[6:7]
	flat_load_dword v6, v[18:19] offset:640
	s_waitcnt vmcnt(0) lgkmcnt(0)
	v_cmp_eq_u32_e32 vcc, 1, v6
                                        ; implicit-def: $vgpr6_vgpr7
                                        ; kill: killed $vgpr6_vgpr7
	s_and_saveexec_b64 s[2:3], vcc
	s_cbranch_execz .LBB17_26
; %bb.25:
	flat_load_dwordx2 v[24:25], v[18:19] offset:648
	v_or_b32_e32 v94, 0x2000, v94
	s_waitcnt vmcnt(0) lgkmcnt(0)
	flat_load_dwordx2 v[6:7], v[24:25]
	s_trap 2
	scratch_store_dwordx2 off, v[24:25], s33 offset:296 ; 8-byte Folded Spill
	s_waitcnt vmcnt(0) lgkmcnt(0)
	ds_write_b64 v0, v[6:7]
	flat_load_dwordx2 v[6:7], v[24:25] offset:8
	s_waitcnt vmcnt(0) lgkmcnt(0)
	ds_write_b64 v0, v[6:7]
	flat_load_dwordx2 v[6:7], v[24:25] offset:16
	s_waitcnt vmcnt(0) lgkmcnt(0)
	ds_write_b64 v0, v[6:7]
.LBB17_26:
	s_or_b64 exec, exec, s[2:3]
	flat_load_dwordx2 v[6:7], v[18:19] offset:608
	v_and_b32_e32 v21, 32, v94
	v_cmp_ne_u32_e32 vcc, 0, v21
                                        ; implicit-def: $vgpr64_vgpr65
	s_waitcnt vmcnt(0) lgkmcnt(0)
	v_lshl_add_u64 v[56:57], v[6:7], 0, 3
	v_and_b32_e32 v56, -4, v56
	s_and_saveexec_b64 s[2:3], vcc
	s_cbranch_execz .LBB17_28
; %bb.27:
	flat_load_dwordx2 v[64:65], v[18:19] offset:560
	s_waitcnt vmcnt(0) lgkmcnt(0)
	flat_store_dwordx2 v[64:65], v[56:57] sc0 sc1
.LBB17_28:
	s_or_b64 exec, exec, s[2:3]
	s_mov_b64 s[2:3], 0x1f8
	v_lshl_add_u64 v[6:7], v[18:19], 0, s[2:3]
	scratch_store_dwordx2 off, v[6:7], s33 offset:272 ; 8-byte Folded Spill
	v_and_b32_e32 v6, 4, v94
	v_cmp_ne_u32_e32 vcc, 0, v6
	v_mov_b64_e32 v[6:7], 0
                                        ; implicit-def: $vgpr30
                                        ; implicit-def: $vgpr66_vgpr67
                                        ; implicit-def: $vgpr80_vgpr81
	s_and_saveexec_b64 s[2:3], vcc
	s_cbranch_execz .LBB17_32
; %bb.29:
	v_and_b32_e32 v6, 0x800, v94
	v_cmp_eq_u32_e32 vcc, 0, v6
	s_and_saveexec_b64 s[4:5], vcc
	s_cbranch_execz .LBB17_31
; %bb.30:
	s_trap 2
	scratch_load_dwordx2 v[6:7], off, s33 offset:272 ; 8-byte Folded Reload
	s_waitcnt vmcnt(0)
	ds_write_b64 v0, v[6:7]
.LBB17_31:
	s_or_b64 exec, exec, s[4:5]
	flat_load_dwordx2 v[64:65], v[18:19] offset:552
	s_waitcnt vmcnt(0) lgkmcnt(0)
	flat_load_dwordx2 v[80:81], v[64:65] sc0 sc1
	flat_load_dword v21, v[18:19] offset:576
	flat_load_dwordx2 v[6:7], v[18:19] offset:600
	flat_load_dwordx2 v[66:67], v[18:19] offset:520
	v_or_b32_e32 v18, 0x100, v94
	s_waitcnt vmcnt(0) lgkmcnt(0)
	v_ashrrev_i32_e32 v30, 1, v21
	v_cmp_eq_u64_e32 vcc, 0, v[6:7]
	s_nop 1
	v_cndmask_b32_e32 v94, v18, v94, vcc
.LBB17_32:
	s_or_b64 exec, exec, s[2:3]
.LBB17_33:
	s_or_b64 exec, exec, s[0:1]
	v_and_b32_e32 v18, 24, v94
	v_cmp_ne_u32_e32 vcc, 0, v18
                                        ; implicit-def: $vgpr68_vgpr69
	s_and_saveexec_b64 s[0:1], vcc
	s_cbranch_execz .LBB17_41
; %bb.34:
	s_trap 2
	ds_read_b64 v[6:7], v0
	s_movk_i32 s2, 0xa8
	v_or_b32_e32 v18, 0x100, v94
                                        ; implicit-def: $vgpr68_vgpr69
	s_waitcnt lgkmcnt(0)
	v_lshl_add_u64 v[6:7], v[8:9], 3, v[6:7]
	flat_load_dwordx2 v[6:7], v[6:7]
	v_and_b32_e32 v8, 0xffff, v20
	s_waitcnt vmcnt(0) lgkmcnt(0)
	v_mad_u64_u32 v[6:7], s[2:3], v8, s2, v[6:7]
	scratch_store_dwordx2 off, v[6:7], s33 offset:272 ; 8-byte Folded Spill
	flat_load_dwordx4 v[6:9], v[6:7] offset:96
	s_waitcnt vmcnt(0) lgkmcnt(0)
	v_cmp_eq_u64_e32 vcc, 0, v[6:7]
	s_nop 1
	v_cndmask_b32_e32 v94, v18, v94, vcc
	v_and_b32_e32 v18, 16, v94
	v_cmp_ne_u32_e32 vcc, 0, v18
	s_and_saveexec_b64 s[2:3], vcc
	s_cbranch_execz .LBB17_36
; %bb.35:
	scratch_load_dwordx2 v[18:19], off, s33 offset:272 ; 8-byte Folded Reload
	s_waitcnt vmcnt(0)
	flat_load_dwordx2 v[64:65], v[18:19] offset:48
	flat_load_dwordx2 v[68:69], v[18:19] offset:120
	;; [unrolled: 1-line block ×3, first 2 shown]
.LBB17_36:
	s_or_b64 exec, exec, s[2:3]
	v_lshl_add_u64 v[56:57], v[8:9], 0, 3
	v_and_b32_e32 v8, 8, v94
	v_and_b32_e32 v56, -4, v56
	v_cmp_ne_u32_e32 vcc, 0, v8
	s_and_saveexec_b64 s[2:3], vcc
	s_cbranch_execz .LBB17_40
; %bb.37:
	v_and_b32_e32 v8, 0x800, v94
	v_cmp_eq_u32_e32 vcc, 0, v8
	s_and_saveexec_b64 s[4:5], vcc
	s_cbranch_execz .LBB17_39
; %bb.38:
	s_trap 2
	scratch_load_dwordx2 v[8:9], off, s33 offset:272 ; 8-byte Folded Reload
	s_waitcnt vmcnt(0)
	ds_write_b64 v0, v[8:9]
.LBB17_39:
	s_or_b64 exec, exec, s[4:5]
	scratch_load_dwordx2 v[18:19], off, s33 offset:272 ; 8-byte Folded Reload
	s_waitcnt vmcnt(0) lgkmcnt(0)
	flat_load_dwordx2 v[64:65], v[18:19] offset:56
	s_waitcnt vmcnt(0) lgkmcnt(0)
	flat_load_dwordx2 v[80:81], v[64:65] sc0 sc1
	flat_load_dword v8, v[18:19] offset:72
	flat_load_dwordx2 v[66:67], v[18:19] offset:16
	s_waitcnt vmcnt(0) lgkmcnt(0)
	v_ashrrev_i32_e32 v30, 1, v8
.LBB17_40:
	s_or_b64 exec, exec, s[2:3]
.LBB17_41:
	s_or_b64 exec, exec, s[0:1]
	v_cmp_eq_u32_e64 s[0:1], 0, v0
	s_and_saveexec_b64 s[2:3], s[0:1]
	s_cbranch_execz .LBB17_43
; %bb.42:
	flat_load_dwordx2 v[8:9], v[2:3] offset:32
	ds_write2_b64 v0, v[12:13], v[10:11] offset1:1
	s_trap 2
	s_waitcnt vmcnt(0) lgkmcnt(0)
	ds_write_b64 v0, v[8:9]
	ds_write_b64 v0, v[16:17]
.LBB17_43:
	s_or_b64 exec, exec, s[2:3]
	v_mov_b64_e32 v[70:71], 0
	s_trap 2
	v_cmp_lt_i64_e32 vcc, 0, v[4:5]
	s_mov_b64 s[2:3], exec
                                        ; implicit-def: $vgpr126 : SGPR spill to VGPR lane
	v_writelane_b32 v126, s2, 0
	s_nop 1
	v_writelane_b32 v126, s3, 1
	s_and_b64 s[2:3], s[2:3], vcc
	s_mov_b64 exec, s[2:3]
	s_cbranch_execz .LBB17_2623
; %bb.44:
	flat_load_dword v8, v[2:3] offset:4
	s_ashr_i32 s16, s22, 31
	s_lshr_b32 s23, s16, 29
	s_add_i32 s22, s22, s23
	s_ashr_i32 s65, s64, 31
	s_ashr_i32 s23, s22, 4
	v_writelane_b32 v126, s24, 2
	s_add_u32 s76, s64, -1
	s_addc_u32 s77, s65, -1
	v_writelane_b32 v126, s25, 3
	s_add_i32 s66, s64, s64
	s_not_b32 s24, s64
	s_cmp_gt_i32 s64, 0
	s_cselect_b32 s24, s24, -1
	s_ashr_i32 s22, s22, 31
	s_lshr_b32 s22, s22, 29
	s_add_i32 s67, s24, s66
	s_add_i32 s23, s23, s22
	s_ashr_i32 s68, s67, 31
	s_ashr_i32 s69, s23, 3
	s_cmp_gt_i32 s64, 2
	v_lshrrev_b32_e32 v84, 6, v1
	s_cselect_b64 s[78:79], -1, 0
	s_add_i32 s70, s33, 0xf0
	s_add_i32 s71, s33, 0xd0
	;; [unrolled: 1-line block ×7, first 2 shown]
	v_and_b32_e32 v2, 0x1fffff00, v14
	v_mov_b32_e32 v10, 0xfffff000
	v_mov_b32_e32 v11, 0xfffff800
	v_lshlrev_b32_e32 v105, 10, v84
	v_lshlrev_b32_e32 v106, 7, v84
	v_and_b32_e32 v9, 63, v31
	v_and_b32_e32 v95, 63, v0
	v_mad_i64_i32 v[18:19], s[14:15], v2, s64, 0
	v_lshl_add_u32 v100, v84, 12, v10
	v_lshl_add_u32 v112, v84, 11, v11
	v_add_u32_e32 v114, 0xfffffc00, v105
	v_add_u32_e32 v116, 0xffffff80, v106
	v_mov_b32_e32 v3, 0
	v_lshrrev_b32_e32 v104, 6, v0
	s_mov_b64 s[58:59], 0x1000
	s_mov_b64 s[60:61], 0x400
	;; [unrolled: 1-line block ×4, first 2 shown]
	v_cmp_eq_u32_e64 s[14:15], 0, v9
	v_lshlrev_b32_e32 v9, 4, v95
	v_ashrrev_i32_e32 v101, 31, v100
	v_ashrrev_i32_e32 v113, 31, v112
	;; [unrolled: 1-line block ×4, first 2 shown]
	v_cmp_ge_u32_e64 s[2:3], v0, v1
	v_ashrrev_i32_e32 v83, 31, v30
	v_cmp_eq_u32_e64 s[4:5], 64, v1
	v_cmp_ne_u32_e64 s[6:7], 64, v1
	v_cmp_ne_u32_sdwa s[56:57], v1, v22 src0_sel:DWORD src1_sel:WORD_0
	s_mov_b64 s[72:73], 0
	s_waitcnt vmcnt(0) lgkmcnt(0)
	v_cmp_eq_u64_e64 s[10:11], 0, v[68:69]
	v_cmp_ne_u64_e64 s[12:13], 0, v[68:69]
	v_mov_b64_e32 v[86:87], 0
	v_mov_b32_e32 v85, v3
	v_cmp_eq_u32_e64 s[16:17], 0, v95
	v_cmp_lt_u32_e64 s[18:19], v95, v15
	v_mov_b32_e32 v13, v3
	v_cmp_le_u32_e64 s[20:21], v95, v15
	v_mov_b32_e32 v103, v3
	v_lshl_or_b32 v12, v104, 12, v9
	v_lshl_or_b32 v102, v104, 11, v9
	v_lshl_add_u64 v[118:119], v[100:101], 0, s[58:59]
	v_lshl_add_u64 v[40:41], v[112:113], 0, s[74:75]
	;; [unrolled: 1-line block ×4, first 2 shown]
	v_mov_b64_e32 v[70:71], 0
	v_mov_b32_e32 v107, 1
	s_movk_i32 s87, 0x108
	s_mov_b32 s96, 0x7f800000
	v_and_b32_e32 v8, 1, v8
	v_cmp_eq_u32_e64 s[22:23], 1, v8
	s_xor_b64 s[88:89], s[22:23], -1
	s_cmp_ge_i32 s24, s64
	s_cselect_b32 s25, s64, 0
	s_sub_i32 s85, s24, s25
	s_add_i32 s84, s64, -2
	s_ashr_i32 s86, s85, 31
	s_movk_i32 s97, 0x7fff
	s_mov_b32 s46, 0xffff0000
	v_mov_b32_e32 v96, v3
	v_mov_b32_e32 v97, v3
	;; [unrolled: 1-line block ×9, first 2 shown]
	v_mov_b64_e32 v[46:47], v[2:3]
	scratch_store_dword off, v22, s33 offset:292 ; 4-byte Folded Spill
	scratch_store_dword off, v31, s33 offset:288 ; 4-byte Folded Spill
	s_trap 2
	scratch_store_dwordx2 off, v[12:13], s33 offset:256 ; 8-byte Folded Spill
	scratch_store_dwordx2 off, v[124:125], s33 offset:280 ; 8-byte Folded Spill
	;; [unrolled: 1-line block ×3, first 2 shown]
	s_branch .LBB17_47
.LBB17_45:                              ;   in Loop: Header=BB17_47 Depth=1
	s_or_b64 exec, exec, s[24:25]
.LBB17_46:                              ;   in Loop: Header=BB17_47 Depth=1
	s_or_b64 exec, exec, s[28:29]
	s_waitcnt vmcnt(0)
	v_lshl_add_u64 v[86:87], v[86:87], 0, v[18:19]
	v_cmp_ge_i64_e32 vcc, v[86:87], v[4:5]
	s_or_b64 s[72:73], vcc, s[72:73]
	s_andn2_b64 exec, exec, s[72:73]
	s_cbranch_execz .LBB17_2622
.LBB17_47:                              ; =>This Loop Header: Depth=1
                                        ;     Child Loop BB17_62 Depth 2
                                        ;     Child Loop BB17_86 Depth 2
	;; [unrolled: 1-line block ×13, first 2 shown]
                                        ;       Child Loop BB17_305 Depth 3
                                        ;       Child Loop BB17_333 Depth 3
	;; [unrolled: 1-line block ×5, first 2 shown]
                                        ;         Child Loop BB17_586 Depth 4
                                        ;         Child Loop BB17_623 Depth 4
                                        ;       Child Loop BB17_700 Depth 3
                                        ;       Child Loop BB17_807 Depth 3
                                        ;         Child Loop BB17_808 Depth 4
                                        ;         Child Loop BB17_817 Depth 4
                                        ;       Child Loop BB17_836 Depth 3
                                        ;       Child Loop BB17_855 Depth 3
	;; [unrolled: 1-line block ×5, first 2 shown]
                                        ;     Child Loop BB17_957 Depth 2
                                        ;     Child Loop BB17_992 Depth 2
	;; [unrolled: 1-line block ×5, first 2 shown]
                                        ;       Child Loop BB17_1306 Depth 3
                                        ;       Child Loop BB17_1341 Depth 3
	;; [unrolled: 1-line block ×4, first 2 shown]
                                        ;     Child Loop BB17_1417 Depth 2
                                        ;     Child Loop BB17_1425 Depth 2
	;; [unrolled: 1-line block ×3, first 2 shown]
                                        ;       Child Loop BB17_1535 Depth 3
                                        ;       Child Loop BB17_1542 Depth 3
	;; [unrolled: 1-line block ×4, first 2 shown]
                                        ;     Child Loop BB17_1561 Depth 2
                                        ;     Child Loop BB17_1573 Depth 2
                                        ;     Child Loop BB17_1779 Depth 2
                                        ;       Child Loop BB17_1780 Depth 3
                                        ;       Child Loop BB17_1817 Depth 3
                                        ;     Child Loop BB17_1894 Depth 2
                                        ;     Child Loop BB17_2001 Depth 2
                                        ;       Child Loop BB17_2002 Depth 3
                                        ;       Child Loop BB17_2011 Depth 3
                                        ;     Child Loop BB17_2030 Depth 2
                                        ;     Child Loop BB17_2053 Depth 2
	;; [unrolled: 1-line block ×6, first 2 shown]
                                        ;       Child Loop BB17_2084 Depth 3
                                        ;       Child Loop BB17_2124 Depth 3
	;; [unrolled: 1-line block ×5, first 2 shown]
                                        ;         Child Loop BB17_2244 Depth 4
                                        ;         Child Loop BB17_2249 Depth 4
                                        ;       Child Loop BB17_2255 Depth 3
                                        ;       Child Loop BB17_2263 Depth 3
	;; [unrolled: 1-line block ×3, first 2 shown]
                                        ;         Child Loop BB17_2275 Depth 4
                                        ;         Child Loop BB17_2280 Depth 4
                                        ;       Child Loop BB17_2284 Depth 3
                                        ;       Child Loop BB17_2296 Depth 3
	;; [unrolled: 1-line block ×10, first 2 shown]
                                        ;     Child Loop BB17_2397 Depth 2
                                        ;     Child Loop BB17_2421 Depth 2
	;; [unrolled: 1-line block ×12, first 2 shown]
	v_sub_co_u32_e32 v58, vcc, v4, v86
	s_nop 1
	v_subb_co_u32_e32 v59, vcc, v5, v87, vcc
	v_cmp_lt_i64_e32 vcc, v[58:59], v[18:19]
	s_and_saveexec_b64 s[26:27], vcc
	s_cbranch_execz .LBB17_53
; %bb.48:                               ;   in Loop: Header=BB17_47 Depth=1
	v_lshl_add_u64 v[8:9], s[76:77], 0, v[58:59]
	v_or_b32_e32 v11, s65, v9
	v_mov_b32_e32 v10, v3
	v_cmp_ne_u64_e32 vcc, 0, v[10:11]
                                        ; implicit-def: $vgpr10_vgpr11
	s_and_saveexec_b64 s[24:25], vcc
	s_xor_b64 s[28:29], exec, s[24:25]
	s_cbranch_execz .LBB17_50
; %bb.49:                               ;   in Loop: Header=BB17_47 Depth=1
	s_ashr_i32 s40, s65, 31
	s_add_u32 s24, s64, s40
	s_mov_b32 s41, s40
	s_addc_u32 s25, s65, s40
	s_xor_b64 s[42:43], s[24:25], s[40:41]
	v_cvt_f32_u32_e32 v2, s42
	v_cvt_f32_u32_e32 v10, s43
	s_sub_u32 s41, 0, s42
	s_subb_u32 s44, 0, s43
	v_fmac_f32_e32 v2, 0x4f800000, v10
	v_rcp_f32_e32 v2, v2
	s_nop 0
	v_mul_f32_e32 v2, 0x5f7ffffc, v2
	v_mul_f32_e32 v10, 0x2f800000, v2
	v_trunc_f32_e32 v10, v10
	v_fmac_f32_e32 v2, 0xcf800000, v10
	v_cvt_u32_f32_e32 v10, v10
	v_cvt_u32_f32_e32 v2, v2
	v_readfirstlane_b32 s45, v10
	v_readfirstlane_b32 s24, v2
	s_mul_i32 s25, s41, s45
	s_mul_hi_u32 s90, s41, s24
	s_mul_i32 s47, s44, s24
	s_add_i32 s25, s90, s25
	s_add_i32 s25, s25, s47
	s_mul_i32 s91, s41, s24
	s_mul_i32 s90, s24, s25
	s_mul_hi_u32 s92, s24, s91
	s_mul_hi_u32 s47, s24, s25
	s_add_u32 s90, s92, s90
	s_addc_u32 s47, 0, s47
	s_mul_hi_u32 s93, s45, s91
	s_mul_i32 s91, s45, s91
	s_add_u32 s90, s90, s91
	s_mul_hi_u32 s92, s45, s25
	s_addc_u32 s47, s47, s93
	s_addc_u32 s90, s92, 0
	s_mul_i32 s25, s45, s25
	s_add_u32 s25, s47, s25
	s_addc_u32 s47, 0, s90
	s_add_u32 s90, s24, s25
	s_cselect_b64 s[24:25], -1, 0
	s_cmp_lg_u64 s[24:25], 0
	s_addc_u32 s45, s45, s47
	s_mul_i32 s24, s41, s45
	s_mul_hi_u32 s25, s41, s90
	s_add_i32 s24, s25, s24
	s_mul_i32 s44, s44, s90
	s_add_i32 s24, s24, s44
	s_mul_i32 s41, s41, s90
	s_mul_hi_u32 s44, s45, s41
	s_mul_i32 s47, s45, s41
	s_mul_i32 s92, s90, s24
	s_mul_hi_u32 s41, s90, s41
	s_mul_hi_u32 s91, s90, s24
	s_add_u32 s41, s41, s92
	s_addc_u32 s91, 0, s91
	s_add_u32 s41, s41, s47
	s_mul_hi_u32 s25, s45, s24
	s_addc_u32 s41, s91, s44
	s_addc_u32 s25, s25, 0
	s_mul_i32 s24, s45, s24
	s_add_u32 s24, s41, s24
	s_addc_u32 s41, 0, s25
	s_add_u32 s44, s90, s24
	v_ashrrev_i32_e32 v10, 31, v9
	s_cselect_b64 s[24:25], -1, 0
	v_mov_b32_e32 v11, v10
	s_cmp_lg_u64 s[24:25], 0
	v_lshl_add_u64 v[8:9], v[8:9], 0, v[10:11]
	s_addc_u32 s41, s45, s41
	v_xor_b32_e32 v16, v8, v10
	v_xor_b32_e32 v11, v9, v10
	v_mad_u64_u32 v[8:9], s[24:25], v16, s41, 0
	v_mul_hi_u32 v2, v16, s44
	v_lshl_add_u64 v[8:9], v[2:3], 0, v[8:9]
	v_mad_u64_u32 v[14:15], s[24:25], v11, s44, 0
	v_add_co_u32_e32 v2, vcc, v8, v14
	v_mad_u64_u32 v[12:13], s[24:25], v11, s41, 0
	s_nop 0
	v_addc_co_u32_e32 v2, vcc, v9, v15, vcc
	s_nop 1
	v_addc_co_u32_e32 v13, vcc, 0, v13, vcc
	v_lshl_add_u64 v[8:9], v[2:3], 0, v[12:13]
	v_mul_lo_u32 v2, s43, v8
	v_mul_lo_u32 v14, s42, v9
	v_mad_u64_u32 v[12:13], s[24:25], s42, v8, 0
	v_add3_u32 v2, v13, v14, v2
	v_sub_u32_e32 v13, v11, v2
	v_mov_b32_e32 v14, s43
	v_sub_co_u32_e32 v16, vcc, v16, v12
	s_nop 1
	v_subb_co_u32_e64 v12, s[24:25], v13, v14, vcc
	v_subrev_co_u32_e64 v13, s[24:25], s42, v16
	v_subb_co_u32_e32 v2, vcc, v11, v2, vcc
	s_nop 0
	v_subbrev_co_u32_e64 v12, s[24:25], 0, v12, s[24:25]
	v_cmp_le_u32_e64 s[24:25], s43, v12
	v_cmp_le_u32_e32 vcc, s43, v2
	s_nop 0
	v_cndmask_b32_e64 v14, 0, -1, s[24:25]
	v_cmp_le_u32_e64 s[24:25], s42, v13
	v_cndmask_b32_e64 v11, 0, -1, vcc
	v_cmp_le_u32_e32 vcc, s42, v16
	v_cndmask_b32_e64 v13, 0, -1, s[24:25]
	v_cmp_eq_u32_e64 s[24:25], s43, v12
	s_nop 1
	v_cndmask_b32_e64 v17, v14, v13, s[24:25]
	v_lshl_add_u64 v[12:13], v[8:9], 0, 2
	v_lshl_add_u64 v[14:15], v[8:9], 0, 1
	v_cmp_ne_u32_e64 s[24:25], 0, v17
	s_nop 1
	v_cndmask_b32_e64 v13, v15, v13, s[24:25]
	v_cndmask_b32_e64 v15, 0, -1, vcc
	v_cmp_eq_u32_e32 vcc, s43, v2
	s_nop 1
	v_cndmask_b32_e32 v2, v11, v15, vcc
	v_cmp_ne_u32_e32 vcc, 0, v2
	s_nop 1
	v_cndmask_b32_e32 v2, v9, v13, vcc
	v_cndmask_b32_e64 v9, v14, v12, s[24:25]
	v_cndmask_b32_e32 v8, v8, v9, vcc
	v_xor_b32_e32 v9, s40, v10
	v_xor_b32_e32 v8, v8, v9
	;; [unrolled: 1-line block ×3, first 2 shown]
	v_sub_co_u32_e32 v10, vcc, v8, v9
	s_nop 1
	v_subb_co_u32_e32 v11, vcc, v2, v9, vcc
                                        ; implicit-def: $vgpr8_vgpr9
.LBB17_50:                              ;   in Loop: Header=BB17_47 Depth=1
	s_andn2_saveexec_b64 s[24:25], s[28:29]
	s_cbranch_execz .LBB17_52
; %bb.51:                               ;   in Loop: Header=BB17_47 Depth=1
	v_cvt_f32_u32_e32 v2, s64
	s_sub_i32 s28, 0, s64
	v_rcp_iflag_f32_e32 v2, v2
	s_nop 0
	v_mul_f32_e32 v2, 0x4f7ffffe, v2
	v_cvt_u32_f32_e32 v2, v2
	v_mul_lo_u32 v9, s28, v2
	v_mul_hi_u32 v9, v2, v9
	v_add_u32_e32 v2, v2, v9
	v_mul_hi_u32 v2, v8, v2
	v_mul_lo_u32 v9, v2, s64
	v_sub_u32_e32 v8, v8, v9
	v_add_u32_e32 v10, 1, v2
	v_subrev_u32_e32 v9, s64, v8
	v_cmp_le_u32_e32 vcc, s64, v8
	s_nop 1
	v_cndmask_b32_e32 v8, v8, v9, vcc
	v_cndmask_b32_e32 v2, v2, v10, vcc
	v_add_u32_e32 v9, 1, v2
	v_cmp_le_u32_e32 vcc, s64, v8
	s_nop 1
	v_cndmask_b32_e32 v2, v2, v9, vcc
	v_mov_b64_e32 v[10:11], v[2:3]
.LBB17_52:                              ;   in Loop: Header=BB17_47 Depth=1
	s_or_b64 exec, exec, s[24:25]
	v_lshl_add_u64 v[46:47], v[10:11], 0, 7
	v_and_b32_e32 v46, -8, v46
.LBB17_53:                              ;   in Loop: Header=BB17_47 Depth=1
	s_or_b64 exec, exec, s[26:27]
	v_mul_lo_u32 v2, v47, s67
	v_mul_lo_u32 v10, v46, s68
	v_mad_u64_u32 v[8:9], s[24:25], v46, s67, 0
	v_add3_u32 v9, v9, v10, v2
	v_sub_co_u32_e32 v10, vcc, v58, v8
	v_lshl_add_u64 v[60:61], v[86:87], 0, v[124:125]
	s_nop 0
	v_subb_co_u32_e32 v11, vcc, v59, v9, vcc
	v_cmp_lt_i64_e32 vcc, v[46:47], v[10:11]
	v_mov_b32_e32 v2, 0
	s_nop 0
	v_cndmask_b32_e32 v10, v10, v46, vcc
	v_max_i32_e32 v90, 0, v10
	v_add_u32_e32 v11, 15, v90
	v_ashrrev_i32_e32 v12, 31, v11
	v_lshrrev_b32_e32 v12, 28, v12
	v_add_u32_e32 v11, v11, v12
	v_cmp_gt_i32_e32 vcc, 1, v10
	v_and_b32_e32 v11, -16, v11
	s_or_b64 s[26:27], s[2:3], vcc
	v_max_i32_e32 v62, s69, v11
	s_xor_b64 s[24:25], s[26:27], -1
	s_and_saveexec_b64 s[28:29], s[24:25]
	s_cbranch_execz .LBB17_222
; %bb.54:                               ;   in Loop: Header=BB17_47 Depth=1
	s_and_saveexec_b64 s[24:25], s[0:1]
	s_cbranch_execz .LBB17_56
; %bb.55:                               ;   in Loop: Header=BB17_47 Depth=1
	s_trap 2
	ds_read_b64 v[10:11], v0
	s_waitcnt lgkmcnt(0)
	v_lshl_add_u64 v[10:11], v[60:61], 1, v[10:11]
	v_lshl_add_u64 v[8:9], v[8:9], 1, v[10:11]
	ds_write_b64 v0, v[8:9]
	ds_write_b64 v0, v[96:97]
.LBB17_56:                              ;   in Loop: Header=BB17_47 Depth=1
	s_or_b64 exec, exec, s[24:25]
	v_and_b32_e32 v2, 8, v94
	v_min_i32_e32 v62, v62, v90
	v_cmp_ne_u32_e32 vcc, 0, v2
	s_and_saveexec_b64 s[40:41], vcc
	s_cbranch_execz .LBB17_78
; %bb.57:                               ;   in Loop: Header=BB17_47 Depth=1
	s_waitcnt lgkmcnt(0)
	v_lshl_add_u64 v[10:11], v[80:81], 0, 8
	v_lshl_add_u64 v[8:9], v[56:57], 0, 4
	v_cmp_lt_u64_e32 vcc, v[10:11], v[8:9]
	s_and_saveexec_b64 s[42:43], vcc
	s_cbranch_execz .LBB17_69
; %bb.58:                               ;   in Loop: Header=BB17_47 Depth=1
	v_and_b32_e32 v2, 64, v94
	s_mov_b32 s44, 0
	v_cmp_eq_u32_e32 vcc, 0, v2
	s_mov_b64 s[90:91], 0
                                        ; implicit-def: $sgpr92_sgpr93
                                        ; implicit-def: $sgpr94_sgpr95
                                        ; implicit-def: $sgpr30_sgpr31
	s_branch .LBB17_62
.LBB17_59:                              ;   in Loop: Header=BB17_62 Depth=2
	s_waitcnt vmcnt(0) lgkmcnt(0)
	v_lshl_add_u64 v[10:11], v[80:81], 0, 8
	v_cmp_ge_u64_e64 s[24:25], v[10:11], v[8:9]
	s_or_b64 s[38:39], s[38:39], exec
	s_orn2_b64 s[36:37], s[24:25], exec
.LBB17_60:                              ;   in Loop: Header=BB17_62 Depth=2
	s_or_b64 exec, exec, s[50:51]
	s_andn2_b64 s[24:25], s[30:31], exec
	s_and_b64 s[30:31], s[38:39], exec
	s_or_b64 s[30:31], s[24:25], s[30:31]
	s_andn2_b64 s[24:25], s[94:95], exec
	s_and_b64 s[94:95], s[36:37], exec
	s_or_b64 s[94:95], s[24:25], s[94:95]
.LBB17_61:                              ;   in Loop: Header=BB17_62 Depth=2
	s_or_b64 exec, exec, s[34:35]
	s_and_b64 s[24:25], exec, s[94:95]
	s_or_b64 s[90:91], s[24:25], s[90:91]
	s_andn2_b64 s[24:25], s[92:93], exec
	s_and_b64 s[92:93], s[30:31], exec
	s_or_b64 s[92:93], s[24:25], s[92:93]
	s_andn2_b64 exec, exec, s[90:91]
	s_cbranch_execz .LBB17_66
.LBB17_62:                              ;   Parent Loop BB17_47 Depth=1
                                        ; =>  This Inner Loop Header: Depth=2
	s_sleep 1
	s_waitcnt vmcnt(0) lgkmcnt(0)
	flat_load_dwordx2 v[80:81], v[64:65] sc0 sc1
	s_or_b64 s[30:31], s[30:31], exec
	s_or_b64 s[94:95], s[94:95], exec
                                        ; implicit-def: $vgpr2
	s_and_saveexec_b64 s[34:35], vcc
	s_cbranch_execz .LBB17_61
; %bb.63:                               ;   in Loop: Header=BB17_62 Depth=2
	s_cmpk_lt_i32 s44, 0x270f
	s_cselect_b64 s[48:49], -1, 0
	s_cmpk_gt_i32 s44, 0x270e
	s_mov_b64 s[36:37], -1
	s_cbranch_scc0 .LBB17_65
; %bb.64:                               ;   in Loop: Header=BB17_62 Depth=2
	s_trap 2
	ds_read_b64 v[10:11], v0
	s_andn2_b64 s[48:49], s[48:49], exec
	s_mov_b32 s44, 0
	s_mov_b64 s[38:39], 0
	s_waitcnt vmcnt(0) lgkmcnt(0)
	flat_load_dword v2, v[10:11] sc0 sc1
	s_waitcnt vmcnt(0) lgkmcnt(0)
	buffer_inv sc0 sc1
	v_cmp_eq_u32_e64 s[24:25], 0, v2
	s_and_b64 s[24:25], s[24:25], exec
	s_or_b64 s[48:49], s[48:49], s[24:25]
	s_and_saveexec_b64 s[50:51], s[48:49]
	s_cbranch_execz .LBB17_60
	s_branch .LBB17_59
.LBB17_65:                              ;   in Loop: Header=BB17_62 Depth=2
	s_add_i32 s44, s44, 1
	s_mov_b64 s[38:39], -1
                                        ; implicit-def: $vgpr2
	s_and_saveexec_b64 s[50:51], s[48:49]
	s_cbranch_execz .LBB17_60
	s_branch .LBB17_59
.LBB17_66:                              ;   in Loop: Header=BB17_47 Depth=1
	s_or_b64 exec, exec, s[90:91]
	s_xor_b64 s[24:25], s[92:93], -1
	s_and_saveexec_b64 s[44:45], s[24:25]
	s_xor_b64 s[24:25], exec, s[44:45]
	s_cbranch_execz .LBB17_68
; %bb.67:                               ;   in Loop: Header=BB17_47 Depth=1
	v_or_b32_e32 v94, 64, v94
	s_waitcnt lgkmcnt(0)
	ds_write_b32 v0, v2
	s_trap 2
.LBB17_68:                              ;   in Loop: Header=BB17_47 Depth=1
	s_or_b64 exec, exec, s[24:25]
.LBB17_69:                              ;   in Loop: Header=BB17_47 Depth=1
	s_or_b64 exec, exec, s[42:43]
	v_and_b32_e32 v2, 0x100, v94
	v_cmp_ne_u32_e32 vcc, 0, v2
	v_and_b32_e32 v2, 7, v56
	s_mov_b64 s[24:25], -1
	;;#ASMSTART
	s_wakeup
	;;#ASMEND
                                        ; implicit-def: $vgpr10_vgpr11
	s_and_saveexec_b64 s[42:43], vcc
	s_cbranch_execz .LBB17_73
; %bb.70:                               ;   in Loop: Header=BB17_47 Depth=1
	v_mad_u64_u32 v[12:13], s[24:25], v2, 24, v[6:7]
	flat_load_dword v14, v[12:13]
	v_ashrrev_i32_e32 v63, 31, v62
	v_lshlrev_b64 v[10:11], 1, v[62:63]
	flat_store_dwordx2 v[12:13], v[10:11] offset:8
                                        ; implicit-def: $vgpr10_vgpr11
	s_waitcnt vmcnt(0) lgkmcnt(0)
	v_cmp_ne_u32_e32 vcc, 1, v14
	v_cmp_eq_u32_e64 s[24:25], 1, v14
	s_and_saveexec_b64 s[90:91], s[24:25]
	s_cbranch_execz .LBB17_72
; %bb.71:                               ;   in Loop: Header=BB17_47 Depth=1
	flat_load_dword v10, v[12:13] offset:4 sc0 sc1
	s_waitcnt vmcnt(0) lgkmcnt(0)
	v_ashrrev_i32_e32 v11, 31, v10
	v_lshrrev_b64 v[10:11], 1, v[10:11]
.LBB17_72:                              ;   in Loop: Header=BB17_47 Depth=1
	s_or_b64 exec, exec, s[90:91]
	s_orn2_b64 s[24:25], vcc, exec
.LBB17_73:                              ;   in Loop: Header=BB17_47 Depth=1
	s_or_b64 exec, exec, s[42:43]
	s_and_saveexec_b64 s[42:43], s[24:25]
; %bb.74:                               ;   in Loop: Header=BB17_47 Depth=1
	v_mad_i64_i32 v[10:11], s[24:25], v2, v30, 0
; %bb.75:                               ;   in Loop: Header=BB17_47 Depth=1
	s_or_b64 exec, exec, s[42:43]
	v_and_b32_e32 v2, 0x2000, v94
	v_lshl_add_u64 v[10:11], v[10:11], 1, v[66:67]
	v_cmp_ne_u32_e32 vcc, 0, v2
	ds_write_b64 v0, v[10:11] offset:784
	s_and_saveexec_b64 s[24:25], vcc
	s_cbranch_execz .LBB17_77
; %bb.76:                               ;   in Loop: Header=BB17_47 Depth=1
	ds_read_b64 v[10:11], v0 offset:872
	s_waitcnt lgkmcnt(0)
	v_lshl_add_u64 v[10:11], v[10:11], 0, 1
	ds_write_b64 v0, v[10:11] offset:872
.LBB17_77:                              ;   in Loop: Header=BB17_47 Depth=1
	s_or_b64 exec, exec, s[24:25]
	v_mov_b64_e32 v[56:57], v[8:9]
.LBB17_78:                              ;   in Loop: Header=BB17_47 Depth=1
	s_or_b64 exec, exec, s[40:41]
	s_and_saveexec_b64 s[24:25], s[6:7]
	s_cbranch_execz .LBB17_97
; %bb.79:                               ;   in Loop: Header=BB17_47 Depth=1
	s_and_saveexec_b64 s[40:41], s[56:57]
	s_xor_b64 s[40:41], exec, s[40:41]
	s_cbranch_execz .LBB17_94
; %bb.80:                               ;   in Loop: Header=BB17_47 Depth=1
	s_and_saveexec_b64 s[42:43], s[14:15]
	s_cbranch_execz .LBB17_93
; %bb.81:                               ;   in Loop: Header=BB17_47 Depth=1
	s_mov_b64 s[92:93], exec
	v_mbcnt_lo_u32_b32 v2, s92, 0
	v_mbcnt_hi_u32_b32 v2, s93, v2
	v_cmp_eq_u32_e32 vcc, 0, v2
	s_waitcnt lgkmcnt(0)
	s_and_saveexec_b64 s[90:91], vcc
	s_cbranch_execz .LBB17_83
; %bb.82:                               ;   in Loop: Header=BB17_47 Depth=1
	s_bcnt1_i32_b64 s44, s[92:93]
	v_mov_b32_e32 v2, s44
	ds_add_u64 v0, v[2:3]
	s_trap 2
.LBB17_83:                              ;   in Loop: Header=BB17_47 Depth=1
	s_or_b64 exec, exec, s[90:91]
	s_trap 2
	ds_read_b64 v[8:9], v0
	s_waitcnt lgkmcnt(0)
	v_lshl_add_u64 v[70:71], v[70:71], 0, v[84:85]
	v_cmp_lt_u64_e32 vcc, v[8:9], v[70:71]
	s_and_saveexec_b64 s[90:91], vcc
	s_cbranch_execz .LBB17_92
; %bb.84:                               ;   in Loop: Header=BB17_47 Depth=1
	s_mov_b32 s44, 0
	s_mov_b64 s[92:93], 0
                                        ; implicit-def: $sgpr94_sgpr95
                                        ; implicit-def: $sgpr30_sgpr31
	s_branch .LBB17_86
.LBB17_85:                              ;   in Loop: Header=BB17_86 Depth=2
	s_or_b64 exec, exec, s[36:37]
	s_and_b64 vcc, exec, vcc
	s_or_b64 s[92:93], vcc, s[92:93]
	s_andn2_b64 s[94:95], s[94:95], exec
	s_and_b64 vcc, s[30:31], exec
	s_or_b64 s[94:95], s[94:95], vcc
	s_andn2_b64 exec, exec, s[92:93]
	s_cbranch_execz .LBB17_90
.LBB17_86:                              ;   Parent Loop BB17_47 Depth=1
                                        ; =>  This Inner Loop Header: Depth=2
	s_add_i32 s44, s44, 1
	s_cmpk_lg_i32 s44, 0x2710
	s_cselect_b64 s[34:35], -1, 0
	s_and_b64 vcc, exec, s[34:35]
	s_cbranch_vccz .LBB17_88
; %bb.87:                               ;   in Loop: Header=BB17_86 Depth=2
	s_mov_b64 vcc, -1
	s_or_b64 s[30:31], s[30:31], exec
	s_and_saveexec_b64 s[36:37], s[34:35]
	s_cbranch_execz .LBB17_85
	s_branch .LBB17_89
.LBB17_88:                              ;   in Loop: Header=BB17_86 Depth=2
	s_trap 2
	ds_read_b64 v[8:9], v0
	s_andn2_b64 s[34:35], s[34:35], exec
	s_mov_b32 s44, 0
	s_waitcnt vmcnt(0) lgkmcnt(0)
	flat_load_dword v2, v[8:9] sc0 sc1
	s_waitcnt vmcnt(0) lgkmcnt(0)
	buffer_inv sc0 sc1
	v_cmp_eq_u32_e32 vcc, 0, v2
	s_and_b64 vcc, vcc, exec
	s_or_b64 s[34:35], s[34:35], vcc
	s_mov_b64 vcc, -1
	s_or_b64 s[30:31], s[30:31], exec
	s_and_saveexec_b64 s[36:37], s[34:35]
	s_cbranch_execz .LBB17_85
.LBB17_89:                              ;   in Loop: Header=BB17_86 Depth=2
	s_sleep 1
	s_trap 2
	ds_read_b64 v[8:9], v0
	s_waitcnt lgkmcnt(0)
	s_andn2_b64 s[30:31], s[30:31], exec
	v_cmp_ge_u64_e32 vcc, v[8:9], v[70:71]
	s_orn2_b64 vcc, vcc, exec
	s_branch .LBB17_85
.LBB17_90:                              ;   in Loop: Header=BB17_47 Depth=1
	s_or_b64 exec, exec, s[92:93]
	s_and_saveexec_b64 s[44:45], s[94:95]
	s_xor_b64 s[44:45], exec, s[44:45]
	s_cbranch_execz .LBB17_92
; %bb.91:                               ;   in Loop: Header=BB17_47 Depth=1
	ds_write_b32 v0, v107
	s_trap 2
.LBB17_92:                              ;   in Loop: Header=BB17_47 Depth=1
	s_or_b64 exec, exec, s[90:91]
	;;#ASMSTART
	s_wakeup
	;;#ASMEND
.LBB17_93:                              ;   in Loop: Header=BB17_47 Depth=1
	s_or_b64 exec, exec, s[42:43]
.LBB17_94:                              ;   in Loop: Header=BB17_47 Depth=1
	s_andn2_saveexec_b64 s[40:41], s[40:41]
	s_cbranch_execz .LBB17_96
; %bb.95:                               ;   in Loop: Header=BB17_47 Depth=1
	s_waitcnt lgkmcnt(0)
	s_barrier
.LBB17_96:                              ;   in Loop: Header=BB17_47 Depth=1
	s_or_b64 exec, exec, s[40:41]
.LBB17_97:                              ;   in Loop: Header=BB17_47 Depth=1
	s_or_b64 exec, exec, s[24:25]
	s_trap 2
	ds_read_b32 v8, v0
	v_and_b32_e32 v2, 0x4000, v94
	v_cmp_ne_u32_e32 vcc, 0, v2
	s_xor_b64 s[24:25], s[4:5], -1
	s_and_b64 s[40:41], s[24:25], vcc
	s_and_saveexec_b64 s[24:25], s[40:41]
	s_cbranch_execz .LBB17_116
; %bb.98:                               ;   in Loop: Header=BB17_47 Depth=1
	s_and_saveexec_b64 s[40:41], s[56:57]
	s_xor_b64 s[40:41], exec, s[40:41]
	s_cbranch_execz .LBB17_113
; %bb.99:                               ;   in Loop: Header=BB17_47 Depth=1
	s_and_saveexec_b64 s[42:43], s[14:15]
	s_cbranch_execz .LBB17_112
; %bb.100:                              ;   in Loop: Header=BB17_47 Depth=1
	s_mov_b64 s[92:93], exec
	v_mbcnt_lo_u32_b32 v2, s92, 0
	v_mbcnt_hi_u32_b32 v2, s93, v2
	v_cmp_eq_u32_e32 vcc, 0, v2
	s_waitcnt lgkmcnt(0)
	s_and_saveexec_b64 s[90:91], vcc
	s_cbranch_execz .LBB17_102
; %bb.101:                              ;   in Loop: Header=BB17_47 Depth=1
	s_bcnt1_i32_b64 s44, s[92:93]
	v_mov_b32_e32 v2, s44
	ds_add_u64 v0, v[2:3]
	s_trap 2
.LBB17_102:                             ;   in Loop: Header=BB17_47 Depth=1
	s_or_b64 exec, exec, s[90:91]
	s_trap 2
	ds_read_b64 v[10:11], v0
	s_waitcnt lgkmcnt(0)
	v_lshl_add_u64 v[70:71], v[70:71], 0, v[84:85]
	v_cmp_lt_u64_e32 vcc, v[10:11], v[70:71]
	s_and_saveexec_b64 s[90:91], vcc
	s_cbranch_execz .LBB17_111
; %bb.103:                              ;   in Loop: Header=BB17_47 Depth=1
	s_mov_b32 s44, 0
	s_mov_b64 s[92:93], 0
                                        ; implicit-def: $sgpr94_sgpr95
                                        ; implicit-def: $sgpr30_sgpr31
	s_branch .LBB17_105
.LBB17_104:                             ;   in Loop: Header=BB17_105 Depth=2
	s_or_b64 exec, exec, s[36:37]
	s_and_b64 vcc, exec, vcc
	s_or_b64 s[92:93], vcc, s[92:93]
	s_andn2_b64 s[94:95], s[94:95], exec
	s_and_b64 vcc, s[30:31], exec
	s_or_b64 s[94:95], s[94:95], vcc
	s_andn2_b64 exec, exec, s[92:93]
	s_cbranch_execz .LBB17_109
.LBB17_105:                             ;   Parent Loop BB17_47 Depth=1
                                        ; =>  This Inner Loop Header: Depth=2
	s_add_i32 s44, s44, 1
	s_cmpk_lg_i32 s44, 0x2710
	s_cselect_b64 s[34:35], -1, 0
	s_and_b64 vcc, exec, s[34:35]
	s_cbranch_vccz .LBB17_107
; %bb.106:                              ;   in Loop: Header=BB17_105 Depth=2
	s_mov_b64 vcc, -1
	s_or_b64 s[30:31], s[30:31], exec
	s_and_saveexec_b64 s[36:37], s[34:35]
	s_cbranch_execz .LBB17_104
	s_branch .LBB17_108
.LBB17_107:                             ;   in Loop: Header=BB17_105 Depth=2
	s_trap 2
	ds_read_b64 v[10:11], v0
	s_andn2_b64 s[34:35], s[34:35], exec
	s_mov_b32 s44, 0
	s_waitcnt vmcnt(0) lgkmcnt(0)
	flat_load_dword v2, v[10:11] sc0 sc1
	s_waitcnt vmcnt(0) lgkmcnt(0)
	buffer_inv sc0 sc1
	v_cmp_eq_u32_e32 vcc, 0, v2
	s_and_b64 vcc, vcc, exec
	s_or_b64 s[34:35], s[34:35], vcc
	s_mov_b64 vcc, -1
	s_or_b64 s[30:31], s[30:31], exec
	s_and_saveexec_b64 s[36:37], s[34:35]
	s_cbranch_execz .LBB17_104
.LBB17_108:                             ;   in Loop: Header=BB17_105 Depth=2
	s_sleep 1
	s_trap 2
	ds_read_b64 v[10:11], v0
	s_waitcnt lgkmcnt(0)
	s_andn2_b64 s[30:31], s[30:31], exec
	v_cmp_ge_u64_e32 vcc, v[10:11], v[70:71]
	s_orn2_b64 vcc, vcc, exec
	s_branch .LBB17_104
.LBB17_109:                             ;   in Loop: Header=BB17_47 Depth=1
	s_or_b64 exec, exec, s[92:93]
	s_and_saveexec_b64 s[44:45], s[94:95]
	s_xor_b64 s[44:45], exec, s[44:45]
	s_cbranch_execz .LBB17_111
; %bb.110:                              ;   in Loop: Header=BB17_47 Depth=1
	ds_write_b32 v0, v107
	s_trap 2
.LBB17_111:                             ;   in Loop: Header=BB17_47 Depth=1
	s_or_b64 exec, exec, s[90:91]
	;;#ASMSTART
	s_wakeup
	;;#ASMEND
.LBB17_112:                             ;   in Loop: Header=BB17_47 Depth=1
	s_or_b64 exec, exec, s[42:43]
.LBB17_113:                             ;   in Loop: Header=BB17_47 Depth=1
	s_andn2_saveexec_b64 s[40:41], s[40:41]
	s_cbranch_execz .LBB17_115
; %bb.114:                              ;   in Loop: Header=BB17_47 Depth=1
	s_waitcnt lgkmcnt(0)
	s_barrier
.LBB17_115:                             ;   in Loop: Header=BB17_47 Depth=1
	s_or_b64 exec, exec, s[40:41]
.LBB17_116:                             ;   in Loop: Header=BB17_47 Depth=1
	s_or_b64 exec, exec, s[24:25]
	s_trap 2
	ds_read_b64 v[72:73], v0
	s_waitcnt lgkmcnt(0)
	v_cmp_eq_u64_e32 vcc, 0, v[72:73]
	s_cbranch_vccnz .LBB17_124
; %bb.117:                              ;   in Loop: Header=BB17_47 Depth=1
	s_trap 2
	ds_read_b64 v[74:75], v0
	s_waitcnt lgkmcnt(0)
	v_cmp_eq_u64_e32 vcc, 0, v[74:75]
	s_cbranch_vccnz .LBB17_124
; %bb.118:                              ;   in Loop: Header=BB17_47 Depth=1
	s_mov_b64 s[40:41], -1
	s_and_saveexec_b64 s[24:25], s[16:17]
	s_cbranch_execz .LBB17_120
; %bb.119:                              ;   in Loop: Header=BB17_47 Depth=1
	ds_read_b32 v2, v0 offset:720
	s_waitcnt lgkmcnt(0)
	v_and_b32_e32 v2, 15, v2
	v_cmp_eq_u32_e32 vcc, 0, v2
	s_orn2_b64 s[40:41], vcc, exec
.LBB17_120:                             ;   in Loop: Header=BB17_47 Depth=1
	s_or_b64 exec, exec, s[24:25]
	s_and_saveexec_b64 s[24:25], s[18:19]
	s_cbranch_execz .LBB17_122
; %bb.121:                              ;   in Loop: Header=BB17_47 Depth=1
	ds_read_b32 v2, v0 offset:784
	s_waitcnt lgkmcnt(0)
	v_and_b32_e32 v2, 15, v2
	v_cmp_eq_u32_e32 vcc, 0, v2
	s_and_b64 s[42:43], s[40:41], vcc
	s_andn2_b64 s[40:41], s[40:41], exec
	s_and_b64 s[42:43], s[42:43], exec
	s_or_b64 s[40:41], s[40:41], s[42:43]
.LBB17_122:                             ;   in Loop: Header=BB17_47 Depth=1
	s_or_b64 exec, exec, s[24:25]
	s_xor_b64 s[40:41], s[40:41], -1
	v_cndmask_b32_e64 v2, 0, 1, s[40:41]
	v_cmp_eq_u32_e64 s[24:25], 0, v8
	s_mov_b64 s[42:43], -1
	v_cmp_ne_u32_e32 vcc, 0, v2
	s_cbranch_vccz .LBB17_125
; %bb.123:                              ;   in Loop: Header=BB17_47 Depth=1
	s_mov_b64 s[42:43], 0
	s_mov_b64 s[40:41], -1
	s_branch .LBB17_126
.LBB17_124:                             ;   in Loop: Header=BB17_47 Depth=1
	s_mov_b64 s[24:25], 0
	s_and_saveexec_b64 s[40:41], s[6:7]
	s_cbranch_execnz .LBB17_176
	s_branch .LBB17_194
.LBB17_125:                             ;   in Loop: Header=BB17_47 Depth=1
	s_mov_b64 s[40:41], 0
.LBB17_126:                             ;   in Loop: Header=BB17_47 Depth=1
	v_cndmask_b32_e64 v2, 0, v62, s[24:25]
	v_lshlrev_b32_e32 v63, 1, v2
	s_andn2_b64 vcc, exec, s[42:43]
	v_mov_b32_e32 v14, 0
	s_cbranch_vccnz .LBB17_134
; %bb.127:                              ;   in Loop: Header=BB17_47 Depth=1
	v_ashrrev_i32_e32 v8, 31, v63
	v_lshrrev_b32_e32 v8, 20, v8
	v_add_u32_e32 v8, v63, v8
	v_ashrrev_i32_e32 v52, 12, v8
	scratch_load_dwordx2 v[8:9], off, s33 offset:256 ; 8-byte Folded Reload
	v_sub_u32_e32 v28, v52, v104
	v_cmp_lt_i32_e32 vcc, 0, v28
	s_mov_b64 s[42:43], 0
                                        ; implicit-def: $vgpr12_vgpr13
                                        ; implicit-def: $vgpr16_vgpr17
                                        ; implicit-def: $vgpr20_vgpr21
	s_waitcnt vmcnt(0)
	v_lshl_add_u64 v[76:77], v[74:75], 0, v[8:9]
                                        ; implicit-def: $vgpr8_vgpr9
	s_and_saveexec_b64 s[24:25], vcc
	s_cbranch_execz .LBB17_136
; %bb.128:                              ;   in Loop: Header=BB17_47 Depth=1
	scratch_load_dwordx2 v[8:9], off, s33 offset:256 ; 8-byte Folded Reload
	s_mov_b64 s[92:93], 0
                                        ; implicit-def: $sgpr90_sgpr91
                                        ; implicit-def: $vgpr12_vgpr13
                                        ; implicit-def: $vgpr16_vgpr17
                                        ; implicit-def: $vgpr20_vgpr21
	s_waitcnt vmcnt(0)
	v_lshl_add_u64 v[78:79], v[72:73], 0, v[8:9]
                                        ; implicit-def: $vgpr8_vgpr9
	s_branch .LBB17_130
.LBB17_129:                             ;   in Loop: Header=BB17_130 Depth=2
	s_or_b64 exec, exec, s[94:95]
	v_sub_u32_e32 v28, v28, v29
	v_cmp_gt_i32_e32 vcc, 1, v28
	s_or_b64 s[42:43], vcc, s[42:43]
	s_waitcnt vmcnt(3)
	global_store_dwordx4 v[76:77], v[24:27], off
	s_waitcnt vmcnt(3)
	global_store_dwordx4 v[76:77], v[32:35], off offset:1024
	s_waitcnt vmcnt(3)
	global_store_dwordx4 v[76:77], v[36:39], off offset:2048
	;; [unrolled: 2-line block ×3, first 2 shown]
	v_lshl_add_u64 v[24:25], v[76:77], 0, v[88:89]
	s_andn2_b64 s[44:45], s[90:91], exec
	s_and_b64 s[90:91], s[92:93], exec
	v_lshl_add_u64 v[76:77], v[24:25], 0, s[58:59]
	v_lshl_add_u64 v[78:79], v[78:79], 0, v[88:89]
	s_or_b64 s[90:91], s[44:45], s[90:91]
	s_andn2_b64 exec, exec, s[42:43]
	s_cbranch_execz .LBB17_135
.LBB17_130:                             ;   Parent Loop BB17_47 Depth=1
                                        ; =>  This Inner Loop Header: Depth=2
	global_load_dwordx4 v[24:27], v[78:79], off nt
	global_load_dwordx4 v[32:35], v[78:79], off offset:1024 nt
	global_load_dwordx4 v[36:39], v[78:79], off offset:2048 nt
	;; [unrolled: 1-line block ×3, first 2 shown]
	s_and_saveexec_b64 s[94:95], s[92:93]
	s_cbranch_execz .LBB17_132
; %bb.131:                              ;   in Loop: Header=BB17_130 Depth=2
	global_store_dwordx4 v[76:77], v[8:11], off
	global_store_dwordx4 v[76:77], v[12:15], off offset:1024
	global_store_dwordx4 v[76:77], v[16:19], off offset:2048
	;; [unrolled: 1-line block ×3, first 2 shown]
	v_lshl_add_u64 v[76:77], v[76:77], 0, v[118:119]
.LBB17_132:                             ;   in Loop: Header=BB17_130 Depth=2
	s_or_b64 exec, exec, s[94:95]
	v_sub_u32_e32 v28, v28, v84
	v_lshl_add_u64 v[78:79], v[78:79], 0, v[118:119]
	v_mov_b32_e32 v29, 0
	v_cmp_lt_i32_e64 s[92:93], 0, v28
	v_mov_b64_e32 v[88:89], 0
	s_and_saveexec_b64 s[94:95], s[92:93]
	s_cbranch_execz .LBB17_129
; %bb.133:                              ;   in Loop: Header=BB17_130 Depth=2
	global_load_dwordx4 v[8:11], v[78:79], off nt
	global_load_dwordx4 v[12:15], v[78:79], off offset:1024 nt
	global_load_dwordx4 v[16:19], v[78:79], off offset:2048 nt
	;; [unrolled: 1-line block ×3, first 2 shown]
	v_lshl_add_u64 v[78:79], v[78:79], 0, s[58:59]
	v_mov_b32_e32 v29, v84
	v_mov_b64_e32 v[88:89], v[100:101]
	s_branch .LBB17_129
.LBB17_134:                             ;   in Loop: Header=BB17_47 Depth=1
	v_mov_b32_e32 v8, v0
	v_mov_b32_e32 v15, v95
	s_and_saveexec_b64 s[24:25], s[40:41]
	s_cbranch_execnz .LBB17_155
	s_branch .LBB17_175
.LBB17_135:                             ;   in Loop: Header=BB17_47 Depth=1
	s_or_b64 exec, exec, s[42:43]
	s_and_b64 s[42:43], s[90:91], exec
.LBB17_136:                             ;   in Loop: Header=BB17_47 Depth=1
	s_or_b64 exec, exec, s[24:25]
	s_and_saveexec_b64 s[24:25], s[42:43]
	s_cbranch_execz .LBB17_138
; %bb.137:                              ;   in Loop: Header=BB17_47 Depth=1
	global_store_dwordx4 v[76:77], v[8:11], off
	global_store_dwordx4 v[76:77], v[12:15], off offset:1024
	global_store_dwordx4 v[76:77], v[16:19], off offset:2048
	;; [unrolled: 1-line block ×3, first 2 shown]
.LBB17_138:                             ;   in Loop: Header=BB17_47 Depth=1
	s_or_b64 exec, exec, s[24:25]
	s_nop 0
	v_lshlrev_b32_e32 v20, 12, v52
	v_cmp_ne_u32_e32 vcc, v63, v20
                                        ; implicit-def: $vgpr14
                                        ; implicit-def: $vgpr8
                                        ; implicit-def: $vgpr15
	s_and_saveexec_b64 s[42:43], vcc
	s_cbranch_execz .LBB17_154
; %bb.139:                              ;   in Loop: Header=BB17_47 Depth=1
	v_lshlrev_b32_e32 v9, 6, v28
	v_sub_u32_e32 v9, v95, v9
	v_ashrrev_i32_e32 v10, 31, v9
	v_lshrrev_b32_e32 v10, 26, v10
	v_add_u32_e32 v10, v9, v10
	v_ashrrev_i32_e32 v11, 6, v10
	v_and_b32_e32 v10, 0xffffffc0, v10
	v_sub_u32_e32 v21, v9, v10
	v_lshlrev_b32_e32 v9, 4, v21
	v_sub_u32_e32 v8, v63, v20
	v_lshl_add_u32 v9, v11, 10, v9
	v_add_u32_e32 v10, v9, v20
	v_sub_u32_e32 v25, v8, v9
	v_ashrrev_i32_e32 v9, 31, v8
	v_lshrrev_b32_e32 v9, 22, v9
	v_add_u32_e32 v9, v8, v9
	v_and_b32_e32 v22, 0xfffffc00, v9
	v_sub_u32_e32 v24, v8, v22
	v_ashrrev_i32_e32 v12, 10, v9
	v_cmp_lt_i32_e32 vcc, 15, v24
	s_mov_b64 s[92:93], 0
	s_nop 0
	v_addc_co_u32_e64 v8, s[24:25], 0, v12, vcc
	v_sub_u32_e32 v23, v8, v11
	v_ashrrev_i32_e32 v11, 31, v10
	v_lshl_add_u64 v[16:17], v[10:11], 0, v[74:75]
	v_cmp_lt_i32_e64 s[24:25], 15, v25
                                        ; implicit-def: $vgpr8_vgpr9
	s_and_saveexec_b64 s[90:91], s[24:25]
	s_cbranch_execz .LBB17_149
; %bb.140:                              ;   in Loop: Header=BB17_47 Depth=1
	v_lshl_add_u64 v[18:19], v[10:11], 0, v[72:73]
	s_mov_b64 s[30:31], 0
                                        ; implicit-def: $sgpr94_sgpr95
                                        ; implicit-def: $vgpr8_vgpr9
	s_branch .LBB17_142
.LBB17_141:                             ;   in Loop: Header=BB17_142 Depth=2
	s_or_b64 exec, exec, s[24:25]
	v_cmp_gt_i32_e64 s[24:25], 16, v25
	s_or_b64 s[92:93], s[24:25], s[92:93]
	s_andn2_b64 s[24:25], s[94:95], exec
	s_and_b64 s[44:45], s[30:31], exec
	s_or_b64 s[94:95], s[24:25], s[44:45]
	s_andn2_b64 exec, exec, s[92:93]
	s_cbranch_execz .LBB17_148
.LBB17_142:                             ;   Parent Loop BB17_47 Depth=1
                                        ; =>  This Inner Loop Header: Depth=2
	global_load_dwordx4 v[12:15], v[18:19], off nt
	s_and_saveexec_b64 s[24:25], s[30:31]
	s_cbranch_execz .LBB17_144
; %bb.143:                              ;   in Loop: Header=BB17_142 Depth=2
	v_lshl_add_u64 v[26:27], v[16:17], 0, v[42:43]
	global_store_dwordx4 v[16:17], v[8:11], off
	v_mov_b64_e32 v[16:17], v[26:27]
.LBB17_144:                             ;   in Loop: Header=BB17_142 Depth=2
	s_or_b64 exec, exec, s[24:25]
	v_sub_u32_e32 v25, v25, v105
	v_lshl_add_u64 v[18:19], v[18:19], 0, v[42:43]
	v_cmp_lt_i32_e64 s[30:31], 15, v25
	s_and_saveexec_b64 s[24:25], s[30:31]
	s_cbranch_execz .LBB17_146
; %bb.145:                              ;   in Loop: Header=BB17_142 Depth=2
	global_load_dwordx4 v[8:11], v[18:19], off nt
	v_lshl_add_u64 v[18:19], v[18:19], 0, s[60:61]
.LBB17_146:                             ;   in Loop: Header=BB17_142 Depth=2
	s_or_b64 exec, exec, s[24:25]
	v_sub_u32_e32 v23, v23, v84
	s_waitcnt vmcnt(0)
	global_store_dwordx4 v[16:17], v[12:15], off
	v_lshl_add_u64 v[16:17], v[16:17], 0, s[60:61]
	s_and_saveexec_b64 s[24:25], s[30:31]
	s_cbranch_execz .LBB17_141
; %bb.147:                              ;   in Loop: Header=BB17_142 Depth=2
	v_sub_u32_e32 v23, v23, v84
	v_sub_u32_e32 v25, v25, v105
	v_lshl_add_u64 v[18:19], v[18:19], 0, v[114:115]
	v_lshl_add_u64 v[16:17], v[16:17], 0, v[114:115]
	s_branch .LBB17_141
.LBB17_148:                             ;   in Loop: Header=BB17_47 Depth=1
	s_or_b64 exec, exec, s[92:93]
	s_and_b64 s[92:93], s[94:95], exec
.LBB17_149:                             ;   in Loop: Header=BB17_47 Depth=1
	s_or_b64 exec, exec, s[90:91]
	s_and_saveexec_b64 s[24:25], s[92:93]
	s_cbranch_execz .LBB17_151
; %bb.150:                              ;   in Loop: Header=BB17_47 Depth=1
	global_store_dwordx4 v[16:17], v[8:11], off
.LBB17_151:                             ;   in Loop: Header=BB17_47 Depth=1
	s_or_b64 exec, exec, s[24:25]
	s_nop 0
	v_and_b32_e32 v9, 14, v63
	v_cndmask_b32_e32 v63, v24, v9, vcc
	v_cmp_ne_u32_e64 s[24:25], 0, v63
	s_mov_b64 s[92:93], s[40:41]
                                        ; implicit-def: $vgpr14
                                        ; implicit-def: $vgpr8
                                        ; implicit-def: $vgpr15
	s_and_saveexec_b64 s[90:91], s[24:25]
	s_cbranch_execz .LBB17_153
; %bb.152:                              ;   in Loop: Header=BB17_47 Depth=1
	v_sub_u32_e32 v8, v24, v9
	v_cndmask_b32_e32 v8, 0, v8, vcc
	v_cmp_lt_i32_e32 vcc, 0, v23
	v_add3_u32 v14, v22, v20, v8
	s_or_b64 s[92:93], s[40:41], exec
	v_cndmask_b32_e32 v8, 0, v84, vcc
	v_sub_u32_e32 v8, v8, v23
	v_lshl_add_u32 v8, v8, 6, v21
	v_ashrrev_i32_e32 v9, 31, v8
	v_lshrrev_b32_e32 v9, 26, v9
	v_add_u32_e32 v9, v8, v9
	v_and_b32_e32 v9, 0xffffffc0, v9
	v_sub_u32_e32 v15, v8, v9
.LBB17_153:                             ;   in Loop: Header=BB17_47 Depth=1
	s_or_b64 exec, exec, s[90:91]
	s_andn2_b64 s[24:25], s[40:41], exec
	s_and_b64 s[40:41], s[92:93], exec
	s_or_b64 s[40:41], s[24:25], s[40:41]
.LBB17_154:                             ;   in Loop: Header=BB17_47 Depth=1
	s_or_b64 exec, exec, s[42:43]
	s_and_saveexec_b64 s[24:25], s[40:41]
	s_cbranch_execz .LBB17_175
.LBB17_155:                             ;   in Loop: Header=BB17_47 Depth=1
	v_ashrrev_i32_e32 v9, 31, v8
	v_lshrrev_b32_e32 v9, 26, v9
	v_add_u32_e32 v8, v8, v9
	v_ashrrev_i32_e32 v8, 6, v8
	v_lshlrev_b32_e32 v9, 10, v8
	v_lshlrev_b32_e32 v10, 1, v15
	v_add3_u32 v10, v14, v10, v9
	v_ashrrev_i32_e32 v9, 31, v63
	v_lshrrev_b32_e32 v9, 22, v9
	v_add_u32_e32 v9, v63, v9
	v_ashrrev_i32_e32 v16, 10, v9
	v_sub_u32_e32 v12, v16, v8
	v_ashrrev_i32_e32 v11, 31, v10
	v_lshl_add_u64 v[8:9], v[74:75], 0, v[10:11]
	v_cmp_lt_i32_e32 vcc, 0, v12
	s_mov_b64 s[42:43], 0
                                        ; implicit-def: $vgpr17
                                        ; implicit-def: $vgpr18
                                        ; implicit-def: $vgpr19
                                        ; implicit-def: $vgpr20
                                        ; implicit-def: $vgpr21
                                        ; implicit-def: $vgpr22
                                        ; implicit-def: $vgpr23
                                        ; implicit-def: $vgpr24
	s_and_saveexec_b64 s[40:41], vcc
	s_cbranch_execz .LBB17_163
; %bb.156:                              ;   in Loop: Header=BB17_47 Depth=1
	v_lshl_add_u64 v[10:11], v[10:11], 0, v[72:73]
	s_mov_b64 s[92:93], 0
                                        ; implicit-def: $sgpr90_sgpr91
                                        ; implicit-def: $vgpr17
                                        ; implicit-def: $vgpr18
                                        ; implicit-def: $vgpr19
                                        ; implicit-def: $vgpr20
                                        ; implicit-def: $vgpr21
                                        ; implicit-def: $vgpr22
                                        ; implicit-def: $vgpr23
                                        ; implicit-def: $vgpr24
	s_branch .LBB17_158
.LBB17_157:                             ;   in Loop: Header=BB17_158 Depth=2
	s_or_b64 exec, exec, s[94:95]
	s_waitcnt vmcnt(0) lgkmcnt(0)
	flat_store_short v[8:9], v25 nt
	flat_store_short v[8:9], v26 offset:128 nt
	flat_store_short v[8:9], v27 offset:256 nt
	;; [unrolled: 1-line block ×7, first 2 shown]
	v_lshl_add_u64 v[8:9], v[8:9], 0, v[12:13]
	v_lshl_add_u64 v[10:11], v[10:11], 0, v[12:13]
	v_sub_u32_e32 v12, v35, v36
	v_cmp_gt_i32_e32 vcc, 1, v12
	s_or_b64 s[42:43], vcc, s[42:43]
	s_andn2_b64 s[44:45], s[90:91], exec
	s_and_b64 s[90:91], s[92:93], exec
	v_lshl_add_u64 v[8:9], v[8:9], 0, s[60:61]
	s_or_b64 s[90:91], s[44:45], s[90:91]
	s_andn2_b64 exec, exec, s[42:43]
	s_cbranch_execz .LBB17_162
.LBB17_158:                             ;   Parent Loop BB17_47 Depth=1
                                        ; =>  This Inner Loop Header: Depth=2
	flat_load_ushort v25, v[10:11] nt
	flat_load_ushort v26, v[10:11] offset:128 nt
	flat_load_ushort v27, v[10:11] offset:256 nt
	;; [unrolled: 1-line block ×7, first 2 shown]
	s_and_saveexec_b64 s[94:95], s[92:93]
	s_cbranch_execz .LBB17_160
; %bb.159:                              ;   in Loop: Header=BB17_158 Depth=2
	flat_store_short v[8:9], v17 nt
	flat_store_short v[8:9], v18 offset:128 nt
	flat_store_short v[8:9], v19 offset:256 nt
	flat_store_short v[8:9], v20 offset:384 nt
	flat_store_short v[8:9], v21 offset:512 nt
	flat_store_short v[8:9], v22 offset:640 nt
	flat_store_short v[8:9], v23 offset:768 nt
	flat_store_short v[8:9], v24 offset:896 nt
	v_lshl_add_u64 v[8:9], v[8:9], 0, v[42:43]
.LBB17_160:                             ;   in Loop: Header=BB17_158 Depth=2
	s_or_b64 exec, exec, s[94:95]
	v_sub_u32_e32 v35, v12, v84
	v_lshl_add_u64 v[10:11], v[10:11], 0, v[42:43]
	v_mov_b32_e32 v36, 0
	v_cmp_lt_i32_e64 s[92:93], 0, v35
	v_mov_b64_e32 v[12:13], 0
	s_and_saveexec_b64 s[94:95], s[92:93]
	s_cbranch_execz .LBB17_157
; %bb.161:                              ;   in Loop: Header=BB17_158 Depth=2
	flat_load_ushort v17, v[10:11] nt
	flat_load_ushort v18, v[10:11] offset:128 nt
	flat_load_ushort v19, v[10:11] offset:256 nt
	;; [unrolled: 1-line block ×7, first 2 shown]
	v_lshl_add_u64 v[10:11], v[10:11], 0, s[60:61]
	v_mov_b32_e32 v36, v84
	v_mov_b64_e32 v[12:13], v[114:115]
	s_branch .LBB17_157
.LBB17_162:                             ;   in Loop: Header=BB17_47 Depth=1
	s_or_b64 exec, exec, s[42:43]
	s_and_b64 s[42:43], s[90:91], exec
.LBB17_163:                             ;   in Loop: Header=BB17_47 Depth=1
	s_or_b64 exec, exec, s[40:41]
	s_and_saveexec_b64 s[40:41], s[42:43]
	s_cbranch_execz .LBB17_165
; %bb.164:                              ;   in Loop: Header=BB17_47 Depth=1
	flat_store_short v[8:9], v17 nt
	flat_store_short v[8:9], v18 offset:128 nt
	flat_store_short v[8:9], v19 offset:256 nt
	;; [unrolled: 1-line block ×7, first 2 shown]
.LBB17_165:                             ;   in Loop: Header=BB17_47 Depth=1
	s_or_b64 exec, exec, s[40:41]
	v_lshlrev_b32_e32 v8, 10, v16
	v_cmp_ne_u32_e32 vcc, v63, v8
	s_and_b64 exec, exec, vcc
	s_cbranch_execz .LBB17_175
; %bb.166:                              ;   in Loop: Header=BB17_47 Depth=1
	v_lshlrev_b32_e32 v9, 6, v12
	v_sub_u32_e32 v9, v15, v9
	v_ashrrev_i32_e32 v10, 31, v9
	v_lshrrev_b32_e32 v10, 26, v10
	v_add_u32_e32 v10, v9, v10
	v_and_b32_e32 v11, 0x7fffffc0, v10
	v_sub_u32_e32 v9, v9, v11
	v_lshlrev_b32_e32 v10, 1, v10
	v_and_b32_e32 v10, 0xffffff80, v10
	v_lshlrev_b32_e32 v9, 1, v9
	v_add3_u32 v8, v10, v9, v8
	v_sub_u32_e32 v12, v63, v8
	v_cmp_lt_i32_e32 vcc, 1, v12
	s_and_b64 exec, exec, vcc
	s_cbranch_execz .LBB17_175
; %bb.167:                              ;   in Loop: Header=BB17_47 Depth=1
	v_add_u32_e32 v10, v8, v14
	v_ashrrev_i32_e32 v11, 31, v10
	v_lshl_add_u64 v[8:9], v[74:75], 0, v[10:11]
	v_lshl_add_u64 v[10:11], v[10:11], 0, v[72:73]
	s_mov_b64 s[90:91], 0
	s_mov_b64 s[40:41], 0
                                        ; implicit-def: $sgpr42_sgpr43
                                        ; implicit-def: $vgpr14
	s_branch .LBB17_169
.LBB17_168:                             ;   in Loop: Header=BB17_169 Depth=2
	s_or_b64 exec, exec, s[92:93]
	s_waitcnt vmcnt(0) lgkmcnt(0)
	flat_store_short v[8:9], v15 nt
	v_lshl_add_u64 v[8:9], v[8:9], 0, v[12:13]
	v_lshl_add_u64 v[10:11], v[10:11], 0, v[12:13]
	v_sub_u32_e32 v12, v16, v17
	v_cmp_gt_i32_e32 vcc, 2, v12
	s_or_b64 s[40:41], vcc, s[40:41]
	s_andn2_b64 s[42:43], s[42:43], exec
	s_and_b64 s[44:45], s[90:91], exec
	v_lshl_add_u64 v[8:9], v[8:9], 0, s[62:63]
	s_or_b64 s[42:43], s[42:43], s[44:45]
	s_andn2_b64 exec, exec, s[40:41]
	s_cbranch_execz .LBB17_173
.LBB17_169:                             ;   Parent Loop BB17_47 Depth=1
                                        ; =>  This Inner Loop Header: Depth=2
	flat_load_ushort v15, v[10:11] nt
	s_and_saveexec_b64 s[92:93], s[90:91]
	s_cbranch_execz .LBB17_171
; %bb.170:                              ;   in Loop: Header=BB17_169 Depth=2
	v_lshl_add_u64 v[16:17], v[8:9], 0, v[44:45]
	flat_store_short v[8:9], v14 nt
	v_mov_b64_e32 v[8:9], v[16:17]
.LBB17_171:                             ;   in Loop: Header=BB17_169 Depth=2
	s_or_b64 exec, exec, s[92:93]
	v_sub_u32_e32 v16, v12, v106
	v_lshl_add_u64 v[10:11], v[10:11], 0, v[44:45]
	v_cmp_lt_i32_e64 s[90:91], 1, v16
	v_mov_b64_e32 v[12:13], 0
	v_mov_b32_e32 v17, 0
	s_and_saveexec_b64 s[92:93], s[90:91]
	s_cbranch_execz .LBB17_168
; %bb.172:                              ;   in Loop: Header=BB17_169 Depth=2
	flat_load_ushort v14, v[10:11] nt
	v_lshl_add_u64 v[10:11], v[10:11], 0, s[62:63]
	v_mov_b32_e32 v17, v106
	v_mov_b64_e32 v[12:13], v[116:117]
	s_branch .LBB17_168
.LBB17_173:                             ;   in Loop: Header=BB17_47 Depth=1
	s_or_b64 exec, exec, s[40:41]
	s_and_b64 exec, exec, s[42:43]
	s_cbranch_execz .LBB17_175
; %bb.174:                              ;   in Loop: Header=BB17_47 Depth=1
	flat_store_short v[8:9], v14 nt
.LBB17_175:                             ;   in Loop: Header=BB17_47 Depth=1
	s_or_b64 exec, exec, s[24:25]
	v_cmp_lt_i32_e64 s[24:25], 0, v2
	s_and_saveexec_b64 s[40:41], s[6:7]
	s_cbranch_execz .LBB17_194
.LBB17_176:                             ;   in Loop: Header=BB17_47 Depth=1
	s_and_saveexec_b64 s[42:43], s[56:57]
	s_xor_b64 s[42:43], exec, s[42:43]
	s_cbranch_execz .LBB17_191
; %bb.177:                              ;   in Loop: Header=BB17_47 Depth=1
	s_and_saveexec_b64 s[90:91], s[14:15]
	s_cbranch_execz .LBB17_190
; %bb.178:                              ;   in Loop: Header=BB17_47 Depth=1
	s_mov_b64 s[94:95], exec
	v_mbcnt_lo_u32_b32 v2, s94, 0
	v_mbcnt_hi_u32_b32 v2, s95, v2
	v_cmp_eq_u32_e32 vcc, 0, v2
	s_waitcnt lgkmcnt(0)
	s_and_saveexec_b64 s[92:93], vcc
	s_cbranch_execz .LBB17_180
; %bb.179:                              ;   in Loop: Header=BB17_47 Depth=1
	s_bcnt1_i32_b64 s44, s[94:95]
	v_mov_b32_e32 v2, s44
	ds_add_u64 v0, v[2:3]
	s_trap 2
.LBB17_180:                             ;   in Loop: Header=BB17_47 Depth=1
	s_or_b64 exec, exec, s[92:93]
	s_trap 2
	ds_read_b64 v[8:9], v0
	s_waitcnt lgkmcnt(0)
	v_lshl_add_u64 v[70:71], v[70:71], 0, v[84:85]
	v_cmp_lt_u64_e32 vcc, v[8:9], v[70:71]
	s_and_saveexec_b64 s[92:93], vcc
	s_cbranch_execz .LBB17_189
; %bb.181:                              ;   in Loop: Header=BB17_47 Depth=1
	s_mov_b32 s44, 0
	s_mov_b64 s[94:95], 0
                                        ; implicit-def: $sgpr30_sgpr31
                                        ; implicit-def: $sgpr34_sgpr35
	s_branch .LBB17_183
.LBB17_182:                             ;   in Loop: Header=BB17_183 Depth=2
	s_or_b64 exec, exec, s[38:39]
	s_and_b64 vcc, exec, vcc
	s_or_b64 s[94:95], vcc, s[94:95]
	s_andn2_b64 vcc, s[30:31], exec
	s_and_b64 s[30:31], s[34:35], exec
	s_or_b64 s[30:31], vcc, s[30:31]
	s_andn2_b64 exec, exec, s[94:95]
	s_cbranch_execz .LBB17_187
.LBB17_183:                             ;   Parent Loop BB17_47 Depth=1
                                        ; =>  This Inner Loop Header: Depth=2
	s_add_i32 s44, s44, 1
	s_cmpk_lg_i32 s44, 0x2710
	s_cselect_b64 s[36:37], -1, 0
	s_and_b64 vcc, exec, s[36:37]
	s_cbranch_vccz .LBB17_185
; %bb.184:                              ;   in Loop: Header=BB17_183 Depth=2
	s_mov_b64 vcc, -1
	s_or_b64 s[34:35], s[34:35], exec
	s_and_saveexec_b64 s[38:39], s[36:37]
	s_cbranch_execz .LBB17_182
	s_branch .LBB17_186
.LBB17_185:                             ;   in Loop: Header=BB17_183 Depth=2
	s_trap 2
	ds_read_b64 v[8:9], v0
	s_andn2_b64 s[36:37], s[36:37], exec
	s_mov_b32 s44, 0
	s_waitcnt vmcnt(0) lgkmcnt(0)
	flat_load_dword v2, v[8:9] sc0 sc1
	s_waitcnt vmcnt(0) lgkmcnt(0)
	buffer_inv sc0 sc1
	v_cmp_eq_u32_e32 vcc, 0, v2
	s_and_b64 vcc, vcc, exec
	s_or_b64 s[36:37], s[36:37], vcc
	s_mov_b64 vcc, -1
	s_or_b64 s[34:35], s[34:35], exec
	s_and_saveexec_b64 s[38:39], s[36:37]
	s_cbranch_execz .LBB17_182
.LBB17_186:                             ;   in Loop: Header=BB17_183 Depth=2
	s_sleep 1
	s_trap 2
	ds_read_b64 v[8:9], v0
	s_waitcnt lgkmcnt(0)
	s_andn2_b64 s[34:35], s[34:35], exec
	v_cmp_ge_u64_e32 vcc, v[8:9], v[70:71]
	s_orn2_b64 vcc, vcc, exec
	s_branch .LBB17_182
.LBB17_187:                             ;   in Loop: Header=BB17_47 Depth=1
	s_or_b64 exec, exec, s[94:95]
	s_and_saveexec_b64 s[44:45], s[30:31]
	s_xor_b64 s[44:45], exec, s[44:45]
	s_cbranch_execz .LBB17_189
; %bb.188:                              ;   in Loop: Header=BB17_47 Depth=1
	ds_write_b32 v0, v107
	s_trap 2
.LBB17_189:                             ;   in Loop: Header=BB17_47 Depth=1
	s_or_b64 exec, exec, s[92:93]
	;;#ASMSTART
	s_wakeup
	;;#ASMEND
.LBB17_190:                             ;   in Loop: Header=BB17_47 Depth=1
	s_or_b64 exec, exec, s[90:91]
.LBB17_191:                             ;   in Loop: Header=BB17_47 Depth=1
	s_andn2_saveexec_b64 s[42:43], s[42:43]
	s_cbranch_execz .LBB17_193
; %bb.192:                              ;   in Loop: Header=BB17_47 Depth=1
	s_waitcnt lgkmcnt(0)
	s_barrier
.LBB17_193:                             ;   in Loop: Header=BB17_47 Depth=1
	s_or_b64 exec, exec, s[42:43]
.LBB17_194:                             ;   in Loop: Header=BB17_47 Depth=1
	s_or_b64 exec, exec, s[40:41]
	v_and_b32_e32 v8, 16, v94
	s_and_saveexec_b64 s[40:41], s[22:23]
	s_xor_b64 s[40:41], exec, s[40:41]
	s_cbranch_execz .LBB17_199
; %bb.195:                              ;   in Loop: Header=BB17_47 Depth=1
	v_and_b32_e32 v2, 16, v94
	v_cmp_ne_u32_e32 vcc, 0, v2
	v_and_b32_e32 v8, 16, v94
	s_and_b64 s[42:43], vcc, s[24:25]
	s_and_saveexec_b64 s[24:25], s[42:43]
	s_cbranch_execz .LBB17_197
; %bb.196:                              ;   in Loop: Header=BB17_47 Depth=1
	v_mov_b32_e32 v8, 1
	buffer_wbl2 sc1
	s_waitcnt vmcnt(0) lgkmcnt(0)
	buffer_inv sc1
.LBB17_197:                             ;   in Loop: Header=BB17_47 Depth=1
	s_or_b64 exec, exec, s[24:25]
	s_andn2_saveexec_b64 s[24:25], s[40:41]
	s_cbranch_execnz .LBB17_200
.LBB17_198:                             ;   in Loop: Header=BB17_47 Depth=1
	s_or_b64 exec, exec, s[24:25]
	v_cmp_ne_u32_e32 vcc, 0, v8
	s_and_saveexec_b64 s[24:25], vcc
	s_cbranch_execnz .LBB17_218
	s_branch .LBB17_221
.LBB17_199:                             ;   in Loop: Header=BB17_47 Depth=1
	s_andn2_saveexec_b64 s[24:25], s[40:41]
	s_cbranch_execz .LBB17_198
.LBB17_200:                             ;   in Loop: Header=BB17_47 Depth=1
	s_and_saveexec_b64 s[40:41], s[56:57]
	s_xor_b64 s[40:41], exec, s[40:41]
	s_cbranch_execz .LBB17_215
; %bb.201:                              ;   in Loop: Header=BB17_47 Depth=1
	s_and_saveexec_b64 s[42:43], s[14:15]
	s_cbranch_execz .LBB17_214
; %bb.202:                              ;   in Loop: Header=BB17_47 Depth=1
	s_mov_b64 s[92:93], exec
	v_mbcnt_lo_u32_b32 v2, s92, 0
	v_mbcnt_hi_u32_b32 v2, s93, v2
	v_cmp_eq_u32_e32 vcc, 0, v2
	;;#ASMSTART
	s_waitcnt lgkmcnt(0) vmcnt(0)
	;;#ASMEND
	s_and_saveexec_b64 s[90:91], vcc
	s_cbranch_execz .LBB17_204
; %bb.203:                              ;   in Loop: Header=BB17_47 Depth=1
	s_bcnt1_i32_b64 s44, s[92:93]
	v_mov_b32_e32 v2, s44
	s_waitcnt lgkmcnt(0)
	ds_add_u64 v0, v[2:3]
	s_trap 2
.LBB17_204:                             ;   in Loop: Header=BB17_47 Depth=1
	s_or_b64 exec, exec, s[90:91]
	s_trap 2
	ds_read_b64 v[10:11], v0
	s_waitcnt lgkmcnt(0)
	v_lshl_add_u64 v[70:71], v[70:71], 0, v[84:85]
	v_cmp_lt_u64_e32 vcc, v[10:11], v[70:71]
	s_and_saveexec_b64 s[90:91], vcc
	s_cbranch_execz .LBB17_213
; %bb.205:                              ;   in Loop: Header=BB17_47 Depth=1
	s_mov_b32 s44, 0
	s_mov_b64 s[92:93], 0
                                        ; implicit-def: $sgpr94_sgpr95
                                        ; implicit-def: $sgpr30_sgpr31
	s_branch .LBB17_207
.LBB17_206:                             ;   in Loop: Header=BB17_207 Depth=2
	s_or_b64 exec, exec, s[36:37]
	s_and_b64 vcc, exec, vcc
	s_or_b64 s[92:93], vcc, s[92:93]
	s_andn2_b64 s[94:95], s[94:95], exec
	s_and_b64 vcc, s[30:31], exec
	s_or_b64 s[94:95], s[94:95], vcc
	s_andn2_b64 exec, exec, s[92:93]
	s_cbranch_execz .LBB17_211
.LBB17_207:                             ;   Parent Loop BB17_47 Depth=1
                                        ; =>  This Inner Loop Header: Depth=2
	s_add_i32 s44, s44, 1
	s_cmpk_lg_i32 s44, 0x2710
	s_cselect_b64 s[34:35], -1, 0
	s_and_b64 vcc, exec, s[34:35]
	s_cbranch_vccz .LBB17_209
; %bb.208:                              ;   in Loop: Header=BB17_207 Depth=2
	s_mov_b64 vcc, -1
	s_or_b64 s[30:31], s[30:31], exec
	s_and_saveexec_b64 s[36:37], s[34:35]
	s_cbranch_execz .LBB17_206
	s_branch .LBB17_210
.LBB17_209:                             ;   in Loop: Header=BB17_207 Depth=2
	s_trap 2
	ds_read_b64 v[10:11], v0
	s_andn2_b64 s[34:35], s[34:35], exec
	s_mov_b32 s44, 0
	s_waitcnt vmcnt(0) lgkmcnt(0)
	flat_load_dword v2, v[10:11] sc0 sc1
	s_waitcnt vmcnt(0) lgkmcnt(0)
	buffer_inv sc0 sc1
	v_cmp_eq_u32_e32 vcc, 0, v2
	s_and_b64 vcc, vcc, exec
	s_or_b64 s[34:35], s[34:35], vcc
	s_mov_b64 vcc, -1
	s_or_b64 s[30:31], s[30:31], exec
	s_and_saveexec_b64 s[36:37], s[34:35]
	s_cbranch_execz .LBB17_206
.LBB17_210:                             ;   in Loop: Header=BB17_207 Depth=2
	s_sleep 1
	s_trap 2
	ds_read_b64 v[10:11], v0
	s_waitcnt lgkmcnt(0)
	s_andn2_b64 s[30:31], s[30:31], exec
	v_cmp_ge_u64_e32 vcc, v[10:11], v[70:71]
	s_orn2_b64 vcc, vcc, exec
	s_branch .LBB17_206
.LBB17_211:                             ;   in Loop: Header=BB17_47 Depth=1
	s_or_b64 exec, exec, s[92:93]
	s_and_saveexec_b64 s[44:45], s[94:95]
	s_xor_b64 s[44:45], exec, s[44:45]
	s_cbranch_execz .LBB17_213
; %bb.212:                              ;   in Loop: Header=BB17_47 Depth=1
	ds_write_b32 v0, v107
	s_trap 2
.LBB17_213:                             ;   in Loop: Header=BB17_47 Depth=1
	s_or_b64 exec, exec, s[90:91]
	;;#ASMSTART
	s_wakeup
	;;#ASMEND
.LBB17_214:                             ;   in Loop: Header=BB17_47 Depth=1
	s_or_b64 exec, exec, s[42:43]
.LBB17_215:                             ;   in Loop: Header=BB17_47 Depth=1
	s_andn2_saveexec_b64 s[40:41], s[40:41]
	s_cbranch_execz .LBB17_217
; %bb.216:                              ;   in Loop: Header=BB17_47 Depth=1
	;;#ASMSTART
	s_waitcnt lgkmcnt(0) vmcnt(0)
	;;#ASMEND
	s_barrier
.LBB17_217:                             ;   in Loop: Header=BB17_47 Depth=1
	s_or_b64 exec, exec, s[40:41]
	s_or_b64 exec, exec, s[24:25]
	v_cmp_ne_u32_e32 vcc, 0, v8
	s_and_saveexec_b64 s[24:25], vcc
	s_cbranch_execz .LBB17_221
.LBB17_218:                             ;   in Loop: Header=BB17_47 Depth=1
	s_and_saveexec_b64 s[40:41], s[12:13]
	s_cbranch_execz .LBB17_220
; %bb.219:                              ;   in Loop: Header=BB17_47 Depth=1
	flat_store_dword v[68:69], v107 sc0 sc1
.LBB17_220:                             ;   in Loop: Header=BB17_47 Depth=1
	s_or_b64 exec, exec, s[40:41]
	v_lshl_add_u64 v[56:57], v[56:57], 0, 4
	flat_store_dwordx2 v[64:65], v[56:57] sc0 sc1
.LBB17_221:                             ;   in Loop: Header=BB17_47 Depth=1
	s_or_b64 exec, exec, s[24:25]
	v_mov_b32_e32 v2, v62
.LBB17_222:                             ;   in Loop: Header=BB17_47 Depth=1
	s_or_b64 exec, exec, s[28:29]
	s_and_saveexec_b64 s[28:29], s[26:27]
	s_cbranch_execz .LBB17_292
; %bb.223:                              ;   in Loop: Header=BB17_47 Depth=1
	v_sub_u32_e32 v2, v90, v2
	v_min_i32_e32 v8, v62, v2
	v_and_b32_e32 v2, 8, v94
	v_cmp_ne_u32_e32 vcc, 0, v2
	s_and_saveexec_b64 s[26:27], vcc
	s_cbranch_execz .LBB17_245
; %bb.224:                              ;   in Loop: Header=BB17_47 Depth=1
	s_waitcnt vmcnt(0) lgkmcnt(0)
	v_lshl_add_u64 v[12:13], v[80:81], 0, 8
	v_lshl_add_u64 v[10:11], v[56:57], 0, 4
	v_cmp_lt_u64_e32 vcc, v[12:13], v[10:11]
	s_and_saveexec_b64 s[40:41], vcc
	s_cbranch_execz .LBB17_236
; %bb.225:                              ;   in Loop: Header=BB17_47 Depth=1
	v_and_b32_e32 v2, 64, v94
	s_mov_b32 s44, 0
	v_cmp_eq_u32_e32 vcc, 0, v2
	s_mov_b64 s[42:43], 0
                                        ; implicit-def: $sgpr90_sgpr91
                                        ; implicit-def: $sgpr92_sgpr93
                                        ; implicit-def: $sgpr94_sgpr95
	s_branch .LBB17_229
.LBB17_226:                             ;   in Loop: Header=BB17_229 Depth=2
	s_waitcnt vmcnt(0) lgkmcnt(0)
	v_lshl_add_u64 v[12:13], v[80:81], 0, 8
	v_cmp_ge_u64_e64 s[24:25], v[12:13], v[10:11]
	s_or_b64 s[36:37], s[36:37], exec
	s_orn2_b64 s[34:35], s[24:25], exec
.LBB17_227:                             ;   in Loop: Header=BB17_229 Depth=2
	s_or_b64 exec, exec, s[48:49]
	s_andn2_b64 s[24:25], s[94:95], exec
	s_and_b64 s[94:95], s[36:37], exec
	s_or_b64 s[94:95], s[24:25], s[94:95]
	s_andn2_b64 s[24:25], s[92:93], exec
	s_and_b64 s[92:93], s[34:35], exec
	s_or_b64 s[92:93], s[24:25], s[92:93]
.LBB17_228:                             ;   in Loop: Header=BB17_229 Depth=2
	s_or_b64 exec, exec, s[30:31]
	s_and_b64 s[24:25], exec, s[92:93]
	s_or_b64 s[42:43], s[24:25], s[42:43]
	s_andn2_b64 s[24:25], s[90:91], exec
	s_and_b64 s[90:91], s[94:95], exec
	s_or_b64 s[90:91], s[24:25], s[90:91]
	s_andn2_b64 exec, exec, s[42:43]
	s_cbranch_execz .LBB17_233
.LBB17_229:                             ;   Parent Loop BB17_47 Depth=1
                                        ; =>  This Inner Loop Header: Depth=2
	s_sleep 1
	s_waitcnt vmcnt(0) lgkmcnt(0)
	flat_load_dwordx2 v[80:81], v[64:65] sc0 sc1
	s_or_b64 s[94:95], s[94:95], exec
	s_or_b64 s[92:93], s[92:93], exec
                                        ; implicit-def: $vgpr2
	s_and_saveexec_b64 s[30:31], vcc
	s_cbranch_execz .LBB17_228
; %bb.230:                              ;   in Loop: Header=BB17_229 Depth=2
	s_cmpk_lt_i32 s44, 0x270f
	s_cselect_b64 s[38:39], -1, 0
	s_cmpk_gt_i32 s44, 0x270e
	s_mov_b64 s[34:35], -1
	s_cbranch_scc0 .LBB17_232
; %bb.231:                              ;   in Loop: Header=BB17_229 Depth=2
	s_trap 2
	ds_read_b64 v[12:13], v0
	s_andn2_b64 s[38:39], s[38:39], exec
	s_mov_b32 s44, 0
	s_mov_b64 s[36:37], 0
	s_waitcnt vmcnt(0) lgkmcnt(0)
	flat_load_dword v2, v[12:13] sc0 sc1
	s_waitcnt vmcnt(0) lgkmcnt(0)
	buffer_inv sc0 sc1
	v_cmp_eq_u32_e64 s[24:25], 0, v2
	s_and_b64 s[24:25], s[24:25], exec
	s_or_b64 s[38:39], s[38:39], s[24:25]
	s_and_saveexec_b64 s[48:49], s[38:39]
	s_cbranch_execz .LBB17_227
	s_branch .LBB17_226
.LBB17_232:                             ;   in Loop: Header=BB17_229 Depth=2
	s_add_i32 s44, s44, 1
	s_mov_b64 s[36:37], -1
                                        ; implicit-def: $vgpr2
	s_and_saveexec_b64 s[48:49], s[38:39]
	s_cbranch_execz .LBB17_227
	s_branch .LBB17_226
.LBB17_233:                             ;   in Loop: Header=BB17_47 Depth=1
	s_or_b64 exec, exec, s[42:43]
	s_xor_b64 s[24:25], s[90:91], -1
	s_and_saveexec_b64 s[42:43], s[24:25]
	s_xor_b64 s[24:25], exec, s[42:43]
	s_cbranch_execz .LBB17_235
; %bb.234:                              ;   in Loop: Header=BB17_47 Depth=1
	v_or_b32_e32 v94, 64, v94
	s_waitcnt lgkmcnt(0)
	ds_write_b32 v0, v2
	s_trap 2
.LBB17_235:                             ;   in Loop: Header=BB17_47 Depth=1
	s_or_b64 exec, exec, s[24:25]
.LBB17_236:                             ;   in Loop: Header=BB17_47 Depth=1
	s_or_b64 exec, exec, s[40:41]
	v_and_b32_e32 v2, 0x100, v94
	v_cmp_ne_u32_e32 vcc, 0, v2
	v_and_b32_e32 v2, 7, v56
	s_mov_b64 s[24:25], -1
	;;#ASMSTART
	s_wakeup
	;;#ASMEND
                                        ; implicit-def: $vgpr12_vgpr13
	s_and_saveexec_b64 s[40:41], vcc
	s_cbranch_execz .LBB17_240
; %bb.237:                              ;   in Loop: Header=BB17_47 Depth=1
	v_mad_u64_u32 v[14:15], s[24:25], v2, 24, v[6:7]
	flat_load_dword v16, v[14:15]
	v_ashrrev_i32_e32 v9, 31, v8
	v_lshlrev_b64 v[12:13], 1, v[8:9]
	flat_store_dwordx2 v[14:15], v[12:13] offset:8
                                        ; implicit-def: $vgpr12_vgpr13
	s_waitcnt vmcnt(0) lgkmcnt(0)
	v_cmp_ne_u32_e32 vcc, 1, v16
	v_cmp_eq_u32_e64 s[24:25], 1, v16
	s_and_saveexec_b64 s[42:43], s[24:25]
	s_cbranch_execz .LBB17_239
; %bb.238:                              ;   in Loop: Header=BB17_47 Depth=1
	flat_load_dword v12, v[14:15] offset:4 sc0 sc1
	s_waitcnt vmcnt(0) lgkmcnt(0)
	v_ashrrev_i32_e32 v13, 31, v12
	v_lshrrev_b64 v[12:13], 1, v[12:13]
.LBB17_239:                             ;   in Loop: Header=BB17_47 Depth=1
	s_or_b64 exec, exec, s[42:43]
	s_orn2_b64 s[24:25], vcc, exec
.LBB17_240:                             ;   in Loop: Header=BB17_47 Depth=1
	s_or_b64 exec, exec, s[40:41]
	s_and_saveexec_b64 s[40:41], s[24:25]
; %bb.241:                              ;   in Loop: Header=BB17_47 Depth=1
	v_mad_i64_i32 v[12:13], s[24:25], v2, v30, 0
; %bb.242:                              ;   in Loop: Header=BB17_47 Depth=1
	s_or_b64 exec, exec, s[40:41]
	v_and_b32_e32 v2, 0x2000, v94
	v_lshl_add_u64 v[12:13], v[12:13], 1, v[66:67]
	v_cmp_ne_u32_e32 vcc, 0, v2
	ds_write_b64 v0, v[12:13] offset:784
	s_and_saveexec_b64 s[24:25], vcc
	s_cbranch_execz .LBB17_244
; %bb.243:                              ;   in Loop: Header=BB17_47 Depth=1
	ds_read_b64 v[12:13], v0 offset:872
	s_waitcnt lgkmcnt(0)
	v_lshl_add_u64 v[12:13], v[12:13], 0, 1
	ds_write_b64 v0, v[12:13] offset:872
.LBB17_244:                             ;   in Loop: Header=BB17_47 Depth=1
	s_or_b64 exec, exec, s[24:25]
	v_mov_b64_e32 v[56:57], v[10:11]
.LBB17_245:                             ;   in Loop: Header=BB17_47 Depth=1
	s_or_b64 exec, exec, s[26:27]
	s_and_saveexec_b64 s[24:25], s[6:7]
	s_cbranch_execz .LBB17_264
; %bb.246:                              ;   in Loop: Header=BB17_47 Depth=1
	s_and_saveexec_b64 s[26:27], s[56:57]
	s_xor_b64 s[26:27], exec, s[26:27]
	s_cbranch_execz .LBB17_261
; %bb.247:                              ;   in Loop: Header=BB17_47 Depth=1
	s_and_saveexec_b64 s[40:41], s[14:15]
	s_cbranch_execz .LBB17_260
; %bb.248:                              ;   in Loop: Header=BB17_47 Depth=1
	s_mov_b64 s[90:91], exec
	v_mbcnt_lo_u32_b32 v2, s90, 0
	v_mbcnt_hi_u32_b32 v2, s91, v2
	v_cmp_eq_u32_e32 vcc, 0, v2
	s_waitcnt lgkmcnt(0)
	s_and_saveexec_b64 s[42:43], vcc
	s_cbranch_execz .LBB17_250
; %bb.249:                              ;   in Loop: Header=BB17_47 Depth=1
	s_bcnt1_i32_b64 s44, s[90:91]
	v_mov_b32_e32 v2, s44
	ds_add_u64 v0, v[2:3]
	s_trap 2
.LBB17_250:                             ;   in Loop: Header=BB17_47 Depth=1
	s_or_b64 exec, exec, s[42:43]
	s_trap 2
	ds_read_b64 v[10:11], v0
	s_waitcnt lgkmcnt(0)
	v_lshl_add_u64 v[70:71], v[70:71], 0, v[84:85]
	v_cmp_lt_u64_e32 vcc, v[10:11], v[70:71]
	s_and_saveexec_b64 s[42:43], vcc
	s_cbranch_execz .LBB17_259
; %bb.251:                              ;   in Loop: Header=BB17_47 Depth=1
	s_mov_b32 s44, 0
	s_mov_b64 s[90:91], 0
                                        ; implicit-def: $sgpr92_sgpr93
                                        ; implicit-def: $sgpr94_sgpr95
	s_branch .LBB17_253
.LBB17_252:                             ;   in Loop: Header=BB17_253 Depth=2
	s_or_b64 exec, exec, s[34:35]
	s_and_b64 vcc, exec, vcc
	s_or_b64 s[90:91], vcc, s[90:91]
	s_andn2_b64 s[92:93], s[92:93], exec
	s_and_b64 vcc, s[94:95], exec
	s_or_b64 s[92:93], s[92:93], vcc
	s_andn2_b64 exec, exec, s[90:91]
	s_cbranch_execz .LBB17_257
.LBB17_253:                             ;   Parent Loop BB17_47 Depth=1
                                        ; =>  This Inner Loop Header: Depth=2
	s_add_i32 s44, s44, 1
	s_cmpk_lg_i32 s44, 0x2710
	s_cselect_b64 s[30:31], -1, 0
	s_and_b64 vcc, exec, s[30:31]
	s_cbranch_vccz .LBB17_255
; %bb.254:                              ;   in Loop: Header=BB17_253 Depth=2
	s_mov_b64 vcc, -1
	s_or_b64 s[94:95], s[94:95], exec
	s_and_saveexec_b64 s[34:35], s[30:31]
	s_cbranch_execz .LBB17_252
	s_branch .LBB17_256
.LBB17_255:                             ;   in Loop: Header=BB17_253 Depth=2
	s_trap 2
	ds_read_b64 v[10:11], v0
	s_andn2_b64 s[30:31], s[30:31], exec
	s_mov_b32 s44, 0
	s_waitcnt vmcnt(0) lgkmcnt(0)
	flat_load_dword v2, v[10:11] sc0 sc1
	s_waitcnt vmcnt(0) lgkmcnt(0)
	buffer_inv sc0 sc1
	v_cmp_eq_u32_e32 vcc, 0, v2
	s_and_b64 vcc, vcc, exec
	s_or_b64 s[30:31], s[30:31], vcc
	s_mov_b64 vcc, -1
	s_or_b64 s[94:95], s[94:95], exec
	s_and_saveexec_b64 s[34:35], s[30:31]
	s_cbranch_execz .LBB17_252
.LBB17_256:                             ;   in Loop: Header=BB17_253 Depth=2
	s_sleep 1
	s_trap 2
	ds_read_b64 v[10:11], v0
	s_waitcnt lgkmcnt(0)
	s_andn2_b64 s[94:95], s[94:95], exec
	v_cmp_ge_u64_e32 vcc, v[10:11], v[70:71]
	s_orn2_b64 vcc, vcc, exec
	s_branch .LBB17_252
.LBB17_257:                             ;   in Loop: Header=BB17_47 Depth=1
	s_or_b64 exec, exec, s[90:91]
	s_and_saveexec_b64 s[44:45], s[92:93]
	s_xor_b64 s[44:45], exec, s[44:45]
	s_cbranch_execz .LBB17_259
; %bb.258:                              ;   in Loop: Header=BB17_47 Depth=1
	ds_write_b32 v0, v107
	s_trap 2
.LBB17_259:                             ;   in Loop: Header=BB17_47 Depth=1
	s_or_b64 exec, exec, s[42:43]
	;;#ASMSTART
	s_wakeup
	;;#ASMEND
.LBB17_260:                             ;   in Loop: Header=BB17_47 Depth=1
	s_or_b64 exec, exec, s[40:41]
.LBB17_261:                             ;   in Loop: Header=BB17_47 Depth=1
	s_andn2_saveexec_b64 s[26:27], s[26:27]
	s_cbranch_execz .LBB17_263
; %bb.262:                              ;   in Loop: Header=BB17_47 Depth=1
	s_waitcnt lgkmcnt(0)
	s_barrier
.LBB17_263:                             ;   in Loop: Header=BB17_47 Depth=1
	s_or_b64 exec, exec, s[26:27]
.LBB17_264:                             ;   in Loop: Header=BB17_47 Depth=1
	s_or_b64 exec, exec, s[24:25]
	v_and_b32_e32 v9, 16, v94
	s_and_saveexec_b64 s[24:25], s[22:23]
	s_xor_b64 s[24:25], exec, s[24:25]
	s_cbranch_execz .LBB17_269
; %bb.265:                              ;   in Loop: Header=BB17_47 Depth=1
	s_trap 2
	ds_read_b32 v2, v0
	v_cmp_lt_i32_e32 vcc, 0, v8
	v_and_b32_e32 v8, 16, v94
	v_and_b32_e32 v9, 16, v94
	s_waitcnt lgkmcnt(0)
	v_readfirstlane_b32 s26, v2
	s_cmp_eq_u32 s26, 0
	s_cselect_b64 s[26:27], -1, 0
	s_and_b64 s[26:27], vcc, s[26:27]
	v_cmp_ne_u32_e32 vcc, 0, v8
	s_and_b64 s[40:41], vcc, s[26:27]
	s_and_saveexec_b64 s[26:27], s[40:41]
	s_cbranch_execz .LBB17_267
; %bb.266:                              ;   in Loop: Header=BB17_47 Depth=1
	v_mov_b32_e32 v9, 1
	buffer_wbl2 sc1
	s_waitcnt vmcnt(0)
	buffer_inv sc1
.LBB17_267:                             ;   in Loop: Header=BB17_47 Depth=1
	s_or_b64 exec, exec, s[26:27]
	s_andn2_saveexec_b64 s[24:25], s[24:25]
	s_cbranch_execnz .LBB17_270
.LBB17_268:                             ;   in Loop: Header=BB17_47 Depth=1
	s_or_b64 exec, exec, s[24:25]
	v_cmp_ne_u32_e32 vcc, 0, v9
	s_and_saveexec_b64 s[24:25], vcc
	s_cbranch_execnz .LBB17_288
	s_branch .LBB17_291
.LBB17_269:                             ;   in Loop: Header=BB17_47 Depth=1
	s_andn2_saveexec_b64 s[24:25], s[24:25]
	s_cbranch_execz .LBB17_268
.LBB17_270:                             ;   in Loop: Header=BB17_47 Depth=1
	s_and_saveexec_b64 s[26:27], s[56:57]
	s_xor_b64 s[26:27], exec, s[26:27]
	s_cbranch_execz .LBB17_285
; %bb.271:                              ;   in Loop: Header=BB17_47 Depth=1
	s_and_saveexec_b64 s[40:41], s[14:15]
	s_cbranch_execz .LBB17_284
; %bb.272:                              ;   in Loop: Header=BB17_47 Depth=1
	s_mov_b64 s[90:91], exec
	v_mbcnt_lo_u32_b32 v2, s90, 0
	v_mbcnt_hi_u32_b32 v2, s91, v2
	v_cmp_eq_u32_e32 vcc, 0, v2
	;;#ASMSTART
	s_waitcnt lgkmcnt(0) vmcnt(0)
	;;#ASMEND
	s_and_saveexec_b64 s[42:43], vcc
	s_cbranch_execz .LBB17_274
; %bb.273:                              ;   in Loop: Header=BB17_47 Depth=1
	s_bcnt1_i32_b64 s44, s[90:91]
	v_mov_b32_e32 v2, s44
	s_waitcnt lgkmcnt(0)
	ds_add_u64 v0, v[2:3]
	s_trap 2
.LBB17_274:                             ;   in Loop: Header=BB17_47 Depth=1
	s_or_b64 exec, exec, s[42:43]
	s_trap 2
	ds_read_b64 v[10:11], v0
	s_waitcnt lgkmcnt(0)
	v_lshl_add_u64 v[70:71], v[70:71], 0, v[84:85]
	v_cmp_lt_u64_e32 vcc, v[10:11], v[70:71]
	s_and_saveexec_b64 s[42:43], vcc
	s_cbranch_execz .LBB17_283
; %bb.275:                              ;   in Loop: Header=BB17_47 Depth=1
	s_mov_b32 s44, 0
	s_mov_b64 s[90:91], 0
                                        ; implicit-def: $sgpr92_sgpr93
                                        ; implicit-def: $sgpr94_sgpr95
	s_branch .LBB17_277
.LBB17_276:                             ;   in Loop: Header=BB17_277 Depth=2
	s_or_b64 exec, exec, s[34:35]
	s_and_b64 vcc, exec, vcc
	s_or_b64 s[90:91], vcc, s[90:91]
	s_andn2_b64 s[92:93], s[92:93], exec
	s_and_b64 vcc, s[94:95], exec
	s_or_b64 s[92:93], s[92:93], vcc
	s_andn2_b64 exec, exec, s[90:91]
	s_cbranch_execz .LBB17_281
.LBB17_277:                             ;   Parent Loop BB17_47 Depth=1
                                        ; =>  This Inner Loop Header: Depth=2
	s_add_i32 s44, s44, 1
	s_cmpk_lg_i32 s44, 0x2710
	s_cselect_b64 s[30:31], -1, 0
	s_and_b64 vcc, exec, s[30:31]
	s_cbranch_vccz .LBB17_279
; %bb.278:                              ;   in Loop: Header=BB17_277 Depth=2
	s_mov_b64 vcc, -1
	s_or_b64 s[94:95], s[94:95], exec
	s_and_saveexec_b64 s[34:35], s[30:31]
	s_cbranch_execz .LBB17_276
	s_branch .LBB17_280
.LBB17_279:                             ;   in Loop: Header=BB17_277 Depth=2
	s_trap 2
	ds_read_b64 v[10:11], v0
	s_andn2_b64 s[30:31], s[30:31], exec
	s_mov_b32 s44, 0
	s_waitcnt vmcnt(0) lgkmcnt(0)
	flat_load_dword v2, v[10:11] sc0 sc1
	s_waitcnt vmcnt(0) lgkmcnt(0)
	buffer_inv sc0 sc1
	v_cmp_eq_u32_e32 vcc, 0, v2
	s_and_b64 vcc, vcc, exec
	s_or_b64 s[30:31], s[30:31], vcc
	s_mov_b64 vcc, -1
	s_or_b64 s[94:95], s[94:95], exec
	s_and_saveexec_b64 s[34:35], s[30:31]
	s_cbranch_execz .LBB17_276
.LBB17_280:                             ;   in Loop: Header=BB17_277 Depth=2
	s_sleep 1
	s_trap 2
	ds_read_b64 v[10:11], v0
	s_waitcnt lgkmcnt(0)
	s_andn2_b64 s[94:95], s[94:95], exec
	v_cmp_ge_u64_e32 vcc, v[10:11], v[70:71]
	s_orn2_b64 vcc, vcc, exec
	s_branch .LBB17_276
.LBB17_281:                             ;   in Loop: Header=BB17_47 Depth=1
	s_or_b64 exec, exec, s[90:91]
	s_and_saveexec_b64 s[44:45], s[92:93]
	s_xor_b64 s[44:45], exec, s[44:45]
	s_cbranch_execz .LBB17_283
; %bb.282:                              ;   in Loop: Header=BB17_47 Depth=1
	ds_write_b32 v0, v107
	s_trap 2
.LBB17_283:                             ;   in Loop: Header=BB17_47 Depth=1
	s_or_b64 exec, exec, s[42:43]
	;;#ASMSTART
	s_wakeup
	;;#ASMEND
.LBB17_284:                             ;   in Loop: Header=BB17_47 Depth=1
	s_or_b64 exec, exec, s[40:41]
.LBB17_285:                             ;   in Loop: Header=BB17_47 Depth=1
	s_andn2_saveexec_b64 s[26:27], s[26:27]
	s_cbranch_execz .LBB17_287
; %bb.286:                              ;   in Loop: Header=BB17_47 Depth=1
	;;#ASMSTART
	s_waitcnt lgkmcnt(0) vmcnt(0)
	;;#ASMEND
	s_barrier
.LBB17_287:                             ;   in Loop: Header=BB17_47 Depth=1
	s_or_b64 exec, exec, s[26:27]
	s_or_b64 exec, exec, s[24:25]
	v_cmp_ne_u32_e32 vcc, 0, v9
	s_and_saveexec_b64 s[24:25], vcc
	s_cbranch_execz .LBB17_291
.LBB17_288:                             ;   in Loop: Header=BB17_47 Depth=1
	s_and_saveexec_b64 s[26:27], s[12:13]
	s_cbranch_execz .LBB17_290
; %bb.289:                              ;   in Loop: Header=BB17_47 Depth=1
	flat_store_dword v[68:69], v107 sc0 sc1
.LBB17_290:                             ;   in Loop: Header=BB17_47 Depth=1
	s_or_b64 exec, exec, s[26:27]
	v_lshl_add_u64 v[56:57], v[56:57], 0, 4
	flat_store_dwordx2 v[64:65], v[56:57] sc0 sc1
.LBB17_291:                             ;   in Loop: Header=BB17_47 Depth=1
	s_or_b64 exec, exec, s[24:25]
.LBB17_292:                             ;   in Loop: Header=BB17_47 Depth=1
	s_or_b64 exec, exec, s[28:29]
	v_cndmask_b32_e64 v2, 0, 1, s[78:79]
	v_cmp_ne_u32_e64 s[24:25], 1, v2
	s_andn2_b64 vcc, exec, s[78:79]
	s_cbranch_vccnz .LBB17_944
; %bb.293:                              ;   in Loop: Header=BB17_47 Depth=1
	s_mov_b32 s47, 2
	s_branch .LBB17_296
.LBB17_294:                             ;   in Loop: Header=BB17_296 Depth=2
	s_or_b64 exec, exec, s[26:27]
.LBB17_295:                             ;   in Loop: Header=BB17_296 Depth=2
	s_or_b64 exec, exec, s[28:29]
	s_add_i32 s47, s47, 1
	s_cmp_eq_u32 s47, s64
	s_cbranch_scc1 .LBB17_944
.LBB17_296:                             ;   Parent Loop BB17_47 Depth=1
                                        ; =>  This Loop Header: Depth=2
                                        ;       Child Loop BB17_305 Depth 3
                                        ;       Child Loop BB17_333 Depth 3
	;; [unrolled: 1-line block ×5, first 2 shown]
                                        ;         Child Loop BB17_586 Depth 4
                                        ;         Child Loop BB17_623 Depth 4
                                        ;       Child Loop BB17_700 Depth 3
                                        ;       Child Loop BB17_807 Depth 3
                                        ;         Child Loop BB17_808 Depth 4
                                        ;         Child Loop BB17_817 Depth 4
                                        ;       Child Loop BB17_836 Depth 3
                                        ;       Child Loop BB17_855 Depth 3
	;; [unrolled: 1-line block ×5, first 2 shown]
	s_sub_i32 s26, s66, s47
	s_cmp_ge_i32 s26, s64
	s_cselect_b32 s27, s64, 0
	s_sub_i32 s26, s26, s27
	s_ashr_i32 s27, s26, 31
	v_mul_lo_u32 v2, v46, s27
	v_mul_lo_u32 v10, v47, s26
	v_mad_u64_u32 v[8:9], s[26:27], v46, s26, 0
	v_add3_u32 v9, v9, v2, v10
	v_sub_co_u32_e32 v10, vcc, v58, v8
	s_nop 1
	v_subb_co_u32_e32 v11, vcc, v59, v9, vcc
	v_cmp_lt_i64_e32 vcc, v[46:47], v[10:11]
	s_nop 1
	v_cndmask_b32_e32 v2, v10, v46, vcc
	v_max_i32_e32 v90, 0, v2
	v_add_u32_e32 v10, 15, v90
	v_ashrrev_i32_e32 v11, 31, v10
	v_lshrrev_b32_e32 v11, 28, v11
	v_add_u32_e32 v10, v10, v11
	v_cmp_gt_i32_e32 vcc, 1, v2
	v_and_b32_e32 v10, -16, v10
	s_or_b64 s[90:91], s[2:3], vcc
	v_max_i32_e32 v62, s69, v10
	s_xor_b64 s[26:27], s[90:91], -1
	v_mov_b32_e32 v2, 0
	s_and_saveexec_b64 s[92:93], s[26:27]
	s_cbranch_execz .LBB17_871
; %bb.297:                              ;   in Loop: Header=BB17_296 Depth=2
	s_and_saveexec_b64 s[26:27], s[0:1]
	s_cbranch_execz .LBB17_299
; %bb.298:                              ;   in Loop: Header=BB17_296 Depth=2
	s_trap 2
	ds_read_b64 v[10:11], v0
	s_waitcnt lgkmcnt(0)
	v_lshl_add_u64 v[10:11], v[60:61], 1, v[10:11]
	v_lshl_add_u64 v[8:9], v[8:9], 1, v[10:11]
	ds_write_b64 v0, v[8:9]
	ds_write_b64 v0, v[96:97]
.LBB17_299:                             ;   in Loop: Header=BB17_296 Depth=2
	s_or_b64 exec, exec, s[26:27]
	v_and_b32_e32 v2, 12, v94
	v_min_i32_e32 v62, v62, v90
	v_cmp_ne_u32_e32 vcc, 0, v2
	s_and_saveexec_b64 s[28:29], vcc
	s_cbranch_execz .LBB17_325
; %bb.300:                              ;   in Loop: Header=BB17_296 Depth=2
	v_and_b32_e32 v2, 8, v94
	s_waitcnt vmcnt(0) lgkmcnt(0)
	v_lshl_add_u64 v[10:11], v[80:81], 0, v[2:3]
	v_lshl_add_u64 v[8:9], v[56:57], 0, 4
	v_cmp_lt_u64_e32 vcc, v[10:11], v[8:9]
	s_and_saveexec_b64 s[40:41], vcc
	s_cbranch_execz .LBB17_312
; %bb.301:                              ;   in Loop: Header=BB17_296 Depth=2
	v_and_b32_e32 v10, 64, v94
	s_mov_b32 s44, 0
	v_cmp_eq_u32_e32 vcc, 0, v10
	s_mov_b64 s[42:43], 0
                                        ; implicit-def: $sgpr94_sgpr95
                                        ; implicit-def: $sgpr30_sgpr31
                                        ; implicit-def: $sgpr34_sgpr35
	s_branch .LBB17_305
.LBB17_302:                             ;   in Loop: Header=BB17_305 Depth=3
	s_waitcnt vmcnt(0) lgkmcnt(0)
	v_lshl_add_u64 v[12:13], v[80:81], 0, v[2:3]
	v_cmp_ge_u64_e64 s[26:27], v[12:13], v[8:9]
	s_or_b64 s[48:49], s[48:49], exec
	s_orn2_b64 s[38:39], s[26:27], exec
.LBB17_303:                             ;   in Loop: Header=BB17_305 Depth=3
	s_or_b64 exec, exec, s[52:53]
	s_andn2_b64 s[26:27], s[34:35], exec
	s_and_b64 s[34:35], s[48:49], exec
	s_or_b64 s[34:35], s[26:27], s[34:35]
	s_andn2_b64 s[26:27], s[30:31], exec
	s_and_b64 s[30:31], s[38:39], exec
	s_or_b64 s[30:31], s[26:27], s[30:31]
.LBB17_304:                             ;   in Loop: Header=BB17_305 Depth=3
	s_or_b64 exec, exec, s[36:37]
	s_and_b64 s[26:27], exec, s[30:31]
	s_or_b64 s[42:43], s[26:27], s[42:43]
	s_andn2_b64 s[26:27], s[94:95], exec
	s_and_b64 s[94:95], s[34:35], exec
	s_or_b64 s[94:95], s[26:27], s[94:95]
	s_andn2_b64 exec, exec, s[42:43]
	s_cbranch_execz .LBB17_309
.LBB17_305:                             ;   Parent Loop BB17_47 Depth=1
                                        ;     Parent Loop BB17_296 Depth=2
                                        ; =>    This Inner Loop Header: Depth=3
	s_sleep 1
	s_waitcnt vmcnt(0) lgkmcnt(0)
	flat_load_dwordx2 v[80:81], v[64:65] sc0 sc1
	s_or_b64 s[34:35], s[34:35], exec
	s_or_b64 s[30:31], s[30:31], exec
                                        ; implicit-def: $vgpr10
	s_and_saveexec_b64 s[36:37], vcc
	s_cbranch_execz .LBB17_304
; %bb.306:                              ;   in Loop: Header=BB17_305 Depth=3
	s_cmpk_lt_i32 s44, 0x270f
	s_cselect_b64 s[50:51], -1, 0
	s_cmpk_gt_i32 s44, 0x270e
	s_mov_b64 s[38:39], -1
	s_cbranch_scc0 .LBB17_308
; %bb.307:                              ;   in Loop: Header=BB17_305 Depth=3
	s_trap 2
	ds_read_b64 v[10:11], v0
	s_andn2_b64 s[50:51], s[50:51], exec
	s_mov_b32 s44, 0
	s_mov_b64 s[48:49], 0
	s_waitcnt vmcnt(0) lgkmcnt(0)
	flat_load_dword v10, v[10:11] sc0 sc1
	s_waitcnt vmcnt(0) lgkmcnt(0)
	buffer_inv sc0 sc1
	v_cmp_eq_u32_e64 s[26:27], 0, v10
	s_and_b64 s[26:27], s[26:27], exec
	s_or_b64 s[50:51], s[50:51], s[26:27]
	s_and_saveexec_b64 s[52:53], s[50:51]
	s_cbranch_execz .LBB17_303
	s_branch .LBB17_302
.LBB17_308:                             ;   in Loop: Header=BB17_305 Depth=3
	s_add_i32 s44, s44, 1
	s_mov_b64 s[48:49], -1
                                        ; implicit-def: $vgpr10
	s_and_saveexec_b64 s[52:53], s[50:51]
	s_cbranch_execz .LBB17_303
	s_branch .LBB17_302
.LBB17_309:                             ;   in Loop: Header=BB17_296 Depth=2
	s_or_b64 exec, exec, s[42:43]
	s_xor_b64 s[26:27], s[94:95], -1
	s_and_saveexec_b64 s[42:43], s[26:27]
	s_xor_b64 s[26:27], exec, s[42:43]
	s_cbranch_execz .LBB17_311
; %bb.310:                              ;   in Loop: Header=BB17_296 Depth=2
	v_or_b32_e32 v94, 64, v94
	s_waitcnt lgkmcnt(0)
	ds_write_b32 v0, v10
	s_trap 2
.LBB17_311:                             ;   in Loop: Header=BB17_296 Depth=2
	s_or_b64 exec, exec, s[26:27]
.LBB17_312:                             ;   in Loop: Header=BB17_296 Depth=2
	s_or_b64 exec, exec, s[40:41]
	v_and_b32_e32 v10, 0x108, v94
	v_cmp_ne_u32_e32 vcc, s87, v10
	;;#ASMSTART
	s_wakeup
	;;#ASMEND
                                        ; implicit-def: $vgpr10_vgpr11
	s_and_saveexec_b64 s[26:27], vcc
	s_xor_b64 s[26:27], exec, s[26:27]
; %bb.313:                              ;   in Loop: Header=BB17_296 Depth=2
	v_and_b32_e32 v10, 7, v56
	v_mov_b32_e32 v11, v3
                                        ; implicit-def: $vgpr56_vgpr57
; %bb.314:                              ;   in Loop: Header=BB17_296 Depth=2
	s_andn2_saveexec_b64 s[26:27], s[26:27]
	s_cbranch_execz .LBB17_316
; %bb.315:                              ;   in Loop: Header=BB17_296 Depth=2
	v_and_b32_e32 v10, 7, v56
	v_ashrrev_i32_e32 v63, 31, v62
	v_mov_b32_e32 v11, v3
	v_mad_u64_u32 v[12:13], s[40:41], v10, 24, v[6:7]
	v_lshlrev_b64 v[14:15], 1, v[62:63]
	flat_store_dwordx2 v[12:13], v[14:15] offset:8
.LBB17_316:                             ;   in Loop: Header=BB17_296 Depth=2
	s_or_b64 exec, exec, s[26:27]
	v_and_b32_e32 v12, 0x100, v94
	v_cmp_ne_u32_e32 vcc, 0, v12
	s_mov_b64 s[26:27], -1
                                        ; implicit-def: $vgpr12_vgpr13
	s_and_saveexec_b64 s[40:41], vcc
	s_cbranch_execz .LBB17_320
; %bb.317:                              ;   in Loop: Header=BB17_296 Depth=2
	v_mad_u64_u32 v[14:15], s[26:27], v10, 24, v[6:7]
	v_mov_b32_e32 v12, v15
	v_mad_u64_u32 v[12:13], s[26:27], v11, 24, v[12:13]
	v_mov_b32_e32 v15, v12
	flat_load_dword v12, v[14:15]
	s_waitcnt vmcnt(0) lgkmcnt(0)
	v_cmp_ne_u32_e32 vcc, 1, v12
	v_cmp_eq_u32_e64 s[26:27], 1, v12
                                        ; implicit-def: $vgpr12_vgpr13
	s_and_saveexec_b64 s[42:43], s[26:27]
	s_cbranch_execz .LBB17_319
; %bb.318:                              ;   in Loop: Header=BB17_296 Depth=2
	flat_load_dword v12, v[14:15] offset:4 sc0 sc1
	s_waitcnt vmcnt(0) lgkmcnt(0)
	v_ashrrev_i32_e32 v13, 31, v12
	v_lshrrev_b64 v[12:13], 1, v[12:13]
.LBB17_319:                             ;   in Loop: Header=BB17_296 Depth=2
	s_or_b64 exec, exec, s[42:43]
	s_orn2_b64 s[26:27], vcc, exec
.LBB17_320:                             ;   in Loop: Header=BB17_296 Depth=2
	s_or_b64 exec, exec, s[40:41]
	s_and_saveexec_b64 s[40:41], s[26:27]
; %bb.321:                              ;   in Loop: Header=BB17_296 Depth=2
	v_mul_lo_u32 v11, v11, v30
	v_mul_lo_u32 v14, v10, v83
	v_mad_u64_u32 v[12:13], s[26:27], v10, v30, 0
	v_add3_u32 v13, v13, v14, v11
; %bb.322:                              ;   in Loop: Header=BB17_296 Depth=2
	s_or_b64 exec, exec, s[40:41]
	v_cmp_eq_u32_e32 vcc, 0, v2
	v_lshl_add_u64 v[10:11], v[12:13], 1, v[66:67]
	s_nop 0
	v_cndmask_b32_e32 v2, v108, v109, vcc
	v_add_u32_e32 v2, v0, v2
	ds_write_b64 v2, v[10:11] offset:584
	v_and_b32_e32 v2, 0x2000, v94
	v_cmp_ne_u32_e32 vcc, 0, v2
	s_and_saveexec_b64 s[26:27], vcc
	s_cbranch_execz .LBB17_324
; %bb.323:                              ;   in Loop: Header=BB17_296 Depth=2
	ds_read_b64 v[10:11], v0 offset:872
	s_waitcnt lgkmcnt(0)
	v_lshl_add_u64 v[10:11], v[10:11], 0, 1
	ds_write_b64 v0, v[10:11] offset:872
.LBB17_324:                             ;   in Loop: Header=BB17_296 Depth=2
	s_or_b64 exec, exec, s[26:27]
	v_mov_b64_e32 v[56:57], v[8:9]
.LBB17_325:                             ;   in Loop: Header=BB17_296 Depth=2
	s_or_b64 exec, exec, s[28:29]
	s_and_saveexec_b64 s[26:27], s[6:7]
	s_cbranch_execz .LBB17_344
; %bb.326:                              ;   in Loop: Header=BB17_296 Depth=2
	s_and_saveexec_b64 s[28:29], s[56:57]
	s_xor_b64 s[28:29], exec, s[28:29]
	s_cbranch_execz .LBB17_341
; %bb.327:                              ;   in Loop: Header=BB17_296 Depth=2
	s_and_saveexec_b64 s[40:41], s[14:15]
	s_cbranch_execz .LBB17_340
; %bb.328:                              ;   in Loop: Header=BB17_296 Depth=2
	s_mov_b64 s[94:95], exec
	v_mbcnt_lo_u32_b32 v2, s94, 0
	v_mbcnt_hi_u32_b32 v2, s95, v2
	v_cmp_eq_u32_e32 vcc, 0, v2
	s_waitcnt lgkmcnt(0)
	s_and_saveexec_b64 s[42:43], vcc
	s_cbranch_execz .LBB17_330
; %bb.329:                              ;   in Loop: Header=BB17_296 Depth=2
	s_bcnt1_i32_b64 s44, s[94:95]
	v_mov_b32_e32 v2, s44
	ds_add_u64 v0, v[2:3]
	s_trap 2
.LBB17_330:                             ;   in Loop: Header=BB17_296 Depth=2
	s_or_b64 exec, exec, s[42:43]
	s_trap 2
	ds_read_b64 v[8:9], v0
	s_waitcnt lgkmcnt(0)
	v_lshl_add_u64 v[70:71], v[70:71], 0, v[84:85]
	v_cmp_lt_u64_e32 vcc, v[8:9], v[70:71]
	s_and_saveexec_b64 s[42:43], vcc
	s_cbranch_execz .LBB17_339
; %bb.331:                              ;   in Loop: Header=BB17_296 Depth=2
	s_mov_b32 s44, 0
	s_mov_b64 s[94:95], 0
                                        ; implicit-def: $sgpr30_sgpr31
                                        ; implicit-def: $sgpr34_sgpr35
	s_branch .LBB17_333
.LBB17_332:                             ;   in Loop: Header=BB17_333 Depth=3
	s_or_b64 exec, exec, s[38:39]
	s_and_b64 vcc, exec, vcc
	s_or_b64 s[94:95], vcc, s[94:95]
	s_andn2_b64 vcc, s[30:31], exec
	s_and_b64 s[30:31], s[34:35], exec
	s_or_b64 s[30:31], vcc, s[30:31]
	s_andn2_b64 exec, exec, s[94:95]
	s_cbranch_execz .LBB17_337
.LBB17_333:                             ;   Parent Loop BB17_47 Depth=1
                                        ;     Parent Loop BB17_296 Depth=2
                                        ; =>    This Inner Loop Header: Depth=3
	s_add_i32 s44, s44, 1
	s_cmpk_lg_i32 s44, 0x2710
	s_cselect_b64 s[36:37], -1, 0
	s_and_b64 vcc, exec, s[36:37]
	s_cbranch_vccz .LBB17_335
; %bb.334:                              ;   in Loop: Header=BB17_333 Depth=3
	s_mov_b64 vcc, -1
	s_or_b64 s[34:35], s[34:35], exec
	s_and_saveexec_b64 s[38:39], s[36:37]
	s_cbranch_execz .LBB17_332
	s_branch .LBB17_336
.LBB17_335:                             ;   in Loop: Header=BB17_333 Depth=3
	s_trap 2
	ds_read_b64 v[8:9], v0
	s_andn2_b64 s[36:37], s[36:37], exec
	s_mov_b32 s44, 0
	s_waitcnt vmcnt(0) lgkmcnt(0)
	flat_load_dword v2, v[8:9] sc0 sc1
	s_waitcnt vmcnt(0) lgkmcnt(0)
	buffer_inv sc0 sc1
	v_cmp_eq_u32_e32 vcc, 0, v2
	s_and_b64 vcc, vcc, exec
	s_or_b64 s[36:37], s[36:37], vcc
	s_mov_b64 vcc, -1
	s_or_b64 s[34:35], s[34:35], exec
	s_and_saveexec_b64 s[38:39], s[36:37]
	s_cbranch_execz .LBB17_332
.LBB17_336:                             ;   in Loop: Header=BB17_333 Depth=3
	s_sleep 1
	s_trap 2
	ds_read_b64 v[8:9], v0
	s_waitcnt lgkmcnt(0)
	s_andn2_b64 s[34:35], s[34:35], exec
	v_cmp_ge_u64_e32 vcc, v[8:9], v[70:71]
	s_orn2_b64 vcc, vcc, exec
	s_branch .LBB17_332
.LBB17_337:                             ;   in Loop: Header=BB17_296 Depth=2
	s_or_b64 exec, exec, s[94:95]
	s_and_saveexec_b64 s[44:45], s[30:31]
	s_xor_b64 s[44:45], exec, s[44:45]
	s_cbranch_execz .LBB17_339
; %bb.338:                              ;   in Loop: Header=BB17_296 Depth=2
	ds_write_b32 v0, v107
	s_trap 2
.LBB17_339:                             ;   in Loop: Header=BB17_296 Depth=2
	s_or_b64 exec, exec, s[42:43]
	;;#ASMSTART
	s_wakeup
	;;#ASMEND
.LBB17_340:                             ;   in Loop: Header=BB17_296 Depth=2
	s_or_b64 exec, exec, s[40:41]
.LBB17_341:                             ;   in Loop: Header=BB17_296 Depth=2
	s_andn2_saveexec_b64 s[28:29], s[28:29]
	s_cbranch_execz .LBB17_343
; %bb.342:                              ;   in Loop: Header=BB17_296 Depth=2
	s_waitcnt lgkmcnt(0)
	s_barrier
.LBB17_343:                             ;   in Loop: Header=BB17_296 Depth=2
	s_or_b64 exec, exec, s[28:29]
.LBB17_344:                             ;   in Loop: Header=BB17_296 Depth=2
	s_or_b64 exec, exec, s[26:27]
	s_trap 2
	ds_read_b32 v8, v0
	v_and_b32_e32 v2, 0x4000, v94
	v_cmp_ne_u32_e32 vcc, 0, v2
	s_xor_b64 s[26:27], s[4:5], -1
	s_and_b64 s[28:29], s[26:27], vcc
	s_and_saveexec_b64 s[26:27], s[28:29]
	s_cbranch_execz .LBB17_363
; %bb.345:                              ;   in Loop: Header=BB17_296 Depth=2
	s_and_saveexec_b64 s[28:29], s[56:57]
	s_xor_b64 s[28:29], exec, s[28:29]
	s_cbranch_execz .LBB17_360
; %bb.346:                              ;   in Loop: Header=BB17_296 Depth=2
	s_and_saveexec_b64 s[40:41], s[14:15]
	s_cbranch_execz .LBB17_359
; %bb.347:                              ;   in Loop: Header=BB17_296 Depth=2
	s_mov_b64 s[94:95], exec
	v_mbcnt_lo_u32_b32 v2, s94, 0
	v_mbcnt_hi_u32_b32 v2, s95, v2
	v_cmp_eq_u32_e32 vcc, 0, v2
	s_waitcnt lgkmcnt(0)
	s_and_saveexec_b64 s[42:43], vcc
	s_cbranch_execz .LBB17_349
; %bb.348:                              ;   in Loop: Header=BB17_296 Depth=2
	s_bcnt1_i32_b64 s44, s[94:95]
	v_mov_b32_e32 v2, s44
	ds_add_u64 v0, v[2:3]
	s_trap 2
.LBB17_349:                             ;   in Loop: Header=BB17_296 Depth=2
	s_or_b64 exec, exec, s[42:43]
	s_trap 2
	ds_read_b64 v[10:11], v0
	s_waitcnt lgkmcnt(0)
	v_lshl_add_u64 v[70:71], v[70:71], 0, v[84:85]
	v_cmp_lt_u64_e32 vcc, v[10:11], v[70:71]
	s_and_saveexec_b64 s[42:43], vcc
	s_cbranch_execz .LBB17_358
; %bb.350:                              ;   in Loop: Header=BB17_296 Depth=2
	s_mov_b32 s44, 0
	s_mov_b64 s[94:95], 0
                                        ; implicit-def: $sgpr30_sgpr31
                                        ; implicit-def: $sgpr34_sgpr35
	s_branch .LBB17_352
.LBB17_351:                             ;   in Loop: Header=BB17_352 Depth=3
	s_or_b64 exec, exec, s[38:39]
	s_and_b64 vcc, exec, vcc
	s_or_b64 s[94:95], vcc, s[94:95]
	s_andn2_b64 vcc, s[30:31], exec
	s_and_b64 s[30:31], s[34:35], exec
	s_or_b64 s[30:31], vcc, s[30:31]
	s_andn2_b64 exec, exec, s[94:95]
	s_cbranch_execz .LBB17_356
.LBB17_352:                             ;   Parent Loop BB17_47 Depth=1
                                        ;     Parent Loop BB17_296 Depth=2
                                        ; =>    This Inner Loop Header: Depth=3
	s_add_i32 s44, s44, 1
	s_cmpk_lg_i32 s44, 0x2710
	s_cselect_b64 s[36:37], -1, 0
	s_and_b64 vcc, exec, s[36:37]
	s_cbranch_vccz .LBB17_354
; %bb.353:                              ;   in Loop: Header=BB17_352 Depth=3
	s_mov_b64 vcc, -1
	s_or_b64 s[34:35], s[34:35], exec
	s_and_saveexec_b64 s[38:39], s[36:37]
	s_cbranch_execz .LBB17_351
	s_branch .LBB17_355
.LBB17_354:                             ;   in Loop: Header=BB17_352 Depth=3
	s_trap 2
	ds_read_b64 v[10:11], v0
	s_andn2_b64 s[36:37], s[36:37], exec
	s_mov_b32 s44, 0
	s_waitcnt vmcnt(0) lgkmcnt(0)
	flat_load_dword v2, v[10:11] sc0 sc1
	s_waitcnt vmcnt(0) lgkmcnt(0)
	buffer_inv sc0 sc1
	v_cmp_eq_u32_e32 vcc, 0, v2
	s_and_b64 vcc, vcc, exec
	s_or_b64 s[36:37], s[36:37], vcc
	s_mov_b64 vcc, -1
	s_or_b64 s[34:35], s[34:35], exec
	s_and_saveexec_b64 s[38:39], s[36:37]
	s_cbranch_execz .LBB17_351
.LBB17_355:                             ;   in Loop: Header=BB17_352 Depth=3
	s_sleep 1
	s_trap 2
	ds_read_b64 v[10:11], v0
	s_waitcnt lgkmcnt(0)
	s_andn2_b64 s[34:35], s[34:35], exec
	v_cmp_ge_u64_e32 vcc, v[10:11], v[70:71]
	s_orn2_b64 vcc, vcc, exec
	s_branch .LBB17_351
.LBB17_356:                             ;   in Loop: Header=BB17_296 Depth=2
	s_or_b64 exec, exec, s[94:95]
	s_and_saveexec_b64 s[44:45], s[30:31]
	s_xor_b64 s[44:45], exec, s[44:45]
	s_cbranch_execz .LBB17_358
; %bb.357:                              ;   in Loop: Header=BB17_296 Depth=2
	ds_write_b32 v0, v107
	s_trap 2
.LBB17_358:                             ;   in Loop: Header=BB17_296 Depth=2
	s_or_b64 exec, exec, s[42:43]
	;;#ASMSTART
	s_wakeup
	;;#ASMEND
.LBB17_359:                             ;   in Loop: Header=BB17_296 Depth=2
	s_or_b64 exec, exec, s[40:41]
.LBB17_360:                             ;   in Loop: Header=BB17_296 Depth=2
	s_andn2_saveexec_b64 s[28:29], s[28:29]
	s_cbranch_execz .LBB17_362
; %bb.361:                              ;   in Loop: Header=BB17_296 Depth=2
	s_waitcnt lgkmcnt(0)
	s_barrier
.LBB17_362:                             ;   in Loop: Header=BB17_296 Depth=2
	s_or_b64 exec, exec, s[28:29]
.LBB17_363:                             ;   in Loop: Header=BB17_296 Depth=2
	s_or_b64 exec, exec, s[26:27]
	s_trap 2
	ds_read_b64 v[72:73], v0
	s_waitcnt lgkmcnt(0)
	v_cmp_eq_u64_e32 vcc, 0, v[72:73]
	s_cbranch_vccnz .LBB17_371
; %bb.364:                              ;   in Loop: Header=BB17_296 Depth=2
	s_trap 2
	ds_read_b64 v[74:75], v0
	s_waitcnt lgkmcnt(0)
	v_cmp_eq_u64_e32 vcc, 0, v[74:75]
	s_cbranch_vccnz .LBB17_371
; %bb.365:                              ;   in Loop: Header=BB17_296 Depth=2
	s_trap 2
	ds_read_b64 v[10:11], v0
	s_mov_b64 s[28:29], -1
	s_waitcnt lgkmcnt(0)
	v_readfirstlane_b32 s42, v10
	s_and_saveexec_b64 s[26:27], s[20:21]
	s_cbranch_execz .LBB17_367
; %bb.366:                              ;   in Loop: Header=BB17_296 Depth=2
	ds_read_b32 v2, v0 offset:720
	s_waitcnt lgkmcnt(0)
	v_and_b32_e32 v2, 15, v2
	v_cmp_eq_u32_e32 vcc, 0, v2
	s_orn2_b64 s[28:29], vcc, exec
.LBB17_367:                             ;   in Loop: Header=BB17_296 Depth=2
	s_or_b64 exec, exec, s[26:27]
	s_and_saveexec_b64 s[26:27], s[18:19]
	s_cbranch_execz .LBB17_369
; %bb.368:                              ;   in Loop: Header=BB17_296 Depth=2
	ds_read_b32 v2, v0 offset:784
	s_waitcnt lgkmcnt(0)
	v_and_b32_e32 v2, 15, v2
	v_cmp_eq_u32_e32 vcc, 0, v2
	s_and_b64 s[40:41], s[28:29], vcc
	s_andn2_b64 s[28:29], s[28:29], exec
	s_and_b64 s[40:41], s[40:41], exec
	s_or_b64 s[28:29], s[28:29], s[40:41]
.LBB17_369:                             ;   in Loop: Header=BB17_296 Depth=2
	s_or_b64 exec, exec, s[26:27]
	s_xor_b64 s[28:29], s[28:29], -1
	v_cndmask_b32_e64 v2, 0, 1, s[28:29]
	v_cmp_eq_u32_e64 s[26:27], 0, v8
	s_mov_b64 s[40:41], -1
	v_cmp_ne_u32_e32 vcc, 0, v2
	s_cbranch_vccz .LBB17_376
; %bb.370:                              ;   in Loop: Header=BB17_296 Depth=2
	s_and_b32 s44, s42, 1
	s_mov_b64 s[40:41], 0
	s_mov_b64 s[94:95], -1
	s_branch .LBB17_377
.LBB17_371:                             ;   in Loop: Header=BB17_296 Depth=2
	s_mov_b64 s[26:27], 0
	s_and_saveexec_b64 s[28:29], s[6:7]
	s_cbranch_execnz .LBB17_829
.LBB17_372:                             ;   in Loop: Header=BB17_296 Depth=2
	s_or_b64 exec, exec, s[28:29]
                                        ; implicit-def: $vgpr2
	s_and_saveexec_b64 s[28:29], s[22:23]
	s_xor_b64 s[28:29], exec, s[28:29]
	s_cbranch_execz .LBB17_847
.LBB17_373:                             ;   in Loop: Header=BB17_296 Depth=2
	v_and_b32_e32 v8, 16, v94
	v_cmp_ne_u32_e32 vcc, 0, v8
	v_and_b32_e32 v2, 16, v94
	s_and_b64 s[40:41], vcc, s[26:27]
	s_and_saveexec_b64 s[26:27], s[40:41]
	s_cbranch_execz .LBB17_375
; %bb.374:                              ;   in Loop: Header=BB17_296 Depth=2
	v_mov_b32_e32 v2, 1
	buffer_wbl2 sc1
	s_waitcnt vmcnt(0) lgkmcnt(0)
	buffer_inv sc1
.LBB17_375:                             ;   in Loop: Header=BB17_296 Depth=2
	s_or_b64 exec, exec, s[26:27]
	s_andn2_saveexec_b64 s[26:27], s[28:29]
	s_cbranch_execz .LBB17_866
	s_branch .LBB17_848
.LBB17_376:                             ;   in Loop: Header=BB17_296 Depth=2
	s_mov_b64 s[94:95], 0
                                        ; implicit-def: $sgpr44
.LBB17_377:                             ;   in Loop: Header=BB17_296 Depth=2
	v_cndmask_b32_e64 v2, 0, v62, s[26:27]
	v_lshlrev_b32_e32 v63, 1, v2
	s_andn2_b64 vcc, exec, s[40:41]
	v_mov_b32_e32 v14, 0
	s_cbranch_vccnz .LBB17_513
; %bb.378:                              ;   in Loop: Header=BB17_296 Depth=2
	v_ashrrev_i32_e32 v8, 31, v63
	v_lshrrev_b32_e32 v8, 21, v8
	v_add_u32_e32 v8, v63, v8
	v_ashrrev_i32_e32 v91, 11, v8
	v_sub_u32_e32 v92, v91, v104
	s_and_b32 s44, s42, 1
	v_lshl_add_u64 v[76:77], v[74:75], 0, v[102:103]
	v_cmp_lt_i32_e32 vcc, 0, v92
	s_mov_b64 s[26:27], 0
                                        ; implicit-def: $vgpr20_vgpr21
                                        ; implicit-def: $vgpr12_vgpr13
                                        ; implicit-def: $vgpr16_vgpr17
                                        ; implicit-def: $vgpr8_vgpr9
	s_and_saveexec_b64 s[28:29], vcc
	s_cbranch_execz .LBB17_515
; %bb.379:                              ;   in Loop: Header=BB17_296 Depth=2
	s_trap 2
	ds_read_b64 v[8:9], v0
	s_and_b32 s26, 0xffff, s44
	s_cmp_eq_u32 s26, 0
	v_lshl_add_u64 v[78:79], v[72:73], 0, v[102:103]
	s_mov_b64 s[30:31], 0
	s_waitcnt lgkmcnt(0)
	v_lshl_add_u64 v[88:89], v[8:9], 0, v[102:103]
	s_mov_b64 s[40:41], 0
	s_cselect_b64 vcc, -1, 0
                                        ; implicit-def: $sgpr42_sgpr43
                                        ; implicit-def: $vgpr20_vgpr21
                                        ; implicit-def: $vgpr12_vgpr13
                                        ; implicit-def: $vgpr16_vgpr17
                                        ; implicit-def: $vgpr8_vgpr9
	s_branch .LBB17_381
.LBB17_380:                             ;   in Loop: Header=BB17_381 Depth=3
	s_or_b64 exec, exec, s[34:35]
	v_lshrrev_b32_e32 v31, 16, v48
	v_and_or_b32 v35, v37, s46, v31
	v_lshrrev_b32_e32 v31, 16, v52
	v_lshrrev_b32_e32 v28, 16, v28
	v_and_or_b32 v34, v36, s46, v31
	v_lshrrev_b32_e32 v31, 16, v49
	v_and_or_b32 v25, v25, s46, v28
	;; [unrolled: 2-line block ×5, first 2 shown]
	v_and_or_b32 v26, v26, s46, v28
	v_lshrrev_b32_e32 v28, 16, v32
	v_and_or_b32 v27, v27, s46, v28
	global_store_dwordx4 v[76:77], v[34:37], off
	global_store_dwordx4 v[76:77], v[24:27], off offset:1024
	v_cndmask_b32_e64 v29, 0, v41, s[30:31]
	v_cndmask_b32_e64 v28, v110, v40, s[30:31]
	v_lshl_add_u64 v[24:25], v[78:79], 0, v[112:113]
	v_cndmask_b32_e64 v78, v78, v24, s[30:31]
	v_cndmask_b32_e64 v24, 0, v84, s[30:31]
	v_sub_u32_e32 v92, v92, v24
	v_cmp_gt_i32_e64 s[26:27], 1, v92
	s_or_b64 s[40:41], s[26:27], s[40:41]
	v_lshl_add_u64 v[26:27], v[88:89], 0, v[112:113]
	s_andn2_b64 s[26:27], s[42:43], exec
	s_and_b64 s[42:43], s[30:31], exec
	v_lshl_add_u64 v[76:77], v[76:77], 0, v[28:29]
	v_cndmask_b32_e64 v79, v79, v25, s[30:31]
	v_cndmask_b32_e64 v89, v89, v27, s[30:31]
	;; [unrolled: 1-line block ×3, first 2 shown]
	s_or_b64 s[42:43], s[26:27], s[42:43]
	s_andn2_b64 exec, exec, s[40:41]
	s_cbranch_execz .LBB17_514
.LBB17_381:                             ;   Parent Loop BB17_47 Depth=1
                                        ;     Parent Loop BB17_296 Depth=2
                                        ; =>    This Inner Loop Header: Depth=3
	global_load_dwordx4 v[36:39], v[78:79], off nt
	global_load_dwordx4 v[24:27], v[78:79], off offset:1024 nt
	global_load_dwordx4 v[48:51], v[88:89], off nt
	global_load_dwordx4 v[32:35], v[88:89], off offset:1024 nt
	s_and_saveexec_b64 s[34:35], s[30:31]
	s_cbranch_execz .LBB17_447
; %bb.382:                              ;   in Loop: Header=BB17_381 Depth=3
	v_lshlrev_b32_e32 v28, 16, v20
	v_lshlrev_b32_e32 v29, 16, v16
	v_max_f32_e32 v29, v29, v29
	v_max_f32_e32 v28, v28, v28
	v_min_f32_e32 v31, v28, v29
	v_max_f32_e32 v28, v28, v29
	v_cndmask_b32_e32 v28, v28, v31, vcc
	v_and_b32_e32 v29, 0x7f800000, v28
	v_cmp_ne_u32_e64 s[26:27], s96, v29
                                        ; implicit-def: $vgpr52
	s_and_saveexec_b64 s[30:31], s[26:27]
	s_xor_b64 s[26:27], exec, s[30:31]
; %bb.383:                              ;   in Loop: Header=BB17_381 Depth=3
	v_bfe_u32 v29, v28, 16, 1
	v_add3_u32 v52, v28, v29, s97
                                        ; implicit-def: $vgpr28
; %bb.384:                              ;   in Loop: Header=BB17_381 Depth=3
	s_andn2_saveexec_b64 s[30:31], s[26:27]
; %bb.385:                              ;   in Loop: Header=BB17_381 Depth=3
	v_or_b32_e32 v29, 0x10000, v28
	v_cmp_eq_u32_sdwa s[26:27], v28, v3 src0_sel:WORD_0 src1_sel:DWORD
	s_nop 1
	v_cndmask_b32_e64 v52, v29, v28, s[26:27]
; %bb.386:                              ;   in Loop: Header=BB17_381 Depth=3
	s_or_b64 exec, exec, s[30:31]
	v_and_b32_e32 v20, 0xffff0000, v20
	v_and_b32_e32 v28, 0xffff0000, v16
	v_max_f32_e32 v28, v28, v28
	v_max_f32_e32 v20, v20, v20
	v_min_f32_e32 v29, v20, v28
	v_max_f32_e32 v20, v20, v28
	v_cndmask_b32_e32 v28, v20, v29, vcc
	v_and_b32_e32 v20, 0x7f800000, v28
	v_cmp_ne_u32_e64 s[26:27], s96, v20
                                        ; implicit-def: $vgpr20
	s_and_saveexec_b64 s[30:31], s[26:27]
	s_xor_b64 s[26:27], exec, s[30:31]
; %bb.387:                              ;   in Loop: Header=BB17_381 Depth=3
	v_bfe_u32 v20, v28, 16, 1
	v_add3_u32 v20, v28, v20, s97
                                        ; implicit-def: $vgpr28
; %bb.388:                              ;   in Loop: Header=BB17_381 Depth=3
	s_andn2_saveexec_b64 s[30:31], s[26:27]
; %bb.389:                              ;   in Loop: Header=BB17_381 Depth=3
	v_or_b32_e32 v20, 0x10000, v28
	v_cmp_eq_u32_sdwa s[26:27], v28, v3 src0_sel:WORD_0 src1_sel:DWORD
	s_nop 1
	v_cndmask_b32_e64 v20, v20, v28, s[26:27]
; %bb.390:                              ;   in Loop: Header=BB17_381 Depth=3
	s_or_b64 exec, exec, s[30:31]
	v_lshlrev_b32_e32 v28, 16, v21
	v_lshlrev_b32_e32 v29, 16, v17
	v_max_f32_e32 v29, v29, v29
	v_max_f32_e32 v28, v28, v28
	v_min_f32_e32 v31, v28, v29
	v_max_f32_e32 v28, v28, v29
	v_cndmask_b32_e32 v28, v28, v31, vcc
	v_and_b32_e32 v29, 0x7f800000, v28
	v_cmp_ne_u32_e64 s[26:27], s96, v29
                                        ; implicit-def: $vgpr53
	s_and_saveexec_b64 s[30:31], s[26:27]
	s_xor_b64 s[26:27], exec, s[30:31]
; %bb.391:                              ;   in Loop: Header=BB17_381 Depth=3
	v_bfe_u32 v29, v28, 16, 1
	v_add3_u32 v53, v28, v29, s97
                                        ; implicit-def: $vgpr28
; %bb.392:                              ;   in Loop: Header=BB17_381 Depth=3
	s_andn2_saveexec_b64 s[30:31], s[26:27]
; %bb.393:                              ;   in Loop: Header=BB17_381 Depth=3
	v_or_b32_e32 v29, 0x10000, v28
	v_cmp_eq_u32_sdwa s[26:27], v28, v3 src0_sel:WORD_0 src1_sel:DWORD
	s_nop 1
	v_cndmask_b32_e64 v53, v29, v28, s[26:27]
; %bb.394:                              ;   in Loop: Header=BB17_381 Depth=3
	s_or_b64 exec, exec, s[30:31]
	v_and_b32_e32 v21, 0xffff0000, v21
	v_and_b32_e32 v28, 0xffff0000, v17
	v_max_f32_e32 v28, v28, v28
	v_max_f32_e32 v21, v21, v21
	v_min_f32_e32 v29, v21, v28
	v_max_f32_e32 v21, v21, v28
	v_cndmask_b32_e32 v28, v21, v29, vcc
	v_and_b32_e32 v21, 0x7f800000, v28
	v_cmp_ne_u32_e64 s[26:27], s96, v21
                                        ; implicit-def: $vgpr21
	s_and_saveexec_b64 s[30:31], s[26:27]
	s_xor_b64 s[26:27], exec, s[30:31]
; %bb.395:                              ;   in Loop: Header=BB17_381 Depth=3
	v_bfe_u32 v21, v28, 16, 1
	v_add3_u32 v21, v28, v21, s97
                                        ; implicit-def: $vgpr28
; %bb.396:                              ;   in Loop: Header=BB17_381 Depth=3
	s_andn2_saveexec_b64 s[30:31], s[26:27]
; %bb.397:                              ;   in Loop: Header=BB17_381 Depth=3
	v_or_b32_e32 v21, 0x10000, v28
	v_cmp_eq_u32_sdwa s[26:27], v28, v3 src0_sel:WORD_0 src1_sel:DWORD
	s_nop 1
	v_cndmask_b32_e64 v21, v21, v28, s[26:27]
; %bb.398:                              ;   in Loop: Header=BB17_381 Depth=3
	s_or_b64 exec, exec, s[30:31]
	v_lshlrev_b32_e32 v28, 16, v22
	v_lshlrev_b32_e32 v29, 16, v18
	v_max_f32_e32 v29, v29, v29
	v_max_f32_e32 v28, v28, v28
	v_min_f32_e32 v31, v28, v29
	v_max_f32_e32 v28, v28, v29
	v_cndmask_b32_e32 v28, v28, v31, vcc
	v_and_b32_e32 v29, 0x7f800000, v28
	v_cmp_ne_u32_e64 s[26:27], s96, v29
                                        ; implicit-def: $vgpr82
	s_and_saveexec_b64 s[30:31], s[26:27]
	s_xor_b64 s[26:27], exec, s[30:31]
; %bb.399:                              ;   in Loop: Header=BB17_381 Depth=3
	v_bfe_u32 v29, v28, 16, 1
	v_add3_u32 v82, v28, v29, s97
                                        ; implicit-def: $vgpr28
; %bb.400:                              ;   in Loop: Header=BB17_381 Depth=3
	s_andn2_saveexec_b64 s[30:31], s[26:27]
; %bb.401:                              ;   in Loop: Header=BB17_381 Depth=3
	v_or_b32_e32 v29, 0x10000, v28
	v_cmp_eq_u32_sdwa s[26:27], v28, v3 src0_sel:WORD_0 src1_sel:DWORD
	s_nop 1
	v_cndmask_b32_e64 v82, v29, v28, s[26:27]
; %bb.402:                              ;   in Loop: Header=BB17_381 Depth=3
	s_or_b64 exec, exec, s[30:31]
	v_and_b32_e32 v22, 0xffff0000, v22
	v_and_b32_e32 v28, 0xffff0000, v18
	v_max_f32_e32 v28, v28, v28
	v_max_f32_e32 v22, v22, v22
	v_min_f32_e32 v29, v22, v28
	v_max_f32_e32 v22, v22, v28
	v_cndmask_b32_e32 v28, v22, v29, vcc
	v_and_b32_e32 v22, 0x7f800000, v28
	v_cmp_ne_u32_e64 s[26:27], s96, v22
                                        ; implicit-def: $vgpr22
	s_and_saveexec_b64 s[30:31], s[26:27]
	s_xor_b64 s[26:27], exec, s[30:31]
; %bb.403:                              ;   in Loop: Header=BB17_381 Depth=3
	v_bfe_u32 v22, v28, 16, 1
	v_add3_u32 v22, v28, v22, s97
                                        ; implicit-def: $vgpr28
; %bb.404:                              ;   in Loop: Header=BB17_381 Depth=3
	s_andn2_saveexec_b64 s[30:31], s[26:27]
; %bb.405:                              ;   in Loop: Header=BB17_381 Depth=3
	v_or_b32_e32 v22, 0x10000, v28
	v_cmp_eq_u32_sdwa s[26:27], v28, v3 src0_sel:WORD_0 src1_sel:DWORD
	s_nop 1
	v_cndmask_b32_e64 v22, v22, v28, s[26:27]
; %bb.406:                              ;   in Loop: Header=BB17_381 Depth=3
	s_or_b64 exec, exec, s[30:31]
	v_lshlrev_b32_e32 v28, 16, v23
	v_lshlrev_b32_e32 v29, 16, v19
	v_max_f32_e32 v29, v29, v29
	v_max_f32_e32 v28, v28, v28
	v_min_f32_e32 v31, v28, v29
	v_max_f32_e32 v28, v28, v29
	v_cndmask_b32_e32 v28, v28, v31, vcc
	v_and_b32_e32 v29, 0x7f800000, v28
	v_cmp_ne_u32_e64 s[26:27], s96, v29
                                        ; implicit-def: $vgpr54
	s_and_saveexec_b64 s[30:31], s[26:27]
	s_xor_b64 s[26:27], exec, s[30:31]
; %bb.407:                              ;   in Loop: Header=BB17_381 Depth=3
	v_bfe_u32 v29, v28, 16, 1
	v_add3_u32 v54, v28, v29, s97
                                        ; implicit-def: $vgpr28
; %bb.408:                              ;   in Loop: Header=BB17_381 Depth=3
	s_andn2_saveexec_b64 s[30:31], s[26:27]
; %bb.409:                              ;   in Loop: Header=BB17_381 Depth=3
	v_or_b32_e32 v29, 0x10000, v28
	v_cmp_eq_u32_sdwa s[26:27], v28, v3 src0_sel:WORD_0 src1_sel:DWORD
	s_nop 1
	v_cndmask_b32_e64 v54, v29, v28, s[26:27]
; %bb.410:                              ;   in Loop: Header=BB17_381 Depth=3
	s_or_b64 exec, exec, s[30:31]
	v_and_b32_e32 v23, 0xffff0000, v23
	v_and_b32_e32 v28, 0xffff0000, v19
	v_max_f32_e32 v28, v28, v28
	v_max_f32_e32 v23, v23, v23
	v_min_f32_e32 v29, v23, v28
	v_max_f32_e32 v23, v23, v28
	v_cndmask_b32_e32 v28, v23, v29, vcc
	v_and_b32_e32 v23, 0x7f800000, v28
	v_cmp_ne_u32_e64 s[26:27], s96, v23
                                        ; implicit-def: $vgpr23
	s_and_saveexec_b64 s[30:31], s[26:27]
	s_xor_b64 s[26:27], exec, s[30:31]
; %bb.411:                              ;   in Loop: Header=BB17_381 Depth=3
	v_bfe_u32 v23, v28, 16, 1
	v_add3_u32 v23, v28, v23, s97
                                        ; implicit-def: $vgpr28
; %bb.412:                              ;   in Loop: Header=BB17_381 Depth=3
	s_andn2_saveexec_b64 s[30:31], s[26:27]
; %bb.413:                              ;   in Loop: Header=BB17_381 Depth=3
	v_or_b32_e32 v23, 0x10000, v28
	v_cmp_eq_u32_sdwa s[26:27], v28, v3 src0_sel:WORD_0 src1_sel:DWORD
	s_nop 1
	v_cndmask_b32_e64 v23, v23, v28, s[26:27]
; %bb.414:                              ;   in Loop: Header=BB17_381 Depth=3
	s_or_b64 exec, exec, s[30:31]
	v_lshlrev_b32_e32 v28, 16, v12
	v_lshlrev_b32_e32 v29, 16, v8
	v_max_f32_e32 v29, v29, v29
	v_max_f32_e32 v28, v28, v28
	v_min_f32_e32 v31, v28, v29
	v_max_f32_e32 v28, v28, v29
	v_cndmask_b32_e32 v28, v28, v31, vcc
	v_and_b32_e32 v29, 0x7f800000, v28
	v_cmp_ne_u32_e64 s[26:27], s96, v29
                                        ; implicit-def: $vgpr55
	s_and_saveexec_b64 s[30:31], s[26:27]
	s_xor_b64 s[26:27], exec, s[30:31]
; %bb.415:                              ;   in Loop: Header=BB17_381 Depth=3
	v_bfe_u32 v29, v28, 16, 1
	v_add3_u32 v55, v28, v29, s97
                                        ; implicit-def: $vgpr28
; %bb.416:                              ;   in Loop: Header=BB17_381 Depth=3
	s_andn2_saveexec_b64 s[30:31], s[26:27]
; %bb.417:                              ;   in Loop: Header=BB17_381 Depth=3
	v_or_b32_e32 v29, 0x10000, v28
	v_cmp_eq_u32_sdwa s[26:27], v28, v3 src0_sel:WORD_0 src1_sel:DWORD
	s_nop 1
	v_cndmask_b32_e64 v55, v29, v28, s[26:27]
; %bb.418:                              ;   in Loop: Header=BB17_381 Depth=3
	s_or_b64 exec, exec, s[30:31]
	v_and_b32_e32 v12, 0xffff0000, v12
	v_and_b32_e32 v28, 0xffff0000, v8
	v_max_f32_e32 v28, v28, v28
	v_max_f32_e32 v12, v12, v12
	v_min_f32_e32 v29, v12, v28
	v_max_f32_e32 v12, v12, v28
	v_cndmask_b32_e32 v28, v12, v29, vcc
	v_and_b32_e32 v12, 0x7f800000, v28
	v_cmp_ne_u32_e64 s[26:27], s96, v12
                                        ; implicit-def: $vgpr12
	s_and_saveexec_b64 s[30:31], s[26:27]
	s_xor_b64 s[26:27], exec, s[30:31]
; %bb.419:                              ;   in Loop: Header=BB17_381 Depth=3
	v_bfe_u32 v12, v28, 16, 1
	v_add3_u32 v12, v28, v12, s97
                                        ; implicit-def: $vgpr28
; %bb.420:                              ;   in Loop: Header=BB17_381 Depth=3
	s_andn2_saveexec_b64 s[30:31], s[26:27]
; %bb.421:                              ;   in Loop: Header=BB17_381 Depth=3
	v_or_b32_e32 v12, 0x10000, v28
	v_cmp_eq_u32_sdwa s[26:27], v28, v3 src0_sel:WORD_0 src1_sel:DWORD
	s_nop 1
	v_cndmask_b32_e64 v12, v12, v28, s[26:27]
; %bb.422:                              ;   in Loop: Header=BB17_381 Depth=3
	s_or_b64 exec, exec, s[30:31]
	v_lshlrev_b32_e32 v28, 16, v13
	v_lshlrev_b32_e32 v29, 16, v9
	v_max_f32_e32 v29, v29, v29
	v_max_f32_e32 v28, v28, v28
	v_min_f32_e32 v31, v28, v29
	v_max_f32_e32 v28, v28, v29
	v_cndmask_b32_e32 v29, v28, v31, vcc
	v_and_b32_e32 v28, 0x7f800000, v29
	v_cmp_ne_u32_e64 s[26:27], s96, v28
                                        ; implicit-def: $vgpr28
	s_and_saveexec_b64 s[30:31], s[26:27]
	s_xor_b64 s[26:27], exec, s[30:31]
; %bb.423:                              ;   in Loop: Header=BB17_381 Depth=3
	v_bfe_u32 v28, v29, 16, 1
	v_add3_u32 v28, v29, v28, s97
                                        ; implicit-def: $vgpr29
; %bb.424:                              ;   in Loop: Header=BB17_381 Depth=3
	s_andn2_saveexec_b64 s[30:31], s[26:27]
; %bb.425:                              ;   in Loop: Header=BB17_381 Depth=3
	v_or_b32_e32 v28, 0x10000, v29
	v_cmp_eq_u32_sdwa s[26:27], v29, v3 src0_sel:WORD_0 src1_sel:DWORD
	s_nop 1
	v_cndmask_b32_e64 v28, v28, v29, s[26:27]
; %bb.426:                              ;   in Loop: Header=BB17_381 Depth=3
	s_or_b64 exec, exec, s[30:31]
	v_and_b32_e32 v13, 0xffff0000, v13
	v_and_b32_e32 v29, 0xffff0000, v9
	v_max_f32_e32 v29, v29, v29
	v_max_f32_e32 v13, v13, v13
	v_min_f32_e32 v31, v13, v29
	v_max_f32_e32 v13, v13, v29
	v_cndmask_b32_e32 v29, v13, v31, vcc
	v_and_b32_e32 v13, 0x7f800000, v29
	v_cmp_ne_u32_e64 s[26:27], s96, v13
                                        ; implicit-def: $vgpr13
	s_and_saveexec_b64 s[30:31], s[26:27]
	s_xor_b64 s[26:27], exec, s[30:31]
; %bb.427:                              ;   in Loop: Header=BB17_381 Depth=3
	v_bfe_u32 v13, v29, 16, 1
	v_add3_u32 v13, v29, v13, s97
                                        ; implicit-def: $vgpr29
; %bb.428:                              ;   in Loop: Header=BB17_381 Depth=3
	s_andn2_saveexec_b64 s[30:31], s[26:27]
; %bb.429:                              ;   in Loop: Header=BB17_381 Depth=3
	v_or_b32_e32 v13, 0x10000, v29
	v_cmp_eq_u32_sdwa s[26:27], v29, v3 src0_sel:WORD_0 src1_sel:DWORD
	s_nop 1
	v_cndmask_b32_e64 v13, v13, v29, s[26:27]
; %bb.430:                              ;   in Loop: Header=BB17_381 Depth=3
	s_or_b64 exec, exec, s[30:31]
	v_lshlrev_b32_e32 v29, 16, v14
	v_lshlrev_b32_e32 v31, 16, v10
	v_max_f32_e32 v31, v31, v31
	v_max_f32_e32 v29, v29, v29
	v_min_f32_e32 v98, v29, v31
	v_max_f32_e32 v29, v29, v31
	v_cndmask_b32_e32 v98, v29, v98, vcc
	v_and_b32_e32 v29, 0x7f800000, v98
	v_cmp_ne_u32_e64 s[26:27], s96, v29
                                        ; implicit-def: $vgpr29
	s_and_saveexec_b64 s[30:31], s[26:27]
	s_xor_b64 s[26:27], exec, s[30:31]
; %bb.431:                              ;   in Loop: Header=BB17_381 Depth=3
	v_bfe_u32 v29, v98, 16, 1
	v_add3_u32 v29, v98, v29, s97
                                        ; implicit-def: $vgpr98
; %bb.432:                              ;   in Loop: Header=BB17_381 Depth=3
	s_andn2_saveexec_b64 s[30:31], s[26:27]
; %bb.433:                              ;   in Loop: Header=BB17_381 Depth=3
	v_or_b32_e32 v29, 0x10000, v98
	v_cmp_eq_u32_sdwa s[26:27], v98, v3 src0_sel:WORD_0 src1_sel:DWORD
	s_nop 1
	v_cndmask_b32_e64 v29, v29, v98, s[26:27]
; %bb.434:                              ;   in Loop: Header=BB17_381 Depth=3
	s_or_b64 exec, exec, s[30:31]
	v_and_b32_e32 v14, 0xffff0000, v14
	v_and_b32_e32 v31, 0xffff0000, v10
	v_max_f32_e32 v31, v31, v31
	v_max_f32_e32 v14, v14, v14
	v_min_f32_e32 v98, v14, v31
	v_max_f32_e32 v14, v14, v31
	v_cndmask_b32_e32 v98, v14, v98, vcc
	v_and_b32_e32 v14, 0x7f800000, v98
	v_cmp_ne_u32_e64 s[26:27], s96, v14
                                        ; implicit-def: $vgpr14
	s_and_saveexec_b64 s[30:31], s[26:27]
	s_xor_b64 s[26:27], exec, s[30:31]
; %bb.435:                              ;   in Loop: Header=BB17_381 Depth=3
	v_bfe_u32 v14, v98, 16, 1
	v_add3_u32 v14, v98, v14, s97
                                        ; implicit-def: $vgpr98
; %bb.436:                              ;   in Loop: Header=BB17_381 Depth=3
	s_andn2_saveexec_b64 s[30:31], s[26:27]
; %bb.437:                              ;   in Loop: Header=BB17_381 Depth=3
	v_or_b32_e32 v14, 0x10000, v98
	v_cmp_eq_u32_sdwa s[26:27], v98, v3 src0_sel:WORD_0 src1_sel:DWORD
	s_nop 1
	v_cndmask_b32_e64 v14, v14, v98, s[26:27]
; %bb.438:                              ;   in Loop: Header=BB17_381 Depth=3
	s_or_b64 exec, exec, s[30:31]
	v_lshlrev_b32_e32 v31, 16, v15
	v_lshlrev_b32_e32 v98, 16, v11
	v_max_f32_e32 v98, v98, v98
	v_max_f32_e32 v31, v31, v31
	v_min_f32_e32 v99, v31, v98
	v_max_f32_e32 v31, v31, v98
	v_cndmask_b32_e32 v99, v31, v99, vcc
	v_and_b32_e32 v31, 0x7f800000, v99
	v_cmp_ne_u32_e64 s[26:27], s96, v31
                                        ; implicit-def: $vgpr98
	s_and_saveexec_b64 s[30:31], s[26:27]
	s_xor_b64 s[26:27], exec, s[30:31]
; %bb.439:                              ;   in Loop: Header=BB17_381 Depth=3
	v_bfe_u32 v31, v99, 16, 1
	v_add3_u32 v98, v99, v31, s97
                                        ; implicit-def: $vgpr99
; %bb.440:                              ;   in Loop: Header=BB17_381 Depth=3
	s_andn2_saveexec_b64 s[30:31], s[26:27]
; %bb.441:                              ;   in Loop: Header=BB17_381 Depth=3
	v_or_b32_e32 v31, 0x10000, v99
	v_cmp_eq_u32_sdwa s[26:27], v99, v3 src0_sel:WORD_0 src1_sel:DWORD
	s_nop 1
	v_cndmask_b32_e64 v98, v31, v99, s[26:27]
; %bb.442:                              ;   in Loop: Header=BB17_381 Depth=3
	s_or_b64 exec, exec, s[30:31]
	v_and_b32_e32 v15, 0xffff0000, v15
	v_and_b32_e32 v31, 0xffff0000, v11
	v_max_f32_e32 v31, v31, v31
	v_max_f32_e32 v15, v15, v15
	v_min_f32_e32 v99, v15, v31
	v_max_f32_e32 v15, v15, v31
	v_cndmask_b32_e32 v99, v15, v99, vcc
	v_and_b32_e32 v15, 0x7f800000, v99
	v_cmp_ne_u32_e64 s[26:27], s96, v15
                                        ; implicit-def: $vgpr15
	s_and_saveexec_b64 s[30:31], s[26:27]
	s_xor_b64 s[26:27], exec, s[30:31]
; %bb.443:                              ;   in Loop: Header=BB17_381 Depth=3
	v_bfe_u32 v15, v99, 16, 1
	v_add3_u32 v15, v99, v15, s97
                                        ; implicit-def: $vgpr99
; %bb.444:                              ;   in Loop: Header=BB17_381 Depth=3
	s_andn2_saveexec_b64 s[30:31], s[26:27]
; %bb.445:                              ;   in Loop: Header=BB17_381 Depth=3
	v_or_b32_e32 v15, 0x10000, v99
	v_cmp_eq_u32_sdwa s[26:27], v99, v3 src0_sel:WORD_0 src1_sel:DWORD
	s_nop 1
	v_cndmask_b32_e64 v15, v15, v99, s[26:27]
; %bb.446:                              ;   in Loop: Header=BB17_381 Depth=3
	s_or_b64 exec, exec, s[30:31]
	v_lshrrev_b32_e32 v31, 16, v53
	v_and_or_b32 v21, v21, s46, v31
	v_lshrrev_b32_e32 v31, 16, v52
	v_lshrrev_b32_e32 v28, 16, v28
	v_and_or_b32 v20, v20, s46, v31
	v_lshrrev_b32_e32 v31, 16, v82
	v_and_or_b32 v13, v13, s46, v28
	;; [unrolled: 2-line block ×5, first 2 shown]
	v_and_or_b32 v14, v14, s46, v28
	v_lshrrev_b32_e32 v28, 16, v98
	v_and_or_b32 v15, v15, s46, v28
	global_store_dwordx4 v[76:77], v[20:23], off
	global_store_dwordx4 v[76:77], v[12:15], off offset:1024
	v_lshl_add_u64 v[76:77], v[76:77], 0, v[40:41]
.LBB17_447:                             ;   in Loop: Header=BB17_381 Depth=3
	s_or_b64 exec, exec, s[34:35]
	v_sub_u32_e32 v92, v92, v84
	v_lshl_add_u64 v[78:79], v[78:79], 0, v[40:41]
	v_lshl_add_u64 v[88:89], v[88:89], 0, v[40:41]
	v_cmp_lt_i32_e64 s[30:31], 0, v92
	s_and_saveexec_b64 s[26:27], s[30:31]
	s_cbranch_execz .LBB17_449
; %bb.448:                              ;   in Loop: Header=BB17_381 Depth=3
	global_load_dwordx4 v[20:23], v[78:79], off nt
	global_load_dwordx4 v[12:15], v[78:79], off offset:1024 nt
	global_load_dwordx4 v[16:19], v[88:89], off nt
	global_load_dwordx4 v[8:11], v[88:89], off offset:1024 nt
	v_lshl_add_u64 v[78:79], v[78:79], 0, s[74:75]
	v_lshl_add_u64 v[88:89], v[88:89], 0, s[74:75]
.LBB17_449:                             ;   in Loop: Header=BB17_381 Depth=3
	s_or_b64 exec, exec, s[26:27]
	s_waitcnt vmcnt(0)
	v_lshlrev_b32_e32 v28, 16, v36
	v_lshlrev_b32_e32 v29, 16, v48
	v_max_f32_e32 v29, v29, v29
	v_max_f32_e32 v28, v28, v28
	v_min_f32_e32 v31, v28, v29
	v_max_f32_e32 v28, v28, v29
	v_cndmask_b32_e32 v28, v28, v31, vcc
	v_and_b32_e32 v29, 0x7f800000, v28
	v_cmp_ne_u32_e64 s[26:27], s96, v29
                                        ; implicit-def: $vgpr52
	s_and_saveexec_b64 s[34:35], s[26:27]
	s_xor_b64 s[26:27], exec, s[34:35]
; %bb.450:                              ;   in Loop: Header=BB17_381 Depth=3
	v_bfe_u32 v29, v28, 16, 1
	v_add3_u32 v52, v28, v29, s97
                                        ; implicit-def: $vgpr28
; %bb.451:                              ;   in Loop: Header=BB17_381 Depth=3
	s_andn2_saveexec_b64 s[34:35], s[26:27]
; %bb.452:                              ;   in Loop: Header=BB17_381 Depth=3
	v_or_b32_e32 v29, 0x10000, v28
	v_cmp_eq_u32_sdwa s[26:27], v28, v3 src0_sel:WORD_0 src1_sel:DWORD
	s_nop 1
	v_cndmask_b32_e64 v52, v29, v28, s[26:27]
; %bb.453:                              ;   in Loop: Header=BB17_381 Depth=3
	s_or_b64 exec, exec, s[34:35]
	v_and_b32_e32 v28, 0xffff0000, v36
	v_and_b32_e32 v29, 0xffff0000, v48
	v_max_f32_e32 v29, v29, v29
	v_max_f32_e32 v28, v28, v28
	v_min_f32_e32 v31, v28, v29
	v_max_f32_e32 v28, v28, v29
	v_cndmask_b32_e32 v28, v28, v31, vcc
	v_and_b32_e32 v29, 0x7f800000, v28
	v_cmp_ne_u32_e64 s[26:27], s96, v29
                                        ; implicit-def: $vgpr36
	s_and_saveexec_b64 s[34:35], s[26:27]
	s_xor_b64 s[26:27], exec, s[34:35]
; %bb.454:                              ;   in Loop: Header=BB17_381 Depth=3
	v_bfe_u32 v29, v28, 16, 1
	v_add3_u32 v36, v28, v29, s97
                                        ; implicit-def: $vgpr28
; %bb.455:                              ;   in Loop: Header=BB17_381 Depth=3
	s_andn2_saveexec_b64 s[34:35], s[26:27]
; %bb.456:                              ;   in Loop: Header=BB17_381 Depth=3
	v_or_b32_e32 v29, 0x10000, v28
	v_cmp_eq_u32_sdwa s[26:27], v28, v3 src0_sel:WORD_0 src1_sel:DWORD
	s_nop 1
	v_cndmask_b32_e64 v36, v29, v28, s[26:27]
; %bb.457:                              ;   in Loop: Header=BB17_381 Depth=3
	s_or_b64 exec, exec, s[34:35]
	v_lshlrev_b32_e32 v28, 16, v37
	v_lshlrev_b32_e32 v29, 16, v49
	v_max_f32_e32 v29, v29, v29
	v_max_f32_e32 v28, v28, v28
	v_min_f32_e32 v31, v28, v29
	v_max_f32_e32 v28, v28, v29
	v_cndmask_b32_e32 v28, v28, v31, vcc
	v_and_b32_e32 v29, 0x7f800000, v28
	v_cmp_ne_u32_e64 s[26:27], s96, v29
                                        ; implicit-def: $vgpr48
	s_and_saveexec_b64 s[34:35], s[26:27]
	s_xor_b64 s[26:27], exec, s[34:35]
; %bb.458:                              ;   in Loop: Header=BB17_381 Depth=3
	v_bfe_u32 v29, v28, 16, 1
	v_add3_u32 v48, v28, v29, s97
                                        ; implicit-def: $vgpr28
; %bb.459:                              ;   in Loop: Header=BB17_381 Depth=3
	s_andn2_saveexec_b64 s[34:35], s[26:27]
; %bb.460:                              ;   in Loop: Header=BB17_381 Depth=3
	v_or_b32_e32 v29, 0x10000, v28
	v_cmp_eq_u32_sdwa s[26:27], v28, v3 src0_sel:WORD_0 src1_sel:DWORD
	s_nop 1
	v_cndmask_b32_e64 v48, v29, v28, s[26:27]
; %bb.461:                              ;   in Loop: Header=BB17_381 Depth=3
	s_or_b64 exec, exec, s[34:35]
	v_and_b32_e32 v28, 0xffff0000, v37
	v_and_b32_e32 v29, 0xffff0000, v49
	v_max_f32_e32 v29, v29, v29
	v_max_f32_e32 v28, v28, v28
	v_min_f32_e32 v31, v28, v29
	v_max_f32_e32 v28, v28, v29
	v_cndmask_b32_e32 v28, v28, v31, vcc
	v_and_b32_e32 v29, 0x7f800000, v28
	v_cmp_ne_u32_e64 s[26:27], s96, v29
                                        ; implicit-def: $vgpr37
	s_and_saveexec_b64 s[34:35], s[26:27]
	s_xor_b64 s[26:27], exec, s[34:35]
; %bb.462:                              ;   in Loop: Header=BB17_381 Depth=3
	v_bfe_u32 v29, v28, 16, 1
	v_add3_u32 v37, v28, v29, s97
                                        ; implicit-def: $vgpr28
; %bb.463:                              ;   in Loop: Header=BB17_381 Depth=3
	s_andn2_saveexec_b64 s[34:35], s[26:27]
; %bb.464:                              ;   in Loop: Header=BB17_381 Depth=3
	v_or_b32_e32 v29, 0x10000, v28
	v_cmp_eq_u32_sdwa s[26:27], v28, v3 src0_sel:WORD_0 src1_sel:DWORD
	s_nop 1
	v_cndmask_b32_e64 v37, v29, v28, s[26:27]
; %bb.465:                              ;   in Loop: Header=BB17_381 Depth=3
	s_or_b64 exec, exec, s[34:35]
	v_lshlrev_b32_e32 v28, 16, v38
	v_lshlrev_b32_e32 v29, 16, v50
	v_max_f32_e32 v29, v29, v29
	v_max_f32_e32 v28, v28, v28
	v_min_f32_e32 v31, v28, v29
	v_max_f32_e32 v28, v28, v29
	v_cndmask_b32_e32 v28, v28, v31, vcc
	v_and_b32_e32 v29, 0x7f800000, v28
	v_cmp_ne_u32_e64 s[26:27], s96, v29
                                        ; implicit-def: $vgpr49
	s_and_saveexec_b64 s[34:35], s[26:27]
	s_xor_b64 s[26:27], exec, s[34:35]
; %bb.466:                              ;   in Loop: Header=BB17_381 Depth=3
	v_bfe_u32 v29, v28, 16, 1
	v_add3_u32 v49, v28, v29, s97
                                        ; implicit-def: $vgpr28
; %bb.467:                              ;   in Loop: Header=BB17_381 Depth=3
	s_andn2_saveexec_b64 s[34:35], s[26:27]
; %bb.468:                              ;   in Loop: Header=BB17_381 Depth=3
	v_or_b32_e32 v29, 0x10000, v28
	v_cmp_eq_u32_sdwa s[26:27], v28, v3 src0_sel:WORD_0 src1_sel:DWORD
	s_nop 1
	v_cndmask_b32_e64 v49, v29, v28, s[26:27]
; %bb.469:                              ;   in Loop: Header=BB17_381 Depth=3
	s_or_b64 exec, exec, s[34:35]
	v_and_b32_e32 v28, 0xffff0000, v38
	v_and_b32_e32 v29, 0xffff0000, v50
	v_max_f32_e32 v29, v29, v29
	v_max_f32_e32 v28, v28, v28
	v_min_f32_e32 v31, v28, v29
	v_max_f32_e32 v28, v28, v29
	v_cndmask_b32_e32 v28, v28, v31, vcc
	v_and_b32_e32 v29, 0x7f800000, v28
	v_cmp_ne_u32_e64 s[26:27], s96, v29
                                        ; implicit-def: $vgpr38
	s_and_saveexec_b64 s[34:35], s[26:27]
	s_xor_b64 s[26:27], exec, s[34:35]
; %bb.470:                              ;   in Loop: Header=BB17_381 Depth=3
	v_bfe_u32 v29, v28, 16, 1
	v_add3_u32 v38, v28, v29, s97
                                        ; implicit-def: $vgpr28
; %bb.471:                              ;   in Loop: Header=BB17_381 Depth=3
	s_andn2_saveexec_b64 s[34:35], s[26:27]
; %bb.472:                              ;   in Loop: Header=BB17_381 Depth=3
	v_or_b32_e32 v29, 0x10000, v28
	v_cmp_eq_u32_sdwa s[26:27], v28, v3 src0_sel:WORD_0 src1_sel:DWORD
	s_nop 1
	v_cndmask_b32_e64 v38, v29, v28, s[26:27]
; %bb.473:                              ;   in Loop: Header=BB17_381 Depth=3
	s_or_b64 exec, exec, s[34:35]
	v_lshlrev_b32_e32 v28, 16, v39
	v_lshlrev_b32_e32 v29, 16, v51
	v_max_f32_e32 v29, v29, v29
	v_max_f32_e32 v28, v28, v28
	v_min_f32_e32 v31, v28, v29
	v_max_f32_e32 v28, v28, v29
	v_cndmask_b32_e32 v28, v28, v31, vcc
	v_and_b32_e32 v29, 0x7f800000, v28
	v_cmp_ne_u32_e64 s[26:27], s96, v29
                                        ; implicit-def: $vgpr50
	s_and_saveexec_b64 s[34:35], s[26:27]
	s_xor_b64 s[26:27], exec, s[34:35]
; %bb.474:                              ;   in Loop: Header=BB17_381 Depth=3
	v_bfe_u32 v29, v28, 16, 1
	v_add3_u32 v50, v28, v29, s97
                                        ; implicit-def: $vgpr28
; %bb.475:                              ;   in Loop: Header=BB17_381 Depth=3
	s_andn2_saveexec_b64 s[34:35], s[26:27]
; %bb.476:                              ;   in Loop: Header=BB17_381 Depth=3
	v_or_b32_e32 v29, 0x10000, v28
	v_cmp_eq_u32_sdwa s[26:27], v28, v3 src0_sel:WORD_0 src1_sel:DWORD
	s_nop 1
	v_cndmask_b32_e64 v50, v29, v28, s[26:27]
; %bb.477:                              ;   in Loop: Header=BB17_381 Depth=3
	s_or_b64 exec, exec, s[34:35]
	v_and_b32_e32 v28, 0xffff0000, v39
	v_and_b32_e32 v29, 0xffff0000, v51
	v_max_f32_e32 v29, v29, v29
	v_max_f32_e32 v28, v28, v28
	v_min_f32_e32 v31, v28, v29
	v_max_f32_e32 v28, v28, v29
	v_cndmask_b32_e32 v28, v28, v31, vcc
	v_and_b32_e32 v29, 0x7f800000, v28
	v_cmp_ne_u32_e64 s[26:27], s96, v29
                                        ; implicit-def: $vgpr39
	s_and_saveexec_b64 s[34:35], s[26:27]
	s_xor_b64 s[26:27], exec, s[34:35]
; %bb.478:                              ;   in Loop: Header=BB17_381 Depth=3
	v_bfe_u32 v29, v28, 16, 1
	v_add3_u32 v39, v28, v29, s97
                                        ; implicit-def: $vgpr28
; %bb.479:                              ;   in Loop: Header=BB17_381 Depth=3
	s_andn2_saveexec_b64 s[34:35], s[26:27]
; %bb.480:                              ;   in Loop: Header=BB17_381 Depth=3
	v_or_b32_e32 v29, 0x10000, v28
	v_cmp_eq_u32_sdwa s[26:27], v28, v3 src0_sel:WORD_0 src1_sel:DWORD
	s_nop 1
	v_cndmask_b32_e64 v39, v29, v28, s[26:27]
; %bb.481:                              ;   in Loop: Header=BB17_381 Depth=3
	s_or_b64 exec, exec, s[34:35]
	v_lshlrev_b32_e32 v28, 16, v24
	v_lshlrev_b32_e32 v29, 16, v32
	v_max_f32_e32 v29, v29, v29
	v_max_f32_e32 v28, v28, v28
	v_min_f32_e32 v31, v28, v29
	v_max_f32_e32 v28, v28, v29
	v_cndmask_b32_e32 v28, v28, v31, vcc
	v_and_b32_e32 v29, 0x7f800000, v28
	v_cmp_ne_u32_e64 s[26:27], s96, v29
                                        ; implicit-def: $vgpr51
	s_and_saveexec_b64 s[34:35], s[26:27]
	s_xor_b64 s[26:27], exec, s[34:35]
; %bb.482:                              ;   in Loop: Header=BB17_381 Depth=3
	v_bfe_u32 v29, v28, 16, 1
	v_add3_u32 v51, v28, v29, s97
                                        ; implicit-def: $vgpr28
; %bb.483:                              ;   in Loop: Header=BB17_381 Depth=3
	s_andn2_saveexec_b64 s[34:35], s[26:27]
; %bb.484:                              ;   in Loop: Header=BB17_381 Depth=3
	v_or_b32_e32 v29, 0x10000, v28
	v_cmp_eq_u32_sdwa s[26:27], v28, v3 src0_sel:WORD_0 src1_sel:DWORD
	s_nop 1
	v_cndmask_b32_e64 v51, v29, v28, s[26:27]
; %bb.485:                              ;   in Loop: Header=BB17_381 Depth=3
	s_or_b64 exec, exec, s[34:35]
	v_and_b32_e32 v24, 0xffff0000, v24
	v_and_b32_e32 v28, 0xffff0000, v32
	v_max_f32_e32 v28, v28, v28
	v_max_f32_e32 v24, v24, v24
	v_min_f32_e32 v29, v24, v28
	v_max_f32_e32 v24, v24, v28
	v_cndmask_b32_e32 v28, v24, v29, vcc
	v_and_b32_e32 v24, 0x7f800000, v28
	v_cmp_ne_u32_e64 s[26:27], s96, v24
                                        ; implicit-def: $vgpr24
	s_and_saveexec_b64 s[34:35], s[26:27]
	s_xor_b64 s[26:27], exec, s[34:35]
; %bb.486:                              ;   in Loop: Header=BB17_381 Depth=3
	v_bfe_u32 v24, v28, 16, 1
	v_add3_u32 v24, v28, v24, s97
                                        ; implicit-def: $vgpr28
; %bb.487:                              ;   in Loop: Header=BB17_381 Depth=3
	s_andn2_saveexec_b64 s[34:35], s[26:27]
; %bb.488:                              ;   in Loop: Header=BB17_381 Depth=3
	v_or_b32_e32 v24, 0x10000, v28
	v_cmp_eq_u32_sdwa s[26:27], v28, v3 src0_sel:WORD_0 src1_sel:DWORD
	s_nop 1
	v_cndmask_b32_e64 v24, v24, v28, s[26:27]
; %bb.489:                              ;   in Loop: Header=BB17_381 Depth=3
	s_or_b64 exec, exec, s[34:35]
	v_lshlrev_b32_e32 v28, 16, v25
	v_lshlrev_b32_e32 v29, 16, v33
	v_max_f32_e32 v29, v29, v29
	v_max_f32_e32 v28, v28, v28
	v_min_f32_e32 v31, v28, v29
	v_max_f32_e32 v28, v28, v29
	v_cndmask_b32_e32 v29, v28, v31, vcc
	v_and_b32_e32 v28, 0x7f800000, v29
	v_cmp_ne_u32_e64 s[26:27], s96, v28
                                        ; implicit-def: $vgpr28
	s_and_saveexec_b64 s[34:35], s[26:27]
	s_xor_b64 s[26:27], exec, s[34:35]
; %bb.490:                              ;   in Loop: Header=BB17_381 Depth=3
	v_bfe_u32 v28, v29, 16, 1
	v_add3_u32 v28, v29, v28, s97
                                        ; implicit-def: $vgpr29
; %bb.491:                              ;   in Loop: Header=BB17_381 Depth=3
	s_andn2_saveexec_b64 s[34:35], s[26:27]
; %bb.492:                              ;   in Loop: Header=BB17_381 Depth=3
	v_or_b32_e32 v28, 0x10000, v29
	v_cmp_eq_u32_sdwa s[26:27], v29, v3 src0_sel:WORD_0 src1_sel:DWORD
	s_nop 1
	v_cndmask_b32_e64 v28, v28, v29, s[26:27]
; %bb.493:                              ;   in Loop: Header=BB17_381 Depth=3
	s_or_b64 exec, exec, s[34:35]
	v_and_b32_e32 v25, 0xffff0000, v25
	v_and_b32_e32 v29, 0xffff0000, v33
	v_max_f32_e32 v29, v29, v29
	v_max_f32_e32 v25, v25, v25
	v_min_f32_e32 v31, v25, v29
	v_max_f32_e32 v25, v25, v29
	v_cndmask_b32_e32 v29, v25, v31, vcc
	v_and_b32_e32 v25, 0x7f800000, v29
	v_cmp_ne_u32_e64 s[26:27], s96, v25
                                        ; implicit-def: $vgpr25
	s_and_saveexec_b64 s[34:35], s[26:27]
	s_xor_b64 s[26:27], exec, s[34:35]
; %bb.494:                              ;   in Loop: Header=BB17_381 Depth=3
	v_bfe_u32 v25, v29, 16, 1
	v_add3_u32 v25, v29, v25, s97
                                        ; implicit-def: $vgpr29
; %bb.495:                              ;   in Loop: Header=BB17_381 Depth=3
	s_andn2_saveexec_b64 s[34:35], s[26:27]
; %bb.496:                              ;   in Loop: Header=BB17_381 Depth=3
	v_or_b32_e32 v25, 0x10000, v29
	v_cmp_eq_u32_sdwa s[26:27], v29, v3 src0_sel:WORD_0 src1_sel:DWORD
	s_nop 1
	v_cndmask_b32_e64 v25, v25, v29, s[26:27]
; %bb.497:                              ;   in Loop: Header=BB17_381 Depth=3
	s_or_b64 exec, exec, s[34:35]
	v_lshlrev_b32_e32 v29, 16, v26
	v_lshlrev_b32_e32 v31, 16, v34
	v_max_f32_e32 v31, v31, v31
	v_max_f32_e32 v29, v29, v29
	v_min_f32_e32 v32, v29, v31
	v_max_f32_e32 v29, v29, v31
	v_cndmask_b32_e32 v32, v29, v32, vcc
	v_and_b32_e32 v29, 0x7f800000, v32
	v_cmp_ne_u32_e64 s[26:27], s96, v29
                                        ; implicit-def: $vgpr29
	s_and_saveexec_b64 s[34:35], s[26:27]
	s_xor_b64 s[26:27], exec, s[34:35]
; %bb.498:                              ;   in Loop: Header=BB17_381 Depth=3
	v_bfe_u32 v29, v32, 16, 1
	v_add3_u32 v29, v32, v29, s97
                                        ; implicit-def: $vgpr32
; %bb.499:                              ;   in Loop: Header=BB17_381 Depth=3
	s_andn2_saveexec_b64 s[34:35], s[26:27]
; %bb.500:                              ;   in Loop: Header=BB17_381 Depth=3
	v_or_b32_e32 v29, 0x10000, v32
	v_cmp_eq_u32_sdwa s[26:27], v32, v3 src0_sel:WORD_0 src1_sel:DWORD
	s_nop 1
	v_cndmask_b32_e64 v29, v29, v32, s[26:27]
; %bb.501:                              ;   in Loop: Header=BB17_381 Depth=3
	s_or_b64 exec, exec, s[34:35]
	v_and_b32_e32 v26, 0xffff0000, v26
	v_and_b32_e32 v31, 0xffff0000, v34
	v_max_f32_e32 v31, v31, v31
	v_max_f32_e32 v26, v26, v26
	v_min_f32_e32 v32, v26, v31
	v_max_f32_e32 v26, v26, v31
	v_cndmask_b32_e32 v32, v26, v32, vcc
	v_and_b32_e32 v26, 0x7f800000, v32
	v_cmp_ne_u32_e64 s[26:27], s96, v26
                                        ; implicit-def: $vgpr26
	s_and_saveexec_b64 s[34:35], s[26:27]
	s_xor_b64 s[26:27], exec, s[34:35]
; %bb.502:                              ;   in Loop: Header=BB17_381 Depth=3
	v_bfe_u32 v26, v32, 16, 1
	v_add3_u32 v26, v32, v26, s97
                                        ; implicit-def: $vgpr32
; %bb.503:                              ;   in Loop: Header=BB17_381 Depth=3
	s_andn2_saveexec_b64 s[34:35], s[26:27]
; %bb.504:                              ;   in Loop: Header=BB17_381 Depth=3
	v_or_b32_e32 v26, 0x10000, v32
	v_cmp_eq_u32_sdwa s[26:27], v32, v3 src0_sel:WORD_0 src1_sel:DWORD
	s_nop 1
	v_cndmask_b32_e64 v26, v26, v32, s[26:27]
; %bb.505:                              ;   in Loop: Header=BB17_381 Depth=3
	s_or_b64 exec, exec, s[34:35]
	v_lshlrev_b32_e32 v31, 16, v27
	v_lshlrev_b32_e32 v32, 16, v35
	v_max_f32_e32 v32, v32, v32
	v_max_f32_e32 v31, v31, v31
	v_min_f32_e32 v33, v31, v32
	v_max_f32_e32 v31, v31, v32
	v_cndmask_b32_e32 v33, v31, v33, vcc
	v_and_b32_e32 v31, 0x7f800000, v33
	v_cmp_ne_u32_e64 s[26:27], s96, v31
                                        ; implicit-def: $vgpr32
	s_and_saveexec_b64 s[34:35], s[26:27]
	s_xor_b64 s[26:27], exec, s[34:35]
; %bb.506:                              ;   in Loop: Header=BB17_381 Depth=3
	v_bfe_u32 v31, v33, 16, 1
	v_add3_u32 v32, v33, v31, s97
                                        ; implicit-def: $vgpr33
; %bb.507:                              ;   in Loop: Header=BB17_381 Depth=3
	s_andn2_saveexec_b64 s[34:35], s[26:27]
; %bb.508:                              ;   in Loop: Header=BB17_381 Depth=3
	v_or_b32_e32 v31, 0x10000, v33
	v_cmp_eq_u32_sdwa s[26:27], v33, v3 src0_sel:WORD_0 src1_sel:DWORD
	s_nop 1
	v_cndmask_b32_e64 v32, v31, v33, s[26:27]
; %bb.509:                              ;   in Loop: Header=BB17_381 Depth=3
	s_or_b64 exec, exec, s[34:35]
	v_and_b32_e32 v27, 0xffff0000, v27
	v_and_b32_e32 v31, 0xffff0000, v35
	v_max_f32_e32 v31, v31, v31
	v_max_f32_e32 v27, v27, v27
	v_min_f32_e32 v33, v27, v31
	v_max_f32_e32 v27, v27, v31
	v_cndmask_b32_e32 v33, v27, v33, vcc
	v_and_b32_e32 v27, 0x7f800000, v33
	v_cmp_ne_u32_e64 s[26:27], s96, v27
                                        ; implicit-def: $vgpr27
	s_and_saveexec_b64 s[34:35], s[26:27]
	s_xor_b64 s[26:27], exec, s[34:35]
; %bb.510:                              ;   in Loop: Header=BB17_381 Depth=3
	v_bfe_u32 v27, v33, 16, 1
	v_add3_u32 v27, v33, v27, s97
                                        ; implicit-def: $vgpr33
; %bb.511:                              ;   in Loop: Header=BB17_381 Depth=3
	s_andn2_saveexec_b64 s[34:35], s[26:27]
	s_cbranch_execz .LBB17_380
; %bb.512:                              ;   in Loop: Header=BB17_381 Depth=3
	v_or_b32_e32 v27, 0x10000, v33
	v_cmp_eq_u32_sdwa s[26:27], v33, v3 src0_sel:WORD_0 src1_sel:DWORD
	s_nop 1
	v_cndmask_b32_e64 v27, v27, v33, s[26:27]
	s_branch .LBB17_380
.LBB17_513:                             ;   in Loop: Header=BB17_296 Depth=2
	v_mov_b32_e32 v8, v0
	v_mov_b32_e32 v15, v95
	s_and_saveexec_b64 s[42:43], s[94:95]
	s_cbranch_execnz .LBB17_697
	s_branch .LBB17_828
.LBB17_514:                             ;   in Loop: Header=BB17_296 Depth=2
	s_or_b64 exec, exec, s[40:41]
	s_and_b64 s[26:27], s[42:43], exec
.LBB17_515:                             ;   in Loop: Header=BB17_296 Depth=2
	s_or_b64 exec, exec, s[28:29]
	s_and_saveexec_b64 s[28:29], s[26:27]
	s_cbranch_execz .LBB17_581
; %bb.516:                              ;   in Loop: Header=BB17_296 Depth=2
	s_and_b32 s26, 0xffff, s44
	v_lshlrev_b32_e32 v24, 16, v20
	v_lshlrev_b32_e32 v25, 16, v16
	s_cmp_eq_u32 s26, 0
	v_max_f32_e32 v25, v25, v25
	v_max_f32_e32 v24, v24, v24
	v_min_f32_e32 v26, v24, v25
	v_max_f32_e32 v24, v24, v25
	s_cselect_b64 vcc, -1, 0
	v_cndmask_b32_e32 v25, v24, v26, vcc
	v_and_b32_e32 v24, 0x7f800000, v25
	v_cmp_ne_u32_e64 s[26:27], s96, v24
                                        ; implicit-def: $vgpr24
	s_and_saveexec_b64 s[40:41], s[26:27]
	s_xor_b64 s[26:27], exec, s[40:41]
; %bb.517:                              ;   in Loop: Header=BB17_296 Depth=2
	v_bfe_u32 v24, v25, 16, 1
	v_add3_u32 v24, v25, v24, s97
                                        ; implicit-def: $vgpr25
; %bb.518:                              ;   in Loop: Header=BB17_296 Depth=2
	s_andn2_saveexec_b64 s[40:41], s[26:27]
; %bb.519:                              ;   in Loop: Header=BB17_296 Depth=2
	v_or_b32_e32 v24, 0x10000, v25
	v_cmp_eq_u32_sdwa s[26:27], v25, v3 src0_sel:WORD_0 src1_sel:DWORD
	s_nop 1
	v_cndmask_b32_e64 v24, v24, v25, s[26:27]
; %bb.520:                              ;   in Loop: Header=BB17_296 Depth=2
	s_or_b64 exec, exec, s[40:41]
	v_and_b32_e32 v20, 0xffff0000, v20
	v_and_b32_e32 v16, 0xffff0000, v16
	v_max_f32_e32 v16, v16, v16
	v_max_f32_e32 v20, v20, v20
	v_min_f32_e32 v25, v20, v16
	v_max_f32_e32 v16, v20, v16
	v_cndmask_b32_e32 v20, v16, v25, vcc
	v_and_b32_e32 v16, 0x7f800000, v20
	v_cmp_ne_u32_e64 s[26:27], s96, v16
                                        ; implicit-def: $vgpr16
	s_and_saveexec_b64 s[40:41], s[26:27]
	s_xor_b64 s[26:27], exec, s[40:41]
; %bb.521:                              ;   in Loop: Header=BB17_296 Depth=2
	v_bfe_u32 v16, v20, 16, 1
	v_add3_u32 v16, v20, v16, s97
                                        ; implicit-def: $vgpr20
; %bb.522:                              ;   in Loop: Header=BB17_296 Depth=2
	s_andn2_saveexec_b64 s[40:41], s[26:27]
; %bb.523:                              ;   in Loop: Header=BB17_296 Depth=2
	v_or_b32_e32 v16, 0x10000, v20
	v_cmp_eq_u32_sdwa s[26:27], v20, v3 src0_sel:WORD_0 src1_sel:DWORD
	s_nop 1
	v_cndmask_b32_e64 v16, v16, v20, s[26:27]
; %bb.524:                              ;   in Loop: Header=BB17_296 Depth=2
	s_or_b64 exec, exec, s[40:41]
	v_lshlrev_b32_e32 v20, 16, v21
	v_lshlrev_b32_e32 v25, 16, v17
	v_max_f32_e32 v25, v25, v25
	v_max_f32_e32 v20, v20, v20
	v_min_f32_e32 v26, v20, v25
	v_max_f32_e32 v20, v20, v25
	v_cndmask_b32_e32 v25, v20, v26, vcc
	v_and_b32_e32 v20, 0x7f800000, v25
	v_cmp_ne_u32_e64 s[26:27], s96, v20
                                        ; implicit-def: $vgpr20
	s_and_saveexec_b64 s[40:41], s[26:27]
	s_xor_b64 s[26:27], exec, s[40:41]
; %bb.525:                              ;   in Loop: Header=BB17_296 Depth=2
	v_bfe_u32 v20, v25, 16, 1
	v_add3_u32 v20, v25, v20, s97
                                        ; implicit-def: $vgpr25
; %bb.526:                              ;   in Loop: Header=BB17_296 Depth=2
	s_andn2_saveexec_b64 s[40:41], s[26:27]
; %bb.527:                              ;   in Loop: Header=BB17_296 Depth=2
	v_or_b32_e32 v20, 0x10000, v25
	v_cmp_eq_u32_sdwa s[26:27], v25, v3 src0_sel:WORD_0 src1_sel:DWORD
	s_nop 1
	v_cndmask_b32_e64 v20, v20, v25, s[26:27]
; %bb.528:                              ;   in Loop: Header=BB17_296 Depth=2
	s_or_b64 exec, exec, s[40:41]
	v_and_b32_e32 v21, 0xffff0000, v21
	v_and_b32_e32 v17, 0xffff0000, v17
	v_max_f32_e32 v17, v17, v17
	v_max_f32_e32 v21, v21, v21
	v_min_f32_e32 v25, v21, v17
	v_max_f32_e32 v17, v21, v17
	v_cndmask_b32_e32 v21, v17, v25, vcc
	v_and_b32_e32 v17, 0x7f800000, v21
	v_cmp_ne_u32_e64 s[26:27], s96, v17
                                        ; implicit-def: $vgpr17
	s_and_saveexec_b64 s[40:41], s[26:27]
	s_xor_b64 s[26:27], exec, s[40:41]
; %bb.529:                              ;   in Loop: Header=BB17_296 Depth=2
	v_bfe_u32 v17, v21, 16, 1
	v_add3_u32 v17, v21, v17, s97
                                        ; implicit-def: $vgpr21
; %bb.530:                              ;   in Loop: Header=BB17_296 Depth=2
	s_andn2_saveexec_b64 s[40:41], s[26:27]
; %bb.531:                              ;   in Loop: Header=BB17_296 Depth=2
	v_or_b32_e32 v17, 0x10000, v21
	v_cmp_eq_u32_sdwa s[26:27], v21, v3 src0_sel:WORD_0 src1_sel:DWORD
	s_nop 1
	v_cndmask_b32_e64 v17, v17, v21, s[26:27]
; %bb.532:                              ;   in Loop: Header=BB17_296 Depth=2
	s_or_b64 exec, exec, s[40:41]
	v_lshlrev_b32_e32 v21, 16, v22
	v_lshlrev_b32_e32 v25, 16, v18
	v_max_f32_e32 v25, v25, v25
	v_max_f32_e32 v21, v21, v21
	v_min_f32_e32 v26, v21, v25
	v_max_f32_e32 v21, v21, v25
	v_cndmask_b32_e32 v25, v21, v26, vcc
	v_and_b32_e32 v21, 0x7f800000, v25
	v_cmp_ne_u32_e64 s[26:27], s96, v21
                                        ; implicit-def: $vgpr21
	s_and_saveexec_b64 s[40:41], s[26:27]
	s_xor_b64 s[26:27], exec, s[40:41]
; %bb.533:                              ;   in Loop: Header=BB17_296 Depth=2
	v_bfe_u32 v21, v25, 16, 1
	v_add3_u32 v21, v25, v21, s97
                                        ; implicit-def: $vgpr25
; %bb.534:                              ;   in Loop: Header=BB17_296 Depth=2
	s_andn2_saveexec_b64 s[40:41], s[26:27]
; %bb.535:                              ;   in Loop: Header=BB17_296 Depth=2
	v_or_b32_e32 v21, 0x10000, v25
	v_cmp_eq_u32_sdwa s[26:27], v25, v3 src0_sel:WORD_0 src1_sel:DWORD
	s_nop 1
	v_cndmask_b32_e64 v21, v21, v25, s[26:27]
; %bb.536:                              ;   in Loop: Header=BB17_296 Depth=2
	s_or_b64 exec, exec, s[40:41]
	v_and_b32_e32 v22, 0xffff0000, v22
	v_and_b32_e32 v18, 0xffff0000, v18
	v_max_f32_e32 v18, v18, v18
	v_max_f32_e32 v22, v22, v22
	v_min_f32_e32 v25, v22, v18
	v_max_f32_e32 v18, v22, v18
	v_cndmask_b32_e32 v22, v18, v25, vcc
	v_and_b32_e32 v18, 0x7f800000, v22
	v_cmp_ne_u32_e64 s[26:27], s96, v18
                                        ; implicit-def: $vgpr18
	s_and_saveexec_b64 s[40:41], s[26:27]
	s_xor_b64 s[26:27], exec, s[40:41]
; %bb.537:                              ;   in Loop: Header=BB17_296 Depth=2
	v_bfe_u32 v18, v22, 16, 1
	v_add3_u32 v18, v22, v18, s97
                                        ; implicit-def: $vgpr22
; %bb.538:                              ;   in Loop: Header=BB17_296 Depth=2
	s_andn2_saveexec_b64 s[40:41], s[26:27]
; %bb.539:                              ;   in Loop: Header=BB17_296 Depth=2
	v_or_b32_e32 v18, 0x10000, v22
	v_cmp_eq_u32_sdwa s[26:27], v22, v3 src0_sel:WORD_0 src1_sel:DWORD
	s_nop 1
	v_cndmask_b32_e64 v18, v18, v22, s[26:27]
; %bb.540:                              ;   in Loop: Header=BB17_296 Depth=2
	s_or_b64 exec, exec, s[40:41]
	v_lshlrev_b32_e32 v22, 16, v23
	v_lshlrev_b32_e32 v25, 16, v19
	v_max_f32_e32 v25, v25, v25
	v_max_f32_e32 v22, v22, v22
	v_min_f32_e32 v26, v22, v25
	v_max_f32_e32 v22, v22, v25
	v_cndmask_b32_e32 v25, v22, v26, vcc
	v_and_b32_e32 v22, 0x7f800000, v25
	v_cmp_ne_u32_e64 s[26:27], s96, v22
                                        ; implicit-def: $vgpr22
	s_and_saveexec_b64 s[40:41], s[26:27]
	s_xor_b64 s[26:27], exec, s[40:41]
; %bb.541:                              ;   in Loop: Header=BB17_296 Depth=2
	v_bfe_u32 v22, v25, 16, 1
	v_add3_u32 v22, v25, v22, s97
                                        ; implicit-def: $vgpr25
; %bb.542:                              ;   in Loop: Header=BB17_296 Depth=2
	s_andn2_saveexec_b64 s[40:41], s[26:27]
; %bb.543:                              ;   in Loop: Header=BB17_296 Depth=2
	v_or_b32_e32 v22, 0x10000, v25
	v_cmp_eq_u32_sdwa s[26:27], v25, v3 src0_sel:WORD_0 src1_sel:DWORD
	s_nop 1
	v_cndmask_b32_e64 v22, v22, v25, s[26:27]
; %bb.544:                              ;   in Loop: Header=BB17_296 Depth=2
	s_or_b64 exec, exec, s[40:41]
	v_and_b32_e32 v23, 0xffff0000, v23
	v_and_b32_e32 v19, 0xffff0000, v19
	v_max_f32_e32 v19, v19, v19
	v_max_f32_e32 v23, v23, v23
	v_min_f32_e32 v25, v23, v19
	v_max_f32_e32 v19, v23, v19
	v_cndmask_b32_e32 v23, v19, v25, vcc
	v_and_b32_e32 v19, 0x7f800000, v23
	v_cmp_ne_u32_e64 s[26:27], s96, v19
                                        ; implicit-def: $vgpr19
	s_and_saveexec_b64 s[40:41], s[26:27]
	s_xor_b64 s[26:27], exec, s[40:41]
; %bb.545:                              ;   in Loop: Header=BB17_296 Depth=2
	v_bfe_u32 v19, v23, 16, 1
	v_add3_u32 v19, v23, v19, s97
                                        ; implicit-def: $vgpr23
; %bb.546:                              ;   in Loop: Header=BB17_296 Depth=2
	s_andn2_saveexec_b64 s[40:41], s[26:27]
; %bb.547:                              ;   in Loop: Header=BB17_296 Depth=2
	v_or_b32_e32 v19, 0x10000, v23
	v_cmp_eq_u32_sdwa s[26:27], v23, v3 src0_sel:WORD_0 src1_sel:DWORD
	s_nop 1
	v_cndmask_b32_e64 v19, v19, v23, s[26:27]
; %bb.548:                              ;   in Loop: Header=BB17_296 Depth=2
	s_or_b64 exec, exec, s[40:41]
	v_lshlrev_b32_e32 v23, 16, v12
	v_lshlrev_b32_e32 v25, 16, v8
	v_max_f32_e32 v25, v25, v25
	v_max_f32_e32 v23, v23, v23
	v_min_f32_e32 v26, v23, v25
	v_max_f32_e32 v23, v23, v25
	v_cndmask_b32_e32 v25, v23, v26, vcc
	v_and_b32_e32 v23, 0x7f800000, v25
	v_cmp_ne_u32_e64 s[26:27], s96, v23
                                        ; implicit-def: $vgpr23
	s_and_saveexec_b64 s[40:41], s[26:27]
	s_xor_b64 s[26:27], exec, s[40:41]
; %bb.549:                              ;   in Loop: Header=BB17_296 Depth=2
	v_bfe_u32 v23, v25, 16, 1
	v_add3_u32 v23, v25, v23, s97
                                        ; implicit-def: $vgpr25
; %bb.550:                              ;   in Loop: Header=BB17_296 Depth=2
	s_andn2_saveexec_b64 s[40:41], s[26:27]
; %bb.551:                              ;   in Loop: Header=BB17_296 Depth=2
	v_or_b32_e32 v23, 0x10000, v25
	v_cmp_eq_u32_sdwa s[26:27], v25, v3 src0_sel:WORD_0 src1_sel:DWORD
	s_nop 1
	v_cndmask_b32_e64 v23, v23, v25, s[26:27]
; %bb.552:                              ;   in Loop: Header=BB17_296 Depth=2
	s_or_b64 exec, exec, s[40:41]
	v_and_b32_e32 v12, 0xffff0000, v12
	v_and_b32_e32 v8, 0xffff0000, v8
	v_max_f32_e32 v8, v8, v8
	v_max_f32_e32 v12, v12, v12
	v_min_f32_e32 v25, v12, v8
	v_max_f32_e32 v8, v12, v8
	v_cndmask_b32_e32 v12, v8, v25, vcc
	v_and_b32_e32 v8, 0x7f800000, v12
	v_cmp_ne_u32_e64 s[26:27], s96, v8
                                        ; implicit-def: $vgpr8
	s_and_saveexec_b64 s[40:41], s[26:27]
	s_xor_b64 s[26:27], exec, s[40:41]
; %bb.553:                              ;   in Loop: Header=BB17_296 Depth=2
	v_bfe_u32 v8, v12, 16, 1
	v_add3_u32 v8, v12, v8, s97
                                        ; implicit-def: $vgpr12
; %bb.554:                              ;   in Loop: Header=BB17_296 Depth=2
	s_andn2_saveexec_b64 s[40:41], s[26:27]
; %bb.555:                              ;   in Loop: Header=BB17_296 Depth=2
	v_or_b32_e32 v8, 0x10000, v12
	v_cmp_eq_u32_sdwa s[26:27], v12, v3 src0_sel:WORD_0 src1_sel:DWORD
	s_nop 1
	v_cndmask_b32_e64 v8, v8, v12, s[26:27]
; %bb.556:                              ;   in Loop: Header=BB17_296 Depth=2
	s_or_b64 exec, exec, s[40:41]
	v_lshlrev_b32_e32 v12, 16, v13
	v_lshlrev_b32_e32 v25, 16, v9
	v_max_f32_e32 v25, v25, v25
	v_max_f32_e32 v12, v12, v12
	v_min_f32_e32 v26, v12, v25
	v_max_f32_e32 v12, v12, v25
	v_cndmask_b32_e32 v25, v12, v26, vcc
	v_and_b32_e32 v12, 0x7f800000, v25
	v_cmp_ne_u32_e64 s[26:27], s96, v12
                                        ; implicit-def: $vgpr12
	s_and_saveexec_b64 s[40:41], s[26:27]
	s_xor_b64 s[26:27], exec, s[40:41]
; %bb.557:                              ;   in Loop: Header=BB17_296 Depth=2
	v_bfe_u32 v12, v25, 16, 1
	v_add3_u32 v12, v25, v12, s97
                                        ; implicit-def: $vgpr25
; %bb.558:                              ;   in Loop: Header=BB17_296 Depth=2
	s_andn2_saveexec_b64 s[40:41], s[26:27]
; %bb.559:                              ;   in Loop: Header=BB17_296 Depth=2
	v_or_b32_e32 v12, 0x10000, v25
	v_cmp_eq_u32_sdwa s[26:27], v25, v3 src0_sel:WORD_0 src1_sel:DWORD
	s_nop 1
	v_cndmask_b32_e64 v12, v12, v25, s[26:27]
; %bb.560:                              ;   in Loop: Header=BB17_296 Depth=2
	s_or_b64 exec, exec, s[40:41]
	v_and_b32_e32 v13, 0xffff0000, v13
	v_and_b32_e32 v9, 0xffff0000, v9
	v_max_f32_e32 v9, v9, v9
	v_max_f32_e32 v13, v13, v13
	v_min_f32_e32 v25, v13, v9
	v_max_f32_e32 v9, v13, v9
	v_cndmask_b32_e32 v13, v9, v25, vcc
	v_and_b32_e32 v9, 0x7f800000, v13
	v_cmp_ne_u32_e64 s[26:27], s96, v9
                                        ; implicit-def: $vgpr9
	s_and_saveexec_b64 s[40:41], s[26:27]
	s_xor_b64 s[26:27], exec, s[40:41]
; %bb.561:                              ;   in Loop: Header=BB17_296 Depth=2
	v_bfe_u32 v9, v13, 16, 1
	v_add3_u32 v9, v13, v9, s97
                                        ; implicit-def: $vgpr13
; %bb.562:                              ;   in Loop: Header=BB17_296 Depth=2
	s_andn2_saveexec_b64 s[40:41], s[26:27]
; %bb.563:                              ;   in Loop: Header=BB17_296 Depth=2
	v_or_b32_e32 v9, 0x10000, v13
	v_cmp_eq_u32_sdwa s[26:27], v13, v3 src0_sel:WORD_0 src1_sel:DWORD
	s_nop 1
	v_cndmask_b32_e64 v9, v9, v13, s[26:27]
; %bb.564:                              ;   in Loop: Header=BB17_296 Depth=2
	s_or_b64 exec, exec, s[40:41]
	v_lshlrev_b32_e32 v13, 16, v14
	v_lshlrev_b32_e32 v25, 16, v10
	v_max_f32_e32 v25, v25, v25
	v_max_f32_e32 v13, v13, v13
	v_min_f32_e32 v26, v13, v25
	v_max_f32_e32 v13, v13, v25
	v_cndmask_b32_e32 v25, v13, v26, vcc
	v_and_b32_e32 v13, 0x7f800000, v25
	v_cmp_ne_u32_e64 s[26:27], s96, v13
                                        ; implicit-def: $vgpr13
	s_and_saveexec_b64 s[40:41], s[26:27]
	s_xor_b64 s[26:27], exec, s[40:41]
; %bb.565:                              ;   in Loop: Header=BB17_296 Depth=2
	v_bfe_u32 v13, v25, 16, 1
	v_add3_u32 v13, v25, v13, s97
                                        ; implicit-def: $vgpr25
; %bb.566:                              ;   in Loop: Header=BB17_296 Depth=2
	s_andn2_saveexec_b64 s[40:41], s[26:27]
; %bb.567:                              ;   in Loop: Header=BB17_296 Depth=2
	v_or_b32_e32 v13, 0x10000, v25
	v_cmp_eq_u32_sdwa s[26:27], v25, v3 src0_sel:WORD_0 src1_sel:DWORD
	s_nop 1
	v_cndmask_b32_e64 v13, v13, v25, s[26:27]
; %bb.568:                              ;   in Loop: Header=BB17_296 Depth=2
	s_or_b64 exec, exec, s[40:41]
	v_and_b32_e32 v14, 0xffff0000, v14
	v_and_b32_e32 v10, 0xffff0000, v10
	v_max_f32_e32 v10, v10, v10
	v_max_f32_e32 v14, v14, v14
	v_min_f32_e32 v25, v14, v10
	v_max_f32_e32 v10, v14, v10
	v_cndmask_b32_e32 v14, v10, v25, vcc
	v_and_b32_e32 v10, 0x7f800000, v14
	v_cmp_ne_u32_e64 s[26:27], s96, v10
                                        ; implicit-def: $vgpr10
	s_and_saveexec_b64 s[40:41], s[26:27]
	s_xor_b64 s[26:27], exec, s[40:41]
; %bb.569:                              ;   in Loop: Header=BB17_296 Depth=2
	v_bfe_u32 v10, v14, 16, 1
	v_add3_u32 v10, v14, v10, s97
                                        ; implicit-def: $vgpr14
; %bb.570:                              ;   in Loop: Header=BB17_296 Depth=2
	s_andn2_saveexec_b64 s[40:41], s[26:27]
; %bb.571:                              ;   in Loop: Header=BB17_296 Depth=2
	v_or_b32_e32 v10, 0x10000, v14
	v_cmp_eq_u32_sdwa s[26:27], v14, v3 src0_sel:WORD_0 src1_sel:DWORD
	s_nop 1
	v_cndmask_b32_e64 v10, v10, v14, s[26:27]
; %bb.572:                              ;   in Loop: Header=BB17_296 Depth=2
	s_or_b64 exec, exec, s[40:41]
	v_lshlrev_b32_e32 v14, 16, v15
	v_lshlrev_b32_e32 v25, 16, v11
	v_max_f32_e32 v25, v25, v25
	v_max_f32_e32 v14, v14, v14
	v_min_f32_e32 v26, v14, v25
	v_max_f32_e32 v14, v14, v25
	v_cndmask_b32_e32 v25, v14, v26, vcc
	v_and_b32_e32 v14, 0x7f800000, v25
	v_cmp_ne_u32_e64 s[26:27], s96, v14
                                        ; implicit-def: $vgpr14
	s_and_saveexec_b64 s[40:41], s[26:27]
	s_xor_b64 s[26:27], exec, s[40:41]
; %bb.573:                              ;   in Loop: Header=BB17_296 Depth=2
	v_bfe_u32 v14, v25, 16, 1
	v_add3_u32 v14, v25, v14, s97
                                        ; implicit-def: $vgpr25
; %bb.574:                              ;   in Loop: Header=BB17_296 Depth=2
	s_andn2_saveexec_b64 s[40:41], s[26:27]
; %bb.575:                              ;   in Loop: Header=BB17_296 Depth=2
	v_or_b32_e32 v14, 0x10000, v25
	v_cmp_eq_u32_sdwa s[26:27], v25, v3 src0_sel:WORD_0 src1_sel:DWORD
	s_nop 1
	v_cndmask_b32_e64 v14, v14, v25, s[26:27]
; %bb.576:                              ;   in Loop: Header=BB17_296 Depth=2
	s_or_b64 exec, exec, s[40:41]
	v_and_b32_e32 v15, 0xffff0000, v15
	v_and_b32_e32 v11, 0xffff0000, v11
	v_max_f32_e32 v11, v11, v11
	v_max_f32_e32 v15, v15, v15
	v_min_f32_e32 v25, v15, v11
	v_max_f32_e32 v11, v15, v11
	v_cndmask_b32_e32 v15, v11, v25, vcc
	v_and_b32_e32 v11, 0x7f800000, v15
	v_cmp_ne_u32_e32 vcc, s96, v11
                                        ; implicit-def: $vgpr11
	s_and_saveexec_b64 s[26:27], vcc
	s_xor_b64 s[26:27], exec, s[26:27]
; %bb.577:                              ;   in Loop: Header=BB17_296 Depth=2
	v_bfe_u32 v11, v15, 16, 1
	v_add3_u32 v11, v15, v11, s97
                                        ; implicit-def: $vgpr15
; %bb.578:                              ;   in Loop: Header=BB17_296 Depth=2
	s_andn2_saveexec_b64 s[26:27], s[26:27]
; %bb.579:                              ;   in Loop: Header=BB17_296 Depth=2
	v_or_b32_e32 v11, 0x10000, v15
	v_cmp_eq_u32_sdwa vcc, v15, v3 src0_sel:WORD_0 src1_sel:DWORD
	s_nop 1
	v_cndmask_b32_e32 v11, v11, v15, vcc
; %bb.580:                              ;   in Loop: Header=BB17_296 Depth=2
	s_or_b64 exec, exec, s[26:27]
	v_lshrrev_b32_e32 v15, 16, v20
	v_and_or_b32 v17, v17, s46, v15
	v_lshrrev_b32_e32 v15, 16, v24
	v_lshrrev_b32_e32 v12, 16, v12
	v_and_or_b32 v16, v16, s46, v15
	v_lshrrev_b32_e32 v15, 16, v21
	v_and_or_b32 v9, v9, s46, v12
	;; [unrolled: 2-line block ×5, first 2 shown]
	v_and_or_b32 v10, v10, s46, v12
	v_lshrrev_b32_e32 v12, 16, v14
	v_and_or_b32 v11, v11, s46, v12
	global_store_dwordx4 v[76:77], v[16:19], off
	global_store_dwordx4 v[76:77], v[8:11], off offset:1024
.LBB17_581:                             ;   in Loop: Header=BB17_296 Depth=2
	s_or_b64 exec, exec, s[28:29]
	v_lshlrev_b32_e32 v22, 11, v91
	v_cmp_ne_u32_e32 vcc, v63, v22
                                        ; implicit-def: $vgpr14
                                        ; implicit-def: $vgpr8
                                        ; implicit-def: $vgpr15
	s_and_saveexec_b64 s[30:31], vcc
	s_cbranch_execz .LBB17_696
; %bb.582:                              ;   in Loop: Header=BB17_296 Depth=2
	v_lshlrev_b32_e32 v8, 6, v92
	v_sub_u32_e32 v8, v95, v8
	v_ashrrev_i32_e32 v10, 31, v8
	v_lshrrev_b32_e32 v10, 26, v10
	v_add_u32_e32 v10, v8, v10
	v_ashrrev_i32_e32 v11, 6, v10
	v_and_b32_e32 v10, 0xffffffc0, v10
	v_sub_u32_e32 v23, v8, v10
	v_lshlrev_b32_e32 v8, 4, v23
	v_sub_u32_e32 v9, v63, v22
	v_lshl_add_u32 v10, v11, 10, v8
	v_add_u32_e32 v8, v10, v22
	v_sub_u32_e32 v27, v9, v10
	v_ashrrev_i32_e32 v10, 31, v9
	v_lshrrev_b32_e32 v10, 22, v10
	v_add_u32_e32 v10, v9, v10
	v_and_b32_e32 v24, 0xfffffc00, v10
	v_sub_u32_e32 v25, v9, v24
	v_ashrrev_i32_e32 v12, 10, v10
	v_cmp_lt_i32_e64 s[26:27], 15, v25
	v_ashrrev_i32_e32 v9, 31, v8
	v_lshl_add_u64 v[16:17], v[8:9], 0, v[74:75]
	v_addc_co_u32_e64 v10, vcc, 0, v12, s[26:27]
	v_sub_u32_e32 v26, v10, v11
	v_cmp_lt_i32_e32 vcc, 15, v27
	s_mov_b64 s[28:29], 0
	s_and_saveexec_b64 s[34:35], vcc
	s_cbranch_execz .LBB17_659
; %bb.583:                              ;   in Loop: Header=BB17_296 Depth=2
	s_trap 2
	ds_read_b64 v[10:11], v0
	s_and_b32 s28, 0xffff, s44
	s_cmp_eq_u32 s28, 0
	v_lshl_add_u64 v[18:19], v[8:9], 0, v[72:73]
	s_mov_b64 s[48:49], 0
	s_waitcnt lgkmcnt(0)
	v_lshl_add_u64 v[20:21], v[10:11], 0, v[8:9]
	s_mov_b64 s[36:37], 0
	s_cselect_b64 s[28:29], -1, 0
                                        ; implicit-def: $sgpr38_sgpr39
	s_branch .LBB17_585
.LBB17_584:                             ;   in Loop: Header=BB17_585 Depth=3
	s_or_b64 exec, exec, s[40:41]
	v_cmp_gt_i32_e32 vcc, 16, v27
	s_or_b64 s[36:37], vcc, s[36:37]
	s_andn2_b64 s[40:41], s[38:39], exec
	s_and_b64 s[42:43], s[48:49], exec
	s_or_b64 s[38:39], s[40:41], s[42:43]
	s_andn2_b64 exec, exec, s[36:37]
	s_cbranch_execz .LBB17_658
.LBB17_585:                             ;   Parent Loop BB17_47 Depth=1
                                        ;     Parent Loop BB17_296 Depth=2
                                        ; =>    This Loop Header: Depth=3
                                        ;         Child Loop BB17_586 Depth 4
                                        ;         Child Loop BB17_623 Depth 4
	s_add_i32 s40, s33, 0xc0
	s_mov_b32 s45, s40
	s_mov_b64 s[50:51], -1
	s_mov_b64 s[52:53], 0
.LBB17_586:                             ;   Parent Loop BB17_47 Depth=1
                                        ;     Parent Loop BB17_296 Depth=2
                                        ;       Parent Loop BB17_585 Depth=3
                                        ; =>      This Inner Loop Header: Depth=4
	s_cmp_eq_u32 s52, 1
	s_cselect_b64 vcc, -1, 0
	v_cndmask_b32_e32 v13, v19, v21, vcc
	v_cndmask_b32_e32 v12, v18, v20, vcc
	global_load_dwordx4 v[8:11], v[12:13], off nt
	s_cmp_eq_u32 s52, 0
	v_lshl_add_u64 v[12:13], v[12:13], 0, s[60:61]
	s_cselect_b64 s[40:41], -1, 0
	s_and_b64 s[42:43], exec, s[50:51]
	s_mov_b64 s[52:53], 1
	s_mov_b64 s[50:51], 0
	v_cndmask_b32_e64 v19, v19, v13, s[40:41]
	v_cndmask_b32_e64 v18, v18, v12, s[40:41]
	v_cndmask_b32_e32 v21, v21, v13, vcc
	v_cndmask_b32_e32 v20, v20, v12, vcc
	s_mov_b64 vcc, s[42:43]
	s_waitcnt vmcnt(0)
	scratch_store_dwordx4 off, v[8:11], s45
	s_mov_b32 s45, s71
	s_cbranch_vccnz .LBB17_586
; %bb.587:                              ;   in Loop: Header=BB17_585 Depth=3
	s_and_saveexec_b64 s[40:41], s[48:49]
	s_cbranch_execz .LBB17_621
; %bb.588:                              ;   in Loop: Header=BB17_585 Depth=3
	scratch_load_dwordx4 v[8:11], off, s33 offset:224
	scratch_load_dwordx4 v[12:15], off, s33 offset:240
                                        ; implicit-def: $vgpr32
	s_waitcnt vmcnt(1)
	v_lshlrev_b32_e32 v28, 16, v8
	s_waitcnt vmcnt(0)
	v_lshlrev_b32_e32 v29, 16, v12
	v_max_f32_e32 v29, v29, v29
	v_max_f32_e32 v28, v28, v28
	v_min_f32_e32 v31, v28, v29
	v_max_f32_e32 v28, v28, v29
	v_cndmask_b32_e64 v28, v28, v31, s[28:29]
	v_and_b32_e32 v29, 0x7f800000, v28
	v_cmp_ne_u32_e32 vcc, s96, v29
	s_and_saveexec_b64 s[42:43], vcc
	s_xor_b64 s[42:43], exec, s[42:43]
; %bb.589:                              ;   in Loop: Header=BB17_585 Depth=3
	v_bfe_u32 v29, v28, 16, 1
	v_add3_u32 v32, v28, v29, s97
                                        ; implicit-def: $vgpr28
; %bb.590:                              ;   in Loop: Header=BB17_585 Depth=3
	s_andn2_saveexec_b64 s[42:43], s[42:43]
; %bb.591:                              ;   in Loop: Header=BB17_585 Depth=3
	v_or_b32_e32 v29, 0x10000, v28
	v_cmp_eq_u32_sdwa vcc, v28, v3 src0_sel:WORD_0 src1_sel:DWORD
	s_nop 1
	v_cndmask_b32_e32 v32, v29, v28, vcc
; %bb.592:                              ;   in Loop: Header=BB17_585 Depth=3
	s_or_b64 exec, exec, s[42:43]
	v_and_b32_e32 v8, 0xffff0000, v8
	v_and_b32_e32 v12, 0xffff0000, v12
	v_max_f32_e32 v12, v12, v12
	v_max_f32_e32 v8, v8, v8
	v_min_f32_e32 v28, v8, v12
	v_max_f32_e32 v8, v8, v12
	v_cndmask_b32_e64 v12, v8, v28, s[28:29]
	v_and_b32_e32 v8, 0x7f800000, v12
	v_cmp_ne_u32_e32 vcc, s96, v8
                                        ; implicit-def: $vgpr8
	s_and_saveexec_b64 s[42:43], vcc
	s_xor_b64 s[42:43], exec, s[42:43]
; %bb.593:                              ;   in Loop: Header=BB17_585 Depth=3
	v_bfe_u32 v8, v12, 16, 1
	v_add3_u32 v8, v12, v8, s97
                                        ; implicit-def: $vgpr12
; %bb.594:                              ;   in Loop: Header=BB17_585 Depth=3
	s_andn2_saveexec_b64 s[42:43], s[42:43]
; %bb.595:                              ;   in Loop: Header=BB17_585 Depth=3
	v_or_b32_e32 v8, 0x10000, v12
	v_cmp_eq_u32_sdwa vcc, v12, v3 src0_sel:WORD_0 src1_sel:DWORD
	s_nop 1
	v_cndmask_b32_e32 v8, v8, v12, vcc
; %bb.596:                              ;   in Loop: Header=BB17_585 Depth=3
	s_or_b64 exec, exec, s[42:43]
	v_lshlrev_b32_e32 v12, 16, v9
	v_lshlrev_b32_e32 v28, 16, v13
	v_max_f32_e32 v28, v28, v28
	v_max_f32_e32 v12, v12, v12
	v_min_f32_e32 v29, v12, v28
	v_max_f32_e32 v12, v12, v28
	v_cndmask_b32_e64 v28, v12, v29, s[28:29]
	v_and_b32_e32 v12, 0x7f800000, v28
	v_cmp_ne_u32_e32 vcc, s96, v12
                                        ; implicit-def: $vgpr12
	s_and_saveexec_b64 s[42:43], vcc
	s_xor_b64 s[42:43], exec, s[42:43]
; %bb.597:                              ;   in Loop: Header=BB17_585 Depth=3
	v_bfe_u32 v12, v28, 16, 1
	v_add3_u32 v12, v28, v12, s97
                                        ; implicit-def: $vgpr28
; %bb.598:                              ;   in Loop: Header=BB17_585 Depth=3
	s_andn2_saveexec_b64 s[42:43], s[42:43]
; %bb.599:                              ;   in Loop: Header=BB17_585 Depth=3
	v_or_b32_e32 v12, 0x10000, v28
	v_cmp_eq_u32_sdwa vcc, v28, v3 src0_sel:WORD_0 src1_sel:DWORD
	s_nop 1
	v_cndmask_b32_e32 v12, v12, v28, vcc
; %bb.600:                              ;   in Loop: Header=BB17_585 Depth=3
	s_or_b64 exec, exec, s[42:43]
	v_and_b32_e32 v9, 0xffff0000, v9
	v_and_b32_e32 v13, 0xffff0000, v13
	v_max_f32_e32 v13, v13, v13
	v_max_f32_e32 v9, v9, v9
	v_min_f32_e32 v28, v9, v13
	v_max_f32_e32 v9, v9, v13
	v_cndmask_b32_e64 v13, v9, v28, s[28:29]
	v_and_b32_e32 v9, 0x7f800000, v13
	v_cmp_ne_u32_e32 vcc, s96, v9
                                        ; implicit-def: $vgpr9
	s_and_saveexec_b64 s[42:43], vcc
	s_xor_b64 s[42:43], exec, s[42:43]
; %bb.601:                              ;   in Loop: Header=BB17_585 Depth=3
	v_bfe_u32 v9, v13, 16, 1
	v_add3_u32 v9, v13, v9, s97
                                        ; implicit-def: $vgpr13
; %bb.602:                              ;   in Loop: Header=BB17_585 Depth=3
	s_andn2_saveexec_b64 s[42:43], s[42:43]
; %bb.603:                              ;   in Loop: Header=BB17_585 Depth=3
	v_or_b32_e32 v9, 0x10000, v13
	v_cmp_eq_u32_sdwa vcc, v13, v3 src0_sel:WORD_0 src1_sel:DWORD
	s_nop 1
	v_cndmask_b32_e32 v9, v9, v13, vcc
; %bb.604:                              ;   in Loop: Header=BB17_585 Depth=3
	s_or_b64 exec, exec, s[42:43]
	v_lshlrev_b32_e32 v13, 16, v10
	v_lshlrev_b32_e32 v28, 16, v14
	v_max_f32_e32 v28, v28, v28
	v_max_f32_e32 v13, v13, v13
	v_min_f32_e32 v29, v13, v28
	v_max_f32_e32 v13, v13, v28
	v_cndmask_b32_e64 v28, v13, v29, s[28:29]
	v_and_b32_e32 v13, 0x7f800000, v28
	v_cmp_ne_u32_e32 vcc, s96, v13
                                        ; implicit-def: $vgpr13
	s_and_saveexec_b64 s[42:43], vcc
	s_xor_b64 s[42:43], exec, s[42:43]
; %bb.605:                              ;   in Loop: Header=BB17_585 Depth=3
	v_bfe_u32 v13, v28, 16, 1
	v_add3_u32 v13, v28, v13, s97
                                        ; implicit-def: $vgpr28
; %bb.606:                              ;   in Loop: Header=BB17_585 Depth=3
	s_andn2_saveexec_b64 s[42:43], s[42:43]
; %bb.607:                              ;   in Loop: Header=BB17_585 Depth=3
	v_or_b32_e32 v13, 0x10000, v28
	v_cmp_eq_u32_sdwa vcc, v28, v3 src0_sel:WORD_0 src1_sel:DWORD
	s_nop 1
	v_cndmask_b32_e32 v13, v13, v28, vcc
; %bb.608:                              ;   in Loop: Header=BB17_585 Depth=3
	s_or_b64 exec, exec, s[42:43]
	v_and_b32_e32 v10, 0xffff0000, v10
	v_and_b32_e32 v14, 0xffff0000, v14
	v_max_f32_e32 v14, v14, v14
	v_max_f32_e32 v10, v10, v10
	v_min_f32_e32 v28, v10, v14
	v_max_f32_e32 v10, v10, v14
	v_cndmask_b32_e64 v14, v10, v28, s[28:29]
	v_and_b32_e32 v10, 0x7f800000, v14
	v_cmp_ne_u32_e32 vcc, s96, v10
                                        ; implicit-def: $vgpr10
	s_and_saveexec_b64 s[42:43], vcc
	s_xor_b64 s[42:43], exec, s[42:43]
; %bb.609:                              ;   in Loop: Header=BB17_585 Depth=3
	v_bfe_u32 v10, v14, 16, 1
	v_add3_u32 v10, v14, v10, s97
                                        ; implicit-def: $vgpr14
; %bb.610:                              ;   in Loop: Header=BB17_585 Depth=3
	s_andn2_saveexec_b64 s[42:43], s[42:43]
; %bb.611:                              ;   in Loop: Header=BB17_585 Depth=3
	v_or_b32_e32 v10, 0x10000, v14
	v_cmp_eq_u32_sdwa vcc, v14, v3 src0_sel:WORD_0 src1_sel:DWORD
	s_nop 1
	v_cndmask_b32_e32 v10, v10, v14, vcc
; %bb.612:                              ;   in Loop: Header=BB17_585 Depth=3
	s_or_b64 exec, exec, s[42:43]
	v_lshlrev_b32_e32 v14, 16, v11
	v_lshlrev_b32_e32 v28, 16, v15
	v_max_f32_e32 v28, v28, v28
	v_max_f32_e32 v14, v14, v14
	v_min_f32_e32 v29, v14, v28
	v_max_f32_e32 v14, v14, v28
	v_cndmask_b32_e64 v28, v14, v29, s[28:29]
	v_and_b32_e32 v14, 0x7f800000, v28
	v_cmp_ne_u32_e32 vcc, s96, v14
                                        ; implicit-def: $vgpr14
	s_and_saveexec_b64 s[42:43], vcc
	s_xor_b64 s[42:43], exec, s[42:43]
; %bb.613:                              ;   in Loop: Header=BB17_585 Depth=3
	v_bfe_u32 v14, v28, 16, 1
	v_add3_u32 v14, v28, v14, s97
                                        ; implicit-def: $vgpr28
; %bb.614:                              ;   in Loop: Header=BB17_585 Depth=3
	s_andn2_saveexec_b64 s[42:43], s[42:43]
; %bb.615:                              ;   in Loop: Header=BB17_585 Depth=3
	v_or_b32_e32 v14, 0x10000, v28
	v_cmp_eq_u32_sdwa vcc, v28, v3 src0_sel:WORD_0 src1_sel:DWORD
	s_nop 1
	v_cndmask_b32_e32 v14, v14, v28, vcc
; %bb.616:                              ;   in Loop: Header=BB17_585 Depth=3
	s_or_b64 exec, exec, s[42:43]
	v_and_b32_e32 v11, 0xffff0000, v11
	v_and_b32_e32 v15, 0xffff0000, v15
	v_max_f32_e32 v15, v15, v15
	v_max_f32_e32 v11, v11, v11
	v_min_f32_e32 v28, v11, v15
	v_max_f32_e32 v11, v11, v15
	v_cndmask_b32_e64 v15, v11, v28, s[28:29]
	v_and_b32_e32 v11, 0x7f800000, v15
	v_cmp_ne_u32_e32 vcc, s96, v11
                                        ; implicit-def: $vgpr11
	s_and_saveexec_b64 s[42:43], vcc
	s_xor_b64 s[42:43], exec, s[42:43]
; %bb.617:                              ;   in Loop: Header=BB17_585 Depth=3
	v_bfe_u32 v11, v15, 16, 1
	v_add3_u32 v11, v15, v11, s97
                                        ; implicit-def: $vgpr15
; %bb.618:                              ;   in Loop: Header=BB17_585 Depth=3
	s_andn2_saveexec_b64 s[42:43], s[42:43]
; %bb.619:                              ;   in Loop: Header=BB17_585 Depth=3
	v_or_b32_e32 v11, 0x10000, v15
	v_cmp_eq_u32_sdwa vcc, v15, v3 src0_sel:WORD_0 src1_sel:DWORD
	s_nop 1
	v_cndmask_b32_e32 v11, v11, v15, vcc
; %bb.620:                              ;   in Loop: Header=BB17_585 Depth=3
	s_or_b64 exec, exec, s[42:43]
	v_lshrrev_b32_e32 v12, 16, v12
	v_and_or_b32 v9, v9, s46, v12
	v_lshrrev_b32_e32 v12, 16, v32
	v_and_or_b32 v8, v8, s46, v12
	;; [unrolled: 2-line block ×4, first 2 shown]
	scratch_store_dwordx4 off, v[8:11], s33 offset:224
	global_store_dwordx4 v[16:17], v[8:11], off
	v_lshl_add_u64 v[16:17], v[42:43], 0, v[16:17]
.LBB17_621:                             ;   in Loop: Header=BB17_585 Depth=3
	s_or_b64 exec, exec, s[40:41]
	v_sub_u32_e32 v27, v27, v105
	v_lshl_add_u64 v[18:19], v[18:19], 0, v[114:115]
	v_lshl_add_u64 v[20:21], v[20:21], 0, v[114:115]
	v_cmp_lt_i32_e64 s[48:49], 15, v27
	s_and_saveexec_b64 s[50:51], s[48:49]
	s_cbranch_execz .LBB17_624
; %bb.622:                              ;   in Loop: Header=BB17_585 Depth=3
	s_add_i32 s40, s33, 0xe0
	s_mov_b32 s45, s40
	s_mov_b64 s[54:55], 0
	s_mov_b64 s[52:53], -1
.LBB17_623:                             ;   Parent Loop BB17_47 Depth=1
                                        ;     Parent Loop BB17_296 Depth=2
                                        ;       Parent Loop BB17_585 Depth=3
                                        ; =>      This Inner Loop Header: Depth=4
	s_cmp_eq_u32 s54, 1
	s_cselect_b64 vcc, -1, 0
	v_cndmask_b32_e32 v13, v19, v21, vcc
	v_cndmask_b32_e32 v12, v18, v20, vcc
	global_load_dwordx4 v[8:11], v[12:13], off nt
	s_cmp_eq_u32 s54, 0
	v_lshl_add_u64 v[12:13], v[12:13], 0, s[60:61]
	s_cselect_b64 s[40:41], -1, 0
	s_and_b64 s[42:43], exec, s[52:53]
	s_mov_b64 s[54:55], 1
	s_mov_b64 s[52:53], 0
	v_cndmask_b32_e64 v19, v19, v13, s[40:41]
	v_cndmask_b32_e64 v18, v18, v12, s[40:41]
	v_cndmask_b32_e32 v21, v21, v13, vcc
	v_cndmask_b32_e32 v20, v20, v12, vcc
	s_mov_b64 vcc, s[42:43]
	s_waitcnt vmcnt(0)
	scratch_store_dwordx4 off, v[8:11], s45
	s_mov_b32 s45, s70
	s_cbranch_vccnz .LBB17_623
.LBB17_624:                             ;   in Loop: Header=BB17_585 Depth=3
	s_or_b64 exec, exec, s[50:51]
	scratch_load_dwordx4 v[8:11], off, s33 offset:192
	scratch_load_dwordx4 v[12:15], off, s33 offset:208
                                        ; implicit-def: $vgpr32
	s_waitcnt vmcnt(1)
	v_lshlrev_b32_e32 v28, 16, v8
	s_waitcnt vmcnt(0)
	v_lshlrev_b32_e32 v29, 16, v12
	v_max_f32_e32 v29, v29, v29
	v_max_f32_e32 v28, v28, v28
	v_min_f32_e32 v31, v28, v29
	v_max_f32_e32 v28, v28, v29
	v_cndmask_b32_e64 v28, v28, v31, s[28:29]
	v_and_b32_e32 v29, 0x7f800000, v28
	v_cmp_ne_u32_e32 vcc, s96, v29
	s_and_saveexec_b64 s[40:41], vcc
	s_xor_b64 s[40:41], exec, s[40:41]
; %bb.625:                              ;   in Loop: Header=BB17_585 Depth=3
	v_bfe_u32 v29, v28, 16, 1
	v_add3_u32 v32, v28, v29, s97
                                        ; implicit-def: $vgpr28
; %bb.626:                              ;   in Loop: Header=BB17_585 Depth=3
	s_andn2_saveexec_b64 s[40:41], s[40:41]
; %bb.627:                              ;   in Loop: Header=BB17_585 Depth=3
	v_or_b32_e32 v29, 0x10000, v28
	v_cmp_eq_u32_sdwa vcc, v28, v3 src0_sel:WORD_0 src1_sel:DWORD
	s_nop 1
	v_cndmask_b32_e32 v32, v29, v28, vcc
; %bb.628:                              ;   in Loop: Header=BB17_585 Depth=3
	s_or_b64 exec, exec, s[40:41]
	v_and_b32_e32 v8, 0xffff0000, v8
	v_and_b32_e32 v12, 0xffff0000, v12
	v_max_f32_e32 v12, v12, v12
	v_max_f32_e32 v8, v8, v8
	v_min_f32_e32 v28, v8, v12
	v_max_f32_e32 v8, v8, v12
	v_cndmask_b32_e64 v12, v8, v28, s[28:29]
	v_and_b32_e32 v8, 0x7f800000, v12
	v_cmp_ne_u32_e32 vcc, s96, v8
                                        ; implicit-def: $vgpr8
	s_and_saveexec_b64 s[40:41], vcc
	s_xor_b64 s[40:41], exec, s[40:41]
; %bb.629:                              ;   in Loop: Header=BB17_585 Depth=3
	v_bfe_u32 v8, v12, 16, 1
	v_add3_u32 v8, v12, v8, s97
                                        ; implicit-def: $vgpr12
; %bb.630:                              ;   in Loop: Header=BB17_585 Depth=3
	s_andn2_saveexec_b64 s[40:41], s[40:41]
; %bb.631:                              ;   in Loop: Header=BB17_585 Depth=3
	v_or_b32_e32 v8, 0x10000, v12
	v_cmp_eq_u32_sdwa vcc, v12, v3 src0_sel:WORD_0 src1_sel:DWORD
	s_nop 1
	v_cndmask_b32_e32 v8, v8, v12, vcc
; %bb.632:                              ;   in Loop: Header=BB17_585 Depth=3
	s_or_b64 exec, exec, s[40:41]
	v_lshlrev_b32_e32 v12, 16, v9
	v_lshlrev_b32_e32 v28, 16, v13
	v_max_f32_e32 v28, v28, v28
	v_max_f32_e32 v12, v12, v12
	v_min_f32_e32 v29, v12, v28
	v_max_f32_e32 v12, v12, v28
	v_cndmask_b32_e64 v28, v12, v29, s[28:29]
	v_and_b32_e32 v12, 0x7f800000, v28
	v_cmp_ne_u32_e32 vcc, s96, v12
                                        ; implicit-def: $vgpr12
	s_and_saveexec_b64 s[40:41], vcc
	s_xor_b64 s[40:41], exec, s[40:41]
; %bb.633:                              ;   in Loop: Header=BB17_585 Depth=3
	v_bfe_u32 v12, v28, 16, 1
	v_add3_u32 v12, v28, v12, s97
                                        ; implicit-def: $vgpr28
; %bb.634:                              ;   in Loop: Header=BB17_585 Depth=3
	s_andn2_saveexec_b64 s[40:41], s[40:41]
; %bb.635:                              ;   in Loop: Header=BB17_585 Depth=3
	v_or_b32_e32 v12, 0x10000, v28
	v_cmp_eq_u32_sdwa vcc, v28, v3 src0_sel:WORD_0 src1_sel:DWORD
	s_nop 1
	v_cndmask_b32_e32 v12, v12, v28, vcc
; %bb.636:                              ;   in Loop: Header=BB17_585 Depth=3
	s_or_b64 exec, exec, s[40:41]
	v_and_b32_e32 v9, 0xffff0000, v9
	v_and_b32_e32 v13, 0xffff0000, v13
	v_max_f32_e32 v13, v13, v13
	v_max_f32_e32 v9, v9, v9
	v_min_f32_e32 v28, v9, v13
	v_max_f32_e32 v9, v9, v13
	v_cndmask_b32_e64 v13, v9, v28, s[28:29]
	v_and_b32_e32 v9, 0x7f800000, v13
	v_cmp_ne_u32_e32 vcc, s96, v9
                                        ; implicit-def: $vgpr9
	s_and_saveexec_b64 s[40:41], vcc
	s_xor_b64 s[40:41], exec, s[40:41]
; %bb.637:                              ;   in Loop: Header=BB17_585 Depth=3
	v_bfe_u32 v9, v13, 16, 1
	v_add3_u32 v9, v13, v9, s97
                                        ; implicit-def: $vgpr13
; %bb.638:                              ;   in Loop: Header=BB17_585 Depth=3
	s_andn2_saveexec_b64 s[40:41], s[40:41]
; %bb.639:                              ;   in Loop: Header=BB17_585 Depth=3
	v_or_b32_e32 v9, 0x10000, v13
	v_cmp_eq_u32_sdwa vcc, v13, v3 src0_sel:WORD_0 src1_sel:DWORD
	s_nop 1
	v_cndmask_b32_e32 v9, v9, v13, vcc
; %bb.640:                              ;   in Loop: Header=BB17_585 Depth=3
	s_or_b64 exec, exec, s[40:41]
	v_lshlrev_b32_e32 v13, 16, v10
	v_lshlrev_b32_e32 v28, 16, v14
	v_max_f32_e32 v28, v28, v28
	v_max_f32_e32 v13, v13, v13
	v_min_f32_e32 v29, v13, v28
	v_max_f32_e32 v13, v13, v28
	v_cndmask_b32_e64 v28, v13, v29, s[28:29]
	v_and_b32_e32 v13, 0x7f800000, v28
	v_cmp_ne_u32_e32 vcc, s96, v13
                                        ; implicit-def: $vgpr13
	s_and_saveexec_b64 s[40:41], vcc
	s_xor_b64 s[40:41], exec, s[40:41]
; %bb.641:                              ;   in Loop: Header=BB17_585 Depth=3
	v_bfe_u32 v13, v28, 16, 1
	v_add3_u32 v13, v28, v13, s97
                                        ; implicit-def: $vgpr28
; %bb.642:                              ;   in Loop: Header=BB17_585 Depth=3
	s_andn2_saveexec_b64 s[40:41], s[40:41]
; %bb.643:                              ;   in Loop: Header=BB17_585 Depth=3
	v_or_b32_e32 v13, 0x10000, v28
	v_cmp_eq_u32_sdwa vcc, v28, v3 src0_sel:WORD_0 src1_sel:DWORD
	s_nop 1
	v_cndmask_b32_e32 v13, v13, v28, vcc
; %bb.644:                              ;   in Loop: Header=BB17_585 Depth=3
	s_or_b64 exec, exec, s[40:41]
	v_and_b32_e32 v10, 0xffff0000, v10
	v_and_b32_e32 v14, 0xffff0000, v14
	v_max_f32_e32 v14, v14, v14
	v_max_f32_e32 v10, v10, v10
	v_min_f32_e32 v28, v10, v14
	v_max_f32_e32 v10, v10, v14
	v_cndmask_b32_e64 v14, v10, v28, s[28:29]
	v_and_b32_e32 v10, 0x7f800000, v14
	v_cmp_ne_u32_e32 vcc, s96, v10
                                        ; implicit-def: $vgpr10
	s_and_saveexec_b64 s[40:41], vcc
	s_xor_b64 s[40:41], exec, s[40:41]
; %bb.645:                              ;   in Loop: Header=BB17_585 Depth=3
	v_bfe_u32 v10, v14, 16, 1
	v_add3_u32 v10, v14, v10, s97
                                        ; implicit-def: $vgpr14
; %bb.646:                              ;   in Loop: Header=BB17_585 Depth=3
	s_andn2_saveexec_b64 s[40:41], s[40:41]
; %bb.647:                              ;   in Loop: Header=BB17_585 Depth=3
	v_or_b32_e32 v10, 0x10000, v14
	v_cmp_eq_u32_sdwa vcc, v14, v3 src0_sel:WORD_0 src1_sel:DWORD
	s_nop 1
	v_cndmask_b32_e32 v10, v10, v14, vcc
; %bb.648:                              ;   in Loop: Header=BB17_585 Depth=3
	s_or_b64 exec, exec, s[40:41]
	v_lshlrev_b32_e32 v14, 16, v11
	v_lshlrev_b32_e32 v28, 16, v15
	v_max_f32_e32 v28, v28, v28
	v_max_f32_e32 v14, v14, v14
	v_min_f32_e32 v29, v14, v28
	v_max_f32_e32 v14, v14, v28
	v_cndmask_b32_e64 v28, v14, v29, s[28:29]
	v_and_b32_e32 v14, 0x7f800000, v28
	v_cmp_ne_u32_e32 vcc, s96, v14
                                        ; implicit-def: $vgpr14
	s_and_saveexec_b64 s[40:41], vcc
	s_xor_b64 s[40:41], exec, s[40:41]
; %bb.649:                              ;   in Loop: Header=BB17_585 Depth=3
	v_bfe_u32 v14, v28, 16, 1
	v_add3_u32 v14, v28, v14, s97
                                        ; implicit-def: $vgpr28
; %bb.650:                              ;   in Loop: Header=BB17_585 Depth=3
	s_andn2_saveexec_b64 s[40:41], s[40:41]
; %bb.651:                              ;   in Loop: Header=BB17_585 Depth=3
	v_or_b32_e32 v14, 0x10000, v28
	v_cmp_eq_u32_sdwa vcc, v28, v3 src0_sel:WORD_0 src1_sel:DWORD
	s_nop 1
	v_cndmask_b32_e32 v14, v14, v28, vcc
; %bb.652:                              ;   in Loop: Header=BB17_585 Depth=3
	s_or_b64 exec, exec, s[40:41]
	v_and_b32_e32 v11, 0xffff0000, v11
	v_and_b32_e32 v15, 0xffff0000, v15
	v_max_f32_e32 v15, v15, v15
	v_max_f32_e32 v11, v11, v11
	v_min_f32_e32 v28, v11, v15
	v_max_f32_e32 v11, v11, v15
	v_cndmask_b32_e64 v15, v11, v28, s[28:29]
	v_and_b32_e32 v11, 0x7f800000, v15
	v_cmp_ne_u32_e32 vcc, s96, v11
                                        ; implicit-def: $vgpr11
	s_and_saveexec_b64 s[40:41], vcc
	s_xor_b64 s[40:41], exec, s[40:41]
; %bb.653:                              ;   in Loop: Header=BB17_585 Depth=3
	v_bfe_u32 v11, v15, 16, 1
	v_add3_u32 v11, v15, v11, s97
                                        ; implicit-def: $vgpr15
; %bb.654:                              ;   in Loop: Header=BB17_585 Depth=3
	s_andn2_saveexec_b64 s[40:41], s[40:41]
; %bb.655:                              ;   in Loop: Header=BB17_585 Depth=3
	v_or_b32_e32 v11, 0x10000, v15
	v_cmp_eq_u32_sdwa vcc, v15, v3 src0_sel:WORD_0 src1_sel:DWORD
	s_nop 1
	v_cndmask_b32_e32 v11, v11, v15, vcc
; %bb.656:                              ;   in Loop: Header=BB17_585 Depth=3
	s_or_b64 exec, exec, s[40:41]
	v_lshrrev_b32_e32 v12, 16, v12
	v_and_or_b32 v9, v9, s46, v12
	v_lshrrev_b32_e32 v12, 16, v32
	v_and_or_b32 v8, v8, s46, v12
	;; [unrolled: 2-line block ×4, first 2 shown]
	v_sub_u32_e32 v26, v26, v84
	scratch_store_dwordx4 off, v[8:11], s33 offset:192
	global_store_dwordx4 v[16:17], v[8:11], off
	v_lshl_add_u64 v[16:17], v[16:17], 0, s[60:61]
	s_and_saveexec_b64 s[40:41], s[48:49]
	s_cbranch_execz .LBB17_584
; %bb.657:                              ;   in Loop: Header=BB17_585 Depth=3
	v_lshl_add_u64 v[18:19], v[18:19], 0, v[114:115]
	v_lshl_add_u64 v[20:21], v[20:21], 0, v[114:115]
	;; [unrolled: 1-line block ×3, first 2 shown]
	v_sub_u32_e32 v27, v27, v105
	v_sub_u32_e32 v26, v26, v84
	s_branch .LBB17_584
.LBB17_658:                             ;   in Loop: Header=BB17_296 Depth=2
	s_or_b64 exec, exec, s[36:37]
	s_and_b64 s[28:29], s[38:39], exec
.LBB17_659:                             ;   in Loop: Header=BB17_296 Depth=2
	s_or_b64 exec, exec, s[34:35]
	s_and_saveexec_b64 s[40:41], s[28:29]
	s_cbranch_execz .LBB17_693
; %bb.660:                              ;   in Loop: Header=BB17_296 Depth=2
	scratch_load_dwordx4 v[8:11], off, s33 offset:224
	scratch_load_dwordx4 v[12:15], off, s33 offset:240
	s_and_b32 s28, 0xffff, s44
	s_cmp_eq_u32 s28, 0
	s_cselect_b64 vcc, -1, 0
	s_waitcnt vmcnt(0)
	v_lshlrev_b32_e32 v18, 16, v8
	v_lshlrev_b32_e32 v19, 16, v12
	v_max_f32_e32 v19, v19, v19
	v_max_f32_e32 v18, v18, v18
	v_min_f32_e32 v20, v18, v19
	v_max_f32_e32 v18, v18, v19
	v_cndmask_b32_e32 v19, v18, v20, vcc
	v_and_b32_e32 v18, 0x7f800000, v19
	v_cmp_ne_u32_e64 s[28:29], s96, v18
                                        ; implicit-def: $vgpr18
	s_and_saveexec_b64 s[42:43], s[28:29]
	s_xor_b64 s[28:29], exec, s[42:43]
; %bb.661:                              ;   in Loop: Header=BB17_296 Depth=2
	v_bfe_u32 v18, v19, 16, 1
	v_add3_u32 v18, v19, v18, s97
                                        ; implicit-def: $vgpr19
; %bb.662:                              ;   in Loop: Header=BB17_296 Depth=2
	s_andn2_saveexec_b64 s[42:43], s[28:29]
; %bb.663:                              ;   in Loop: Header=BB17_296 Depth=2
	v_or_b32_e32 v18, 0x10000, v19
	v_cmp_eq_u32_sdwa s[28:29], v19, v3 src0_sel:WORD_0 src1_sel:DWORD
	s_nop 1
	v_cndmask_b32_e64 v18, v18, v19, s[28:29]
; %bb.664:                              ;   in Loop: Header=BB17_296 Depth=2
	s_or_b64 exec, exec, s[42:43]
	v_and_b32_e32 v8, 0xffff0000, v8
	v_and_b32_e32 v12, 0xffff0000, v12
	v_max_f32_e32 v12, v12, v12
	v_max_f32_e32 v8, v8, v8
	v_min_f32_e32 v19, v8, v12
	v_max_f32_e32 v8, v8, v12
	v_cndmask_b32_e32 v12, v8, v19, vcc
	v_and_b32_e32 v8, 0x7f800000, v12
	v_cmp_ne_u32_e64 s[28:29], s96, v8
                                        ; implicit-def: $vgpr8
	s_and_saveexec_b64 s[42:43], s[28:29]
	s_xor_b64 s[28:29], exec, s[42:43]
; %bb.665:                              ;   in Loop: Header=BB17_296 Depth=2
	v_bfe_u32 v8, v12, 16, 1
	v_add3_u32 v8, v12, v8, s97
                                        ; implicit-def: $vgpr12
; %bb.666:                              ;   in Loop: Header=BB17_296 Depth=2
	s_andn2_saveexec_b64 s[42:43], s[28:29]
; %bb.667:                              ;   in Loop: Header=BB17_296 Depth=2
	v_or_b32_e32 v8, 0x10000, v12
	v_cmp_eq_u32_sdwa s[28:29], v12, v3 src0_sel:WORD_0 src1_sel:DWORD
	s_nop 1
	v_cndmask_b32_e64 v8, v8, v12, s[28:29]
; %bb.668:                              ;   in Loop: Header=BB17_296 Depth=2
	s_or_b64 exec, exec, s[42:43]
	v_lshlrev_b32_e32 v12, 16, v9
	v_lshlrev_b32_e32 v19, 16, v13
	v_max_f32_e32 v19, v19, v19
	v_max_f32_e32 v12, v12, v12
	v_min_f32_e32 v20, v12, v19
	v_max_f32_e32 v12, v12, v19
	v_cndmask_b32_e32 v19, v12, v20, vcc
	v_and_b32_e32 v12, 0x7f800000, v19
	v_cmp_ne_u32_e64 s[28:29], s96, v12
                                        ; implicit-def: $vgpr12
	s_and_saveexec_b64 s[42:43], s[28:29]
	s_xor_b64 s[28:29], exec, s[42:43]
; %bb.669:                              ;   in Loop: Header=BB17_296 Depth=2
	v_bfe_u32 v12, v19, 16, 1
	v_add3_u32 v12, v19, v12, s97
                                        ; implicit-def: $vgpr19
; %bb.670:                              ;   in Loop: Header=BB17_296 Depth=2
	s_andn2_saveexec_b64 s[42:43], s[28:29]
; %bb.671:                              ;   in Loop: Header=BB17_296 Depth=2
	v_or_b32_e32 v12, 0x10000, v19
	v_cmp_eq_u32_sdwa s[28:29], v19, v3 src0_sel:WORD_0 src1_sel:DWORD
	s_nop 1
	v_cndmask_b32_e64 v12, v12, v19, s[28:29]
; %bb.672:                              ;   in Loop: Header=BB17_296 Depth=2
	s_or_b64 exec, exec, s[42:43]
	v_and_b32_e32 v9, 0xffff0000, v9
	v_and_b32_e32 v13, 0xffff0000, v13
	v_max_f32_e32 v13, v13, v13
	v_max_f32_e32 v9, v9, v9
	v_min_f32_e32 v19, v9, v13
	v_max_f32_e32 v9, v9, v13
	v_cndmask_b32_e32 v13, v9, v19, vcc
	v_and_b32_e32 v9, 0x7f800000, v13
	v_cmp_ne_u32_e64 s[28:29], s96, v9
                                        ; implicit-def: $vgpr9
	s_and_saveexec_b64 s[42:43], s[28:29]
	s_xor_b64 s[28:29], exec, s[42:43]
; %bb.673:                              ;   in Loop: Header=BB17_296 Depth=2
	v_bfe_u32 v9, v13, 16, 1
	v_add3_u32 v9, v13, v9, s97
                                        ; implicit-def: $vgpr13
; %bb.674:                              ;   in Loop: Header=BB17_296 Depth=2
	s_andn2_saveexec_b64 s[42:43], s[28:29]
; %bb.675:                              ;   in Loop: Header=BB17_296 Depth=2
	v_or_b32_e32 v9, 0x10000, v13
	v_cmp_eq_u32_sdwa s[28:29], v13, v3 src0_sel:WORD_0 src1_sel:DWORD
	s_nop 1
	v_cndmask_b32_e64 v9, v9, v13, s[28:29]
; %bb.676:                              ;   in Loop: Header=BB17_296 Depth=2
	s_or_b64 exec, exec, s[42:43]
	v_lshlrev_b32_e32 v13, 16, v10
	v_lshlrev_b32_e32 v19, 16, v14
	v_max_f32_e32 v19, v19, v19
	v_max_f32_e32 v13, v13, v13
	v_min_f32_e32 v20, v13, v19
	v_max_f32_e32 v13, v13, v19
	v_cndmask_b32_e32 v19, v13, v20, vcc
	v_and_b32_e32 v13, 0x7f800000, v19
	v_cmp_ne_u32_e64 s[28:29], s96, v13
                                        ; implicit-def: $vgpr13
	s_and_saveexec_b64 s[42:43], s[28:29]
	s_xor_b64 s[28:29], exec, s[42:43]
; %bb.677:                              ;   in Loop: Header=BB17_296 Depth=2
	v_bfe_u32 v13, v19, 16, 1
	v_add3_u32 v13, v19, v13, s97
                                        ; implicit-def: $vgpr19
; %bb.678:                              ;   in Loop: Header=BB17_296 Depth=2
	s_andn2_saveexec_b64 s[42:43], s[28:29]
; %bb.679:                              ;   in Loop: Header=BB17_296 Depth=2
	v_or_b32_e32 v13, 0x10000, v19
	v_cmp_eq_u32_sdwa s[28:29], v19, v3 src0_sel:WORD_0 src1_sel:DWORD
	s_nop 1
	v_cndmask_b32_e64 v13, v13, v19, s[28:29]
; %bb.680:                              ;   in Loop: Header=BB17_296 Depth=2
	s_or_b64 exec, exec, s[42:43]
	v_and_b32_e32 v10, 0xffff0000, v10
	v_and_b32_e32 v14, 0xffff0000, v14
	v_max_f32_e32 v14, v14, v14
	v_max_f32_e32 v10, v10, v10
	v_min_f32_e32 v19, v10, v14
	v_max_f32_e32 v10, v10, v14
	v_cndmask_b32_e32 v14, v10, v19, vcc
	v_and_b32_e32 v10, 0x7f800000, v14
	v_cmp_ne_u32_e64 s[28:29], s96, v10
                                        ; implicit-def: $vgpr10
	s_and_saveexec_b64 s[42:43], s[28:29]
	s_xor_b64 s[28:29], exec, s[42:43]
; %bb.681:                              ;   in Loop: Header=BB17_296 Depth=2
	v_bfe_u32 v10, v14, 16, 1
	v_add3_u32 v10, v14, v10, s97
                                        ; implicit-def: $vgpr14
; %bb.682:                              ;   in Loop: Header=BB17_296 Depth=2
	s_andn2_saveexec_b64 s[42:43], s[28:29]
; %bb.683:                              ;   in Loop: Header=BB17_296 Depth=2
	v_or_b32_e32 v10, 0x10000, v14
	v_cmp_eq_u32_sdwa s[28:29], v14, v3 src0_sel:WORD_0 src1_sel:DWORD
	s_nop 1
	v_cndmask_b32_e64 v10, v10, v14, s[28:29]
; %bb.684:                              ;   in Loop: Header=BB17_296 Depth=2
	s_or_b64 exec, exec, s[42:43]
	v_lshlrev_b32_e32 v14, 16, v11
	v_lshlrev_b32_e32 v19, 16, v15
	v_max_f32_e32 v19, v19, v19
	v_max_f32_e32 v14, v14, v14
	v_min_f32_e32 v20, v14, v19
	v_max_f32_e32 v14, v14, v19
	v_cndmask_b32_e32 v19, v14, v20, vcc
	v_and_b32_e32 v14, 0x7f800000, v19
	v_cmp_ne_u32_e64 s[28:29], s96, v14
                                        ; implicit-def: $vgpr14
	s_and_saveexec_b64 s[42:43], s[28:29]
	s_xor_b64 s[28:29], exec, s[42:43]
; %bb.685:                              ;   in Loop: Header=BB17_296 Depth=2
	v_bfe_u32 v14, v19, 16, 1
	v_add3_u32 v14, v19, v14, s97
                                        ; implicit-def: $vgpr19
; %bb.686:                              ;   in Loop: Header=BB17_296 Depth=2
	s_andn2_saveexec_b64 s[42:43], s[28:29]
; %bb.687:                              ;   in Loop: Header=BB17_296 Depth=2
	v_or_b32_e32 v14, 0x10000, v19
	v_cmp_eq_u32_sdwa s[28:29], v19, v3 src0_sel:WORD_0 src1_sel:DWORD
	s_nop 1
	v_cndmask_b32_e64 v14, v14, v19, s[28:29]
; %bb.688:                              ;   in Loop: Header=BB17_296 Depth=2
	s_or_b64 exec, exec, s[42:43]
	v_and_b32_e32 v11, 0xffff0000, v11
	v_and_b32_e32 v15, 0xffff0000, v15
	v_max_f32_e32 v15, v15, v15
	v_max_f32_e32 v11, v11, v11
	v_min_f32_e32 v19, v11, v15
	v_max_f32_e32 v11, v11, v15
	v_cndmask_b32_e32 v15, v11, v19, vcc
	v_and_b32_e32 v11, 0x7f800000, v15
	v_cmp_ne_u32_e32 vcc, s96, v11
                                        ; implicit-def: $vgpr11
	s_and_saveexec_b64 s[28:29], vcc
	s_xor_b64 s[28:29], exec, s[28:29]
; %bb.689:                              ;   in Loop: Header=BB17_296 Depth=2
	v_bfe_u32 v11, v15, 16, 1
	v_add3_u32 v11, v15, v11, s97
                                        ; implicit-def: $vgpr15
; %bb.690:                              ;   in Loop: Header=BB17_296 Depth=2
	s_andn2_saveexec_b64 s[28:29], s[28:29]
; %bb.691:                              ;   in Loop: Header=BB17_296 Depth=2
	v_or_b32_e32 v11, 0x10000, v15
	v_cmp_eq_u32_sdwa vcc, v15, v3 src0_sel:WORD_0 src1_sel:DWORD
	s_nop 1
	v_cndmask_b32_e32 v11, v11, v15, vcc
; %bb.692:                              ;   in Loop: Header=BB17_296 Depth=2
	s_or_b64 exec, exec, s[28:29]
	v_lshrrev_b32_e32 v12, 16, v12
	v_and_or_b32 v9, v9, s46, v12
	v_lshrrev_b32_e32 v12, 16, v18
	v_and_or_b32 v8, v8, s46, v12
	;; [unrolled: 2-line block ×4, first 2 shown]
	global_store_dwordx4 v[16:17], v[8:11], off
.LBB17_693:                             ;   in Loop: Header=BB17_296 Depth=2
	s_or_b64 exec, exec, s[40:41]
	s_nop 0
	v_and_b32_e32 v9, 14, v63
	v_cndmask_b32_e64 v63, v25, v9, s[26:27]
	v_cmp_ne_u32_e32 vcc, 0, v63
	s_mov_b64 s[40:41], s[94:95]
                                        ; implicit-def: $vgpr14
                                        ; implicit-def: $vgpr8
                                        ; implicit-def: $vgpr15
	s_and_saveexec_b64 s[28:29], vcc
	s_cbranch_execz .LBB17_695
; %bb.694:                              ;   in Loop: Header=BB17_296 Depth=2
	v_sub_u32_e32 v8, v25, v9
	v_cndmask_b32_e64 v8, 0, v8, s[26:27]
	v_cmp_lt_i32_e32 vcc, 0, v26
	v_add3_u32 v14, v24, v22, v8
	s_or_b64 s[40:41], s[94:95], exec
	v_cndmask_b32_e32 v8, 0, v84, vcc
	v_sub_u32_e32 v8, v8, v26
	v_lshl_add_u32 v8, v8, 6, v23
	v_ashrrev_i32_e32 v9, 31, v8
	v_lshrrev_b32_e32 v9, 26, v9
	v_add_u32_e32 v9, v8, v9
	v_and_b32_e32 v9, 0xffffffc0, v9
	v_sub_u32_e32 v15, v8, v9
.LBB17_695:                             ;   in Loop: Header=BB17_296 Depth=2
	s_or_b64 exec, exec, s[28:29]
	s_andn2_b64 s[26:27], s[94:95], exec
	s_and_b64 s[28:29], s[40:41], exec
	s_or_b64 s[94:95], s[26:27], s[28:29]
.LBB17_696:                             ;   in Loop: Header=BB17_296 Depth=2
	s_or_b64 exec, exec, s[30:31]
	s_and_saveexec_b64 s[42:43], s[94:95]
	s_cbranch_execz .LBB17_828
.LBB17_697:                             ;   in Loop: Header=BB17_296 Depth=2
	v_ashrrev_i32_e32 v9, 31, v8
	v_lshrrev_b32_e32 v9, 26, v9
	v_add_u32_e32 v8, v8, v9
	v_ashrrev_i32_e32 v8, 6, v8
	v_lshlrev_b32_e32 v9, 10, v8
	v_lshlrev_b32_e32 v10, 1, v15
	v_add3_u32 v12, v14, v10, v9
	v_ashrrev_i32_e32 v9, 31, v63
	v_lshrrev_b32_e32 v9, 22, v9
	v_add_u32_e32 v9, v63, v9
	v_ashrrev_i32_e32 v16, 10, v9
	v_ashrrev_i32_e32 v13, 31, v12
	v_sub_u32_e32 v17, v16, v8
	v_lshl_add_u64 v[8:9], v[74:75], 0, v[12:13]
	v_cmp_lt_i32_e32 vcc, 0, v17
	v_mov_b32_e32 v48, 0
	s_mov_b64 s[26:27], 0
	v_mov_b32_e32 v37, 0
	v_mov_b32_e32 v34, 0
	;; [unrolled: 1-line block ×15, first 2 shown]
	s_and_saveexec_b64 s[28:29], vcc
	s_cbranch_execz .LBB17_769
; %bb.698:                              ;   in Loop: Header=BB17_296 Depth=2
	s_trap 2
	ds_read_b64 v[18:19], v0
	s_and_b32 s26, s44, 0xff
	s_cmp_eq_u32 s26, 0
	v_lshl_add_u64 v[10:11], v[12:13], 0, v[72:73]
	s_mov_b64 s[30:31], 0
	s_waitcnt lgkmcnt(0)
	v_lshl_add_u64 v[12:13], v[18:19], 0, v[12:13]
	s_mov_b64 s[94:95], 0
	s_cselect_b64 vcc, -1, 0
                                        ; implicit-def: $sgpr40_sgpr41
                                        ; implicit-def: $vgpr77
                                        ; implicit-def: $vgpr76
                                        ; implicit-def: $vgpr49
                                        ; implicit-def: $vgpr38
                                        ; implicit-def: $vgpr35
                                        ; implicit-def: $vgpr32
                                        ; implicit-def: $vgpr27
                                        ; implicit-def: $vgpr26
                                        ; implicit-def: $vgpr18
                                        ; implicit-def: $vgpr19
                                        ; implicit-def: $vgpr20
                                        ; implicit-def: $vgpr21
                                        ; implicit-def: $vgpr22
                                        ; implicit-def: $vgpr23
                                        ; implicit-def: $vgpr24
                                        ; implicit-def: $vgpr25
	s_branch .LBB17_700
.LBB17_699:                             ;   in Loop: Header=BB17_700 Depth=3
	s_or_b64 exec, exec, s[34:35]
	flat_store_short_d16_hi v[8:9], v54 nt
	flat_store_short_d16_hi v[8:9], v55 offset:128 nt
	flat_store_short_d16_hi v[8:9], v28 offset:256 nt
	;; [unrolled: 1-line block ×7, first 2 shown]
	v_lshl_add_u64 v[28:29], v[10:11], 0, v[114:115]
	v_cndmask_b32_e64 v10, v10, v28, s[30:31]
	v_cndmask_b32_e64 v28, 0, v84, s[30:31]
	v_sub_u32_e32 v17, v17, v28
	v_cmp_gt_i32_e64 s[26:27], 1, v17
	s_or_b64 s[94:95], s[26:27], s[94:95]
	v_lshl_add_u64 v[36:37], v[12:13], 0, v[114:115]
	v_cndmask_b32_e64 v51, 0, v43, s[30:31]
	v_cndmask_b32_e64 v50, v111, v42, s[30:31]
	s_andn2_b64 s[26:27], s[40:41], exec
	s_and_b64 s[40:41], s[30:31], exec
	v_lshl_add_u64 v[8:9], v[8:9], 0, v[50:51]
	v_cndmask_b32_e64 v11, v11, v29, s[30:31]
	v_cndmask_b32_e64 v13, v13, v37, s[30:31]
	;; [unrolled: 1-line block ×3, first 2 shown]
	s_or_b64 s[40:41], s[26:27], s[40:41]
	s_andn2_b64 exec, exec, s[94:95]
	s_cbranch_execz .LBB17_768
.LBB17_700:                             ;   Parent Loop BB17_47 Depth=1
                                        ;     Parent Loop BB17_296 Depth=2
                                        ; =>    This Inner Loop Header: Depth=3
	flat_load_ushort v91, v[10:11] nt
	flat_load_ushort v88, v[10:11] offset:128 nt
	flat_load_ushort v78, v[10:11] offset:256 nt
	;; [unrolled: 1-line block ×7, first 2 shown]
	flat_load_ushort v82, v[12:13] nt
	flat_load_ushort v89, v[12:13] offset:128 nt
	flat_load_ushort v79, v[12:13] offset:256 nt
	;; [unrolled: 1-line block ×7, first 2 shown]
	s_and_saveexec_b64 s[34:35], s[30:31]
	s_cbranch_execz .LBB17_734
; %bb.701:                              ;   in Loop: Header=BB17_700 Depth=3
	v_lshlrev_b32_e32 v28, 16, v77
	v_lshlrev_b32_e32 v29, 16, v18
	v_max_f32_e32 v29, v29, v29
	v_max_f32_e32 v28, v28, v28
	v_min_f32_e32 v31, v28, v29
	v_max_f32_e32 v28, v28, v29
	v_cndmask_b32_e32 v28, v28, v31, vcc
	v_and_b32_e32 v29, 0x7f800000, v28
	v_cmp_ne_u32_e64 s[26:27], s96, v29
                                        ; implicit-def: $vgpr54
	s_and_saveexec_b64 s[30:31], s[26:27]
	s_xor_b64 s[26:27], exec, s[30:31]
; %bb.702:                              ;   in Loop: Header=BB17_700 Depth=3
	v_bfe_u32 v29, v28, 16, 1
	v_add3_u32 v54, v28, v29, s97
                                        ; implicit-def: $vgpr28
; %bb.703:                              ;   in Loop: Header=BB17_700 Depth=3
	s_andn2_saveexec_b64 s[30:31], s[26:27]
; %bb.704:                              ;   in Loop: Header=BB17_700 Depth=3
	v_or_b32_e32 v29, 0x10000, v28
	v_cmp_eq_u32_sdwa s[26:27], v28, v3 src0_sel:WORD_0 src1_sel:DWORD
	s_nop 1
	v_cndmask_b32_e64 v54, v29, v28, s[26:27]
; %bb.705:                              ;   in Loop: Header=BB17_700 Depth=3
	s_or_b64 exec, exec, s[30:31]
	v_lshlrev_b32_e32 v28, 16, v76
	v_lshlrev_b32_e32 v29, 16, v19
	v_max_f32_e32 v29, v29, v29
	v_max_f32_e32 v28, v28, v28
	v_min_f32_e32 v31, v28, v29
	v_max_f32_e32 v28, v28, v29
	v_cndmask_b32_e32 v28, v28, v31, vcc
	v_and_b32_e32 v29, 0x7f800000, v28
	v_cmp_ne_u32_e64 s[26:27], s96, v29
                                        ; implicit-def: $vgpr55
	s_and_saveexec_b64 s[30:31], s[26:27]
	s_xor_b64 s[26:27], exec, s[30:31]
; %bb.706:                              ;   in Loop: Header=BB17_700 Depth=3
	v_bfe_u32 v29, v28, 16, 1
	v_add3_u32 v55, v28, v29, s97
                                        ; implicit-def: $vgpr28
; %bb.707:                              ;   in Loop: Header=BB17_700 Depth=3
	s_andn2_saveexec_b64 s[30:31], s[26:27]
; %bb.708:                              ;   in Loop: Header=BB17_700 Depth=3
	v_or_b32_e32 v29, 0x10000, v28
	v_cmp_eq_u32_sdwa s[26:27], v28, v3 src0_sel:WORD_0 src1_sel:DWORD
	s_nop 1
	v_cndmask_b32_e64 v55, v29, v28, s[26:27]
; %bb.709:                              ;   in Loop: Header=BB17_700 Depth=3
	s_or_b64 exec, exec, s[30:31]
	v_lshlrev_b32_e32 v28, 16, v49
	v_lshlrev_b32_e32 v29, 16, v20
	v_max_f32_e32 v29, v29, v29
	v_max_f32_e32 v28, v28, v28
	v_min_f32_e32 v31, v28, v29
	v_max_f32_e32 v28, v28, v29
	v_cndmask_b32_e32 v29, v28, v31, vcc
	v_and_b32_e32 v28, 0x7f800000, v29
	v_cmp_ne_u32_e64 s[26:27], s96, v28
                                        ; implicit-def: $vgpr28
	s_and_saveexec_b64 s[30:31], s[26:27]
	s_xor_b64 s[26:27], exec, s[30:31]
; %bb.710:                              ;   in Loop: Header=BB17_700 Depth=3
	v_bfe_u32 v28, v29, 16, 1
	v_add3_u32 v28, v29, v28, s97
                                        ; implicit-def: $vgpr29
; %bb.711:                              ;   in Loop: Header=BB17_700 Depth=3
	s_andn2_saveexec_b64 s[30:31], s[26:27]
; %bb.712:                              ;   in Loop: Header=BB17_700 Depth=3
	v_or_b32_e32 v28, 0x10000, v29
	v_cmp_eq_u32_sdwa s[26:27], v29, v3 src0_sel:WORD_0 src1_sel:DWORD
	s_nop 1
	v_cndmask_b32_e64 v28, v28, v29, s[26:27]
; %bb.713:                              ;   in Loop: Header=BB17_700 Depth=3
	s_or_b64 exec, exec, s[30:31]
	v_lshlrev_b32_e32 v29, 16, v38
	v_lshlrev_b32_e32 v31, 16, v21
	v_max_f32_e32 v31, v31, v31
	v_max_f32_e32 v29, v29, v29
	v_min_f32_e32 v38, v29, v31
	v_max_f32_e32 v29, v29, v31
	v_cndmask_b32_e32 v38, v29, v38, vcc
	v_and_b32_e32 v29, 0x7f800000, v38
	v_cmp_ne_u32_e64 s[26:27], s96, v29
                                        ; implicit-def: $vgpr29
	s_and_saveexec_b64 s[30:31], s[26:27]
	s_xor_b64 s[26:27], exec, s[30:31]
; %bb.714:                              ;   in Loop: Header=BB17_700 Depth=3
	v_bfe_u32 v29, v38, 16, 1
	v_add3_u32 v29, v38, v29, s97
                                        ; implicit-def: $vgpr38
; %bb.715:                              ;   in Loop: Header=BB17_700 Depth=3
	s_andn2_saveexec_b64 s[30:31], s[26:27]
; %bb.716:                              ;   in Loop: Header=BB17_700 Depth=3
	v_or_b32_e32 v29, 0x10000, v38
	v_cmp_eq_u32_sdwa s[26:27], v38, v3 src0_sel:WORD_0 src1_sel:DWORD
	s_nop 1
	v_cndmask_b32_e64 v29, v29, v38, s[26:27]
; %bb.717:                              ;   in Loop: Header=BB17_700 Depth=3
	s_or_b64 exec, exec, s[30:31]
	v_lshlrev_b32_e32 v31, 16, v35
	v_lshlrev_b32_e32 v35, 16, v22
	v_max_f32_e32 v35, v35, v35
	v_max_f32_e32 v31, v31, v31
	v_min_f32_e32 v38, v31, v35
	v_max_f32_e32 v31, v31, v35
	v_cndmask_b32_e32 v38, v31, v38, vcc
	v_and_b32_e32 v31, 0x7f800000, v38
	v_cmp_ne_u32_e64 s[26:27], s96, v31
                                        ; implicit-def: $vgpr35
	s_and_saveexec_b64 s[30:31], s[26:27]
	s_xor_b64 s[26:27], exec, s[30:31]
; %bb.718:                              ;   in Loop: Header=BB17_700 Depth=3
	v_bfe_u32 v31, v38, 16, 1
	v_add3_u32 v35, v38, v31, s97
                                        ; implicit-def: $vgpr38
; %bb.719:                              ;   in Loop: Header=BB17_700 Depth=3
	s_andn2_saveexec_b64 s[30:31], s[26:27]
; %bb.720:                              ;   in Loop: Header=BB17_700 Depth=3
	v_or_b32_e32 v31, 0x10000, v38
	v_cmp_eq_u32_sdwa s[26:27], v38, v3 src0_sel:WORD_0 src1_sel:DWORD
	s_nop 1
	v_cndmask_b32_e64 v35, v31, v38, s[26:27]
; %bb.721:                              ;   in Loop: Header=BB17_700 Depth=3
	s_or_b64 exec, exec, s[30:31]
	v_lshlrev_b32_e32 v31, 16, v32
	v_lshlrev_b32_e32 v32, 16, v23
	v_max_f32_e32 v32, v32, v32
	v_max_f32_e32 v31, v31, v31
	v_min_f32_e32 v38, v31, v32
	v_max_f32_e32 v31, v31, v32
	v_cndmask_b32_e32 v38, v31, v38, vcc
	v_and_b32_e32 v31, 0x7f800000, v38
	v_cmp_ne_u32_e64 s[26:27], s96, v31
                                        ; implicit-def: $vgpr32
	s_and_saveexec_b64 s[30:31], s[26:27]
	s_xor_b64 s[26:27], exec, s[30:31]
; %bb.722:                              ;   in Loop: Header=BB17_700 Depth=3
	v_bfe_u32 v31, v38, 16, 1
	v_add3_u32 v32, v38, v31, s97
                                        ; implicit-def: $vgpr38
; %bb.723:                              ;   in Loop: Header=BB17_700 Depth=3
	s_andn2_saveexec_b64 s[30:31], s[26:27]
; %bb.724:                              ;   in Loop: Header=BB17_700 Depth=3
	v_or_b32_e32 v31, 0x10000, v38
	v_cmp_eq_u32_sdwa s[26:27], v38, v3 src0_sel:WORD_0 src1_sel:DWORD
	s_nop 1
	v_cndmask_b32_e64 v32, v31, v38, s[26:27]
; %bb.725:                              ;   in Loop: Header=BB17_700 Depth=3
	s_or_b64 exec, exec, s[30:31]
	v_lshlrev_b32_e32 v27, 16, v27
	v_lshlrev_b32_e32 v31, 16, v24
	v_max_f32_e32 v31, v31, v31
	v_max_f32_e32 v27, v27, v27
	v_min_f32_e32 v38, v27, v31
	v_max_f32_e32 v27, v27, v31
	v_cndmask_b32_e32 v38, v27, v38, vcc
	v_and_b32_e32 v27, 0x7f800000, v38
	v_cmp_ne_u32_e64 s[26:27], s96, v27
                                        ; implicit-def: $vgpr27
	s_and_saveexec_b64 s[30:31], s[26:27]
	s_xor_b64 s[26:27], exec, s[30:31]
; %bb.726:                              ;   in Loop: Header=BB17_700 Depth=3
	v_bfe_u32 v27, v38, 16, 1
	v_add3_u32 v27, v38, v27, s97
                                        ; implicit-def: $vgpr38
; %bb.727:                              ;   in Loop: Header=BB17_700 Depth=3
	s_andn2_saveexec_b64 s[30:31], s[26:27]
; %bb.728:                              ;   in Loop: Header=BB17_700 Depth=3
	v_or_b32_e32 v27, 0x10000, v38
	v_cmp_eq_u32_sdwa s[26:27], v38, v3 src0_sel:WORD_0 src1_sel:DWORD
	s_nop 1
	v_cndmask_b32_e64 v27, v27, v38, s[26:27]
; %bb.729:                              ;   in Loop: Header=BB17_700 Depth=3
	s_or_b64 exec, exec, s[30:31]
	v_lshlrev_b32_e32 v26, 16, v26
	v_lshlrev_b32_e32 v31, 16, v25
	v_max_f32_e32 v31, v31, v31
	v_max_f32_e32 v26, v26, v26
	v_min_f32_e32 v38, v26, v31
	v_max_f32_e32 v26, v26, v31
	v_cndmask_b32_e32 v38, v26, v38, vcc
	v_and_b32_e32 v26, 0x7f800000, v38
	v_cmp_ne_u32_e64 s[26:27], s96, v26
                                        ; implicit-def: $vgpr26
	s_and_saveexec_b64 s[30:31], s[26:27]
	s_xor_b64 s[26:27], exec, s[30:31]
; %bb.730:                              ;   in Loop: Header=BB17_700 Depth=3
	v_bfe_u32 v26, v38, 16, 1
	v_add3_u32 v26, v38, v26, s97
                                        ; implicit-def: $vgpr38
; %bb.731:                              ;   in Loop: Header=BB17_700 Depth=3
	s_andn2_saveexec_b64 s[30:31], s[26:27]
; %bb.732:                              ;   in Loop: Header=BB17_700 Depth=3
	v_or_b32_e32 v26, 0x10000, v38
	v_cmp_eq_u32_sdwa s[26:27], v38, v3 src0_sel:WORD_0 src1_sel:DWORD
	s_nop 1
	v_cndmask_b32_e64 v26, v26, v38, s[26:27]
; %bb.733:                              ;   in Loop: Header=BB17_700 Depth=3
	s_or_b64 exec, exec, s[30:31]
	v_lshrrev_b32_e32 v77, 16, v54
	v_lshrrev_b32_e32 v27, 16, v27
	;; [unrolled: 1-line block ×8, first 2 shown]
	flat_store_short v[8:9], v77 nt
	flat_store_short v[8:9], v76 offset:128 nt
	flat_store_short v[8:9], v49 offset:256 nt
	;; [unrolled: 1-line block ×7, first 2 shown]
	v_lshl_add_u64 v[8:9], v[8:9], 0, v[42:43]
.LBB17_734:                             ;   in Loop: Header=BB17_700 Depth=3
	s_or_b64 exec, exec, s[34:35]
	v_sub_u32_e32 v17, v17, v84
	v_lshl_add_u64 v[10:11], v[10:11], 0, v[42:43]
	v_lshl_add_u64 v[12:13], v[12:13], 0, v[42:43]
	v_cmp_lt_i32_e64 s[30:31], 0, v17
	s_and_saveexec_b64 s[26:27], s[30:31]
	s_cbranch_execz .LBB17_736
; %bb.735:                              ;   in Loop: Header=BB17_700 Depth=3
	flat_load_ushort v77, v[10:11] nt
	flat_load_ushort v76, v[10:11] offset:128 nt
	flat_load_ushort v49, v[10:11] offset:256 nt
	flat_load_ushort v38, v[10:11] offset:384 nt
	flat_load_ushort v35, v[10:11] offset:512 nt
	flat_load_ushort v32, v[10:11] offset:640 nt
	flat_load_ushort v27, v[10:11] offset:768 nt
	flat_load_ushort v26, v[10:11] offset:896 nt
	flat_load_ushort v18, v[12:13] nt
	flat_load_ushort v19, v[12:13] offset:128 nt
	flat_load_ushort v20, v[12:13] offset:256 nt
	flat_load_ushort v21, v[12:13] offset:384 nt
	flat_load_ushort v22, v[12:13] offset:512 nt
	flat_load_ushort v23, v[12:13] offset:640 nt
	flat_load_ushort v24, v[12:13] offset:768 nt
	flat_load_ushort v25, v[12:13] offset:896 nt
	v_lshl_add_u64 v[10:11], v[10:11], 0, s[60:61]
	v_lshl_add_u64 v[12:13], v[12:13], 0, s[60:61]
.LBB17_736:                             ;   in Loop: Header=BB17_700 Depth=3
	s_or_b64 exec, exec, s[26:27]
	s_waitcnt vmcnt(0) lgkmcnt(0)
	v_lshlrev_b32_e32 v28, 16, v91
	v_lshlrev_b32_e32 v29, 16, v82
	v_max_f32_e32 v29, v29, v29
	v_max_f32_e32 v28, v28, v28
	v_min_f32_e32 v31, v28, v29
	v_max_f32_e32 v28, v28, v29
	v_cndmask_b32_e32 v28, v28, v31, vcc
	v_and_b32_e32 v29, 0x7f800000, v28
	v_cmp_ne_u32_e64 s[26:27], s96, v29
                                        ; implicit-def: $vgpr54
	s_and_saveexec_b64 s[34:35], s[26:27]
	s_xor_b64 s[26:27], exec, s[34:35]
; %bb.737:                              ;   in Loop: Header=BB17_700 Depth=3
	v_bfe_u32 v29, v28, 16, 1
	v_add3_u32 v54, v28, v29, s97
                                        ; implicit-def: $vgpr28
; %bb.738:                              ;   in Loop: Header=BB17_700 Depth=3
	s_andn2_saveexec_b64 s[34:35], s[26:27]
; %bb.739:                              ;   in Loop: Header=BB17_700 Depth=3
	v_or_b32_e32 v29, 0x10000, v28
	v_cmp_eq_u32_sdwa s[26:27], v28, v3 src0_sel:WORD_0 src1_sel:DWORD
	s_nop 1
	v_cndmask_b32_e64 v54, v29, v28, s[26:27]
; %bb.740:                              ;   in Loop: Header=BB17_700 Depth=3
	s_or_b64 exec, exec, s[34:35]
	v_lshlrev_b32_e32 v28, 16, v88
	v_lshlrev_b32_e32 v29, 16, v89
	v_max_f32_e32 v29, v29, v29
	v_max_f32_e32 v28, v28, v28
	v_min_f32_e32 v31, v28, v29
	v_max_f32_e32 v28, v28, v29
	v_cndmask_b32_e32 v28, v28, v31, vcc
	v_and_b32_e32 v29, 0x7f800000, v28
	v_cmp_ne_u32_e64 s[26:27], s96, v29
                                        ; implicit-def: $vgpr55
	s_and_saveexec_b64 s[34:35], s[26:27]
	s_xor_b64 s[26:27], exec, s[34:35]
; %bb.741:                              ;   in Loop: Header=BB17_700 Depth=3
	v_bfe_u32 v29, v28, 16, 1
	v_add3_u32 v55, v28, v29, s97
                                        ; implicit-def: $vgpr28
; %bb.742:                              ;   in Loop: Header=BB17_700 Depth=3
	s_andn2_saveexec_b64 s[34:35], s[26:27]
; %bb.743:                              ;   in Loop: Header=BB17_700 Depth=3
	v_or_b32_e32 v29, 0x10000, v28
	v_cmp_eq_u32_sdwa s[26:27], v28, v3 src0_sel:WORD_0 src1_sel:DWORD
	s_nop 1
	v_cndmask_b32_e64 v55, v29, v28, s[26:27]
; %bb.744:                              ;   in Loop: Header=BB17_700 Depth=3
	s_or_b64 exec, exec, s[34:35]
	v_lshlrev_b32_e32 v28, 16, v78
	v_lshlrev_b32_e32 v29, 16, v79
	v_max_f32_e32 v29, v29, v29
	v_max_f32_e32 v28, v28, v28
	v_min_f32_e32 v31, v28, v29
	v_max_f32_e32 v28, v28, v29
	v_cndmask_b32_e32 v29, v28, v31, vcc
	v_and_b32_e32 v28, 0x7f800000, v29
	v_cmp_ne_u32_e64 s[26:27], s96, v28
                                        ; implicit-def: $vgpr28
	s_and_saveexec_b64 s[34:35], s[26:27]
	s_xor_b64 s[26:27], exec, s[34:35]
; %bb.745:                              ;   in Loop: Header=BB17_700 Depth=3
	v_bfe_u32 v28, v29, 16, 1
	v_add3_u32 v28, v29, v28, s97
                                        ; implicit-def: $vgpr29
; %bb.746:                              ;   in Loop: Header=BB17_700 Depth=3
	s_andn2_saveexec_b64 s[34:35], s[26:27]
; %bb.747:                              ;   in Loop: Header=BB17_700 Depth=3
	v_or_b32_e32 v28, 0x10000, v29
	v_cmp_eq_u32_sdwa s[26:27], v29, v3 src0_sel:WORD_0 src1_sel:DWORD
	s_nop 1
	v_cndmask_b32_e64 v28, v28, v29, s[26:27]
; %bb.748:                              ;   in Loop: Header=BB17_700 Depth=3
	s_or_b64 exec, exec, s[34:35]
	v_lshlrev_b32_e32 v29, 16, v52
	v_lshlrev_b32_e32 v31, 16, v53
	v_max_f32_e32 v31, v31, v31
	v_max_f32_e32 v29, v29, v29
	v_min_f32_e32 v52, v29, v31
	v_max_f32_e32 v29, v29, v31
	v_cndmask_b32_e32 v52, v29, v52, vcc
	v_and_b32_e32 v29, 0x7f800000, v52
	v_cmp_ne_u32_e64 s[26:27], s96, v29
                                        ; implicit-def: $vgpr29
	s_and_saveexec_b64 s[34:35], s[26:27]
	s_xor_b64 s[26:27], exec, s[34:35]
; %bb.749:                              ;   in Loop: Header=BB17_700 Depth=3
	v_bfe_u32 v29, v52, 16, 1
	v_add3_u32 v29, v52, v29, s97
                                        ; implicit-def: $vgpr52
; %bb.750:                              ;   in Loop: Header=BB17_700 Depth=3
	s_andn2_saveexec_b64 s[34:35], s[26:27]
; %bb.751:                              ;   in Loop: Header=BB17_700 Depth=3
	v_or_b32_e32 v29, 0x10000, v52
	v_cmp_eq_u32_sdwa s[26:27], v52, v3 src0_sel:WORD_0 src1_sel:DWORD
	s_nop 1
	v_cndmask_b32_e64 v29, v29, v52, s[26:27]
; %bb.752:                              ;   in Loop: Header=BB17_700 Depth=3
	s_or_b64 exec, exec, s[34:35]
	v_lshlrev_b32_e32 v31, 16, v50
	v_lshlrev_b32_e32 v50, 16, v51
	v_max_f32_e32 v50, v50, v50
	v_max_f32_e32 v31, v31, v31
	v_min_f32_e32 v51, v31, v50
	v_max_f32_e32 v31, v31, v50
	v_cndmask_b32_e32 v51, v31, v51, vcc
	v_and_b32_e32 v31, 0x7f800000, v51
	v_cmp_ne_u32_e64 s[26:27], s96, v31
                                        ; implicit-def: $vgpr50
	s_and_saveexec_b64 s[34:35], s[26:27]
	s_xor_b64 s[26:27], exec, s[34:35]
; %bb.753:                              ;   in Loop: Header=BB17_700 Depth=3
	v_bfe_u32 v31, v51, 16, 1
	v_add3_u32 v50, v51, v31, s97
                                        ; implicit-def: $vgpr51
; %bb.754:                              ;   in Loop: Header=BB17_700 Depth=3
	s_andn2_saveexec_b64 s[34:35], s[26:27]
; %bb.755:                              ;   in Loop: Header=BB17_700 Depth=3
	v_or_b32_e32 v31, 0x10000, v51
	v_cmp_eq_u32_sdwa s[26:27], v51, v3 src0_sel:WORD_0 src1_sel:DWORD
	s_nop 1
	v_cndmask_b32_e64 v50, v31, v51, s[26:27]
; %bb.756:                              ;   in Loop: Header=BB17_700 Depth=3
	s_or_b64 exec, exec, s[34:35]
	v_lshlrev_b32_e32 v31, 16, v39
	v_lshlrev_b32_e32 v39, 16, v48
	v_max_f32_e32 v39, v39, v39
	v_max_f32_e32 v31, v31, v31
	v_min_f32_e32 v48, v31, v39
	v_max_f32_e32 v31, v31, v39
	v_cndmask_b32_e32 v48, v31, v48, vcc
	v_and_b32_e32 v31, 0x7f800000, v48
	v_cmp_ne_u32_e64 s[26:27], s96, v31
                                        ; implicit-def: $vgpr39
	s_and_saveexec_b64 s[34:35], s[26:27]
	s_xor_b64 s[26:27], exec, s[34:35]
; %bb.757:                              ;   in Loop: Header=BB17_700 Depth=3
	v_bfe_u32 v31, v48, 16, 1
	v_add3_u32 v39, v48, v31, s97
                                        ; implicit-def: $vgpr48
; %bb.758:                              ;   in Loop: Header=BB17_700 Depth=3
	s_andn2_saveexec_b64 s[34:35], s[26:27]
; %bb.759:                              ;   in Loop: Header=BB17_700 Depth=3
	v_or_b32_e32 v31, 0x10000, v48
	v_cmp_eq_u32_sdwa s[26:27], v48, v3 src0_sel:WORD_0 src1_sel:DWORD
	s_nop 1
	v_cndmask_b32_e64 v39, v31, v48, s[26:27]
; %bb.760:                              ;   in Loop: Header=BB17_700 Depth=3
	s_or_b64 exec, exec, s[34:35]
	v_lshlrev_b32_e32 v31, 16, v36
	v_lshlrev_b32_e32 v36, 16, v37
	v_max_f32_e32 v36, v36, v36
	v_max_f32_e32 v31, v31, v31
	v_min_f32_e32 v37, v31, v36
	v_max_f32_e32 v31, v31, v36
	v_cndmask_b32_e32 v37, v31, v37, vcc
	v_and_b32_e32 v31, 0x7f800000, v37
	v_cmp_ne_u32_e64 s[26:27], s96, v31
                                        ; implicit-def: $vgpr36
	s_and_saveexec_b64 s[34:35], s[26:27]
	s_xor_b64 s[26:27], exec, s[34:35]
; %bb.761:                              ;   in Loop: Header=BB17_700 Depth=3
	v_bfe_u32 v31, v37, 16, 1
	v_add3_u32 v36, v37, v31, s97
                                        ; implicit-def: $vgpr37
; %bb.762:                              ;   in Loop: Header=BB17_700 Depth=3
	s_andn2_saveexec_b64 s[34:35], s[26:27]
; %bb.763:                              ;   in Loop: Header=BB17_700 Depth=3
	v_or_b32_e32 v31, 0x10000, v37
	v_cmp_eq_u32_sdwa s[26:27], v37, v3 src0_sel:WORD_0 src1_sel:DWORD
	s_nop 1
	v_cndmask_b32_e64 v36, v31, v37, s[26:27]
; %bb.764:                              ;   in Loop: Header=BB17_700 Depth=3
	s_or_b64 exec, exec, s[34:35]
	v_lshlrev_b32_e32 v31, 16, v33
	v_lshlrev_b32_e32 v33, 16, v34
	v_max_f32_e32 v33, v33, v33
	v_max_f32_e32 v31, v31, v31
	v_min_f32_e32 v34, v31, v33
	v_max_f32_e32 v31, v31, v33
	v_cndmask_b32_e32 v34, v31, v34, vcc
	v_and_b32_e32 v31, 0x7f800000, v34
	v_cmp_ne_u32_e64 s[26:27], s96, v31
                                        ; implicit-def: $vgpr33
	s_and_saveexec_b64 s[34:35], s[26:27]
	s_xor_b64 s[26:27], exec, s[34:35]
; %bb.765:                              ;   in Loop: Header=BB17_700 Depth=3
	v_bfe_u32 v31, v34, 16, 1
	v_add3_u32 v33, v34, v31, s97
                                        ; implicit-def: $vgpr34
; %bb.766:                              ;   in Loop: Header=BB17_700 Depth=3
	s_andn2_saveexec_b64 s[34:35], s[26:27]
	s_cbranch_execz .LBB17_699
; %bb.767:                              ;   in Loop: Header=BB17_700 Depth=3
	v_or_b32_e32 v31, 0x10000, v34
	v_cmp_eq_u32_sdwa s[26:27], v34, v3 src0_sel:WORD_0 src1_sel:DWORD
	s_nop 1
	v_cndmask_b32_e64 v33, v31, v34, s[26:27]
	s_branch .LBB17_699
.LBB17_768:                             ;   in Loop: Header=BB17_296 Depth=2
	s_or_b64 exec, exec, s[94:95]
	v_lshlrev_b32_e32 v48, 16, v77
	v_lshlrev_b32_e32 v50, 16, v18
	;; [unrolled: 1-line block ×16, first 2 shown]
	s_and_b64 s[26:27], s[40:41], exec
.LBB17_769:                             ;   in Loop: Header=BB17_296 Depth=2
	s_or_b64 exec, exec, s[28:29]
	s_and_saveexec_b64 s[28:29], s[26:27]
	s_cbranch_execz .LBB17_803
; %bb.770:                              ;   in Loop: Header=BB17_296 Depth=2
	s_and_b32 s26, s44, 0xff
	s_cmp_eq_u32 s26, 0
	v_max_f32_e32 v12, v50, v50
	v_max_f32_e32 v13, v48, v48
	v_min_f32_e32 v23, v13, v12
	v_max_f32_e32 v12, v13, v12
	s_cselect_b64 vcc, -1, 0
	v_cndmask_b32_e32 v13, v12, v23, vcc
	v_and_b32_e32 v12, 0x7f800000, v13
	v_cmp_ne_u32_e64 s[26:27], s96, v12
                                        ; implicit-def: $vgpr12
	s_and_saveexec_b64 s[40:41], s[26:27]
	s_xor_b64 s[26:27], exec, s[40:41]
; %bb.771:                              ;   in Loop: Header=BB17_296 Depth=2
	v_bfe_u32 v12, v13, 16, 1
	v_add3_u32 v12, v13, v12, s97
                                        ; implicit-def: $vgpr13
; %bb.772:                              ;   in Loop: Header=BB17_296 Depth=2
	s_andn2_saveexec_b64 s[40:41], s[26:27]
; %bb.773:                              ;   in Loop: Header=BB17_296 Depth=2
	v_or_b32_e32 v12, 0x10000, v13
	v_cmp_eq_u32_sdwa s[26:27], v13, v3 src0_sel:WORD_0 src1_sel:DWORD
	s_nop 1
	v_cndmask_b32_e64 v12, v12, v13, s[26:27]
; %bb.774:                              ;   in Loop: Header=BB17_296 Depth=2
	s_or_b64 exec, exec, s[40:41]
	v_max_f32_e32 v13, v39, v39
	v_max_f32_e32 v23, v37, v37
	v_min_f32_e32 v24, v23, v13
	v_max_f32_e32 v13, v23, v13
	v_cndmask_b32_e32 v23, v13, v24, vcc
	v_and_b32_e32 v13, 0x7f800000, v23
	v_cmp_ne_u32_e64 s[26:27], s96, v13
                                        ; implicit-def: $vgpr13
	s_and_saveexec_b64 s[40:41], s[26:27]
	s_xor_b64 s[26:27], exec, s[40:41]
; %bb.775:                              ;   in Loop: Header=BB17_296 Depth=2
	v_bfe_u32 v13, v23, 16, 1
	v_add3_u32 v13, v23, v13, s97
                                        ; implicit-def: $vgpr23
; %bb.776:                              ;   in Loop: Header=BB17_296 Depth=2
	s_andn2_saveexec_b64 s[40:41], s[26:27]
; %bb.777:                              ;   in Loop: Header=BB17_296 Depth=2
	v_or_b32_e32 v13, 0x10000, v23
	v_cmp_eq_u32_sdwa s[26:27], v23, v3 src0_sel:WORD_0 src1_sel:DWORD
	s_nop 1
	v_cndmask_b32_e64 v13, v13, v23, s[26:27]
; %bb.778:                              ;   in Loop: Header=BB17_296 Depth=2
	s_or_b64 exec, exec, s[40:41]
	v_max_f32_e32 v23, v36, v36
	v_max_f32_e32 v24, v34, v34
	v_min_f32_e32 v25, v24, v23
	v_max_f32_e32 v23, v24, v23
	v_cndmask_b32_e32 v24, v23, v25, vcc
	v_and_b32_e32 v23, 0x7f800000, v24
	v_cmp_ne_u32_e64 s[26:27], s96, v23
                                        ; implicit-def: $vgpr23
	s_and_saveexec_b64 s[40:41], s[26:27]
	s_xor_b64 s[26:27], exec, s[40:41]
; %bb.779:                              ;   in Loop: Header=BB17_296 Depth=2
	v_bfe_u32 v23, v24, 16, 1
	v_add3_u32 v23, v24, v23, s97
                                        ; implicit-def: $vgpr24
; %bb.780:                              ;   in Loop: Header=BB17_296 Depth=2
	s_andn2_saveexec_b64 s[40:41], s[26:27]
; %bb.781:                              ;   in Loop: Header=BB17_296 Depth=2
	v_or_b32_e32 v23, 0x10000, v24
	v_cmp_eq_u32_sdwa s[26:27], v24, v3 src0_sel:WORD_0 src1_sel:DWORD
	s_nop 1
	v_cndmask_b32_e64 v23, v23, v24, s[26:27]
; %bb.782:                              ;   in Loop: Header=BB17_296 Depth=2
	s_or_b64 exec, exec, s[40:41]
	v_max_f32_e32 v24, v33, v33
	v_max_f32_e32 v25, v29, v29
	v_min_f32_e32 v26, v25, v24
	v_max_f32_e32 v24, v25, v24
	v_cndmask_b32_e32 v25, v24, v26, vcc
	v_and_b32_e32 v24, 0x7f800000, v25
	v_cmp_ne_u32_e64 s[26:27], s96, v24
                                        ; implicit-def: $vgpr24
	s_and_saveexec_b64 s[40:41], s[26:27]
	s_xor_b64 s[26:27], exec, s[40:41]
; %bb.783:                              ;   in Loop: Header=BB17_296 Depth=2
	v_bfe_u32 v24, v25, 16, 1
	v_add3_u32 v24, v25, v24, s97
                                        ; implicit-def: $vgpr25
; %bb.784:                              ;   in Loop: Header=BB17_296 Depth=2
	s_andn2_saveexec_b64 s[40:41], s[26:27]
; %bb.785:                              ;   in Loop: Header=BB17_296 Depth=2
	v_or_b32_e32 v24, 0x10000, v25
	v_cmp_eq_u32_sdwa s[26:27], v25, v3 src0_sel:WORD_0 src1_sel:DWORD
	s_nop 1
	v_cndmask_b32_e64 v24, v24, v25, s[26:27]
; %bb.786:                              ;   in Loop: Header=BB17_296 Depth=2
	s_or_b64 exec, exec, s[40:41]
	v_max_f32_e32 v22, v22, v22
	v_max_f32_e32 v25, v28, v28
	v_min_f32_e32 v26, v25, v22
	v_max_f32_e32 v22, v25, v22
	v_cndmask_b32_e32 v25, v22, v26, vcc
	v_and_b32_e32 v22, 0x7f800000, v25
	v_cmp_ne_u32_e64 s[26:27], s96, v22
                                        ; implicit-def: $vgpr22
	s_and_saveexec_b64 s[40:41], s[26:27]
	s_xor_b64 s[26:27], exec, s[40:41]
; %bb.787:                              ;   in Loop: Header=BB17_296 Depth=2
	v_bfe_u32 v22, v25, 16, 1
	v_add3_u32 v22, v25, v22, s97
                                        ; implicit-def: $vgpr25
; %bb.788:                              ;   in Loop: Header=BB17_296 Depth=2
	s_andn2_saveexec_b64 s[40:41], s[26:27]
; %bb.789:                              ;   in Loop: Header=BB17_296 Depth=2
	v_or_b32_e32 v22, 0x10000, v25
	v_cmp_eq_u32_sdwa s[26:27], v25, v3 src0_sel:WORD_0 src1_sel:DWORD
	s_nop 1
	v_cndmask_b32_e64 v22, v22, v25, s[26:27]
; %bb.790:                              ;   in Loop: Header=BB17_296 Depth=2
	s_or_b64 exec, exec, s[40:41]
	v_max_f32_e32 v21, v21, v21
	v_max_f32_e32 v20, v20, v20
	v_min_f32_e32 v25, v20, v21
	v_max_f32_e32 v20, v20, v21
	v_cndmask_b32_e32 v21, v20, v25, vcc
	v_and_b32_e32 v20, 0x7f800000, v21
	v_cmp_ne_u32_e64 s[26:27], s96, v20
                                        ; implicit-def: $vgpr20
	s_and_saveexec_b64 s[40:41], s[26:27]
	s_xor_b64 s[26:27], exec, s[40:41]
; %bb.791:                              ;   in Loop: Header=BB17_296 Depth=2
	v_bfe_u32 v20, v21, 16, 1
	v_add3_u32 v20, v21, v20, s97
                                        ; implicit-def: $vgpr21
; %bb.792:                              ;   in Loop: Header=BB17_296 Depth=2
	s_andn2_saveexec_b64 s[40:41], s[26:27]
; %bb.793:                              ;   in Loop: Header=BB17_296 Depth=2
	v_or_b32_e32 v20, 0x10000, v21
	v_cmp_eq_u32_sdwa s[26:27], v21, v3 src0_sel:WORD_0 src1_sel:DWORD
	s_nop 1
	v_cndmask_b32_e64 v20, v20, v21, s[26:27]
; %bb.794:                              ;   in Loop: Header=BB17_296 Depth=2
	s_or_b64 exec, exec, s[40:41]
	v_max_f32_e32 v19, v19, v19
	v_max_f32_e32 v18, v18, v18
	v_min_f32_e32 v21, v18, v19
	v_max_f32_e32 v18, v18, v19
	v_cndmask_b32_e32 v19, v18, v21, vcc
	v_and_b32_e32 v18, 0x7f800000, v19
	v_cmp_ne_u32_e64 s[26:27], s96, v18
                                        ; implicit-def: $vgpr18
	s_and_saveexec_b64 s[40:41], s[26:27]
	s_xor_b64 s[26:27], exec, s[40:41]
; %bb.795:                              ;   in Loop: Header=BB17_296 Depth=2
	v_bfe_u32 v18, v19, 16, 1
	v_add3_u32 v18, v19, v18, s97
                                        ; implicit-def: $vgpr19
; %bb.796:                              ;   in Loop: Header=BB17_296 Depth=2
	s_andn2_saveexec_b64 s[40:41], s[26:27]
; %bb.797:                              ;   in Loop: Header=BB17_296 Depth=2
	v_or_b32_e32 v18, 0x10000, v19
	v_cmp_eq_u32_sdwa s[26:27], v19, v3 src0_sel:WORD_0 src1_sel:DWORD
	s_nop 1
	v_cndmask_b32_e64 v18, v18, v19, s[26:27]
; %bb.798:                              ;   in Loop: Header=BB17_296 Depth=2
	s_or_b64 exec, exec, s[40:41]
	v_max_f32_e32 v11, v11, v11
	v_max_f32_e32 v10, v10, v10
	v_min_f32_e32 v19, v10, v11
	v_max_f32_e32 v10, v10, v11
	v_cndmask_b32_e32 v11, v10, v19, vcc
	v_and_b32_e32 v10, 0x7f800000, v11
	v_cmp_ne_u32_e32 vcc, s96, v10
                                        ; implicit-def: $vgpr10
	s_and_saveexec_b64 s[26:27], vcc
	s_xor_b64 s[26:27], exec, s[26:27]
; %bb.799:                              ;   in Loop: Header=BB17_296 Depth=2
	v_bfe_u32 v10, v11, 16, 1
	v_add3_u32 v10, v11, v10, s97
                                        ; implicit-def: $vgpr11
; %bb.800:                              ;   in Loop: Header=BB17_296 Depth=2
	s_andn2_saveexec_b64 s[26:27], s[26:27]
; %bb.801:                              ;   in Loop: Header=BB17_296 Depth=2
	v_or_b32_e32 v10, 0x10000, v11
	v_cmp_eq_u32_sdwa vcc, v11, v3 src0_sel:WORD_0 src1_sel:DWORD
	s_nop 1
	v_cndmask_b32_e32 v10, v10, v11, vcc
; %bb.802:                              ;   in Loop: Header=BB17_296 Depth=2
	s_or_b64 exec, exec, s[26:27]
	flat_store_short_d16_hi v[8:9], v12 nt
	flat_store_short_d16_hi v[8:9], v13 offset:128 nt
	flat_store_short_d16_hi v[8:9], v23 offset:256 nt
	;; [unrolled: 1-line block ×7, first 2 shown]
.LBB17_803:                             ;   in Loop: Header=BB17_296 Depth=2
	s_or_b64 exec, exec, s[28:29]
	v_lshlrev_b32_e32 v8, 10, v16
	v_cmp_ne_u32_e32 vcc, v63, v8
	s_and_b64 exec, exec, vcc
	s_cbranch_execz .LBB17_828
; %bb.804:                              ;   in Loop: Header=BB17_296 Depth=2
	v_lshlrev_b32_e32 v9, 6, v17
	v_sub_u32_e32 v9, v15, v9
	v_ashrrev_i32_e32 v10, 31, v9
	v_lshrrev_b32_e32 v10, 26, v10
	v_add_u32_e32 v10, v9, v10
	v_and_b32_e32 v11, 0x7fffffc0, v10
	v_sub_u32_e32 v9, v9, v11
	v_lshlrev_b32_e32 v10, 1, v10
	v_and_b32_e32 v10, 0xffffff80, v10
	v_lshlrev_b32_e32 v9, 1, v9
	v_add3_u32 v8, v10, v9, v8
	v_sub_u32_e32 v15, v63, v8
	v_cmp_lt_i32_e32 vcc, 1, v15
	s_and_b64 exec, exec, vcc
	s_cbranch_execz .LBB17_828
; %bb.805:                              ;   in Loop: Header=BB17_296 Depth=2
	s_trap 2
	ds_read_b64 v[10:11], v0
	v_add_u32_e32 v16, v8, v14
	s_and_b32 s26, s44, 0xff
	v_ashrrev_i32_e32 v17, 31, v16
	s_cmp_eq_u32 s26, 0
	v_lshl_add_u64 v[8:9], v[74:75], 0, v[16:17]
	v_lshl_add_u64 v[12:13], v[16:17], 0, v[72:73]
	s_waitcnt lgkmcnt(0)
	v_lshl_add_u64 v[10:11], v[10:11], 0, v[16:17]
	s_mov_b64 s[34:35], 0
	s_mov_b64 s[94:95], 0
	s_cselect_b64 s[26:27], -1, 0
                                        ; implicit-def: $sgpr30_sgpr31
	s_branch .LBB17_807
.LBB17_806:                             ;   in Loop: Header=BB17_807 Depth=3
	s_or_b64 exec, exec, s[28:29]
	v_lshrrev_b32_e32 v15, 16, v16
	scratch_store_short off, v15, s33 offset:192
	flat_store_short v[8:9], v15 nt
	v_cndmask_b32_e64 v15, 0, v106, s[34:35]
	v_sub_u32_e32 v15, v14, v15
	v_cmp_gt_i32_e32 vcc, 2, v15
	s_or_b64 s[94:95], vcc, s[94:95]
	v_lshl_add_u64 v[16:17], v[12:13], 0, v[116:117]
	v_lshl_add_u64 v[18:19], v[10:11], 0, v[116:117]
	v_cndmask_b32_e64 v21, 0, v45, s[34:35]
	v_cndmask_b32_e64 v20, v120, v44, s[34:35]
	s_andn2_b64 s[28:29], s[30:31], exec
	s_and_b64 s[40:41], s[34:35], exec
	v_lshl_add_u64 v[8:9], v[8:9], 0, v[20:21]
	v_cndmask_b32_e64 v11, v11, v19, s[34:35]
	v_cndmask_b32_e64 v10, v10, v18, s[34:35]
	;; [unrolled: 1-line block ×4, first 2 shown]
	s_or_b64 s[30:31], s[28:29], s[40:41]
	s_andn2_b64 exec, exec, s[94:95]
	s_cbranch_execz .LBB17_822
.LBB17_807:                             ;   Parent Loop BB17_47 Depth=1
                                        ;     Parent Loop BB17_296 Depth=2
                                        ; =>    This Loop Header: Depth=3
                                        ;         Child Loop BB17_808 Depth 4
                                        ;         Child Loop BB17_817 Depth 4
	s_add_i32 s28, s33, 0xc0
	s_mov_b32 s44, s28
	s_mov_b64 s[36:37], -1
	s_mov_b64 s[38:39], 0
.LBB17_808:                             ;   Parent Loop BB17_47 Depth=1
                                        ;     Parent Loop BB17_296 Depth=2
                                        ;       Parent Loop BB17_807 Depth=3
                                        ; =>      This Inner Loop Header: Depth=4
	s_cmp_eq_u32 s38, 1
	s_cselect_b64 vcc, -1, 0
	v_cndmask_b32_e32 v17, v13, v11, vcc
	v_cndmask_b32_e32 v16, v12, v10, vcc
	flat_load_ushort v14, v[16:17] nt
	s_cmp_eq_u32 s38, 0
	v_lshl_add_u64 v[16:17], v[16:17], 0, s[62:63]
	s_cselect_b64 s[28:29], -1, 0
	s_and_b64 s[40:41], exec, s[36:37]
	v_cndmask_b32_e64 v13, v13, v17, s[28:29]
	v_cndmask_b32_e64 v12, v12, v16, s[28:29]
	s_add_i32 s28, s33, 0xe0
	s_mov_b64 s[38:39], 1
	s_mov_b64 s[36:37], 0
	v_cndmask_b32_e32 v11, v11, v17, vcc
	v_cndmask_b32_e32 v10, v10, v16, vcc
	s_mov_b64 vcc, s[40:41]
	s_waitcnt vmcnt(0) lgkmcnt(0)
	scratch_store_short off, v14, s44
	s_mov_b32 s44, s28
	s_cbranch_vccnz .LBB17_808
; %bb.809:                              ;   in Loop: Header=BB17_807 Depth=3
	s_and_saveexec_b64 s[28:29], s[34:35]
	s_cbranch_execz .LBB17_815
; %bb.810:                              ;   in Loop: Header=BB17_807 Depth=3
	scratch_load_ushort v14, off, s33 offset:184
	scratch_load_ushort v16, off, s33 offset:186
	s_waitcnt vmcnt(1)
	v_lshlrev_b32_e32 v14, 16, v14
	s_waitcnt vmcnt(0)
	v_lshlrev_b32_e32 v16, 16, v16
	v_max_f32_e32 v16, v16, v16
	v_max_f32_e32 v14, v14, v14
	v_min_f32_e32 v17, v14, v16
	v_max_f32_e32 v14, v14, v16
	v_cndmask_b32_e64 v14, v14, v17, s[26:27]
	v_and_b32_e32 v16, 0x7f800000, v14
	v_cmp_ne_u32_e32 vcc, s96, v16
                                        ; implicit-def: $vgpr16
	s_and_saveexec_b64 s[40:41], vcc
	s_xor_b64 s[40:41], exec, s[40:41]
; %bb.811:                              ;   in Loop: Header=BB17_807 Depth=3
	v_bfe_u32 v16, v14, 16, 1
	v_add3_u32 v16, v14, v16, s97
                                        ; implicit-def: $vgpr14
; %bb.812:                              ;   in Loop: Header=BB17_807 Depth=3
	s_andn2_saveexec_b64 s[40:41], s[40:41]
; %bb.813:                              ;   in Loop: Header=BB17_807 Depth=3
	v_or_b32_e32 v16, 0x10000, v14
	v_cmp_eq_u32_sdwa vcc, v14, v3 src0_sel:WORD_0 src1_sel:DWORD
	s_nop 1
	v_cndmask_b32_e32 v16, v16, v14, vcc
; %bb.814:                              ;   in Loop: Header=BB17_807 Depth=3
	s_or_b64 exec, exec, s[40:41]
	v_lshrrev_b32_e32 v14, 16, v16
	scratch_store_short off, v14, s33 offset:184
	flat_store_short v[8:9], v14 nt
	v_lshl_add_u64 v[8:9], v[8:9], 0, v[44:45]
.LBB17_815:                             ;   in Loop: Header=BB17_807 Depth=3
	s_or_b64 exec, exec, s[28:29]
	v_sub_u32_e32 v14, v15, v106
	v_lshl_add_u64 v[12:13], v[12:13], 0, v[116:117]
	v_lshl_add_u64 v[10:11], v[10:11], 0, v[116:117]
	v_cmp_lt_i32_e64 s[34:35], 1, v14
	s_and_saveexec_b64 s[36:37], s[34:35]
	s_cbranch_execz .LBB17_818
; %bb.816:                              ;   in Loop: Header=BB17_807 Depth=3
	s_add_i32 s28, s33, 0xb8
	s_mov_b32 s44, s28
	s_mov_b64 s[48:49], 0
	s_mov_b64 s[38:39], -1
.LBB17_817:                             ;   Parent Loop BB17_47 Depth=1
                                        ;     Parent Loop BB17_296 Depth=2
                                        ;       Parent Loop BB17_807 Depth=3
                                        ; =>      This Inner Loop Header: Depth=4
	s_cmp_eq_u32 s48, 1
	s_cselect_b64 vcc, -1, 0
	v_cndmask_b32_e32 v17, v13, v11, vcc
	v_cndmask_b32_e32 v16, v12, v10, vcc
	flat_load_ushort v15, v[16:17] nt
	s_cmp_eq_u32 s48, 0
	v_lshl_add_u64 v[16:17], v[16:17], 0, s[62:63]
	s_cselect_b64 s[28:29], -1, 0
	s_and_b64 s[40:41], exec, s[38:39]
	v_cndmask_b32_e64 v13, v13, v17, s[28:29]
	v_cndmask_b32_e64 v12, v12, v16, s[28:29]
	s_add_i32 s28, s33, 0xba
	s_mov_b64 s[48:49], 1
	s_mov_b64 s[38:39], 0
	v_cndmask_b32_e32 v11, v11, v17, vcc
	v_cndmask_b32_e32 v10, v10, v16, vcc
	s_mov_b64 vcc, s[40:41]
	s_waitcnt vmcnt(0) lgkmcnt(0)
	scratch_store_short off, v15, s44
	s_mov_b32 s44, s28
	s_cbranch_vccnz .LBB17_817
.LBB17_818:                             ;   in Loop: Header=BB17_807 Depth=3
	s_or_b64 exec, exec, s[36:37]
	scratch_load_ushort v15, off, s33 offset:192
	scratch_load_ushort v16, off, s33 offset:224
	s_waitcnt vmcnt(0)
	v_lshlrev_b32_e32 v15, 16, v15
	v_lshlrev_b32_e32 v16, 16, v16
	v_max_f32_e32 v16, v16, v16
	v_max_f32_e32 v15, v15, v15
	v_min_f32_e32 v17, v15, v16
	v_max_f32_e32 v15, v15, v16
	v_cndmask_b32_e64 v15, v15, v17, s[26:27]
	v_and_b32_e32 v16, 0x7f800000, v15
	v_cmp_ne_u32_e32 vcc, s96, v16
                                        ; implicit-def: $vgpr16
	s_and_saveexec_b64 s[28:29], vcc
	s_xor_b64 s[28:29], exec, s[28:29]
; %bb.819:                              ;   in Loop: Header=BB17_807 Depth=3
	v_bfe_u32 v16, v15, 16, 1
	v_add3_u32 v16, v15, v16, s97
                                        ; implicit-def: $vgpr15
; %bb.820:                              ;   in Loop: Header=BB17_807 Depth=3
	s_andn2_saveexec_b64 s[28:29], s[28:29]
	s_cbranch_execz .LBB17_806
; %bb.821:                              ;   in Loop: Header=BB17_807 Depth=3
	v_or_b32_e32 v16, 0x10000, v15
	v_cmp_eq_u32_sdwa vcc, v15, v3 src0_sel:WORD_0 src1_sel:DWORD
	s_nop 1
	v_cndmask_b32_e32 v16, v16, v15, vcc
	s_branch .LBB17_806
.LBB17_822:                             ;   in Loop: Header=BB17_296 Depth=2
	s_or_b64 exec, exec, s[94:95]
	s_and_b64 exec, exec, s[30:31]
	s_cbranch_execz .LBB17_828
; %bb.823:                              ;   in Loop: Header=BB17_296 Depth=2
	scratch_load_ushort v10, off, s33 offset:184
	scratch_load_ushort v11, off, s33 offset:186
	s_waitcnt vmcnt(0)
	v_lshlrev_b32_e32 v10, 16, v10
	v_lshlrev_b32_e32 v11, 16, v11
	v_max_f32_e32 v11, v11, v11
	v_max_f32_e32 v10, v10, v10
	v_min_f32_e32 v12, v10, v11
	v_max_f32_e32 v10, v10, v11
	v_cndmask_b32_e64 v10, v10, v12, s[26:27]
	v_and_b32_e32 v11, 0x7f800000, v10
	v_cmp_ne_u32_e32 vcc, s96, v11
                                        ; implicit-def: $vgpr11
	s_and_saveexec_b64 s[26:27], vcc
	s_xor_b64 s[26:27], exec, s[26:27]
; %bb.824:                              ;   in Loop: Header=BB17_296 Depth=2
	v_bfe_u32 v11, v10, 16, 1
	v_add3_u32 v11, v10, v11, s97
                                        ; implicit-def: $vgpr10
; %bb.825:                              ;   in Loop: Header=BB17_296 Depth=2
	s_andn2_saveexec_b64 s[26:27], s[26:27]
; %bb.826:                              ;   in Loop: Header=BB17_296 Depth=2
	v_or_b32_e32 v11, 0x10000, v10
	v_cmp_eq_u32_sdwa vcc, v10, v3 src0_sel:WORD_0 src1_sel:DWORD
	s_nop 1
	v_cndmask_b32_e32 v11, v11, v10, vcc
; %bb.827:                              ;   in Loop: Header=BB17_296 Depth=2
	s_or_b64 exec, exec, s[26:27]
	flat_store_short_d16_hi v[8:9], v11 nt
.LBB17_828:                             ;   in Loop: Header=BB17_296 Depth=2
	s_or_b64 exec, exec, s[42:43]
	v_cmp_lt_i32_e64 s[26:27], 0, v2
	s_and_saveexec_b64 s[28:29], s[6:7]
	s_cbranch_execz .LBB17_372
.LBB17_829:                             ;   in Loop: Header=BB17_296 Depth=2
	s_and_saveexec_b64 s[40:41], s[56:57]
	s_xor_b64 s[40:41], exec, s[40:41]
	s_cbranch_execz .LBB17_844
; %bb.830:                              ;   in Loop: Header=BB17_296 Depth=2
	s_and_saveexec_b64 s[42:43], s[14:15]
	s_cbranch_execz .LBB17_843
; %bb.831:                              ;   in Loop: Header=BB17_296 Depth=2
	s_mov_b64 s[30:31], exec
	v_mbcnt_lo_u32_b32 v2, s30, 0
	v_mbcnt_hi_u32_b32 v2, s31, v2
	v_cmp_eq_u32_e32 vcc, 0, v2
	s_waitcnt lgkmcnt(0)
	s_and_saveexec_b64 s[94:95], vcc
	s_cbranch_execz .LBB17_833
; %bb.832:                              ;   in Loop: Header=BB17_296 Depth=2
	s_bcnt1_i32_b64 s44, s[30:31]
	v_mov_b32_e32 v2, s44
	ds_add_u64 v0, v[2:3]
	s_trap 2
.LBB17_833:                             ;   in Loop: Header=BB17_296 Depth=2
	s_or_b64 exec, exec, s[94:95]
	s_trap 2
	ds_read_b64 v[8:9], v0
	s_waitcnt lgkmcnt(0)
	v_lshl_add_u64 v[70:71], v[70:71], 0, v[84:85]
	v_cmp_lt_u64_e32 vcc, v[8:9], v[70:71]
	s_and_saveexec_b64 s[94:95], vcc
	s_cbranch_execz .LBB17_842
; %bb.834:                              ;   in Loop: Header=BB17_296 Depth=2
	s_mov_b32 s44, 0
	s_mov_b64 s[30:31], 0
                                        ; implicit-def: $sgpr34_sgpr35
                                        ; implicit-def: $sgpr36_sgpr37
	s_branch .LBB17_836
.LBB17_835:                             ;   in Loop: Header=BB17_836 Depth=3
	s_or_b64 exec, exec, s[48:49]
	s_and_b64 vcc, exec, vcc
	s_or_b64 s[30:31], vcc, s[30:31]
	s_andn2_b64 vcc, s[34:35], exec
	s_and_b64 s[34:35], s[36:37], exec
	s_or_b64 s[34:35], vcc, s[34:35]
	s_andn2_b64 exec, exec, s[30:31]
	s_cbranch_execz .LBB17_840
.LBB17_836:                             ;   Parent Loop BB17_47 Depth=1
                                        ;     Parent Loop BB17_296 Depth=2
                                        ; =>    This Inner Loop Header: Depth=3
	s_add_i32 s44, s44, 1
	s_cmpk_lg_i32 s44, 0x2710
	s_cselect_b64 s[38:39], -1, 0
	s_and_b64 vcc, exec, s[38:39]
	s_cbranch_vccz .LBB17_838
; %bb.837:                              ;   in Loop: Header=BB17_836 Depth=3
	s_mov_b64 vcc, -1
	s_or_b64 s[36:37], s[36:37], exec
	s_and_saveexec_b64 s[48:49], s[38:39]
	s_cbranch_execz .LBB17_835
	s_branch .LBB17_839
.LBB17_838:                             ;   in Loop: Header=BB17_836 Depth=3
	s_trap 2
	ds_read_b64 v[8:9], v0
	s_andn2_b64 s[38:39], s[38:39], exec
	s_mov_b32 s44, 0
	s_waitcnt vmcnt(0) lgkmcnt(0)
	flat_load_dword v2, v[8:9] sc0 sc1
	s_waitcnt vmcnt(0) lgkmcnt(0)
	buffer_inv sc0 sc1
	v_cmp_eq_u32_e32 vcc, 0, v2
	s_and_b64 vcc, vcc, exec
	s_or_b64 s[38:39], s[38:39], vcc
	s_mov_b64 vcc, -1
	s_or_b64 s[36:37], s[36:37], exec
	s_and_saveexec_b64 s[48:49], s[38:39]
	s_cbranch_execz .LBB17_835
.LBB17_839:                             ;   in Loop: Header=BB17_836 Depth=3
	s_sleep 1
	s_trap 2
	ds_read_b64 v[8:9], v0
	s_waitcnt lgkmcnt(0)
	s_andn2_b64 s[36:37], s[36:37], exec
	v_cmp_ge_u64_e32 vcc, v[8:9], v[70:71]
	s_orn2_b64 vcc, vcc, exec
	s_branch .LBB17_835
.LBB17_840:                             ;   in Loop: Header=BB17_296 Depth=2
	s_or_b64 exec, exec, s[30:31]
	s_and_saveexec_b64 s[44:45], s[34:35]
	s_xor_b64 s[44:45], exec, s[44:45]
	s_cbranch_execz .LBB17_842
; %bb.841:                              ;   in Loop: Header=BB17_296 Depth=2
	ds_write_b32 v0, v107
	s_trap 2
.LBB17_842:                             ;   in Loop: Header=BB17_296 Depth=2
	s_or_b64 exec, exec, s[94:95]
	;;#ASMSTART
	s_wakeup
	;;#ASMEND
.LBB17_843:                             ;   in Loop: Header=BB17_296 Depth=2
	s_or_b64 exec, exec, s[42:43]
.LBB17_844:                             ;   in Loop: Header=BB17_296 Depth=2
	s_andn2_saveexec_b64 s[40:41], s[40:41]
	s_cbranch_execz .LBB17_846
; %bb.845:                              ;   in Loop: Header=BB17_296 Depth=2
	s_waitcnt lgkmcnt(0)
	s_barrier
.LBB17_846:                             ;   in Loop: Header=BB17_296 Depth=2
	s_or_b64 exec, exec, s[40:41]
	s_or_b64 exec, exec, s[28:29]
                                        ; implicit-def: $vgpr2
	s_and_saveexec_b64 s[28:29], s[22:23]
	s_xor_b64 s[28:29], exec, s[28:29]
	s_cbranch_execnz .LBB17_373
.LBB17_847:                             ;   in Loop: Header=BB17_296 Depth=2
	s_andn2_saveexec_b64 s[26:27], s[28:29]
	s_cbranch_execz .LBB17_866
.LBB17_848:                             ;   in Loop: Header=BB17_296 Depth=2
	s_and_saveexec_b64 s[28:29], s[56:57]
	s_xor_b64 s[28:29], exec, s[28:29]
	s_cbranch_execz .LBB17_863
; %bb.849:                              ;   in Loop: Header=BB17_296 Depth=2
	s_and_saveexec_b64 s[40:41], s[14:15]
	s_cbranch_execz .LBB17_862
; %bb.850:                              ;   in Loop: Header=BB17_296 Depth=2
	s_mov_b64 s[94:95], exec
	v_mbcnt_lo_u32_b32 v2, s94, 0
	v_mbcnt_hi_u32_b32 v2, s95, v2
	v_cmp_eq_u32_e32 vcc, 0, v2
	;;#ASMSTART
	s_waitcnt lgkmcnt(0) vmcnt(0)
	;;#ASMEND
	s_and_saveexec_b64 s[42:43], vcc
	s_cbranch_execz .LBB17_852
; %bb.851:                              ;   in Loop: Header=BB17_296 Depth=2
	s_bcnt1_i32_b64 s44, s[94:95]
	v_mov_b32_e32 v2, s44
	s_waitcnt lgkmcnt(0)
	ds_add_u64 v0, v[2:3]
	s_trap 2
.LBB17_852:                             ;   in Loop: Header=BB17_296 Depth=2
	s_or_b64 exec, exec, s[42:43]
	s_trap 2
	ds_read_b64 v[8:9], v0
	s_waitcnt lgkmcnt(0)
	v_lshl_add_u64 v[70:71], v[70:71], 0, v[84:85]
	v_cmp_lt_u64_e32 vcc, v[8:9], v[70:71]
	s_and_saveexec_b64 s[42:43], vcc
	s_cbranch_execz .LBB17_861
; %bb.853:                              ;   in Loop: Header=BB17_296 Depth=2
	s_mov_b32 s44, 0
	s_mov_b64 s[94:95], 0
                                        ; implicit-def: $sgpr30_sgpr31
                                        ; implicit-def: $sgpr34_sgpr35
	s_branch .LBB17_855
.LBB17_854:                             ;   in Loop: Header=BB17_855 Depth=3
	s_or_b64 exec, exec, s[38:39]
	s_and_b64 vcc, exec, vcc
	s_or_b64 s[94:95], vcc, s[94:95]
	s_andn2_b64 vcc, s[30:31], exec
	s_and_b64 s[30:31], s[34:35], exec
	s_or_b64 s[30:31], vcc, s[30:31]
	s_andn2_b64 exec, exec, s[94:95]
	s_cbranch_execz .LBB17_859
.LBB17_855:                             ;   Parent Loop BB17_47 Depth=1
                                        ;     Parent Loop BB17_296 Depth=2
                                        ; =>    This Inner Loop Header: Depth=3
	s_add_i32 s44, s44, 1
	s_cmpk_lg_i32 s44, 0x2710
	s_cselect_b64 s[36:37], -1, 0
	s_and_b64 vcc, exec, s[36:37]
	s_cbranch_vccz .LBB17_857
; %bb.856:                              ;   in Loop: Header=BB17_855 Depth=3
	s_mov_b64 vcc, -1
	s_or_b64 s[34:35], s[34:35], exec
	s_and_saveexec_b64 s[38:39], s[36:37]
	s_cbranch_execz .LBB17_854
	s_branch .LBB17_858
.LBB17_857:                             ;   in Loop: Header=BB17_855 Depth=3
	s_trap 2
	ds_read_b64 v[8:9], v0
	s_andn2_b64 s[36:37], s[36:37], exec
	s_mov_b32 s44, 0
	s_waitcnt vmcnt(0) lgkmcnt(0)
	flat_load_dword v2, v[8:9] sc0 sc1
	s_waitcnt vmcnt(0) lgkmcnt(0)
	buffer_inv sc0 sc1
	v_cmp_eq_u32_e32 vcc, 0, v2
	s_and_b64 vcc, vcc, exec
	s_or_b64 s[36:37], s[36:37], vcc
	s_mov_b64 vcc, -1
	s_or_b64 s[34:35], s[34:35], exec
	s_and_saveexec_b64 s[38:39], s[36:37]
	s_cbranch_execz .LBB17_854
.LBB17_858:                             ;   in Loop: Header=BB17_855 Depth=3
	s_sleep 1
	s_trap 2
	ds_read_b64 v[8:9], v0
	s_waitcnt lgkmcnt(0)
	s_andn2_b64 s[34:35], s[34:35], exec
	v_cmp_ge_u64_e32 vcc, v[8:9], v[70:71]
	s_orn2_b64 vcc, vcc, exec
	s_branch .LBB17_854
.LBB17_859:                             ;   in Loop: Header=BB17_296 Depth=2
	s_or_b64 exec, exec, s[94:95]
	s_and_saveexec_b64 s[44:45], s[30:31]
	s_xor_b64 s[44:45], exec, s[44:45]
	s_cbranch_execz .LBB17_861
; %bb.860:                              ;   in Loop: Header=BB17_296 Depth=2
	ds_write_b32 v0, v107
	s_trap 2
.LBB17_861:                             ;   in Loop: Header=BB17_296 Depth=2
	s_or_b64 exec, exec, s[42:43]
	;;#ASMSTART
	s_wakeup
	;;#ASMEND
.LBB17_862:                             ;   in Loop: Header=BB17_296 Depth=2
	s_or_b64 exec, exec, s[40:41]
.LBB17_863:                             ;   in Loop: Header=BB17_296 Depth=2
	s_andn2_saveexec_b64 s[28:29], s[28:29]
	s_cbranch_execz .LBB17_865
; %bb.864:                              ;   in Loop: Header=BB17_296 Depth=2
	;;#ASMSTART
	s_waitcnt lgkmcnt(0) vmcnt(0)
	;;#ASMEND
	s_barrier
.LBB17_865:                             ;   in Loop: Header=BB17_296 Depth=2
	s_or_b64 exec, exec, s[28:29]
	v_and_b32_e32 v2, 16, v94
.LBB17_866:                             ;   in Loop: Header=BB17_296 Depth=2
	s_or_b64 exec, exec, s[26:27]
	v_cmp_ne_u32_e32 vcc, 0, v2
	s_xor_b64 s[26:27], s[10:11], -1
	s_and_b64 s[28:29], vcc, s[26:27]
	s_and_saveexec_b64 s[26:27], s[28:29]
	s_cbranch_execz .LBB17_868
; %bb.867:                              ;   in Loop: Header=BB17_296 Depth=2
	flat_store_dword v[68:69], v107 sc0 sc1
.LBB17_868:                             ;   in Loop: Header=BB17_296 Depth=2
	s_or_b64 exec, exec, s[26:27]
	v_and_b32_e32 v2, 48, v94
	v_cmp_ne_u32_e32 vcc, 0, v2
	s_and_saveexec_b64 s[26:27], vcc
	s_cbranch_execz .LBB17_870
; %bb.869:                              ;   in Loop: Header=BB17_296 Depth=2
	v_lshl_add_u64 v[56:57], v[56:57], 0, 4
	flat_store_dwordx2 v[64:65], v[56:57] sc0 sc1
.LBB17_870:                             ;   in Loop: Header=BB17_296 Depth=2
	s_or_b64 exec, exec, s[26:27]
	v_mov_b32_e32 v2, v62
.LBB17_871:                             ;   in Loop: Header=BB17_296 Depth=2
	s_or_b64 exec, exec, s[92:93]
	s_and_saveexec_b64 s[28:29], s[90:91]
	s_cbranch_execz .LBB17_295
; %bb.872:                              ;   in Loop: Header=BB17_296 Depth=2
	v_sub_u32_e32 v2, v90, v2
	v_min_i32_e32 v8, v62, v2
	v_and_b32_e32 v2, 12, v94
	v_cmp_ne_u32_e32 vcc, 0, v2
	s_and_saveexec_b64 s[40:41], vcc
	s_cbranch_execz .LBB17_882
; %bb.873:                              ;   in Loop: Header=BB17_296 Depth=2
	v_and_b32_e32 v2, 8, v94
	s_waitcnt vmcnt(0) lgkmcnt(0)
	v_lshl_add_u64 v[12:13], v[80:81], 0, v[2:3]
	v_lshl_add_u64 v[10:11], v[56:57], 0, 4
	v_cmp_lt_u64_e32 vcc, v[12:13], v[10:11]
	s_and_saveexec_b64 s[42:43], vcc
	s_cbranch_execz .LBB17_898
; %bb.874:                              ;   in Loop: Header=BB17_296 Depth=2
	v_and_b32_e32 v9, 64, v94
	s_mov_b32 s44, 0
	v_cmp_eq_u32_e32 vcc, 0, v9
	s_mov_b64 s[90:91], 0
                                        ; implicit-def: $sgpr92_sgpr93
                                        ; implicit-def: $sgpr94_sgpr95
                                        ; implicit-def: $sgpr30_sgpr31
	s_branch .LBB17_878
.LBB17_875:                             ;   in Loop: Header=BB17_878 Depth=3
	s_waitcnt vmcnt(0) lgkmcnt(0)
	v_lshl_add_u64 v[12:13], v[80:81], 0, v[2:3]
	v_cmp_ge_u64_e64 s[26:27], v[12:13], v[10:11]
	s_or_b64 s[38:39], s[38:39], exec
	s_orn2_b64 s[36:37], s[26:27], exec
.LBB17_876:                             ;   in Loop: Header=BB17_878 Depth=3
	s_or_b64 exec, exec, s[50:51]
	s_andn2_b64 s[26:27], s[30:31], exec
	s_and_b64 s[30:31], s[38:39], exec
	s_or_b64 s[30:31], s[26:27], s[30:31]
	s_andn2_b64 s[26:27], s[94:95], exec
	s_and_b64 s[94:95], s[36:37], exec
	s_or_b64 s[94:95], s[26:27], s[94:95]
.LBB17_877:                             ;   in Loop: Header=BB17_878 Depth=3
	s_or_b64 exec, exec, s[34:35]
	s_and_b64 s[26:27], exec, s[94:95]
	s_or_b64 s[90:91], s[26:27], s[90:91]
	s_andn2_b64 s[26:27], s[92:93], exec
	s_and_b64 s[92:93], s[30:31], exec
	s_or_b64 s[92:93], s[26:27], s[92:93]
	s_andn2_b64 exec, exec, s[90:91]
	s_cbranch_execz .LBB17_895
.LBB17_878:                             ;   Parent Loop BB17_47 Depth=1
                                        ;     Parent Loop BB17_296 Depth=2
                                        ; =>    This Inner Loop Header: Depth=3
	s_sleep 1
	s_waitcnt vmcnt(0) lgkmcnt(0)
	flat_load_dwordx2 v[80:81], v[64:65] sc0 sc1
	s_or_b64 s[30:31], s[30:31], exec
	s_or_b64 s[94:95], s[94:95], exec
                                        ; implicit-def: $vgpr9
	s_and_saveexec_b64 s[34:35], vcc
	s_cbranch_execz .LBB17_877
; %bb.879:                              ;   in Loop: Header=BB17_878 Depth=3
	s_cmpk_lt_i32 s44, 0x270f
	s_cselect_b64 s[48:49], -1, 0
	s_cmpk_gt_i32 s44, 0x270e
	s_mov_b64 s[36:37], -1
	s_cbranch_scc0 .LBB17_881
; %bb.880:                              ;   in Loop: Header=BB17_878 Depth=3
	s_trap 2
	ds_read_b64 v[12:13], v0
	s_andn2_b64 s[48:49], s[48:49], exec
	s_mov_b32 s44, 0
	s_mov_b64 s[38:39], 0
	s_waitcnt vmcnt(0) lgkmcnt(0)
	flat_load_dword v9, v[12:13] sc0 sc1
	s_waitcnt vmcnt(0) lgkmcnt(0)
	buffer_inv sc0 sc1
	v_cmp_eq_u32_e64 s[26:27], 0, v9
	s_and_b64 s[26:27], s[26:27], exec
	s_or_b64 s[48:49], s[48:49], s[26:27]
	s_and_saveexec_b64 s[50:51], s[48:49]
	s_cbranch_execz .LBB17_876
	s_branch .LBB17_875
.LBB17_881:                             ;   in Loop: Header=BB17_878 Depth=3
	s_add_i32 s44, s44, 1
	s_mov_b64 s[38:39], -1
                                        ; implicit-def: $vgpr9
	s_and_saveexec_b64 s[50:51], s[48:49]
	s_cbranch_execz .LBB17_876
	s_branch .LBB17_875
.LBB17_882:                             ;   in Loop: Header=BB17_296 Depth=2
	s_or_b64 exec, exec, s[40:41]
	s_and_saveexec_b64 s[26:27], s[6:7]
	s_cbranch_execnz .LBB17_911
.LBB17_883:                             ;   in Loop: Header=BB17_296 Depth=2
	s_or_b64 exec, exec, s[26:27]
                                        ; implicit-def: $vgpr2
	s_and_saveexec_b64 s[26:27], s[88:89]
	s_xor_b64 s[26:27], exec, s[26:27]
	s_cbranch_execz .LBB17_936
.LBB17_884:                             ;   in Loop: Header=BB17_296 Depth=2
	s_and_saveexec_b64 s[40:41], s[56:57]
	s_xor_b64 s[40:41], exec, s[40:41]
	s_cbranch_execz .LBB17_926
; %bb.885:                              ;   in Loop: Header=BB17_296 Depth=2
	s_and_saveexec_b64 s[42:43], s[14:15]
	s_cbranch_execz .LBB17_925
; %bb.886:                              ;   in Loop: Header=BB17_296 Depth=2
	s_mov_b64 s[92:93], exec
	v_mbcnt_lo_u32_b32 v2, s92, 0
	v_mbcnt_hi_u32_b32 v2, s93, v2
	v_cmp_eq_u32_e32 vcc, 0, v2
	;;#ASMSTART
	s_waitcnt lgkmcnt(0) vmcnt(0)
	;;#ASMEND
	s_and_saveexec_b64 s[90:91], vcc
	s_cbranch_execz .LBB17_888
; %bb.887:                              ;   in Loop: Header=BB17_296 Depth=2
	s_bcnt1_i32_b64 s44, s[92:93]
	v_mov_b32_e32 v2, s44
	s_waitcnt lgkmcnt(0)
	ds_add_u64 v0, v[2:3]
	s_trap 2
.LBB17_888:                             ;   in Loop: Header=BB17_296 Depth=2
	s_or_b64 exec, exec, s[90:91]
	s_trap 2
	ds_read_b64 v[8:9], v0
	s_waitcnt lgkmcnt(0)
	v_lshl_add_u64 v[70:71], v[70:71], 0, v[84:85]
	v_cmp_lt_u64_e32 vcc, v[8:9], v[70:71]
	s_and_saveexec_b64 s[90:91], vcc
	s_cbranch_execz .LBB17_924
; %bb.889:                              ;   in Loop: Header=BB17_296 Depth=2
	s_mov_b32 s44, 0
	s_mov_b64 s[92:93], 0
                                        ; implicit-def: $sgpr94_sgpr95
                                        ; implicit-def: $sgpr30_sgpr31
	s_branch .LBB17_891
.LBB17_890:                             ;   in Loop: Header=BB17_891 Depth=3
	s_or_b64 exec, exec, s[36:37]
	s_and_b64 vcc, exec, vcc
	s_or_b64 s[92:93], vcc, s[92:93]
	s_andn2_b64 s[94:95], s[94:95], exec
	s_and_b64 vcc, s[30:31], exec
	s_or_b64 s[94:95], s[94:95], vcc
	s_andn2_b64 exec, exec, s[92:93]
	s_cbranch_execz .LBB17_922
.LBB17_891:                             ;   Parent Loop BB17_47 Depth=1
                                        ;     Parent Loop BB17_296 Depth=2
                                        ; =>    This Inner Loop Header: Depth=3
	s_add_i32 s44, s44, 1
	s_cmpk_lg_i32 s44, 0x2710
	s_cselect_b64 s[34:35], -1, 0
	s_and_b64 vcc, exec, s[34:35]
	s_cbranch_vccz .LBB17_893
; %bb.892:                              ;   in Loop: Header=BB17_891 Depth=3
	s_mov_b64 vcc, -1
	s_or_b64 s[30:31], s[30:31], exec
	s_and_saveexec_b64 s[36:37], s[34:35]
	s_cbranch_execz .LBB17_890
	s_branch .LBB17_894
.LBB17_893:                             ;   in Loop: Header=BB17_891 Depth=3
	s_trap 2
	ds_read_b64 v[8:9], v0
	s_andn2_b64 s[34:35], s[34:35], exec
	s_mov_b32 s44, 0
	s_waitcnt vmcnt(0) lgkmcnt(0)
	flat_load_dword v2, v[8:9] sc0 sc1
	s_waitcnt vmcnt(0) lgkmcnt(0)
	buffer_inv sc0 sc1
	v_cmp_eq_u32_e32 vcc, 0, v2
	s_and_b64 vcc, vcc, exec
	s_or_b64 s[34:35], s[34:35], vcc
	s_mov_b64 vcc, -1
	s_or_b64 s[30:31], s[30:31], exec
	s_and_saveexec_b64 s[36:37], s[34:35]
	s_cbranch_execz .LBB17_890
.LBB17_894:                             ;   in Loop: Header=BB17_891 Depth=3
	s_sleep 1
	s_trap 2
	ds_read_b64 v[8:9], v0
	s_waitcnt lgkmcnt(0)
	s_andn2_b64 s[30:31], s[30:31], exec
	v_cmp_ge_u64_e32 vcc, v[8:9], v[70:71]
	s_orn2_b64 vcc, vcc, exec
	s_branch .LBB17_890
.LBB17_895:                             ;   in Loop: Header=BB17_296 Depth=2
	s_or_b64 exec, exec, s[90:91]
	s_xor_b64 s[26:27], s[92:93], -1
	s_and_saveexec_b64 s[44:45], s[26:27]
	s_xor_b64 s[26:27], exec, s[44:45]
	s_cbranch_execz .LBB17_897
; %bb.896:                              ;   in Loop: Header=BB17_296 Depth=2
	v_or_b32_e32 v94, 64, v94
	s_waitcnt lgkmcnt(0)
	ds_write_b32 v0, v9
	s_trap 2
.LBB17_897:                             ;   in Loop: Header=BB17_296 Depth=2
	s_or_b64 exec, exec, s[26:27]
.LBB17_898:                             ;   in Loop: Header=BB17_296 Depth=2
	s_or_b64 exec, exec, s[42:43]
	v_and_b32_e32 v9, 0x108, v94
	v_cmp_ne_u32_e32 vcc, s87, v9
	;;#ASMSTART
	s_wakeup
	;;#ASMEND
                                        ; implicit-def: $vgpr12_vgpr13
	s_and_saveexec_b64 s[26:27], vcc
	s_xor_b64 s[26:27], exec, s[26:27]
; %bb.899:                              ;   in Loop: Header=BB17_296 Depth=2
	v_and_b32_e32 v12, 7, v56
	v_mov_b32_e32 v13, v3
                                        ; implicit-def: $vgpr56_vgpr57
; %bb.900:                              ;   in Loop: Header=BB17_296 Depth=2
	s_andn2_saveexec_b64 s[26:27], s[26:27]
	s_cbranch_execz .LBB17_902
; %bb.901:                              ;   in Loop: Header=BB17_296 Depth=2
	v_and_b32_e32 v12, 7, v56
	v_ashrrev_i32_e32 v9, 31, v8
	v_mov_b32_e32 v13, v3
	v_mad_u64_u32 v[14:15], s[42:43], v12, 24, v[6:7]
	v_lshlrev_b64 v[16:17], 1, v[8:9]
	flat_store_dwordx2 v[14:15], v[16:17] offset:8
.LBB17_902:                             ;   in Loop: Header=BB17_296 Depth=2
	s_or_b64 exec, exec, s[26:27]
	v_and_b32_e32 v9, 0x100, v94
	v_cmp_ne_u32_e32 vcc, 0, v9
	s_mov_b64 s[26:27], -1
                                        ; implicit-def: $vgpr14_vgpr15
	s_and_saveexec_b64 s[42:43], vcc
	s_cbranch_execz .LBB17_906
; %bb.903:                              ;   in Loop: Header=BB17_296 Depth=2
	v_mad_u64_u32 v[16:17], s[26:27], v12, 24, v[6:7]
	v_mov_b32_e32 v14, v17
	v_mad_u64_u32 v[14:15], s[26:27], v13, 24, v[14:15]
	v_mov_b32_e32 v17, v14
	flat_load_dword v9, v[16:17]
                                        ; implicit-def: $vgpr14_vgpr15
	s_waitcnt vmcnt(0) lgkmcnt(0)
	v_cmp_ne_u32_e32 vcc, 1, v9
	v_cmp_eq_u32_e64 s[26:27], 1, v9
	s_and_saveexec_b64 s[90:91], s[26:27]
	s_cbranch_execz .LBB17_905
; %bb.904:                              ;   in Loop: Header=BB17_296 Depth=2
	flat_load_dword v14, v[16:17] offset:4 sc0 sc1
	s_waitcnt vmcnt(0) lgkmcnt(0)
	v_ashrrev_i32_e32 v15, 31, v14
	v_lshrrev_b64 v[14:15], 1, v[14:15]
.LBB17_905:                             ;   in Loop: Header=BB17_296 Depth=2
	s_or_b64 exec, exec, s[90:91]
	s_orn2_b64 s[26:27], vcc, exec
.LBB17_906:                             ;   in Loop: Header=BB17_296 Depth=2
	s_or_b64 exec, exec, s[42:43]
	s_and_saveexec_b64 s[42:43], s[26:27]
; %bb.907:                              ;   in Loop: Header=BB17_296 Depth=2
	v_mul_lo_u32 v9, v13, v30
	v_mul_lo_u32 v13, v12, v83
	v_mad_u64_u32 v[14:15], s[26:27], v12, v30, 0
	v_add3_u32 v15, v15, v13, v9
; %bb.908:                              ;   in Loop: Header=BB17_296 Depth=2
	s_or_b64 exec, exec, s[42:43]
	v_cmp_eq_u32_e32 vcc, 0, v2
	v_lshl_add_u64 v[12:13], v[14:15], 1, v[66:67]
	s_nop 0
	v_cndmask_b32_e32 v2, v108, v109, vcc
	v_add_u32_e32 v2, v0, v2
	ds_write_b64 v2, v[12:13] offset:584
	v_and_b32_e32 v2, 0x2000, v94
	v_cmp_ne_u32_e32 vcc, 0, v2
	s_and_saveexec_b64 s[26:27], vcc
	s_cbranch_execz .LBB17_910
; %bb.909:                              ;   in Loop: Header=BB17_296 Depth=2
	ds_read_b64 v[12:13], v0 offset:872
	s_waitcnt lgkmcnt(0)
	v_lshl_add_u64 v[12:13], v[12:13], 0, 1
	ds_write_b64 v0, v[12:13] offset:872
.LBB17_910:                             ;   in Loop: Header=BB17_296 Depth=2
	s_or_b64 exec, exec, s[26:27]
	v_mov_b64_e32 v[56:57], v[10:11]
	s_or_b64 exec, exec, s[40:41]
	s_and_saveexec_b64 s[26:27], s[6:7]
	s_cbranch_execz .LBB17_883
.LBB17_911:                             ;   in Loop: Header=BB17_296 Depth=2
	s_and_saveexec_b64 s[40:41], s[56:57]
	s_xor_b64 s[40:41], exec, s[40:41]
	s_cbranch_execz .LBB17_933
; %bb.912:                              ;   in Loop: Header=BB17_296 Depth=2
	s_and_saveexec_b64 s[42:43], s[14:15]
	s_cbranch_execz .LBB17_932
; %bb.913:                              ;   in Loop: Header=BB17_296 Depth=2
	s_mov_b64 s[92:93], exec
	v_mbcnt_lo_u32_b32 v2, s92, 0
	v_mbcnt_hi_u32_b32 v2, s93, v2
	v_cmp_eq_u32_e32 vcc, 0, v2
	s_waitcnt lgkmcnt(0)
	s_and_saveexec_b64 s[90:91], vcc
	s_cbranch_execz .LBB17_915
; %bb.914:                              ;   in Loop: Header=BB17_296 Depth=2
	s_bcnt1_i32_b64 s44, s[92:93]
	v_mov_b32_e32 v2, s44
	ds_add_u64 v0, v[2:3]
	s_trap 2
.LBB17_915:                             ;   in Loop: Header=BB17_296 Depth=2
	s_or_b64 exec, exec, s[90:91]
	s_trap 2
	ds_read_b64 v[10:11], v0
	s_waitcnt lgkmcnt(0)
	v_lshl_add_u64 v[70:71], v[70:71], 0, v[84:85]
	v_cmp_lt_u64_e32 vcc, v[10:11], v[70:71]
	s_and_saveexec_b64 s[90:91], vcc
	s_cbranch_execz .LBB17_931
; %bb.916:                              ;   in Loop: Header=BB17_296 Depth=2
	s_mov_b32 s44, 0
	s_mov_b64 s[92:93], 0
                                        ; implicit-def: $sgpr94_sgpr95
                                        ; implicit-def: $sgpr30_sgpr31
	s_branch .LBB17_918
.LBB17_917:                             ;   in Loop: Header=BB17_918 Depth=3
	s_or_b64 exec, exec, s[36:37]
	s_and_b64 vcc, exec, vcc
	s_or_b64 s[92:93], vcc, s[92:93]
	s_andn2_b64 s[94:95], s[94:95], exec
	s_and_b64 vcc, s[30:31], exec
	s_or_b64 s[94:95], s[94:95], vcc
	s_andn2_b64 exec, exec, s[92:93]
	s_cbranch_execz .LBB17_929
.LBB17_918:                             ;   Parent Loop BB17_47 Depth=1
                                        ;     Parent Loop BB17_296 Depth=2
                                        ; =>    This Inner Loop Header: Depth=3
	s_add_i32 s44, s44, 1
	s_cmpk_lg_i32 s44, 0x2710
	s_cselect_b64 s[34:35], -1, 0
	s_and_b64 vcc, exec, s[34:35]
	s_cbranch_vccz .LBB17_920
; %bb.919:                              ;   in Loop: Header=BB17_918 Depth=3
	s_mov_b64 vcc, -1
	s_or_b64 s[30:31], s[30:31], exec
	s_and_saveexec_b64 s[36:37], s[34:35]
	s_cbranch_execz .LBB17_917
	s_branch .LBB17_921
.LBB17_920:                             ;   in Loop: Header=BB17_918 Depth=3
	s_trap 2
	ds_read_b64 v[10:11], v0
	s_andn2_b64 s[34:35], s[34:35], exec
	s_mov_b32 s44, 0
	s_waitcnt vmcnt(0) lgkmcnt(0)
	flat_load_dword v2, v[10:11] sc0 sc1
	s_waitcnt vmcnt(0) lgkmcnt(0)
	buffer_inv sc0 sc1
	v_cmp_eq_u32_e32 vcc, 0, v2
	s_and_b64 vcc, vcc, exec
	s_or_b64 s[34:35], s[34:35], vcc
	s_mov_b64 vcc, -1
	s_or_b64 s[30:31], s[30:31], exec
	s_and_saveexec_b64 s[36:37], s[34:35]
	s_cbranch_execz .LBB17_917
.LBB17_921:                             ;   in Loop: Header=BB17_918 Depth=3
	s_sleep 1
	s_trap 2
	ds_read_b64 v[10:11], v0
	s_waitcnt lgkmcnt(0)
	s_andn2_b64 s[30:31], s[30:31], exec
	v_cmp_ge_u64_e32 vcc, v[10:11], v[70:71]
	s_orn2_b64 vcc, vcc, exec
	s_branch .LBB17_917
.LBB17_922:                             ;   in Loop: Header=BB17_296 Depth=2
	s_or_b64 exec, exec, s[92:93]
	s_and_saveexec_b64 s[44:45], s[94:95]
	s_xor_b64 s[44:45], exec, s[44:45]
	s_cbranch_execz .LBB17_924
; %bb.923:                              ;   in Loop: Header=BB17_296 Depth=2
	ds_write_b32 v0, v107
	s_trap 2
.LBB17_924:                             ;   in Loop: Header=BB17_296 Depth=2
	s_or_b64 exec, exec, s[90:91]
	;;#ASMSTART
	s_wakeup
	;;#ASMEND
.LBB17_925:                             ;   in Loop: Header=BB17_296 Depth=2
	s_or_b64 exec, exec, s[42:43]
.LBB17_926:                             ;   in Loop: Header=BB17_296 Depth=2
	s_andn2_saveexec_b64 s[40:41], s[40:41]
	s_cbranch_execz .LBB17_928
; %bb.927:                              ;   in Loop: Header=BB17_296 Depth=2
	;;#ASMSTART
	s_waitcnt lgkmcnt(0) vmcnt(0)
	;;#ASMEND
	s_barrier
.LBB17_928:                             ;   in Loop: Header=BB17_296 Depth=2
	s_or_b64 exec, exec, s[40:41]
	v_and_b32_e32 v2, 16, v94
                                        ; implicit-def: $vgpr8
	s_andn2_saveexec_b64 s[26:27], s[26:27]
	s_cbranch_execz .LBB17_940
	s_branch .LBB17_937
.LBB17_929:                             ;   in Loop: Header=BB17_296 Depth=2
	s_or_b64 exec, exec, s[92:93]
	s_and_saveexec_b64 s[44:45], s[94:95]
	s_xor_b64 s[44:45], exec, s[44:45]
	s_cbranch_execz .LBB17_931
; %bb.930:                              ;   in Loop: Header=BB17_296 Depth=2
	ds_write_b32 v0, v107
	s_trap 2
.LBB17_931:                             ;   in Loop: Header=BB17_296 Depth=2
	s_or_b64 exec, exec, s[90:91]
	;;#ASMSTART
	s_wakeup
	;;#ASMEND
.LBB17_932:                             ;   in Loop: Header=BB17_296 Depth=2
	s_or_b64 exec, exec, s[42:43]
.LBB17_933:                             ;   in Loop: Header=BB17_296 Depth=2
	s_andn2_saveexec_b64 s[40:41], s[40:41]
	s_cbranch_execz .LBB17_935
; %bb.934:                              ;   in Loop: Header=BB17_296 Depth=2
	s_waitcnt lgkmcnt(0)
	s_barrier
.LBB17_935:                             ;   in Loop: Header=BB17_296 Depth=2
	s_or_b64 exec, exec, s[40:41]
	s_or_b64 exec, exec, s[26:27]
                                        ; implicit-def: $vgpr2
	s_and_saveexec_b64 s[26:27], s[88:89]
	s_xor_b64 s[26:27], exec, s[26:27]
	s_cbranch_execnz .LBB17_884
.LBB17_936:                             ;   in Loop: Header=BB17_296 Depth=2
	s_andn2_saveexec_b64 s[26:27], s[26:27]
	s_cbranch_execz .LBB17_940
.LBB17_937:                             ;   in Loop: Header=BB17_296 Depth=2
	s_trap 2
	ds_read_b32 v9, v0
	v_cmp_lt_i32_e32 vcc, 0, v8
	v_and_b32_e32 v8, 16, v94
	v_and_b32_e32 v2, 16, v94
	s_waitcnt lgkmcnt(0)
	v_readfirstlane_b32 s40, v9
	s_cmp_eq_u32 s40, 0
	s_cselect_b64 s[40:41], -1, 0
	s_and_b64 s[40:41], vcc, s[40:41]
	v_cmp_ne_u32_e32 vcc, 0, v8
	s_and_b64 s[42:43], vcc, s[40:41]
	s_and_saveexec_b64 s[40:41], s[42:43]
	s_cbranch_execz .LBB17_939
; %bb.938:                              ;   in Loop: Header=BB17_296 Depth=2
	v_mov_b32_e32 v2, 1
	buffer_wbl2 sc1
	s_waitcnt vmcnt(0)
	buffer_inv sc1
.LBB17_939:                             ;   in Loop: Header=BB17_296 Depth=2
	s_or_b64 exec, exec, s[40:41]
.LBB17_940:                             ;   in Loop: Header=BB17_296 Depth=2
	s_or_b64 exec, exec, s[26:27]
	v_cmp_ne_u32_e32 vcc, 0, v2
	s_xor_b64 s[26:27], s[10:11], -1
	s_and_b64 s[40:41], vcc, s[26:27]
	s_and_saveexec_b64 s[26:27], s[40:41]
	s_cbranch_execz .LBB17_942
; %bb.941:                              ;   in Loop: Header=BB17_296 Depth=2
	flat_store_dword v[68:69], v107 sc0 sc1
.LBB17_942:                             ;   in Loop: Header=BB17_296 Depth=2
	s_or_b64 exec, exec, s[26:27]
	v_and_b32_e32 v2, 48, v94
	v_cmp_ne_u32_e32 vcc, 0, v2
	s_and_saveexec_b64 s[26:27], vcc
	s_cbranch_execz .LBB17_294
; %bb.943:                              ;   in Loop: Header=BB17_296 Depth=2
	v_lshl_add_u64 v[56:57], v[56:57], 0, 4
	flat_store_dwordx2 v[64:65], v[56:57] sc0 sc1
	s_branch .LBB17_294
.LBB17_944:                             ;   in Loop: Header=BB17_47 Depth=1
	v_mul_lo_u32 v2, v47, s64
	v_mul_lo_u32 v10, v46, s65
	v_mad_u64_u32 v[8:9], s[26:27], v46, s64, 0
	v_add3_u32 v9, v9, v10, v2
	v_sub_co_u32_e32 v10, vcc, v58, v8
	v_mov_b32_e32 v2, 0
	s_nop 0
	v_subb_co_u32_e32 v11, vcc, v59, v9, vcc
	v_cmp_lt_i64_e32 vcc, v[46:47], v[10:11]
	s_nop 1
	v_cndmask_b32_e32 v10, v10, v46, vcc
	v_max_i32_e32 v123, 0, v10
	v_add_u32_e32 v11, 15, v123
	v_ashrrev_i32_e32 v12, 31, v11
	v_lshrrev_b32_e32 v12, 28, v12
	v_add_u32_e32 v11, v11, v12
	v_cmp_gt_i32_e32 vcc, 1, v10
	v_and_b32_e32 v11, -16, v11
	s_or_b64 s[90:91], s[2:3], vcc
	v_max_i32_e32 v62, s69, v11
	s_xor_b64 s[26:27], s[90:91], -1
	s_and_saveexec_b64 s[92:93], s[26:27]
	s_cbranch_execz .LBB17_950
; %bb.945:                              ;   in Loop: Header=BB17_47 Depth=1
	s_and_saveexec_b64 s[26:27], s[0:1]
	s_cbranch_execz .LBB17_947
; %bb.946:                              ;   in Loop: Header=BB17_47 Depth=1
	s_trap 2
	ds_read2_b64 v[10:13], v0 offset1:1
	ds_read_b64 v[14:15], v0
	v_lshl_add_u64 v[8:9], v[8:9], 0, v[60:61]
	v_lshlrev_b64 v[8:9], 1, v[8:9]
	s_waitcnt lgkmcnt(0)
	v_lshl_add_u64 v[10:11], v[10:11], 0, v[8:9]
	ds_write_b64 v0, v[10:11]
	v_lshl_add_u64 v[10:11], v[12:13], 0, v[8:9]
	v_lshl_add_u64 v[8:9], v[14:15], 0, v[8:9]
	v_cmp_ne_u64_e32 vcc, 0, v[14:15]
	ds_write_b64 v0, v[10:11]
	s_nop 0
	v_cndmask_b32_e32 v9, 0, v9, vcc
	v_cndmask_b32_e32 v8, 0, v8, vcc
	ds_write_b64 v0, v[8:9]
.LBB17_947:                             ;   in Loop: Header=BB17_47 Depth=1
	s_or_b64 exec, exec, s[26:27]
	v_and_b32_e32 v2, 12, v94
	v_min_i32_e32 v62, v62, v123
	v_cmp_ne_u32_e32 vcc, 0, v2
	s_and_saveexec_b64 s[28:29], vcc
	s_cbranch_execz .LBB17_984
; %bb.948:                              ;   in Loop: Header=BB17_47 Depth=1
	v_and_b32_e32 v2, 8, v94
	s_waitcnt vmcnt(0) lgkmcnt(0)
	v_lshl_add_u64 v[10:11], v[80:81], 0, v[2:3]
	v_lshl_add_u64 v[8:9], v[56:57], 0, 4
	v_cmp_lt_u64_e32 vcc, v[10:11], v[8:9]
	s_and_saveexec_b64 s[40:41], vcc
	s_cbranch_execz .LBB17_971
; %bb.949:                              ;   in Loop: Header=BB17_47 Depth=1
	v_and_b32_e32 v10, 64, v94
	s_mov_b32 s44, 0
	v_cmp_eq_u32_e32 vcc, 0, v10
	s_mov_b64 s[42:43], 0
                                        ; implicit-def: $sgpr94_sgpr95
                                        ; implicit-def: $sgpr30_sgpr31
                                        ; implicit-def: $sgpr34_sgpr35
	s_branch .LBB17_957
.LBB17_950:                             ;   in Loop: Header=BB17_47 Depth=1
	s_or_b64 exec, exec, s[92:93]
	s_and_saveexec_b64 s[28:29], s[90:91]
	s_cbranch_execz .LBB17_2069
.LBB17_951:                             ;   in Loop: Header=BB17_47 Depth=1
	v_sub_u32_e32 v2, v123, v2
	v_min_i32_e32 v8, v62, v2
	v_and_b32_e32 v2, 12, v94
	v_cmp_ne_u32_e32 vcc, 0, v2
	s_and_saveexec_b64 s[40:41], vcc
	s_cbranch_execz .LBB17_1012
; %bb.952:                              ;   in Loop: Header=BB17_47 Depth=1
	v_and_b32_e32 v2, 8, v94
	s_waitcnt vmcnt(0) lgkmcnt(0)
	v_lshl_add_u64 v[12:13], v[80:81], 0, v[2:3]
	v_lshl_add_u64 v[10:11], v[56:57], 0, 4
	v_cmp_lt_u64_e32 vcc, v[12:13], v[10:11]
	s_and_saveexec_b64 s[42:43], vcc
	s_cbranch_execz .LBB17_999
; %bb.953:                              ;   in Loop: Header=BB17_47 Depth=1
	v_and_b32_e32 v9, 64, v94
	s_mov_b32 s44, 0
	v_cmp_eq_u32_e32 vcc, 0, v9
	s_mov_b64 s[90:91], 0
                                        ; implicit-def: $sgpr92_sgpr93
                                        ; implicit-def: $sgpr94_sgpr95
                                        ; implicit-def: $sgpr30_sgpr31
	s_branch .LBB17_964
.LBB17_954:                             ;   in Loop: Header=BB17_957 Depth=2
	s_waitcnt vmcnt(0) lgkmcnt(0)
	v_lshl_add_u64 v[12:13], v[80:81], 0, v[2:3]
	v_cmp_ge_u64_e64 s[26:27], v[12:13], v[8:9]
	s_or_b64 s[48:49], s[48:49], exec
	s_orn2_b64 s[38:39], s[26:27], exec
.LBB17_955:                             ;   in Loop: Header=BB17_957 Depth=2
	s_or_b64 exec, exec, s[52:53]
	s_andn2_b64 s[26:27], s[34:35], exec
	s_and_b64 s[34:35], s[48:49], exec
	s_or_b64 s[34:35], s[26:27], s[34:35]
	s_andn2_b64 s[26:27], s[30:31], exec
	s_and_b64 s[30:31], s[38:39], exec
	s_or_b64 s[30:31], s[26:27], s[30:31]
.LBB17_956:                             ;   in Loop: Header=BB17_957 Depth=2
	s_or_b64 exec, exec, s[36:37]
	s_and_b64 s[26:27], exec, s[30:31]
	s_or_b64 s[42:43], s[26:27], s[42:43]
	s_andn2_b64 s[26:27], s[94:95], exec
	s_and_b64 s[94:95], s[34:35], exec
	s_or_b64 s[94:95], s[26:27], s[94:95]
	s_andn2_b64 exec, exec, s[42:43]
	s_cbranch_execz .LBB17_968
.LBB17_957:                             ;   Parent Loop BB17_47 Depth=1
                                        ; =>  This Inner Loop Header: Depth=2
	s_sleep 1
	s_waitcnt vmcnt(0) lgkmcnt(0)
	flat_load_dwordx2 v[80:81], v[64:65] sc0 sc1
	s_or_b64 s[34:35], s[34:35], exec
	s_or_b64 s[30:31], s[30:31], exec
                                        ; implicit-def: $vgpr10
	s_and_saveexec_b64 s[36:37], vcc
	s_cbranch_execz .LBB17_956
; %bb.958:                              ;   in Loop: Header=BB17_957 Depth=2
	s_cmpk_lt_i32 s44, 0x270f
	s_cselect_b64 s[50:51], -1, 0
	s_cmpk_gt_i32 s44, 0x270e
	s_mov_b64 s[38:39], -1
	s_cbranch_scc0 .LBB17_960
; %bb.959:                              ;   in Loop: Header=BB17_957 Depth=2
	s_trap 2
	ds_read_b64 v[10:11], v0
	s_andn2_b64 s[50:51], s[50:51], exec
	s_mov_b32 s44, 0
	s_mov_b64 s[48:49], 0
	s_waitcnt vmcnt(0) lgkmcnt(0)
	flat_load_dword v10, v[10:11] sc0 sc1
	s_waitcnt vmcnt(0) lgkmcnt(0)
	buffer_inv sc0 sc1
	v_cmp_eq_u32_e64 s[26:27], 0, v10
	s_and_b64 s[26:27], s[26:27], exec
	s_or_b64 s[50:51], s[50:51], s[26:27]
	s_and_saveexec_b64 s[52:53], s[50:51]
	s_cbranch_execz .LBB17_955
	s_branch .LBB17_954
.LBB17_960:                             ;   in Loop: Header=BB17_957 Depth=2
	s_add_i32 s44, s44, 1
	s_mov_b64 s[48:49], -1
                                        ; implicit-def: $vgpr10
	s_and_saveexec_b64 s[52:53], s[50:51]
	s_cbranch_execz .LBB17_955
	s_branch .LBB17_954
.LBB17_961:                             ;   in Loop: Header=BB17_964 Depth=2
	s_waitcnt vmcnt(0) lgkmcnt(0)
	v_lshl_add_u64 v[12:13], v[80:81], 0, v[2:3]
	v_cmp_ge_u64_e64 s[26:27], v[12:13], v[10:11]
	s_or_b64 s[38:39], s[38:39], exec
	s_orn2_b64 s[36:37], s[26:27], exec
.LBB17_962:                             ;   in Loop: Header=BB17_964 Depth=2
	s_or_b64 exec, exec, s[50:51]
	s_andn2_b64 s[26:27], s[30:31], exec
	s_and_b64 s[30:31], s[38:39], exec
	s_or_b64 s[30:31], s[26:27], s[30:31]
	s_andn2_b64 s[26:27], s[94:95], exec
	s_and_b64 s[94:95], s[36:37], exec
	s_or_b64 s[94:95], s[26:27], s[94:95]
.LBB17_963:                             ;   in Loop: Header=BB17_964 Depth=2
	s_or_b64 exec, exec, s[34:35]
	s_and_b64 s[26:27], exec, s[94:95]
	s_or_b64 s[90:91], s[26:27], s[90:91]
	s_andn2_b64 s[26:27], s[92:93], exec
	s_and_b64 s[92:93], s[30:31], exec
	s_or_b64 s[92:93], s[26:27], s[92:93]
	s_andn2_b64 exec, exec, s[90:91]
	s_cbranch_execz .LBB17_996
.LBB17_964:                             ;   Parent Loop BB17_47 Depth=1
                                        ; =>  This Inner Loop Header: Depth=2
	s_sleep 1
	s_waitcnt vmcnt(0) lgkmcnt(0)
	flat_load_dwordx2 v[80:81], v[64:65] sc0 sc1
	s_or_b64 s[30:31], s[30:31], exec
	s_or_b64 s[94:95], s[94:95], exec
                                        ; implicit-def: $vgpr9
	s_and_saveexec_b64 s[34:35], vcc
	s_cbranch_execz .LBB17_963
; %bb.965:                              ;   in Loop: Header=BB17_964 Depth=2
	s_cmpk_lt_i32 s44, 0x270f
	s_cselect_b64 s[48:49], -1, 0
	s_cmpk_gt_i32 s44, 0x270e
	s_mov_b64 s[36:37], -1
	s_cbranch_scc0 .LBB17_967
; %bb.966:                              ;   in Loop: Header=BB17_964 Depth=2
	s_trap 2
	ds_read_b64 v[12:13], v0
	s_andn2_b64 s[48:49], s[48:49], exec
	s_mov_b32 s44, 0
	s_mov_b64 s[38:39], 0
	s_waitcnt vmcnt(0) lgkmcnt(0)
	flat_load_dword v9, v[12:13] sc0 sc1
	s_waitcnt vmcnt(0) lgkmcnt(0)
	buffer_inv sc0 sc1
	v_cmp_eq_u32_e64 s[26:27], 0, v9
	s_and_b64 s[26:27], s[26:27], exec
	s_or_b64 s[48:49], s[48:49], s[26:27]
	s_and_saveexec_b64 s[50:51], s[48:49]
	s_cbranch_execz .LBB17_962
	s_branch .LBB17_961
.LBB17_967:                             ;   in Loop: Header=BB17_964 Depth=2
	s_add_i32 s44, s44, 1
	s_mov_b64 s[38:39], -1
                                        ; implicit-def: $vgpr9
	s_and_saveexec_b64 s[50:51], s[48:49]
	s_cbranch_execz .LBB17_962
	s_branch .LBB17_961
.LBB17_968:                             ;   in Loop: Header=BB17_47 Depth=1
	s_or_b64 exec, exec, s[42:43]
	s_xor_b64 s[26:27], s[94:95], -1
	s_and_saveexec_b64 s[42:43], s[26:27]
	s_xor_b64 s[26:27], exec, s[42:43]
	s_cbranch_execz .LBB17_970
; %bb.969:                              ;   in Loop: Header=BB17_47 Depth=1
	v_or_b32_e32 v94, 64, v94
	s_waitcnt lgkmcnt(0)
	ds_write_b32 v0, v10
	s_trap 2
.LBB17_970:                             ;   in Loop: Header=BB17_47 Depth=1
	s_or_b64 exec, exec, s[26:27]
.LBB17_971:                             ;   in Loop: Header=BB17_47 Depth=1
	s_or_b64 exec, exec, s[40:41]
	v_and_b32_e32 v10, 0x108, v94
	v_cmp_ne_u32_e32 vcc, s87, v10
	v_and_b32_e32 v10, 7, v56
	;;#ASMSTART
	s_wakeup
	;;#ASMEND
	s_and_saveexec_b64 s[26:27], vcc
	s_xor_b64 s[26:27], exec, s[26:27]
                                        ; implicit-def: $vgpr11
; %bb.972:                              ;   in Loop: Header=BB17_47 Depth=1
	v_mov_b32_e32 v11, v3
; %bb.973:                              ;   in Loop: Header=BB17_47 Depth=1
	s_andn2_saveexec_b64 s[26:27], s[26:27]
	s_cbranch_execz .LBB17_975
; %bb.974:                              ;   in Loop: Header=BB17_47 Depth=1
	v_ashrrev_i32_e32 v63, 31, v62
	v_mov_b32_e32 v11, v3
	v_mad_u64_u32 v[12:13], s[40:41], v10, 24, v[6:7]
	v_lshlrev_b64 v[14:15], 1, v[62:63]
	flat_store_dwordx2 v[12:13], v[14:15] offset:8
.LBB17_975:                             ;   in Loop: Header=BB17_47 Depth=1
	s_or_b64 exec, exec, s[26:27]
	v_and_b32_e32 v12, 0x100, v94
	v_cmp_ne_u32_e32 vcc, 0, v12
	s_mov_b64 s[26:27], -1
                                        ; implicit-def: $vgpr12_vgpr13
	s_and_saveexec_b64 s[40:41], vcc
	s_cbranch_execz .LBB17_979
; %bb.976:                              ;   in Loop: Header=BB17_47 Depth=1
	v_mad_u64_u32 v[14:15], s[26:27], v10, 24, v[6:7]
	v_mov_b32_e32 v12, v15
	v_mad_u64_u32 v[12:13], s[26:27], v11, 24, v[12:13]
	v_mov_b32_e32 v15, v12
	flat_load_dword v12, v[14:15]
	s_waitcnt vmcnt(0) lgkmcnt(0)
	v_cmp_ne_u32_e32 vcc, 1, v12
	v_cmp_eq_u32_e64 s[26:27], 1, v12
                                        ; implicit-def: $vgpr12_vgpr13
	s_and_saveexec_b64 s[42:43], s[26:27]
	s_cbranch_execz .LBB17_978
; %bb.977:                              ;   in Loop: Header=BB17_47 Depth=1
	flat_load_dword v12, v[14:15] offset:4 sc0 sc1
	s_waitcnt vmcnt(0) lgkmcnt(0)
	v_ashrrev_i32_e32 v13, 31, v12
	v_lshrrev_b64 v[12:13], 1, v[12:13]
.LBB17_978:                             ;   in Loop: Header=BB17_47 Depth=1
	s_or_b64 exec, exec, s[42:43]
	s_orn2_b64 s[26:27], vcc, exec
.LBB17_979:                             ;   in Loop: Header=BB17_47 Depth=1
	s_or_b64 exec, exec, s[40:41]
	s_and_saveexec_b64 s[40:41], s[26:27]
; %bb.980:                              ;   in Loop: Header=BB17_47 Depth=1
	v_mul_lo_u32 v11, v11, v30
	v_mul_lo_u32 v14, v10, v83
	v_mad_u64_u32 v[12:13], s[26:27], v10, v30, 0
	v_add3_u32 v13, v13, v14, v11
; %bb.981:                              ;   in Loop: Header=BB17_47 Depth=1
	s_or_b64 exec, exec, s[40:41]
	v_cmp_eq_u32_e32 vcc, 0, v2
	v_lshl_add_u64 v[10:11], v[12:13], 1, v[66:67]
	s_nop 0
	v_cndmask_b32_e32 v2, v121, v109, vcc
	v_add_u32_e32 v2, v0, v2
	ds_write_b64 v2, v[10:11] offset:584
	v_and_b32_e32 v2, 0x2000, v94
	v_cmp_ne_u32_e32 vcc, 0, v2
	s_and_saveexec_b64 s[26:27], vcc
	s_cbranch_execz .LBB17_983
; %bb.982:                              ;   in Loop: Header=BB17_47 Depth=1
	ds_read_b64 v[10:11], v0 offset:872
	s_waitcnt lgkmcnt(0)
	v_lshl_add_u64 v[10:11], v[10:11], 0, 1
	ds_write_b64 v0, v[10:11] offset:872
.LBB17_983:                             ;   in Loop: Header=BB17_47 Depth=1
	s_or_b64 exec, exec, s[26:27]
	v_mov_b64_e32 v[56:57], v[8:9]
.LBB17_984:                             ;   in Loop: Header=BB17_47 Depth=1
	s_or_b64 exec, exec, s[28:29]
	s_and_saveexec_b64 s[26:27], s[6:7]
	s_cbranch_execz .LBB17_1031
; %bb.985:                              ;   in Loop: Header=BB17_47 Depth=1
	s_and_saveexec_b64 s[28:29], s[56:57]
	s_xor_b64 s[28:29], exec, s[28:29]
	s_cbranch_execz .LBB17_1028
; %bb.986:                              ;   in Loop: Header=BB17_47 Depth=1
	s_and_saveexec_b64 s[40:41], s[14:15]
	s_cbranch_execz .LBB17_1027
; %bb.987:                              ;   in Loop: Header=BB17_47 Depth=1
	s_mov_b64 s[94:95], exec
	v_mbcnt_lo_u32_b32 v2, s94, 0
	v_mbcnt_hi_u32_b32 v2, s95, v2
	v_cmp_eq_u32_e32 vcc, 0, v2
	s_waitcnt lgkmcnt(0)
	s_and_saveexec_b64 s[42:43], vcc
	s_cbranch_execz .LBB17_989
; %bb.988:                              ;   in Loop: Header=BB17_47 Depth=1
	s_bcnt1_i32_b64 s44, s[94:95]
	v_mov_b32_e32 v2, s44
	ds_add_u64 v0, v[2:3]
	s_trap 2
.LBB17_989:                             ;   in Loop: Header=BB17_47 Depth=1
	s_or_b64 exec, exec, s[42:43]
	s_trap 2
	ds_read_b64 v[8:9], v0
	s_waitcnt lgkmcnt(0)
	v_lshl_add_u64 v[70:71], v[70:71], 0, v[84:85]
	v_cmp_lt_u64_e32 vcc, v[8:9], v[70:71]
	s_and_saveexec_b64 s[42:43], vcc
	s_cbranch_execz .LBB17_1026
; %bb.990:                              ;   in Loop: Header=BB17_47 Depth=1
	s_mov_b32 s44, 0
	s_mov_b64 s[94:95], 0
                                        ; implicit-def: $sgpr30_sgpr31
                                        ; implicit-def: $sgpr34_sgpr35
	s_branch .LBB17_992
.LBB17_991:                             ;   in Loop: Header=BB17_992 Depth=2
	s_or_b64 exec, exec, s[38:39]
	s_and_b64 vcc, exec, vcc
	s_or_b64 s[94:95], vcc, s[94:95]
	s_andn2_b64 vcc, s[30:31], exec
	s_and_b64 s[30:31], s[34:35], exec
	s_or_b64 s[30:31], vcc, s[30:31]
	s_andn2_b64 exec, exec, s[94:95]
	s_cbranch_execz .LBB17_1024
.LBB17_992:                             ;   Parent Loop BB17_47 Depth=1
                                        ; =>  This Inner Loop Header: Depth=2
	s_add_i32 s44, s44, 1
	s_cmpk_lg_i32 s44, 0x2710
	s_cselect_b64 s[36:37], -1, 0
	s_and_b64 vcc, exec, s[36:37]
	s_cbranch_vccz .LBB17_994
; %bb.993:                              ;   in Loop: Header=BB17_992 Depth=2
	s_mov_b64 vcc, -1
	s_or_b64 s[34:35], s[34:35], exec
	s_and_saveexec_b64 s[38:39], s[36:37]
	s_cbranch_execz .LBB17_991
	s_branch .LBB17_995
.LBB17_994:                             ;   in Loop: Header=BB17_992 Depth=2
	s_trap 2
	ds_read_b64 v[8:9], v0
	s_andn2_b64 s[36:37], s[36:37], exec
	s_mov_b32 s44, 0
	s_waitcnt vmcnt(0) lgkmcnt(0)
	flat_load_dword v2, v[8:9] sc0 sc1
	s_waitcnt vmcnt(0) lgkmcnt(0)
	buffer_inv sc0 sc1
	v_cmp_eq_u32_e32 vcc, 0, v2
	s_and_b64 vcc, vcc, exec
	s_or_b64 s[36:37], s[36:37], vcc
	s_mov_b64 vcc, -1
	s_or_b64 s[34:35], s[34:35], exec
	s_and_saveexec_b64 s[38:39], s[36:37]
	s_cbranch_execz .LBB17_991
.LBB17_995:                             ;   in Loop: Header=BB17_992 Depth=2
	s_sleep 1
	s_trap 2
	ds_read_b64 v[8:9], v0
	s_waitcnt lgkmcnt(0)
	s_andn2_b64 s[34:35], s[34:35], exec
	v_cmp_ge_u64_e32 vcc, v[8:9], v[70:71]
	s_orn2_b64 vcc, vcc, exec
	s_branch .LBB17_991
.LBB17_996:                             ;   in Loop: Header=BB17_47 Depth=1
	s_or_b64 exec, exec, s[90:91]
	s_xor_b64 s[26:27], s[92:93], -1
	s_and_saveexec_b64 s[44:45], s[26:27]
	s_xor_b64 s[26:27], exec, s[44:45]
	s_cbranch_execz .LBB17_998
; %bb.997:                              ;   in Loop: Header=BB17_47 Depth=1
	v_or_b32_e32 v94, 64, v94
	s_waitcnt lgkmcnt(0)
	ds_write_b32 v0, v9
	s_trap 2
.LBB17_998:                             ;   in Loop: Header=BB17_47 Depth=1
	s_or_b64 exec, exec, s[26:27]
.LBB17_999:                             ;   in Loop: Header=BB17_47 Depth=1
	s_or_b64 exec, exec, s[42:43]
	v_and_b32_e32 v9, 0x108, v94
	v_cmp_ne_u32_e32 vcc, s87, v9
	v_and_b32_e32 v12, 7, v56
	;;#ASMSTART
	s_wakeup
	;;#ASMEND
	s_and_saveexec_b64 s[26:27], vcc
	s_xor_b64 s[26:27], exec, s[26:27]
                                        ; implicit-def: $vgpr13
; %bb.1000:                             ;   in Loop: Header=BB17_47 Depth=1
	v_mov_b32_e32 v13, v3
; %bb.1001:                             ;   in Loop: Header=BB17_47 Depth=1
	s_andn2_saveexec_b64 s[26:27], s[26:27]
	s_cbranch_execz .LBB17_1003
; %bb.1002:                             ;   in Loop: Header=BB17_47 Depth=1
	v_ashrrev_i32_e32 v9, 31, v8
	v_mov_b32_e32 v13, v3
	v_mad_u64_u32 v[14:15], s[42:43], v12, 24, v[6:7]
	v_lshlrev_b64 v[16:17], 1, v[8:9]
	flat_store_dwordx2 v[14:15], v[16:17] offset:8
.LBB17_1003:                            ;   in Loop: Header=BB17_47 Depth=1
	s_or_b64 exec, exec, s[26:27]
	v_and_b32_e32 v9, 0x100, v94
	v_cmp_ne_u32_e32 vcc, 0, v9
	s_mov_b64 s[26:27], -1
                                        ; implicit-def: $vgpr14_vgpr15
	s_and_saveexec_b64 s[42:43], vcc
	s_cbranch_execz .LBB17_1007
; %bb.1004:                             ;   in Loop: Header=BB17_47 Depth=1
	v_mad_u64_u32 v[16:17], s[26:27], v12, 24, v[6:7]
	v_mov_b32_e32 v14, v17
	v_mad_u64_u32 v[14:15], s[26:27], v13, 24, v[14:15]
	v_mov_b32_e32 v17, v14
	flat_load_dword v9, v[16:17]
                                        ; implicit-def: $vgpr14_vgpr15
	s_waitcnt vmcnt(0) lgkmcnt(0)
	v_cmp_ne_u32_e32 vcc, 1, v9
	v_cmp_eq_u32_e64 s[26:27], 1, v9
	s_and_saveexec_b64 s[90:91], s[26:27]
	s_cbranch_execz .LBB17_1006
; %bb.1005:                             ;   in Loop: Header=BB17_47 Depth=1
	flat_load_dword v14, v[16:17] offset:4 sc0 sc1
	s_waitcnt vmcnt(0) lgkmcnt(0)
	v_ashrrev_i32_e32 v15, 31, v14
	v_lshrrev_b64 v[14:15], 1, v[14:15]
.LBB17_1006:                            ;   in Loop: Header=BB17_47 Depth=1
	s_or_b64 exec, exec, s[90:91]
	s_orn2_b64 s[26:27], vcc, exec
.LBB17_1007:                            ;   in Loop: Header=BB17_47 Depth=1
	s_or_b64 exec, exec, s[42:43]
	s_and_saveexec_b64 s[42:43], s[26:27]
; %bb.1008:                             ;   in Loop: Header=BB17_47 Depth=1
	v_mul_lo_u32 v9, v13, v30
	v_mul_lo_u32 v13, v12, v83
	v_mad_u64_u32 v[14:15], s[26:27], v12, v30, 0
	v_add3_u32 v15, v15, v13, v9
; %bb.1009:                             ;   in Loop: Header=BB17_47 Depth=1
	s_or_b64 exec, exec, s[42:43]
	v_cmp_eq_u32_e32 vcc, 0, v2
	v_lshl_add_u64 v[12:13], v[14:15], 1, v[66:67]
	s_nop 0
	v_cndmask_b32_e32 v2, v121, v109, vcc
	v_add_u32_e32 v2, v0, v2
	ds_write_b64 v2, v[12:13] offset:584
	v_and_b32_e32 v2, 0x2000, v94
	v_cmp_ne_u32_e32 vcc, 0, v2
	s_and_saveexec_b64 s[26:27], vcc
	s_cbranch_execz .LBB17_1011
; %bb.1010:                             ;   in Loop: Header=BB17_47 Depth=1
	ds_read_b64 v[12:13], v0 offset:872
	s_waitcnt lgkmcnt(0)
	v_lshl_add_u64 v[12:13], v[12:13], 0, 1
	ds_write_b64 v0, v[12:13] offset:872
.LBB17_1011:                            ;   in Loop: Header=BB17_47 Depth=1
	s_or_b64 exec, exec, s[26:27]
	v_mov_b64_e32 v[56:57], v[10:11]
.LBB17_1012:                            ;   in Loop: Header=BB17_47 Depth=1
	s_or_b64 exec, exec, s[40:41]
	s_and_saveexec_b64 s[26:27], s[6:7]
	s_cbranch_execz .LBB17_1050
; %bb.1013:                             ;   in Loop: Header=BB17_47 Depth=1
	s_and_saveexec_b64 s[40:41], s[56:57]
	s_xor_b64 s[40:41], exec, s[40:41]
	s_cbranch_execz .LBB17_1047
; %bb.1014:                             ;   in Loop: Header=BB17_47 Depth=1
	s_and_saveexec_b64 s[42:43], s[14:15]
	s_cbranch_execz .LBB17_1046
; %bb.1015:                             ;   in Loop: Header=BB17_47 Depth=1
	s_mov_b64 s[92:93], exec
	v_mbcnt_lo_u32_b32 v2, s92, 0
	v_mbcnt_hi_u32_b32 v2, s93, v2
	v_cmp_eq_u32_e32 vcc, 0, v2
	s_waitcnt lgkmcnt(0)
	s_and_saveexec_b64 s[90:91], vcc
	s_cbranch_execz .LBB17_1017
; %bb.1016:                             ;   in Loop: Header=BB17_47 Depth=1
	s_bcnt1_i32_b64 s44, s[92:93]
	v_mov_b32_e32 v2, s44
	ds_add_u64 v0, v[2:3]
	s_trap 2
.LBB17_1017:                            ;   in Loop: Header=BB17_47 Depth=1
	s_or_b64 exec, exec, s[90:91]
	s_trap 2
	ds_read_b64 v[10:11], v0
	s_waitcnt lgkmcnt(0)
	v_lshl_add_u64 v[70:71], v[70:71], 0, v[84:85]
	v_cmp_lt_u64_e32 vcc, v[10:11], v[70:71]
	s_and_saveexec_b64 s[90:91], vcc
	s_cbranch_execz .LBB17_1045
; %bb.1018:                             ;   in Loop: Header=BB17_47 Depth=1
	s_mov_b32 s44, 0
	s_mov_b64 s[92:93], 0
                                        ; implicit-def: $sgpr94_sgpr95
                                        ; implicit-def: $sgpr30_sgpr31
	s_branch .LBB17_1020
.LBB17_1019:                            ;   in Loop: Header=BB17_1020 Depth=2
	s_or_b64 exec, exec, s[36:37]
	s_and_b64 vcc, exec, vcc
	s_or_b64 s[92:93], vcc, s[92:93]
	s_andn2_b64 s[94:95], s[94:95], exec
	s_and_b64 vcc, s[30:31], exec
	s_or_b64 s[94:95], s[94:95], vcc
	s_andn2_b64 exec, exec, s[92:93]
	s_cbranch_execz .LBB17_1043
.LBB17_1020:                            ;   Parent Loop BB17_47 Depth=1
                                        ; =>  This Inner Loop Header: Depth=2
	s_add_i32 s44, s44, 1
	s_cmpk_lg_i32 s44, 0x2710
	s_cselect_b64 s[34:35], -1, 0
	s_and_b64 vcc, exec, s[34:35]
	s_cbranch_vccz .LBB17_1022
; %bb.1021:                             ;   in Loop: Header=BB17_1020 Depth=2
	s_mov_b64 vcc, -1
	s_or_b64 s[30:31], s[30:31], exec
	s_and_saveexec_b64 s[36:37], s[34:35]
	s_cbranch_execz .LBB17_1019
	s_branch .LBB17_1023
.LBB17_1022:                            ;   in Loop: Header=BB17_1020 Depth=2
	s_trap 2
	ds_read_b64 v[10:11], v0
	s_andn2_b64 s[34:35], s[34:35], exec
	s_mov_b32 s44, 0
	s_waitcnt vmcnt(0) lgkmcnt(0)
	flat_load_dword v2, v[10:11] sc0 sc1
	s_waitcnt vmcnt(0) lgkmcnt(0)
	buffer_inv sc0 sc1
	v_cmp_eq_u32_e32 vcc, 0, v2
	s_and_b64 vcc, vcc, exec
	s_or_b64 s[34:35], s[34:35], vcc
	s_mov_b64 vcc, -1
	s_or_b64 s[30:31], s[30:31], exec
	s_and_saveexec_b64 s[36:37], s[34:35]
	s_cbranch_execz .LBB17_1019
.LBB17_1023:                            ;   in Loop: Header=BB17_1020 Depth=2
	s_sleep 1
	s_trap 2
	ds_read_b64 v[10:11], v0
	s_waitcnt lgkmcnt(0)
	s_andn2_b64 s[30:31], s[30:31], exec
	v_cmp_ge_u64_e32 vcc, v[10:11], v[70:71]
	s_orn2_b64 vcc, vcc, exec
	s_branch .LBB17_1019
.LBB17_1024:                            ;   in Loop: Header=BB17_47 Depth=1
	s_or_b64 exec, exec, s[94:95]
	s_and_saveexec_b64 s[44:45], s[30:31]
	s_xor_b64 s[44:45], exec, s[44:45]
	s_cbranch_execz .LBB17_1026
; %bb.1025:                             ;   in Loop: Header=BB17_47 Depth=1
	ds_write_b32 v0, v107
	s_trap 2
.LBB17_1026:                            ;   in Loop: Header=BB17_47 Depth=1
	s_or_b64 exec, exec, s[42:43]
	;;#ASMSTART
	s_wakeup
	;;#ASMEND
.LBB17_1027:                            ;   in Loop: Header=BB17_47 Depth=1
	s_or_b64 exec, exec, s[40:41]
.LBB17_1028:                            ;   in Loop: Header=BB17_47 Depth=1
	s_andn2_saveexec_b64 s[28:29], s[28:29]
	s_cbranch_execz .LBB17_1030
; %bb.1029:                             ;   in Loop: Header=BB17_47 Depth=1
	s_waitcnt lgkmcnt(0)
	s_barrier
.LBB17_1030:                            ;   in Loop: Header=BB17_47 Depth=1
	s_or_b64 exec, exec, s[28:29]
.LBB17_1031:                            ;   in Loop: Header=BB17_47 Depth=1
	s_or_b64 exec, exec, s[26:27]
	s_trap 2
	ds_read_b32 v8, v0
	v_and_b32_e32 v2, 0x4000, v94
	v_cmp_ne_u32_e32 vcc, 0, v2
	s_xor_b64 s[26:27], s[4:5], -1
	s_and_b64 s[28:29], s[26:27], vcc
	s_and_saveexec_b64 s[26:27], s[28:29]
	s_cbranch_execz .LBB17_1073
; %bb.1032:                             ;   in Loop: Header=BB17_47 Depth=1
	s_and_saveexec_b64 s[28:29], s[56:57]
	s_xor_b64 s[28:29], exec, s[28:29]
	s_cbranch_execz .LBB17_1070
; %bb.1033:                             ;   in Loop: Header=BB17_47 Depth=1
	s_and_saveexec_b64 s[40:41], s[14:15]
	s_cbranch_execz .LBB17_1069
; %bb.1034:                             ;   in Loop: Header=BB17_47 Depth=1
	s_mov_b64 s[94:95], exec
	v_mbcnt_lo_u32_b32 v2, s94, 0
	v_mbcnt_hi_u32_b32 v2, s95, v2
	v_cmp_eq_u32_e32 vcc, 0, v2
	s_waitcnt lgkmcnt(0)
	s_and_saveexec_b64 s[42:43], vcc
	s_cbranch_execz .LBB17_1036
; %bb.1035:                             ;   in Loop: Header=BB17_47 Depth=1
	s_bcnt1_i32_b64 s44, s[94:95]
	v_mov_b32_e32 v2, s44
	ds_add_u64 v0, v[2:3]
	s_trap 2
.LBB17_1036:                            ;   in Loop: Header=BB17_47 Depth=1
	s_or_b64 exec, exec, s[42:43]
	s_trap 2
	ds_read_b64 v[10:11], v0
	s_waitcnt lgkmcnt(0)
	v_lshl_add_u64 v[70:71], v[70:71], 0, v[84:85]
	v_cmp_lt_u64_e32 vcc, v[10:11], v[70:71]
	s_and_saveexec_b64 s[42:43], vcc
	s_cbranch_execz .LBB17_1068
; %bb.1037:                             ;   in Loop: Header=BB17_47 Depth=1
	s_mov_b32 s44, 0
	s_mov_b64 s[94:95], 0
                                        ; implicit-def: $sgpr30_sgpr31
                                        ; implicit-def: $sgpr34_sgpr35
	s_branch .LBB17_1039
.LBB17_1038:                            ;   in Loop: Header=BB17_1039 Depth=2
	s_or_b64 exec, exec, s[38:39]
	s_and_b64 vcc, exec, vcc
	s_or_b64 s[94:95], vcc, s[94:95]
	s_andn2_b64 vcc, s[30:31], exec
	s_and_b64 s[30:31], s[34:35], exec
	s_or_b64 s[30:31], vcc, s[30:31]
	s_andn2_b64 exec, exec, s[94:95]
	s_cbranch_execz .LBB17_1066
.LBB17_1039:                            ;   Parent Loop BB17_47 Depth=1
                                        ; =>  This Inner Loop Header: Depth=2
	s_add_i32 s44, s44, 1
	s_cmpk_lg_i32 s44, 0x2710
	s_cselect_b64 s[36:37], -1, 0
	s_and_b64 vcc, exec, s[36:37]
	s_cbranch_vccz .LBB17_1041
; %bb.1040:                             ;   in Loop: Header=BB17_1039 Depth=2
	s_mov_b64 vcc, -1
	s_or_b64 s[34:35], s[34:35], exec
	s_and_saveexec_b64 s[38:39], s[36:37]
	s_cbranch_execz .LBB17_1038
	s_branch .LBB17_1042
.LBB17_1041:                            ;   in Loop: Header=BB17_1039 Depth=2
	s_trap 2
	ds_read_b64 v[10:11], v0
	s_andn2_b64 s[36:37], s[36:37], exec
	s_mov_b32 s44, 0
	s_waitcnt vmcnt(0) lgkmcnt(0)
	flat_load_dword v2, v[10:11] sc0 sc1
	s_waitcnt vmcnt(0) lgkmcnt(0)
	buffer_inv sc0 sc1
	v_cmp_eq_u32_e32 vcc, 0, v2
	s_and_b64 vcc, vcc, exec
	s_or_b64 s[36:37], s[36:37], vcc
	s_mov_b64 vcc, -1
	s_or_b64 s[34:35], s[34:35], exec
	s_and_saveexec_b64 s[38:39], s[36:37]
	s_cbranch_execz .LBB17_1038
.LBB17_1042:                            ;   in Loop: Header=BB17_1039 Depth=2
	s_sleep 1
	s_trap 2
	ds_read_b64 v[10:11], v0
	s_waitcnt lgkmcnt(0)
	s_andn2_b64 s[34:35], s[34:35], exec
	v_cmp_ge_u64_e32 vcc, v[10:11], v[70:71]
	s_orn2_b64 vcc, vcc, exec
	s_branch .LBB17_1038
.LBB17_1043:                            ;   in Loop: Header=BB17_47 Depth=1
	s_or_b64 exec, exec, s[92:93]
	s_and_saveexec_b64 s[44:45], s[94:95]
	s_xor_b64 s[44:45], exec, s[44:45]
	s_cbranch_execz .LBB17_1045
; %bb.1044:                             ;   in Loop: Header=BB17_47 Depth=1
	ds_write_b32 v0, v107
	s_trap 2
.LBB17_1045:                            ;   in Loop: Header=BB17_47 Depth=1
	s_or_b64 exec, exec, s[90:91]
	;;#ASMSTART
	s_wakeup
	;;#ASMEND
.LBB17_1046:                            ;   in Loop: Header=BB17_47 Depth=1
	s_or_b64 exec, exec, s[42:43]
.LBB17_1047:                            ;   in Loop: Header=BB17_47 Depth=1
	s_andn2_saveexec_b64 s[40:41], s[40:41]
	s_cbranch_execz .LBB17_1049
; %bb.1048:                             ;   in Loop: Header=BB17_47 Depth=1
	s_waitcnt lgkmcnt(0)
	s_barrier
.LBB17_1049:                            ;   in Loop: Header=BB17_47 Depth=1
	s_or_b64 exec, exec, s[40:41]
.LBB17_1050:                            ;   in Loop: Header=BB17_47 Depth=1
	s_or_b64 exec, exec, s[26:27]
	v_and_b32_e32 v9, 16, v94
	s_and_saveexec_b64 s[26:27], s[22:23]
	s_xor_b64 s[26:27], exec, s[26:27]
	s_cbranch_execz .LBB17_1054
; %bb.1051:                             ;   in Loop: Header=BB17_47 Depth=1
	s_trap 2
	ds_read_b32 v2, v0
	v_cmp_lt_i32_e32 vcc, 0, v8
	v_and_b32_e32 v8, 16, v94
	v_and_b32_e32 v9, 16, v94
	s_waitcnt lgkmcnt(0)
	v_readfirstlane_b32 s40, v2
	s_cmp_eq_u32 s40, 0
	s_cselect_b64 s[40:41], -1, 0
	s_and_b64 s[40:41], vcc, s[40:41]
	v_cmp_ne_u32_e32 vcc, 0, v8
	s_and_b64 s[42:43], vcc, s[40:41]
	s_and_saveexec_b64 s[40:41], s[42:43]
	s_cbranch_execz .LBB17_1053
; %bb.1052:                             ;   in Loop: Header=BB17_47 Depth=1
	v_mov_b32_e32 v9, 1
	buffer_wbl2 sc1
	s_waitcnt vmcnt(0)
	buffer_inv sc1
.LBB17_1053:                            ;   in Loop: Header=BB17_47 Depth=1
	s_or_b64 exec, exec, s[40:41]
.LBB17_1054:                            ;   in Loop: Header=BB17_47 Depth=1
	s_andn2_saveexec_b64 s[26:27], s[26:27]
	s_cbranch_execz .LBB17_1229
; %bb.1055:                             ;   in Loop: Header=BB17_47 Depth=1
	s_and_saveexec_b64 s[40:41], s[56:57]
	s_xor_b64 s[40:41], exec, s[40:41]
	s_cbranch_execz .LBB17_1226
; %bb.1056:                             ;   in Loop: Header=BB17_47 Depth=1
	s_and_saveexec_b64 s[42:43], s[14:15]
	s_cbranch_execz .LBB17_1225
; %bb.1057:                             ;   in Loop: Header=BB17_47 Depth=1
	s_mov_b64 s[92:93], exec
	v_mbcnt_lo_u32_b32 v2, s92, 0
	v_mbcnt_hi_u32_b32 v2, s93, v2
	v_cmp_eq_u32_e32 vcc, 0, v2
	;;#ASMSTART
	s_waitcnt lgkmcnt(0) vmcnt(0)
	;;#ASMEND
	s_and_saveexec_b64 s[90:91], vcc
	s_cbranch_execz .LBB17_1059
; %bb.1058:                             ;   in Loop: Header=BB17_47 Depth=1
	s_bcnt1_i32_b64 s44, s[92:93]
	v_mov_b32_e32 v2, s44
	s_waitcnt lgkmcnt(0)
	ds_add_u64 v0, v[2:3]
	s_trap 2
.LBB17_1059:                            ;   in Loop: Header=BB17_47 Depth=1
	s_or_b64 exec, exec, s[90:91]
	s_trap 2
	ds_read_b64 v[10:11], v0
	s_waitcnt lgkmcnt(0)
	v_lshl_add_u64 v[70:71], v[70:71], 0, v[84:85]
	v_cmp_lt_u64_e32 vcc, v[10:11], v[70:71]
	s_and_saveexec_b64 s[90:91], vcc
	s_cbranch_execz .LBB17_1224
; %bb.1060:                             ;   in Loop: Header=BB17_47 Depth=1
	s_mov_b32 s44, 0
	s_mov_b64 s[92:93], 0
                                        ; implicit-def: $sgpr94_sgpr95
                                        ; implicit-def: $sgpr30_sgpr31
	s_branch .LBB17_1062
.LBB17_1061:                            ;   in Loop: Header=BB17_1062 Depth=2
	s_or_b64 exec, exec, s[36:37]
	s_and_b64 vcc, exec, vcc
	s_or_b64 s[92:93], vcc, s[92:93]
	s_andn2_b64 s[94:95], s[94:95], exec
	s_and_b64 vcc, s[30:31], exec
	s_or_b64 s[94:95], s[94:95], vcc
	s_andn2_b64 exec, exec, s[92:93]
	s_cbranch_execz .LBB17_1222
.LBB17_1062:                            ;   Parent Loop BB17_47 Depth=1
                                        ; =>  This Inner Loop Header: Depth=2
	s_add_i32 s44, s44, 1
	s_cmpk_lg_i32 s44, 0x2710
	s_cselect_b64 s[34:35], -1, 0
	s_and_b64 vcc, exec, s[34:35]
	s_cbranch_vccz .LBB17_1064
; %bb.1063:                             ;   in Loop: Header=BB17_1062 Depth=2
	s_mov_b64 vcc, -1
	s_or_b64 s[30:31], s[30:31], exec
	s_and_saveexec_b64 s[36:37], s[34:35]
	s_cbranch_execz .LBB17_1061
	s_branch .LBB17_1065
.LBB17_1064:                            ;   in Loop: Header=BB17_1062 Depth=2
	s_trap 2
	ds_read_b64 v[10:11], v0
	s_andn2_b64 s[34:35], s[34:35], exec
	s_mov_b32 s44, 0
	s_waitcnt vmcnt(0) lgkmcnt(0)
	flat_load_dword v2, v[10:11] sc0 sc1
	s_waitcnt vmcnt(0) lgkmcnt(0)
	buffer_inv sc0 sc1
	v_cmp_eq_u32_e32 vcc, 0, v2
	s_and_b64 vcc, vcc, exec
	s_or_b64 s[34:35], s[34:35], vcc
	s_mov_b64 vcc, -1
	s_or_b64 s[30:31], s[30:31], exec
	s_and_saveexec_b64 s[36:37], s[34:35]
	s_cbranch_execz .LBB17_1061
.LBB17_1065:                            ;   in Loop: Header=BB17_1062 Depth=2
	s_sleep 1
	s_trap 2
	ds_read_b64 v[10:11], v0
	s_waitcnt lgkmcnt(0)
	s_andn2_b64 s[30:31], s[30:31], exec
	v_cmp_ge_u64_e32 vcc, v[10:11], v[70:71]
	s_orn2_b64 vcc, vcc, exec
	s_branch .LBB17_1061
.LBB17_1066:                            ;   in Loop: Header=BB17_47 Depth=1
	s_or_b64 exec, exec, s[94:95]
	s_and_saveexec_b64 s[44:45], s[30:31]
	s_xor_b64 s[44:45], exec, s[44:45]
	s_cbranch_execz .LBB17_1068
; %bb.1067:                             ;   in Loop: Header=BB17_47 Depth=1
	ds_write_b32 v0, v107
	s_trap 2
.LBB17_1068:                            ;   in Loop: Header=BB17_47 Depth=1
	s_or_b64 exec, exec, s[42:43]
	;;#ASMSTART
	s_wakeup
	;;#ASMEND
.LBB17_1069:                            ;   in Loop: Header=BB17_47 Depth=1
	s_or_b64 exec, exec, s[40:41]
.LBB17_1070:                            ;   in Loop: Header=BB17_47 Depth=1
	s_andn2_saveexec_b64 s[28:29], s[28:29]
	s_cbranch_execz .LBB17_1072
; %bb.1071:                             ;   in Loop: Header=BB17_47 Depth=1
	s_waitcnt lgkmcnt(0)
	s_barrier
.LBB17_1072:                            ;   in Loop: Header=BB17_47 Depth=1
	s_or_b64 exec, exec, s[28:29]
.LBB17_1073:                            ;   in Loop: Header=BB17_47 Depth=1
	s_or_b64 exec, exec, s[26:27]
	s_trap 2
	ds_read_b64 v[72:73], v0
	s_waitcnt lgkmcnt(0)
	v_cmp_eq_u64_e32 vcc, 0, v[72:73]
	s_cbranch_vccnz .LBB17_1219
; %bb.1074:                             ;   in Loop: Header=BB17_47 Depth=1
	s_trap 2
	ds_read_b64 v[74:75], v0
	s_waitcnt lgkmcnt(0)
	v_cmp_eq_u64_e32 vcc, 0, v[74:75]
	s_cbranch_vccnz .LBB17_1219
; %bb.1075:                             ;   in Loop: Header=BB17_47 Depth=1
	s_trap 2
	ds_read_b64 v[76:77], v0
	v_cmp_eq_u32_e32 vcc, 0, v8
	s_mov_b64 s[26:27], -1
	s_waitcnt lgkmcnt(0)
	v_readfirstlane_b32 s47, v76
	v_cndmask_b32_e32 v31, 0, v62, vcc
	v_cmp_ne_u64_e32 vcc, 0, v[76:77]
	v_lshlrev_b32_e32 v63, 1, v31
	s_cbranch_vccz .LBB17_1563
; %bb.1076:                             ;   in Loop: Header=BB17_47 Depth=1
	s_and_saveexec_b64 s[28:29], s[20:21]
	s_cbranch_execz .LBB17_1078
; %bb.1077:                             ;   in Loop: Header=BB17_47 Depth=1
	ds_read_b32 v8, v0 offset:720
	s_waitcnt lgkmcnt(0)
	v_and_b32_e32 v8, 15, v8
	v_cmp_eq_u32_e32 vcc, 0, v8
	s_orn2_b64 s[26:27], vcc, exec
.LBB17_1078:                            ;   in Loop: Header=BB17_47 Depth=1
	s_or_b64 exec, exec, s[28:29]
	s_and_saveexec_b64 s[28:29], s[20:21]
	s_cbranch_execz .LBB17_1080
; %bb.1079:                             ;   in Loop: Header=BB17_47 Depth=1
	ds_read_b32 v8, v0 offset:784
	s_waitcnt lgkmcnt(0)
	v_and_b32_e32 v8, 15, v8
	v_cmp_eq_u32_e32 vcc, 0, v8
	s_and_b64 s[40:41], s[26:27], vcc
	s_andn2_b64 s[26:27], s[26:27], exec
	s_and_b64 s[40:41], s[40:41], exec
	s_or_b64 s[26:27], s[26:27], s[40:41]
.LBB17_1080:                            ;   in Loop: Header=BB17_47 Depth=1
	s_or_b64 exec, exec, s[28:29]
	s_xor_b64 s[26:27], s[26:27], -1
	v_cndmask_b32_e64 v8, 0, 1, s[26:27]
	s_mov_b64 s[28:29], -1
	v_cmp_ne_u32_e32 vcc, 0, v8
	s_cbranch_vccz .LBB17_1220
; %bb.1081:                             ;   in Loop: Header=BB17_47 Depth=1
	s_and_b32 s44, s47, 1
	s_mov_b64 s[94:95], -1
	v_mov_b32_e32 v16, 0
	s_cbranch_execnz .LBB17_1221
.LBB17_1082:                            ;   in Loop: Header=BB17_47 Depth=1
	v_ashrrev_i32_e32 v8, 31, v63
	v_lshrrev_b32_e32 v8, 21, v8
	v_add_u32_e32 v8, v63, v8
	v_ashrrev_i32_e32 v125, 11, v8
	v_sub_u32_e32 v124, v125, v104
	v_lshl_add_u64 v[88:89], v[74:75], 0, v[102:103]
	v_lshl_add_u64 v[78:79], v[76:77], 0, v[102:103]
	s_and_b32 s44, s47, 1
	v_cmp_lt_i32_e32 vcc, 0, v124
	s_mov_b64 s[26:27], 0
                                        ; implicit-def: $vgpr20_vgpr21
                                        ; implicit-def: $vgpr12_vgpr13
                                        ; implicit-def: $vgpr16_vgpr17
                                        ; implicit-def: $vgpr8_vgpr9
	s_and_saveexec_b64 s[28:29], vcc
	s_cbranch_execz .LBB17_1235
; %bb.1083:                             ;   in Loop: Header=BB17_47 Depth=1
	s_trap 2
	ds_read_b64 v[8:9], v0
	s_and_b32 s26, 0xffff, s44
	s_cmp_eq_u32 s26, 0
	v_lshl_add_u64 v[90:91], v[72:73], 0, v[102:103]
	s_mov_b64 s[30:31], 0
	s_waitcnt lgkmcnt(0)
	v_lshl_add_u64 v[92:93], v[8:9], 0, v[102:103]
	s_mov_b64 s[40:41], 0
	s_cselect_b64 vcc, -1, 0
                                        ; implicit-def: $sgpr42_sgpr43
                                        ; implicit-def: $vgpr20_vgpr21
                                        ; implicit-def: $vgpr12_vgpr13
                                        ; implicit-def: $vgpr16_vgpr17
                                        ; implicit-def: $vgpr8_vgpr9
	s_branch .LBB17_1085
.LBB17_1084:                            ;   in Loop: Header=BB17_1085 Depth=2
	s_or_b64 exec, exec, s[26:27]
	v_cmp_gt_i32_e64 s[26:27], 1, v124
	s_or_b64 s[40:41], s[26:27], s[40:41]
	s_andn2_b64 s[26:27], s[42:43], exec
	s_and_b64 s[42:43], s[30:31], exec
	s_or_b64 s[42:43], s[26:27], s[42:43]
	s_andn2_b64 exec, exec, s[40:41]
	s_cbranch_execz .LBB17_1234
.LBB17_1085:                            ;   Parent Loop BB17_47 Depth=1
                                        ; =>  This Inner Loop Header: Depth=2
	global_load_dwordx4 v[36:39], v[90:91], off nt
	global_load_dwordx4 v[24:27], v[90:91], off offset:1024 nt
	global_load_dwordx4 v[48:51], v[92:93], off nt
	global_load_dwordx4 v[32:35], v[92:93], off offset:1024 nt
	s_and_saveexec_b64 s[34:35], s[30:31]
	s_cbranch_execz .LBB17_1151
; %bb.1086:                             ;   in Loop: Header=BB17_1085 Depth=2
	v_lshlrev_b32_e32 v28, 16, v20
	v_lshlrev_b32_e32 v29, 16, v16
	v_max_f32_e32 v29, v29, v29
	v_max_f32_e32 v28, v28, v28
	v_min_f32_e32 v52, v28, v29
	v_max_f32_e32 v28, v28, v29
	v_cndmask_b32_e32 v28, v28, v52, vcc
	v_and_b32_e32 v29, 0x7f800000, v28
	v_cmp_ne_u32_e64 s[26:27], s96, v29
                                        ; implicit-def: $vgpr52
	s_and_saveexec_b64 s[30:31], s[26:27]
	s_xor_b64 s[26:27], exec, s[30:31]
; %bb.1087:                             ;   in Loop: Header=BB17_1085 Depth=2
	v_bfe_u32 v29, v28, 16, 1
	v_add3_u32 v52, v28, v29, s97
                                        ; implicit-def: $vgpr28
; %bb.1088:                             ;   in Loop: Header=BB17_1085 Depth=2
	s_andn2_saveexec_b64 s[30:31], s[26:27]
; %bb.1089:                             ;   in Loop: Header=BB17_1085 Depth=2
	v_or_b32_e32 v29, 0x10000, v28
	v_cmp_eq_u32_sdwa s[26:27], v28, v3 src0_sel:WORD_0 src1_sel:DWORD
	s_nop 1
	v_cndmask_b32_e64 v52, v29, v28, s[26:27]
; %bb.1090:                             ;   in Loop: Header=BB17_1085 Depth=2
	s_or_b64 exec, exec, s[30:31]
	v_and_b32_e32 v20, 0xffff0000, v20
	v_and_b32_e32 v28, 0xffff0000, v16
	v_max_f32_e32 v28, v28, v28
	v_max_f32_e32 v20, v20, v20
	v_min_f32_e32 v29, v20, v28
	v_max_f32_e32 v20, v20, v28
	v_cndmask_b32_e32 v28, v20, v29, vcc
	v_and_b32_e32 v20, 0x7f800000, v28
	v_cmp_ne_u32_e64 s[26:27], s96, v20
                                        ; implicit-def: $vgpr20
	s_and_saveexec_b64 s[30:31], s[26:27]
	s_xor_b64 s[26:27], exec, s[30:31]
; %bb.1091:                             ;   in Loop: Header=BB17_1085 Depth=2
	v_bfe_u32 v20, v28, 16, 1
	v_add3_u32 v20, v28, v20, s97
                                        ; implicit-def: $vgpr28
; %bb.1092:                             ;   in Loop: Header=BB17_1085 Depth=2
	s_andn2_saveexec_b64 s[30:31], s[26:27]
; %bb.1093:                             ;   in Loop: Header=BB17_1085 Depth=2
	v_or_b32_e32 v20, 0x10000, v28
	v_cmp_eq_u32_sdwa s[26:27], v28, v3 src0_sel:WORD_0 src1_sel:DWORD
	s_nop 1
	v_cndmask_b32_e64 v20, v20, v28, s[26:27]
; %bb.1094:                             ;   in Loop: Header=BB17_1085 Depth=2
	s_or_b64 exec, exec, s[30:31]
	v_lshlrev_b32_e32 v28, 16, v21
	v_lshlrev_b32_e32 v29, 16, v17
	v_max_f32_e32 v29, v29, v29
	v_max_f32_e32 v28, v28, v28
	v_min_f32_e32 v53, v28, v29
	v_max_f32_e32 v28, v28, v29
	v_cndmask_b32_e32 v28, v28, v53, vcc
	v_and_b32_e32 v29, 0x7f800000, v28
	v_cmp_ne_u32_e64 s[26:27], s96, v29
                                        ; implicit-def: $vgpr53
	s_and_saveexec_b64 s[30:31], s[26:27]
	s_xor_b64 s[26:27], exec, s[30:31]
; %bb.1095:                             ;   in Loop: Header=BB17_1085 Depth=2
	v_bfe_u32 v29, v28, 16, 1
	v_add3_u32 v53, v28, v29, s97
                                        ; implicit-def: $vgpr28
; %bb.1096:                             ;   in Loop: Header=BB17_1085 Depth=2
	s_andn2_saveexec_b64 s[30:31], s[26:27]
; %bb.1097:                             ;   in Loop: Header=BB17_1085 Depth=2
	v_or_b32_e32 v29, 0x10000, v28
	v_cmp_eq_u32_sdwa s[26:27], v28, v3 src0_sel:WORD_0 src1_sel:DWORD
	s_nop 1
	v_cndmask_b32_e64 v53, v29, v28, s[26:27]
; %bb.1098:                             ;   in Loop: Header=BB17_1085 Depth=2
	s_or_b64 exec, exec, s[30:31]
	v_and_b32_e32 v21, 0xffff0000, v21
	v_and_b32_e32 v28, 0xffff0000, v17
	v_max_f32_e32 v28, v28, v28
	v_max_f32_e32 v21, v21, v21
	v_min_f32_e32 v29, v21, v28
	v_max_f32_e32 v21, v21, v28
	v_cndmask_b32_e32 v28, v21, v29, vcc
	v_and_b32_e32 v21, 0x7f800000, v28
	v_cmp_ne_u32_e64 s[26:27], s96, v21
                                        ; implicit-def: $vgpr21
	s_and_saveexec_b64 s[30:31], s[26:27]
	s_xor_b64 s[26:27], exec, s[30:31]
; %bb.1099:                             ;   in Loop: Header=BB17_1085 Depth=2
	v_bfe_u32 v21, v28, 16, 1
	v_add3_u32 v21, v28, v21, s97
                                        ; implicit-def: $vgpr28
; %bb.1100:                             ;   in Loop: Header=BB17_1085 Depth=2
	s_andn2_saveexec_b64 s[30:31], s[26:27]
; %bb.1101:                             ;   in Loop: Header=BB17_1085 Depth=2
	v_or_b32_e32 v21, 0x10000, v28
	v_cmp_eq_u32_sdwa s[26:27], v28, v3 src0_sel:WORD_0 src1_sel:DWORD
	s_nop 1
	v_cndmask_b32_e64 v21, v21, v28, s[26:27]
; %bb.1102:                             ;   in Loop: Header=BB17_1085 Depth=2
	s_or_b64 exec, exec, s[30:31]
	v_lshlrev_b32_e32 v28, 16, v22
	v_lshlrev_b32_e32 v29, 16, v18
	v_max_f32_e32 v29, v29, v29
	v_max_f32_e32 v28, v28, v28
	v_min_f32_e32 v54, v28, v29
	v_max_f32_e32 v28, v28, v29
	v_cndmask_b32_e32 v28, v28, v54, vcc
	v_and_b32_e32 v29, 0x7f800000, v28
	v_cmp_ne_u32_e64 s[26:27], s96, v29
                                        ; implicit-def: $vgpr82
	s_and_saveexec_b64 s[30:31], s[26:27]
	s_xor_b64 s[26:27], exec, s[30:31]
; %bb.1103:                             ;   in Loop: Header=BB17_1085 Depth=2
	v_bfe_u32 v29, v28, 16, 1
	v_add3_u32 v82, v28, v29, s97
                                        ; implicit-def: $vgpr28
; %bb.1104:                             ;   in Loop: Header=BB17_1085 Depth=2
	s_andn2_saveexec_b64 s[30:31], s[26:27]
; %bb.1105:                             ;   in Loop: Header=BB17_1085 Depth=2
	v_or_b32_e32 v29, 0x10000, v28
	v_cmp_eq_u32_sdwa s[26:27], v28, v3 src0_sel:WORD_0 src1_sel:DWORD
	s_nop 1
	v_cndmask_b32_e64 v82, v29, v28, s[26:27]
; %bb.1106:                             ;   in Loop: Header=BB17_1085 Depth=2
	s_or_b64 exec, exec, s[30:31]
	v_and_b32_e32 v22, 0xffff0000, v22
	v_and_b32_e32 v28, 0xffff0000, v18
	v_max_f32_e32 v28, v28, v28
	v_max_f32_e32 v22, v22, v22
	v_min_f32_e32 v29, v22, v28
	v_max_f32_e32 v22, v22, v28
	v_cndmask_b32_e32 v28, v22, v29, vcc
	v_and_b32_e32 v22, 0x7f800000, v28
	v_cmp_ne_u32_e64 s[26:27], s96, v22
                                        ; implicit-def: $vgpr22
	s_and_saveexec_b64 s[30:31], s[26:27]
	s_xor_b64 s[26:27], exec, s[30:31]
; %bb.1107:                             ;   in Loop: Header=BB17_1085 Depth=2
	v_bfe_u32 v22, v28, 16, 1
	v_add3_u32 v22, v28, v22, s97
                                        ; implicit-def: $vgpr28
; %bb.1108:                             ;   in Loop: Header=BB17_1085 Depth=2
	s_andn2_saveexec_b64 s[30:31], s[26:27]
; %bb.1109:                             ;   in Loop: Header=BB17_1085 Depth=2
	v_or_b32_e32 v22, 0x10000, v28
	v_cmp_eq_u32_sdwa s[26:27], v28, v3 src0_sel:WORD_0 src1_sel:DWORD
	s_nop 1
	v_cndmask_b32_e64 v22, v22, v28, s[26:27]
; %bb.1110:                             ;   in Loop: Header=BB17_1085 Depth=2
	s_or_b64 exec, exec, s[30:31]
	v_lshlrev_b32_e32 v28, 16, v23
	v_lshlrev_b32_e32 v29, 16, v19
	v_max_f32_e32 v29, v29, v29
	v_max_f32_e32 v28, v28, v28
	v_min_f32_e32 v54, v28, v29
	v_max_f32_e32 v28, v28, v29
	v_cndmask_b32_e32 v28, v28, v54, vcc
	v_and_b32_e32 v29, 0x7f800000, v28
	v_cmp_ne_u32_e64 s[26:27], s96, v29
                                        ; implicit-def: $vgpr54
	s_and_saveexec_b64 s[30:31], s[26:27]
	s_xor_b64 s[26:27], exec, s[30:31]
; %bb.1111:                             ;   in Loop: Header=BB17_1085 Depth=2
	v_bfe_u32 v29, v28, 16, 1
	v_add3_u32 v54, v28, v29, s97
                                        ; implicit-def: $vgpr28
; %bb.1112:                             ;   in Loop: Header=BB17_1085 Depth=2
	s_andn2_saveexec_b64 s[30:31], s[26:27]
; %bb.1113:                             ;   in Loop: Header=BB17_1085 Depth=2
	v_or_b32_e32 v29, 0x10000, v28
	v_cmp_eq_u32_sdwa s[26:27], v28, v3 src0_sel:WORD_0 src1_sel:DWORD
	s_nop 1
	v_cndmask_b32_e64 v54, v29, v28, s[26:27]
; %bb.1114:                             ;   in Loop: Header=BB17_1085 Depth=2
	s_or_b64 exec, exec, s[30:31]
	v_and_b32_e32 v23, 0xffff0000, v23
	v_and_b32_e32 v28, 0xffff0000, v19
	v_max_f32_e32 v28, v28, v28
	v_max_f32_e32 v23, v23, v23
	v_min_f32_e32 v29, v23, v28
	v_max_f32_e32 v23, v23, v28
	v_cndmask_b32_e32 v28, v23, v29, vcc
	v_and_b32_e32 v23, 0x7f800000, v28
	v_cmp_ne_u32_e64 s[26:27], s96, v23
                                        ; implicit-def: $vgpr23
	s_and_saveexec_b64 s[30:31], s[26:27]
	s_xor_b64 s[26:27], exec, s[30:31]
; %bb.1115:                             ;   in Loop: Header=BB17_1085 Depth=2
	v_bfe_u32 v23, v28, 16, 1
	v_add3_u32 v23, v28, v23, s97
                                        ; implicit-def: $vgpr28
; %bb.1116:                             ;   in Loop: Header=BB17_1085 Depth=2
	s_andn2_saveexec_b64 s[30:31], s[26:27]
; %bb.1117:                             ;   in Loop: Header=BB17_1085 Depth=2
	v_or_b32_e32 v23, 0x10000, v28
	v_cmp_eq_u32_sdwa s[26:27], v28, v3 src0_sel:WORD_0 src1_sel:DWORD
	s_nop 1
	v_cndmask_b32_e64 v23, v23, v28, s[26:27]
; %bb.1118:                             ;   in Loop: Header=BB17_1085 Depth=2
	s_or_b64 exec, exec, s[30:31]
	v_lshlrev_b32_e32 v28, 16, v12
	v_lshlrev_b32_e32 v29, 16, v8
	v_max_f32_e32 v29, v29, v29
	v_max_f32_e32 v28, v28, v28
	v_min_f32_e32 v55, v28, v29
	v_max_f32_e32 v28, v28, v29
	v_cndmask_b32_e32 v28, v28, v55, vcc
	v_and_b32_e32 v29, 0x7f800000, v28
	v_cmp_ne_u32_e64 s[26:27], s96, v29
                                        ; implicit-def: $vgpr55
	s_and_saveexec_b64 s[30:31], s[26:27]
	s_xor_b64 s[26:27], exec, s[30:31]
; %bb.1119:                             ;   in Loop: Header=BB17_1085 Depth=2
	v_bfe_u32 v29, v28, 16, 1
	v_add3_u32 v55, v28, v29, s97
                                        ; implicit-def: $vgpr28
; %bb.1120:                             ;   in Loop: Header=BB17_1085 Depth=2
	s_andn2_saveexec_b64 s[30:31], s[26:27]
; %bb.1121:                             ;   in Loop: Header=BB17_1085 Depth=2
	v_or_b32_e32 v29, 0x10000, v28
	v_cmp_eq_u32_sdwa s[26:27], v28, v3 src0_sel:WORD_0 src1_sel:DWORD
	s_nop 1
	v_cndmask_b32_e64 v55, v29, v28, s[26:27]
; %bb.1122:                             ;   in Loop: Header=BB17_1085 Depth=2
	s_or_b64 exec, exec, s[30:31]
	v_and_b32_e32 v12, 0xffff0000, v12
	v_and_b32_e32 v28, 0xffff0000, v8
	v_max_f32_e32 v28, v28, v28
	v_max_f32_e32 v12, v12, v12
	v_min_f32_e32 v29, v12, v28
	v_max_f32_e32 v12, v12, v28
	v_cndmask_b32_e32 v28, v12, v29, vcc
	v_and_b32_e32 v12, 0x7f800000, v28
	v_cmp_ne_u32_e64 s[26:27], s96, v12
                                        ; implicit-def: $vgpr12
	s_and_saveexec_b64 s[30:31], s[26:27]
	s_xor_b64 s[26:27], exec, s[30:31]
; %bb.1123:                             ;   in Loop: Header=BB17_1085 Depth=2
	v_bfe_u32 v12, v28, 16, 1
	v_add3_u32 v12, v28, v12, s97
                                        ; implicit-def: $vgpr28
; %bb.1124:                             ;   in Loop: Header=BB17_1085 Depth=2
	s_andn2_saveexec_b64 s[30:31], s[26:27]
; %bb.1125:                             ;   in Loop: Header=BB17_1085 Depth=2
	v_or_b32_e32 v12, 0x10000, v28
	v_cmp_eq_u32_sdwa s[26:27], v28, v3 src0_sel:WORD_0 src1_sel:DWORD
	s_nop 1
	v_cndmask_b32_e64 v12, v12, v28, s[26:27]
; %bb.1126:                             ;   in Loop: Header=BB17_1085 Depth=2
	s_or_b64 exec, exec, s[30:31]
	v_lshlrev_b32_e32 v28, 16, v13
	v_lshlrev_b32_e32 v29, 16, v9
	v_max_f32_e32 v29, v29, v29
	v_max_f32_e32 v28, v28, v28
	v_min_f32_e32 v98, v28, v29
	v_max_f32_e32 v28, v28, v29
	v_cndmask_b32_e32 v29, v28, v98, vcc
	v_and_b32_e32 v28, 0x7f800000, v29
	v_cmp_ne_u32_e64 s[26:27], s96, v28
                                        ; implicit-def: $vgpr28
	s_and_saveexec_b64 s[30:31], s[26:27]
	s_xor_b64 s[26:27], exec, s[30:31]
; %bb.1127:                             ;   in Loop: Header=BB17_1085 Depth=2
	v_bfe_u32 v28, v29, 16, 1
	v_add3_u32 v28, v29, v28, s97
                                        ; implicit-def: $vgpr29
; %bb.1128:                             ;   in Loop: Header=BB17_1085 Depth=2
	s_andn2_saveexec_b64 s[30:31], s[26:27]
; %bb.1129:                             ;   in Loop: Header=BB17_1085 Depth=2
	v_or_b32_e32 v28, 0x10000, v29
	v_cmp_eq_u32_sdwa s[26:27], v29, v3 src0_sel:WORD_0 src1_sel:DWORD
	s_nop 1
	v_cndmask_b32_e64 v28, v28, v29, s[26:27]
; %bb.1130:                             ;   in Loop: Header=BB17_1085 Depth=2
	s_or_b64 exec, exec, s[30:31]
	v_and_b32_e32 v13, 0xffff0000, v13
	v_and_b32_e32 v29, 0xffff0000, v9
	v_max_f32_e32 v29, v29, v29
	v_max_f32_e32 v13, v13, v13
	v_min_f32_e32 v98, v13, v29
	v_max_f32_e32 v13, v13, v29
	v_cndmask_b32_e32 v29, v13, v98, vcc
	v_and_b32_e32 v13, 0x7f800000, v29
	v_cmp_ne_u32_e64 s[26:27], s96, v13
                                        ; implicit-def: $vgpr13
	s_and_saveexec_b64 s[30:31], s[26:27]
	s_xor_b64 s[26:27], exec, s[30:31]
; %bb.1131:                             ;   in Loop: Header=BB17_1085 Depth=2
	v_bfe_u32 v13, v29, 16, 1
	v_add3_u32 v13, v29, v13, s97
                                        ; implicit-def: $vgpr29
; %bb.1132:                             ;   in Loop: Header=BB17_1085 Depth=2
	s_andn2_saveexec_b64 s[30:31], s[26:27]
; %bb.1133:                             ;   in Loop: Header=BB17_1085 Depth=2
	v_or_b32_e32 v13, 0x10000, v29
	v_cmp_eq_u32_sdwa s[26:27], v29, v3 src0_sel:WORD_0 src1_sel:DWORD
	s_nop 1
	v_cndmask_b32_e64 v13, v13, v29, s[26:27]
; %bb.1134:                             ;   in Loop: Header=BB17_1085 Depth=2
	s_or_b64 exec, exec, s[30:31]
	v_lshlrev_b32_e32 v29, 16, v14
	v_lshlrev_b32_e32 v98, 16, v10
	v_max_f32_e32 v98, v98, v98
	v_max_f32_e32 v29, v29, v29
	v_min_f32_e32 v99, v29, v98
	v_max_f32_e32 v29, v29, v98
	v_cndmask_b32_e32 v98, v29, v99, vcc
	v_and_b32_e32 v29, 0x7f800000, v98
	v_cmp_ne_u32_e64 s[26:27], s96, v29
                                        ; implicit-def: $vgpr29
	s_and_saveexec_b64 s[30:31], s[26:27]
	s_xor_b64 s[26:27], exec, s[30:31]
; %bb.1135:                             ;   in Loop: Header=BB17_1085 Depth=2
	v_bfe_u32 v29, v98, 16, 1
	v_add3_u32 v29, v98, v29, s97
                                        ; implicit-def: $vgpr98
; %bb.1136:                             ;   in Loop: Header=BB17_1085 Depth=2
	s_andn2_saveexec_b64 s[30:31], s[26:27]
; %bb.1137:                             ;   in Loop: Header=BB17_1085 Depth=2
	v_or_b32_e32 v29, 0x10000, v98
	v_cmp_eq_u32_sdwa s[26:27], v98, v3 src0_sel:WORD_0 src1_sel:DWORD
	s_nop 1
	v_cndmask_b32_e64 v29, v29, v98, s[26:27]
; %bb.1138:                             ;   in Loop: Header=BB17_1085 Depth=2
	s_or_b64 exec, exec, s[30:31]
	v_and_b32_e32 v14, 0xffff0000, v14
	v_and_b32_e32 v98, 0xffff0000, v10
	v_max_f32_e32 v98, v98, v98
	v_max_f32_e32 v14, v14, v14
	v_min_f32_e32 v99, v14, v98
	v_max_f32_e32 v14, v14, v98
	v_cndmask_b32_e32 v98, v14, v99, vcc
	v_and_b32_e32 v14, 0x7f800000, v98
	v_cmp_ne_u32_e64 s[26:27], s96, v14
                                        ; implicit-def: $vgpr14
	s_and_saveexec_b64 s[30:31], s[26:27]
	s_xor_b64 s[26:27], exec, s[30:31]
; %bb.1139:                             ;   in Loop: Header=BB17_1085 Depth=2
	v_bfe_u32 v14, v98, 16, 1
	v_add3_u32 v14, v98, v14, s97
                                        ; implicit-def: $vgpr98
; %bb.1140:                             ;   in Loop: Header=BB17_1085 Depth=2
	s_andn2_saveexec_b64 s[30:31], s[26:27]
; %bb.1141:                             ;   in Loop: Header=BB17_1085 Depth=2
	v_or_b32_e32 v14, 0x10000, v98
	v_cmp_eq_u32_sdwa s[26:27], v98, v3 src0_sel:WORD_0 src1_sel:DWORD
	s_nop 1
	v_cndmask_b32_e64 v14, v14, v98, s[26:27]
; %bb.1142:                             ;   in Loop: Header=BB17_1085 Depth=2
	s_or_b64 exec, exec, s[30:31]
	v_lshlrev_b32_e32 v98, 16, v15
	v_lshlrev_b32_e32 v99, 16, v11
	v_max_f32_e32 v99, v99, v99
	v_max_f32_e32 v98, v98, v98
	v_min_f32_e32 v2, v98, v99
	v_max_f32_e32 v98, v98, v99
	v_cndmask_b32_e32 v99, v98, v2, vcc
	v_and_b32_e32 v2, 0x7f800000, v99
	v_cmp_ne_u32_e64 s[26:27], s96, v2
                                        ; implicit-def: $vgpr98
	s_and_saveexec_b64 s[30:31], s[26:27]
	s_xor_b64 s[26:27], exec, s[30:31]
; %bb.1143:                             ;   in Loop: Header=BB17_1085 Depth=2
	v_bfe_u32 v2, v99, 16, 1
	v_add3_u32 v98, v99, v2, s97
                                        ; implicit-def: $vgpr99
; %bb.1144:                             ;   in Loop: Header=BB17_1085 Depth=2
	s_andn2_saveexec_b64 s[30:31], s[26:27]
; %bb.1145:                             ;   in Loop: Header=BB17_1085 Depth=2
	v_or_b32_e32 v2, 0x10000, v99
	v_cmp_eq_u32_sdwa s[26:27], v99, v3 src0_sel:WORD_0 src1_sel:DWORD
	s_nop 1
	v_cndmask_b32_e64 v98, v2, v99, s[26:27]
; %bb.1146:                             ;   in Loop: Header=BB17_1085 Depth=2
	s_or_b64 exec, exec, s[30:31]
	v_and_b32_e32 v2, 0xffff0000, v15
	v_and_b32_e32 v15, 0xffff0000, v11
	v_max_f32_e32 v15, v15, v15
	v_max_f32_e32 v2, v2, v2
	v_min_f32_e32 v99, v2, v15
	v_max_f32_e32 v2, v2, v15
	v_cndmask_b32_e32 v99, v2, v99, vcc
	v_and_b32_e32 v2, 0x7f800000, v99
	v_cmp_ne_u32_e64 s[26:27], s96, v2
                                        ; implicit-def: $vgpr15
	s_and_saveexec_b64 s[30:31], s[26:27]
	s_xor_b64 s[26:27], exec, s[30:31]
; %bb.1147:                             ;   in Loop: Header=BB17_1085 Depth=2
	v_bfe_u32 v2, v99, 16, 1
	v_add3_u32 v15, v99, v2, s97
                                        ; implicit-def: $vgpr99
; %bb.1148:                             ;   in Loop: Header=BB17_1085 Depth=2
	s_andn2_saveexec_b64 s[30:31], s[26:27]
; %bb.1149:                             ;   in Loop: Header=BB17_1085 Depth=2
	v_or_b32_e32 v2, 0x10000, v99
	v_cmp_eq_u32_sdwa s[26:27], v99, v3 src0_sel:WORD_0 src1_sel:DWORD
	s_nop 1
	v_cndmask_b32_e64 v15, v2, v99, s[26:27]
; %bb.1150:                             ;   in Loop: Header=BB17_1085 Depth=2
	s_or_b64 exec, exec, s[30:31]
	v_lshrrev_b32_e32 v2, 16, v53
	v_and_or_b32 v21, v21, s46, v2
	v_lshrrev_b32_e32 v2, 16, v52
	v_and_or_b32 v20, v20, s46, v2
	;; [unrolled: 2-line block ×8, first 2 shown]
	global_store_dwordx4 v[88:89], v[20:23], off
	global_store_dwordx4 v[88:89], v[12:15], off offset:1024
	global_store_dwordx4 v[78:79], v[20:23], off
	global_store_dwordx4 v[78:79], v[12:15], off offset:1024
	v_lshl_add_u64 v[88:89], v[88:89], 0, v[40:41]
	v_lshl_add_u64 v[78:79], v[78:79], 0, v[40:41]
.LBB17_1151:                            ;   in Loop: Header=BB17_1085 Depth=2
	s_or_b64 exec, exec, s[34:35]
	v_sub_u32_e32 v124, v124, v84
	v_lshl_add_u64 v[90:91], v[90:91], 0, v[40:41]
	v_lshl_add_u64 v[92:93], v[92:93], 0, v[40:41]
	v_cmp_lt_i32_e64 s[30:31], 0, v124
	s_and_saveexec_b64 s[26:27], s[30:31]
	s_cbranch_execz .LBB17_1153
; %bb.1152:                             ;   in Loop: Header=BB17_1085 Depth=2
	global_load_dwordx4 v[20:23], v[90:91], off nt
	global_load_dwordx4 v[12:15], v[90:91], off offset:1024 nt
	global_load_dwordx4 v[16:19], v[92:93], off nt
	global_load_dwordx4 v[8:11], v[92:93], off offset:1024 nt
	v_lshl_add_u64 v[90:91], v[90:91], 0, s[74:75]
	v_lshl_add_u64 v[92:93], v[92:93], 0, s[74:75]
.LBB17_1153:                            ;   in Loop: Header=BB17_1085 Depth=2
	s_or_b64 exec, exec, s[26:27]
	s_waitcnt vmcnt(0)
	v_lshlrev_b32_e32 v2, 16, v36
	v_lshlrev_b32_e32 v28, 16, v48
	v_max_f32_e32 v28, v28, v28
	v_max_f32_e32 v2, v2, v2
	v_min_f32_e32 v29, v2, v28
	v_max_f32_e32 v2, v2, v28
	v_cndmask_b32_e32 v28, v2, v29, vcc
	v_and_b32_e32 v2, 0x7f800000, v28
	v_cmp_ne_u32_e64 s[26:27], s96, v2
                                        ; implicit-def: $vgpr52
	s_and_saveexec_b64 s[34:35], s[26:27]
	s_xor_b64 s[26:27], exec, s[34:35]
; %bb.1154:                             ;   in Loop: Header=BB17_1085 Depth=2
	v_bfe_u32 v2, v28, 16, 1
	v_add3_u32 v52, v28, v2, s97
                                        ; implicit-def: $vgpr28
; %bb.1155:                             ;   in Loop: Header=BB17_1085 Depth=2
	s_andn2_saveexec_b64 s[34:35], s[26:27]
; %bb.1156:                             ;   in Loop: Header=BB17_1085 Depth=2
	v_or_b32_e32 v2, 0x10000, v28
	v_cmp_eq_u32_sdwa s[26:27], v28, v3 src0_sel:WORD_0 src1_sel:DWORD
	s_nop 1
	v_cndmask_b32_e64 v52, v2, v28, s[26:27]
; %bb.1157:                             ;   in Loop: Header=BB17_1085 Depth=2
	s_or_b64 exec, exec, s[34:35]
	v_and_b32_e32 v2, 0xffff0000, v36
	v_and_b32_e32 v28, 0xffff0000, v48
	v_max_f32_e32 v28, v28, v28
	v_max_f32_e32 v2, v2, v2
	v_min_f32_e32 v29, v2, v28
	v_max_f32_e32 v2, v2, v28
	v_cndmask_b32_e32 v28, v2, v29, vcc
	v_and_b32_e32 v2, 0x7f800000, v28
	v_cmp_ne_u32_e64 s[26:27], s96, v2
                                        ; implicit-def: $vgpr36
	s_and_saveexec_b64 s[34:35], s[26:27]
	s_xor_b64 s[26:27], exec, s[34:35]
; %bb.1158:                             ;   in Loop: Header=BB17_1085 Depth=2
	v_bfe_u32 v2, v28, 16, 1
	v_add3_u32 v36, v28, v2, s97
                                        ; implicit-def: $vgpr28
; %bb.1159:                             ;   in Loop: Header=BB17_1085 Depth=2
	s_andn2_saveexec_b64 s[34:35], s[26:27]
; %bb.1160:                             ;   in Loop: Header=BB17_1085 Depth=2
	v_or_b32_e32 v2, 0x10000, v28
	v_cmp_eq_u32_sdwa s[26:27], v28, v3 src0_sel:WORD_0 src1_sel:DWORD
	s_nop 1
	v_cndmask_b32_e64 v36, v2, v28, s[26:27]
; %bb.1161:                             ;   in Loop: Header=BB17_1085 Depth=2
	s_or_b64 exec, exec, s[34:35]
	v_lshlrev_b32_e32 v2, 16, v37
	v_lshlrev_b32_e32 v28, 16, v49
	v_max_f32_e32 v28, v28, v28
	v_max_f32_e32 v2, v2, v2
	v_min_f32_e32 v29, v2, v28
	v_max_f32_e32 v2, v2, v28
	v_cndmask_b32_e32 v28, v2, v29, vcc
	v_and_b32_e32 v2, 0x7f800000, v28
	v_cmp_ne_u32_e64 s[26:27], s96, v2
                                        ; implicit-def: $vgpr48
	s_and_saveexec_b64 s[34:35], s[26:27]
	s_xor_b64 s[26:27], exec, s[34:35]
; %bb.1162:                             ;   in Loop: Header=BB17_1085 Depth=2
	v_bfe_u32 v2, v28, 16, 1
	v_add3_u32 v48, v28, v2, s97
                                        ; implicit-def: $vgpr28
; %bb.1163:                             ;   in Loop: Header=BB17_1085 Depth=2
	s_andn2_saveexec_b64 s[34:35], s[26:27]
; %bb.1164:                             ;   in Loop: Header=BB17_1085 Depth=2
	v_or_b32_e32 v2, 0x10000, v28
	v_cmp_eq_u32_sdwa s[26:27], v28, v3 src0_sel:WORD_0 src1_sel:DWORD
	s_nop 1
	v_cndmask_b32_e64 v48, v2, v28, s[26:27]
; %bb.1165:                             ;   in Loop: Header=BB17_1085 Depth=2
	s_or_b64 exec, exec, s[34:35]
	v_and_b32_e32 v2, 0xffff0000, v37
	v_and_b32_e32 v28, 0xffff0000, v49
	v_max_f32_e32 v28, v28, v28
	v_max_f32_e32 v2, v2, v2
	v_min_f32_e32 v29, v2, v28
	v_max_f32_e32 v2, v2, v28
	v_cndmask_b32_e32 v28, v2, v29, vcc
	v_and_b32_e32 v2, 0x7f800000, v28
	v_cmp_ne_u32_e64 s[26:27], s96, v2
                                        ; implicit-def: $vgpr37
	s_and_saveexec_b64 s[34:35], s[26:27]
	s_xor_b64 s[26:27], exec, s[34:35]
; %bb.1166:                             ;   in Loop: Header=BB17_1085 Depth=2
	v_bfe_u32 v2, v28, 16, 1
	v_add3_u32 v37, v28, v2, s97
                                        ; implicit-def: $vgpr28
; %bb.1167:                             ;   in Loop: Header=BB17_1085 Depth=2
	s_andn2_saveexec_b64 s[34:35], s[26:27]
; %bb.1168:                             ;   in Loop: Header=BB17_1085 Depth=2
	v_or_b32_e32 v2, 0x10000, v28
	v_cmp_eq_u32_sdwa s[26:27], v28, v3 src0_sel:WORD_0 src1_sel:DWORD
	s_nop 1
	v_cndmask_b32_e64 v37, v2, v28, s[26:27]
; %bb.1169:                             ;   in Loop: Header=BB17_1085 Depth=2
	s_or_b64 exec, exec, s[34:35]
	v_lshlrev_b32_e32 v2, 16, v38
	v_lshlrev_b32_e32 v28, 16, v50
	v_max_f32_e32 v28, v28, v28
	v_max_f32_e32 v2, v2, v2
	v_min_f32_e32 v29, v2, v28
	v_max_f32_e32 v2, v2, v28
	v_cndmask_b32_e32 v28, v2, v29, vcc
	v_and_b32_e32 v2, 0x7f800000, v28
	v_cmp_ne_u32_e64 s[26:27], s96, v2
                                        ; implicit-def: $vgpr49
	s_and_saveexec_b64 s[34:35], s[26:27]
	s_xor_b64 s[26:27], exec, s[34:35]
; %bb.1170:                             ;   in Loop: Header=BB17_1085 Depth=2
	v_bfe_u32 v2, v28, 16, 1
	v_add3_u32 v49, v28, v2, s97
                                        ; implicit-def: $vgpr28
; %bb.1171:                             ;   in Loop: Header=BB17_1085 Depth=2
	s_andn2_saveexec_b64 s[34:35], s[26:27]
; %bb.1172:                             ;   in Loop: Header=BB17_1085 Depth=2
	v_or_b32_e32 v2, 0x10000, v28
	v_cmp_eq_u32_sdwa s[26:27], v28, v3 src0_sel:WORD_0 src1_sel:DWORD
	s_nop 1
	v_cndmask_b32_e64 v49, v2, v28, s[26:27]
; %bb.1173:                             ;   in Loop: Header=BB17_1085 Depth=2
	s_or_b64 exec, exec, s[34:35]
	v_and_b32_e32 v2, 0xffff0000, v38
	v_and_b32_e32 v28, 0xffff0000, v50
	v_max_f32_e32 v28, v28, v28
	v_max_f32_e32 v2, v2, v2
	v_min_f32_e32 v29, v2, v28
	v_max_f32_e32 v2, v2, v28
	v_cndmask_b32_e32 v28, v2, v29, vcc
	v_and_b32_e32 v2, 0x7f800000, v28
	v_cmp_ne_u32_e64 s[26:27], s96, v2
                                        ; implicit-def: $vgpr38
	s_and_saveexec_b64 s[34:35], s[26:27]
	s_xor_b64 s[26:27], exec, s[34:35]
; %bb.1174:                             ;   in Loop: Header=BB17_1085 Depth=2
	v_bfe_u32 v2, v28, 16, 1
	v_add3_u32 v38, v28, v2, s97
                                        ; implicit-def: $vgpr28
; %bb.1175:                             ;   in Loop: Header=BB17_1085 Depth=2
	s_andn2_saveexec_b64 s[34:35], s[26:27]
; %bb.1176:                             ;   in Loop: Header=BB17_1085 Depth=2
	v_or_b32_e32 v2, 0x10000, v28
	v_cmp_eq_u32_sdwa s[26:27], v28, v3 src0_sel:WORD_0 src1_sel:DWORD
	s_nop 1
	v_cndmask_b32_e64 v38, v2, v28, s[26:27]
; %bb.1177:                             ;   in Loop: Header=BB17_1085 Depth=2
	s_or_b64 exec, exec, s[34:35]
	v_lshlrev_b32_e32 v2, 16, v39
	v_lshlrev_b32_e32 v28, 16, v51
	v_max_f32_e32 v28, v28, v28
	v_max_f32_e32 v2, v2, v2
	v_min_f32_e32 v29, v2, v28
	v_max_f32_e32 v2, v2, v28
	v_cndmask_b32_e32 v28, v2, v29, vcc
	v_and_b32_e32 v2, 0x7f800000, v28
	v_cmp_ne_u32_e64 s[26:27], s96, v2
                                        ; implicit-def: $vgpr50
	s_and_saveexec_b64 s[34:35], s[26:27]
	s_xor_b64 s[26:27], exec, s[34:35]
; %bb.1178:                             ;   in Loop: Header=BB17_1085 Depth=2
	v_bfe_u32 v2, v28, 16, 1
	v_add3_u32 v50, v28, v2, s97
                                        ; implicit-def: $vgpr28
; %bb.1179:                             ;   in Loop: Header=BB17_1085 Depth=2
	s_andn2_saveexec_b64 s[34:35], s[26:27]
; %bb.1180:                             ;   in Loop: Header=BB17_1085 Depth=2
	v_or_b32_e32 v2, 0x10000, v28
	v_cmp_eq_u32_sdwa s[26:27], v28, v3 src0_sel:WORD_0 src1_sel:DWORD
	s_nop 1
	v_cndmask_b32_e64 v50, v2, v28, s[26:27]
; %bb.1181:                             ;   in Loop: Header=BB17_1085 Depth=2
	s_or_b64 exec, exec, s[34:35]
	v_and_b32_e32 v2, 0xffff0000, v39
	v_and_b32_e32 v28, 0xffff0000, v51
	v_max_f32_e32 v28, v28, v28
	v_max_f32_e32 v2, v2, v2
	v_min_f32_e32 v29, v2, v28
	v_max_f32_e32 v2, v2, v28
	v_cndmask_b32_e32 v28, v2, v29, vcc
	v_and_b32_e32 v2, 0x7f800000, v28
	v_cmp_ne_u32_e64 s[26:27], s96, v2
                                        ; implicit-def: $vgpr39
	s_and_saveexec_b64 s[34:35], s[26:27]
	s_xor_b64 s[26:27], exec, s[34:35]
; %bb.1182:                             ;   in Loop: Header=BB17_1085 Depth=2
	v_bfe_u32 v2, v28, 16, 1
	v_add3_u32 v39, v28, v2, s97
                                        ; implicit-def: $vgpr28
; %bb.1183:                             ;   in Loop: Header=BB17_1085 Depth=2
	s_andn2_saveexec_b64 s[34:35], s[26:27]
; %bb.1184:                             ;   in Loop: Header=BB17_1085 Depth=2
	v_or_b32_e32 v2, 0x10000, v28
	v_cmp_eq_u32_sdwa s[26:27], v28, v3 src0_sel:WORD_0 src1_sel:DWORD
	s_nop 1
	v_cndmask_b32_e64 v39, v2, v28, s[26:27]
; %bb.1185:                             ;   in Loop: Header=BB17_1085 Depth=2
	s_or_b64 exec, exec, s[34:35]
	v_lshlrev_b32_e32 v2, 16, v24
	v_lshlrev_b32_e32 v28, 16, v32
	v_max_f32_e32 v28, v28, v28
	v_max_f32_e32 v2, v2, v2
	v_min_f32_e32 v29, v2, v28
	v_max_f32_e32 v2, v2, v28
	v_cndmask_b32_e32 v28, v2, v29, vcc
	v_and_b32_e32 v2, 0x7f800000, v28
	v_cmp_ne_u32_e64 s[26:27], s96, v2
                                        ; implicit-def: $vgpr51
	s_and_saveexec_b64 s[34:35], s[26:27]
	s_xor_b64 s[26:27], exec, s[34:35]
; %bb.1186:                             ;   in Loop: Header=BB17_1085 Depth=2
	v_bfe_u32 v2, v28, 16, 1
	v_add3_u32 v51, v28, v2, s97
                                        ; implicit-def: $vgpr28
; %bb.1187:                             ;   in Loop: Header=BB17_1085 Depth=2
	s_andn2_saveexec_b64 s[34:35], s[26:27]
; %bb.1188:                             ;   in Loop: Header=BB17_1085 Depth=2
	v_or_b32_e32 v2, 0x10000, v28
	v_cmp_eq_u32_sdwa s[26:27], v28, v3 src0_sel:WORD_0 src1_sel:DWORD
	s_nop 1
	v_cndmask_b32_e64 v51, v2, v28, s[26:27]
; %bb.1189:                             ;   in Loop: Header=BB17_1085 Depth=2
	s_or_b64 exec, exec, s[34:35]
	v_and_b32_e32 v2, 0xffff0000, v24
	v_and_b32_e32 v24, 0xffff0000, v32
	v_max_f32_e32 v24, v24, v24
	v_max_f32_e32 v2, v2, v2
	v_min_f32_e32 v28, v2, v24
	v_max_f32_e32 v2, v2, v24
	v_cndmask_b32_e32 v28, v2, v28, vcc
	v_and_b32_e32 v2, 0x7f800000, v28
	v_cmp_ne_u32_e64 s[26:27], s96, v2
                                        ; implicit-def: $vgpr24
	s_and_saveexec_b64 s[34:35], s[26:27]
	s_xor_b64 s[26:27], exec, s[34:35]
; %bb.1190:                             ;   in Loop: Header=BB17_1085 Depth=2
	v_bfe_u32 v2, v28, 16, 1
	v_add3_u32 v24, v28, v2, s97
                                        ; implicit-def: $vgpr28
; %bb.1191:                             ;   in Loop: Header=BB17_1085 Depth=2
	s_andn2_saveexec_b64 s[34:35], s[26:27]
; %bb.1192:                             ;   in Loop: Header=BB17_1085 Depth=2
	v_or_b32_e32 v2, 0x10000, v28
	v_cmp_eq_u32_sdwa s[26:27], v28, v3 src0_sel:WORD_0 src1_sel:DWORD
	s_nop 1
	v_cndmask_b32_e64 v24, v2, v28, s[26:27]
; %bb.1193:                             ;   in Loop: Header=BB17_1085 Depth=2
	s_or_b64 exec, exec, s[34:35]
	v_lshlrev_b32_e32 v2, 16, v25
	v_lshlrev_b32_e32 v28, 16, v33
	v_max_f32_e32 v28, v28, v28
	v_max_f32_e32 v2, v2, v2
	v_min_f32_e32 v29, v2, v28
	v_max_f32_e32 v2, v2, v28
	v_cndmask_b32_e32 v29, v2, v29, vcc
	v_and_b32_e32 v2, 0x7f800000, v29
	v_cmp_ne_u32_e64 s[26:27], s96, v2
                                        ; implicit-def: $vgpr28
	s_and_saveexec_b64 s[34:35], s[26:27]
	s_xor_b64 s[26:27], exec, s[34:35]
; %bb.1194:                             ;   in Loop: Header=BB17_1085 Depth=2
	v_bfe_u32 v2, v29, 16, 1
	v_add3_u32 v28, v29, v2, s97
                                        ; implicit-def: $vgpr29
; %bb.1195:                             ;   in Loop: Header=BB17_1085 Depth=2
	s_andn2_saveexec_b64 s[34:35], s[26:27]
; %bb.1196:                             ;   in Loop: Header=BB17_1085 Depth=2
	v_or_b32_e32 v2, 0x10000, v29
	v_cmp_eq_u32_sdwa s[26:27], v29, v3 src0_sel:WORD_0 src1_sel:DWORD
	s_nop 1
	v_cndmask_b32_e64 v28, v2, v29, s[26:27]
; %bb.1197:                             ;   in Loop: Header=BB17_1085 Depth=2
	s_or_b64 exec, exec, s[34:35]
	v_and_b32_e32 v2, 0xffff0000, v25
	v_and_b32_e32 v25, 0xffff0000, v33
	v_max_f32_e32 v25, v25, v25
	v_max_f32_e32 v2, v2, v2
	v_min_f32_e32 v29, v2, v25
	v_max_f32_e32 v2, v2, v25
	v_cndmask_b32_e32 v29, v2, v29, vcc
	v_and_b32_e32 v2, 0x7f800000, v29
	v_cmp_ne_u32_e64 s[26:27], s96, v2
                                        ; implicit-def: $vgpr25
	s_and_saveexec_b64 s[34:35], s[26:27]
	s_xor_b64 s[26:27], exec, s[34:35]
; %bb.1198:                             ;   in Loop: Header=BB17_1085 Depth=2
	v_bfe_u32 v2, v29, 16, 1
	v_add3_u32 v25, v29, v2, s97
                                        ; implicit-def: $vgpr29
; %bb.1199:                             ;   in Loop: Header=BB17_1085 Depth=2
	s_andn2_saveexec_b64 s[34:35], s[26:27]
; %bb.1200:                             ;   in Loop: Header=BB17_1085 Depth=2
	v_or_b32_e32 v2, 0x10000, v29
	v_cmp_eq_u32_sdwa s[26:27], v29, v3 src0_sel:WORD_0 src1_sel:DWORD
	s_nop 1
	v_cndmask_b32_e64 v25, v2, v29, s[26:27]
; %bb.1201:                             ;   in Loop: Header=BB17_1085 Depth=2
	s_or_b64 exec, exec, s[34:35]
	v_lshlrev_b32_e32 v2, 16, v26
	v_lshlrev_b32_e32 v29, 16, v34
	v_max_f32_e32 v29, v29, v29
	v_max_f32_e32 v2, v2, v2
	v_min_f32_e32 v32, v2, v29
	v_max_f32_e32 v2, v2, v29
	v_cndmask_b32_e32 v32, v2, v32, vcc
	v_and_b32_e32 v2, 0x7f800000, v32
	v_cmp_ne_u32_e64 s[26:27], s96, v2
                                        ; implicit-def: $vgpr29
	s_and_saveexec_b64 s[34:35], s[26:27]
	s_xor_b64 s[26:27], exec, s[34:35]
; %bb.1202:                             ;   in Loop: Header=BB17_1085 Depth=2
	v_bfe_u32 v2, v32, 16, 1
	v_add3_u32 v29, v32, v2, s97
                                        ; implicit-def: $vgpr32
; %bb.1203:                             ;   in Loop: Header=BB17_1085 Depth=2
	s_andn2_saveexec_b64 s[34:35], s[26:27]
; %bb.1204:                             ;   in Loop: Header=BB17_1085 Depth=2
	v_or_b32_e32 v2, 0x10000, v32
	v_cmp_eq_u32_sdwa s[26:27], v32, v3 src0_sel:WORD_0 src1_sel:DWORD
	s_nop 1
	v_cndmask_b32_e64 v29, v2, v32, s[26:27]
; %bb.1205:                             ;   in Loop: Header=BB17_1085 Depth=2
	s_or_b64 exec, exec, s[34:35]
	v_and_b32_e32 v2, 0xffff0000, v26
	v_and_b32_e32 v26, 0xffff0000, v34
	v_max_f32_e32 v26, v26, v26
	v_max_f32_e32 v2, v2, v2
	v_min_f32_e32 v32, v2, v26
	v_max_f32_e32 v2, v2, v26
	v_cndmask_b32_e32 v32, v2, v32, vcc
	v_and_b32_e32 v2, 0x7f800000, v32
	v_cmp_ne_u32_e64 s[26:27], s96, v2
                                        ; implicit-def: $vgpr26
	s_and_saveexec_b64 s[34:35], s[26:27]
	s_xor_b64 s[26:27], exec, s[34:35]
; %bb.1206:                             ;   in Loop: Header=BB17_1085 Depth=2
	v_bfe_u32 v2, v32, 16, 1
	v_add3_u32 v26, v32, v2, s97
                                        ; implicit-def: $vgpr32
; %bb.1207:                             ;   in Loop: Header=BB17_1085 Depth=2
	s_andn2_saveexec_b64 s[34:35], s[26:27]
; %bb.1208:                             ;   in Loop: Header=BB17_1085 Depth=2
	v_or_b32_e32 v2, 0x10000, v32
	v_cmp_eq_u32_sdwa s[26:27], v32, v3 src0_sel:WORD_0 src1_sel:DWORD
	s_nop 1
	v_cndmask_b32_e64 v26, v2, v32, s[26:27]
; %bb.1209:                             ;   in Loop: Header=BB17_1085 Depth=2
	s_or_b64 exec, exec, s[34:35]
	v_lshlrev_b32_e32 v2, 16, v27
	v_lshlrev_b32_e32 v32, 16, v35
	v_max_f32_e32 v32, v32, v32
	v_max_f32_e32 v2, v2, v2
	v_min_f32_e32 v33, v2, v32
	v_max_f32_e32 v2, v2, v32
	v_cndmask_b32_e32 v33, v2, v33, vcc
	v_and_b32_e32 v2, 0x7f800000, v33
	v_cmp_ne_u32_e64 s[26:27], s96, v2
                                        ; implicit-def: $vgpr32
	s_and_saveexec_b64 s[34:35], s[26:27]
	s_xor_b64 s[26:27], exec, s[34:35]
; %bb.1210:                             ;   in Loop: Header=BB17_1085 Depth=2
	v_bfe_u32 v2, v33, 16, 1
	v_add3_u32 v32, v33, v2, s97
                                        ; implicit-def: $vgpr33
; %bb.1211:                             ;   in Loop: Header=BB17_1085 Depth=2
	s_andn2_saveexec_b64 s[34:35], s[26:27]
; %bb.1212:                             ;   in Loop: Header=BB17_1085 Depth=2
	v_or_b32_e32 v2, 0x10000, v33
	v_cmp_eq_u32_sdwa s[26:27], v33, v3 src0_sel:WORD_0 src1_sel:DWORD
	s_nop 1
	v_cndmask_b32_e64 v32, v2, v33, s[26:27]
; %bb.1213:                             ;   in Loop: Header=BB17_1085 Depth=2
	s_or_b64 exec, exec, s[34:35]
	v_and_b32_e32 v2, 0xffff0000, v27
	v_and_b32_e32 v27, 0xffff0000, v35
	v_max_f32_e32 v27, v27, v27
	v_max_f32_e32 v2, v2, v2
	v_min_f32_e32 v33, v2, v27
	v_max_f32_e32 v2, v2, v27
	v_cndmask_b32_e32 v33, v2, v33, vcc
	v_and_b32_e32 v2, 0x7f800000, v33
	v_cmp_ne_u32_e64 s[26:27], s96, v2
                                        ; implicit-def: $vgpr27
	s_and_saveexec_b64 s[34:35], s[26:27]
	s_xor_b64 s[26:27], exec, s[34:35]
; %bb.1214:                             ;   in Loop: Header=BB17_1085 Depth=2
	v_bfe_u32 v2, v33, 16, 1
	v_add3_u32 v27, v33, v2, s97
                                        ; implicit-def: $vgpr33
; %bb.1215:                             ;   in Loop: Header=BB17_1085 Depth=2
	s_andn2_saveexec_b64 s[34:35], s[26:27]
; %bb.1216:                             ;   in Loop: Header=BB17_1085 Depth=2
	v_or_b32_e32 v2, 0x10000, v33
	v_cmp_eq_u32_sdwa s[26:27], v33, v3 src0_sel:WORD_0 src1_sel:DWORD
	s_nop 1
	v_cndmask_b32_e64 v27, v2, v33, s[26:27]
; %bb.1217:                             ;   in Loop: Header=BB17_1085 Depth=2
	s_or_b64 exec, exec, s[34:35]
	v_lshrrev_b32_e32 v2, 16, v48
	v_and_or_b32 v35, v37, s46, v2
	v_lshrrev_b32_e32 v2, 16, v52
	v_and_or_b32 v34, v36, s46, v2
	;; [unrolled: 2-line block ×8, first 2 shown]
	global_store_dwordx4 v[88:89], v[34:37], off
	global_store_dwordx4 v[88:89], v[24:27], off offset:1024
	v_lshl_add_u64 v[88:89], v[88:89], 0, s[74:75]
	global_store_dwordx4 v[78:79], v[34:37], off
	global_store_dwordx4 v[78:79], v[24:27], off offset:1024
	v_lshl_add_u64 v[78:79], v[78:79], 0, s[74:75]
	s_and_saveexec_b64 s[26:27], s[30:31]
	s_cbranch_execz .LBB17_1084
; %bb.1218:                             ;   in Loop: Header=BB17_1085 Depth=2
	v_lshl_add_u64 v[88:89], v[88:89], 0, v[112:113]
	v_lshl_add_u64 v[78:79], v[78:79], 0, v[112:113]
	;; [unrolled: 1-line block ×4, first 2 shown]
	v_sub_u32_e32 v124, v124, v84
	s_branch .LBB17_1084
.LBB17_1219:                            ;   in Loop: Header=BB17_47 Depth=1
	s_mov_b64 s[26:27], 0
	s_and_saveexec_b64 s[28:29], s[6:7]
	s_cbranch_execnz .LBB17_2023
	s_branch .LBB17_2041
.LBB17_1220:                            ;   in Loop: Header=BB17_47 Depth=1
	s_mov_b64 s[94:95], 0
                                        ; implicit-def: $sgpr44
	s_andn2_b64 vcc, exec, s[28:29]
	v_mov_b32_e32 v16, 0
	s_cbranch_vccz .LBB17_1082
.LBB17_1221:                            ;   in Loop: Header=BB17_47 Depth=1
	v_mov_b32_e32 v17, v63
	v_mov_b32_e32 v8, v0
	;; [unrolled: 1-line block ×3, first 2 shown]
	s_and_saveexec_b64 s[42:43], s[94:95]
	s_cbranch_execnz .LBB17_1422
	s_branch .LBB17_1562
.LBB17_1222:                            ;   in Loop: Header=BB17_47 Depth=1
	s_or_b64 exec, exec, s[92:93]
	s_and_saveexec_b64 s[44:45], s[94:95]
	s_xor_b64 s[44:45], exec, s[44:45]
	s_cbranch_execz .LBB17_1224
; %bb.1223:                             ;   in Loop: Header=BB17_47 Depth=1
	ds_write_b32 v0, v107
	s_trap 2
.LBB17_1224:                            ;   in Loop: Header=BB17_47 Depth=1
	s_or_b64 exec, exec, s[90:91]
	;;#ASMSTART
	s_wakeup
	;;#ASMEND
.LBB17_1225:                            ;   in Loop: Header=BB17_47 Depth=1
	s_or_b64 exec, exec, s[42:43]
.LBB17_1226:                            ;   in Loop: Header=BB17_47 Depth=1
	s_andn2_saveexec_b64 s[40:41], s[40:41]
	s_cbranch_execz .LBB17_1228
; %bb.1227:                             ;   in Loop: Header=BB17_47 Depth=1
	;;#ASMSTART
	s_waitcnt lgkmcnt(0) vmcnt(0)
	;;#ASMEND
	s_barrier
.LBB17_1228:                            ;   in Loop: Header=BB17_47 Depth=1
	s_or_b64 exec, exec, s[40:41]
.LBB17_1229:                            ;   in Loop: Header=BB17_47 Depth=1
	s_or_b64 exec, exec, s[26:27]
	v_cmp_ne_u32_e32 vcc, 0, v9
	s_xor_b64 s[26:27], s[10:11], -1
	s_and_b64 s[40:41], vcc, s[26:27]
	s_and_saveexec_b64 s[26:27], s[40:41]
	s_cbranch_execz .LBB17_1231
; %bb.1230:                             ;   in Loop: Header=BB17_47 Depth=1
	flat_store_dword v[68:69], v107 sc0 sc1
.LBB17_1231:                            ;   in Loop: Header=BB17_47 Depth=1
	s_or_b64 exec, exec, s[26:27]
	v_and_b32_e32 v2, 48, v94
	v_cmp_ne_u32_e32 vcc, 0, v2
	s_and_saveexec_b64 s[26:27], vcc
	s_cbranch_execz .LBB17_1233
; %bb.1232:                             ;   in Loop: Header=BB17_47 Depth=1
	v_lshl_add_u64 v[56:57], v[56:57], 0, 4
	flat_store_dwordx2 v[64:65], v[56:57] sc0 sc1
.LBB17_1233:                            ;   in Loop: Header=BB17_47 Depth=1
	s_or_b64 exec, exec, s[26:27]
	s_or_b64 exec, exec, s[28:29]
	s_and_b64 vcc, exec, s[24:25]
	s_cbranch_vccnz .LBB17_2388
	s_branch .LBB17_2070
.LBB17_1234:                            ;   in Loop: Header=BB17_47 Depth=1
	s_or_b64 exec, exec, s[40:41]
	s_and_b64 s[26:27], s[42:43], exec
.LBB17_1235:                            ;   in Loop: Header=BB17_47 Depth=1
	s_or_b64 exec, exec, s[28:29]
	s_and_saveexec_b64 s[28:29], s[26:27]
	s_cbranch_execz .LBB17_1301
; %bb.1236:                             ;   in Loop: Header=BB17_47 Depth=1
	s_and_b32 s26, 0xffff, s44
	v_lshlrev_b32_e32 v2, 16, v20
	v_lshlrev_b32_e32 v24, 16, v16
	s_cmp_eq_u32 s26, 0
	v_max_f32_e32 v24, v24, v24
	v_max_f32_e32 v2, v2, v2
	v_min_f32_e32 v25, v2, v24
	v_max_f32_e32 v2, v2, v24
	s_cselect_b64 vcc, -1, 0
	v_cndmask_b32_e32 v25, v2, v25, vcc
	v_and_b32_e32 v2, 0x7f800000, v25
	v_cmp_ne_u32_e64 s[26:27], s96, v2
                                        ; implicit-def: $vgpr24
	s_and_saveexec_b64 s[40:41], s[26:27]
	s_xor_b64 s[26:27], exec, s[40:41]
; %bb.1237:                             ;   in Loop: Header=BB17_47 Depth=1
	v_bfe_u32 v2, v25, 16, 1
	v_add3_u32 v24, v25, v2, s97
                                        ; implicit-def: $vgpr25
; %bb.1238:                             ;   in Loop: Header=BB17_47 Depth=1
	s_andn2_saveexec_b64 s[40:41], s[26:27]
; %bb.1239:                             ;   in Loop: Header=BB17_47 Depth=1
	v_or_b32_e32 v2, 0x10000, v25
	v_cmp_eq_u32_sdwa s[26:27], v25, v3 src0_sel:WORD_0 src1_sel:DWORD
	s_nop 1
	v_cndmask_b32_e64 v24, v2, v25, s[26:27]
; %bb.1240:                             ;   in Loop: Header=BB17_47 Depth=1
	s_or_b64 exec, exec, s[40:41]
	v_and_b32_e32 v2, 0xffff0000, v20
	v_and_b32_e32 v16, 0xffff0000, v16
	v_max_f32_e32 v16, v16, v16
	v_max_f32_e32 v2, v2, v2
	v_min_f32_e32 v20, v2, v16
	v_max_f32_e32 v2, v2, v16
	v_cndmask_b32_e32 v20, v2, v20, vcc
	v_and_b32_e32 v2, 0x7f800000, v20
	v_cmp_ne_u32_e64 s[26:27], s96, v2
                                        ; implicit-def: $vgpr16
	s_and_saveexec_b64 s[40:41], s[26:27]
	s_xor_b64 s[26:27], exec, s[40:41]
; %bb.1241:                             ;   in Loop: Header=BB17_47 Depth=1
	v_bfe_u32 v2, v20, 16, 1
	v_add3_u32 v16, v20, v2, s97
                                        ; implicit-def: $vgpr20
; %bb.1242:                             ;   in Loop: Header=BB17_47 Depth=1
	s_andn2_saveexec_b64 s[40:41], s[26:27]
; %bb.1243:                             ;   in Loop: Header=BB17_47 Depth=1
	v_or_b32_e32 v2, 0x10000, v20
	v_cmp_eq_u32_sdwa s[26:27], v20, v3 src0_sel:WORD_0 src1_sel:DWORD
	s_nop 1
	v_cndmask_b32_e64 v16, v2, v20, s[26:27]
; %bb.1244:                             ;   in Loop: Header=BB17_47 Depth=1
	s_or_b64 exec, exec, s[40:41]
	v_lshlrev_b32_e32 v2, 16, v21
	v_lshlrev_b32_e32 v20, 16, v17
	v_max_f32_e32 v20, v20, v20
	v_max_f32_e32 v2, v2, v2
	v_min_f32_e32 v25, v2, v20
	v_max_f32_e32 v2, v2, v20
	v_cndmask_b32_e32 v25, v2, v25, vcc
	v_and_b32_e32 v2, 0x7f800000, v25
	v_cmp_ne_u32_e64 s[26:27], s96, v2
                                        ; implicit-def: $vgpr20
	s_and_saveexec_b64 s[40:41], s[26:27]
	s_xor_b64 s[26:27], exec, s[40:41]
; %bb.1245:                             ;   in Loop: Header=BB17_47 Depth=1
	v_bfe_u32 v2, v25, 16, 1
	v_add3_u32 v20, v25, v2, s97
                                        ; implicit-def: $vgpr25
; %bb.1246:                             ;   in Loop: Header=BB17_47 Depth=1
	s_andn2_saveexec_b64 s[40:41], s[26:27]
; %bb.1247:                             ;   in Loop: Header=BB17_47 Depth=1
	v_or_b32_e32 v2, 0x10000, v25
	v_cmp_eq_u32_sdwa s[26:27], v25, v3 src0_sel:WORD_0 src1_sel:DWORD
	s_nop 1
	v_cndmask_b32_e64 v20, v2, v25, s[26:27]
; %bb.1248:                             ;   in Loop: Header=BB17_47 Depth=1
	s_or_b64 exec, exec, s[40:41]
	v_and_b32_e32 v2, 0xffff0000, v21
	v_and_b32_e32 v17, 0xffff0000, v17
	v_max_f32_e32 v17, v17, v17
	v_max_f32_e32 v2, v2, v2
	v_min_f32_e32 v21, v2, v17
	v_max_f32_e32 v2, v2, v17
	v_cndmask_b32_e32 v21, v2, v21, vcc
	v_and_b32_e32 v2, 0x7f800000, v21
	v_cmp_ne_u32_e64 s[26:27], s96, v2
                                        ; implicit-def: $vgpr17
	s_and_saveexec_b64 s[40:41], s[26:27]
	s_xor_b64 s[26:27], exec, s[40:41]
; %bb.1249:                             ;   in Loop: Header=BB17_47 Depth=1
	v_bfe_u32 v2, v21, 16, 1
	v_add3_u32 v17, v21, v2, s97
                                        ; implicit-def: $vgpr21
; %bb.1250:                             ;   in Loop: Header=BB17_47 Depth=1
	s_andn2_saveexec_b64 s[40:41], s[26:27]
; %bb.1251:                             ;   in Loop: Header=BB17_47 Depth=1
	v_or_b32_e32 v2, 0x10000, v21
	v_cmp_eq_u32_sdwa s[26:27], v21, v3 src0_sel:WORD_0 src1_sel:DWORD
	s_nop 1
	v_cndmask_b32_e64 v17, v2, v21, s[26:27]
; %bb.1252:                             ;   in Loop: Header=BB17_47 Depth=1
	s_or_b64 exec, exec, s[40:41]
	v_lshlrev_b32_e32 v2, 16, v22
	v_lshlrev_b32_e32 v21, 16, v18
	v_max_f32_e32 v21, v21, v21
	v_max_f32_e32 v2, v2, v2
	v_min_f32_e32 v25, v2, v21
	v_max_f32_e32 v2, v2, v21
	v_cndmask_b32_e32 v25, v2, v25, vcc
	v_and_b32_e32 v2, 0x7f800000, v25
	v_cmp_ne_u32_e64 s[26:27], s96, v2
                                        ; implicit-def: $vgpr21
	s_and_saveexec_b64 s[40:41], s[26:27]
	s_xor_b64 s[26:27], exec, s[40:41]
; %bb.1253:                             ;   in Loop: Header=BB17_47 Depth=1
	v_bfe_u32 v2, v25, 16, 1
	v_add3_u32 v21, v25, v2, s97
                                        ; implicit-def: $vgpr25
; %bb.1254:                             ;   in Loop: Header=BB17_47 Depth=1
	s_andn2_saveexec_b64 s[40:41], s[26:27]
; %bb.1255:                             ;   in Loop: Header=BB17_47 Depth=1
	v_or_b32_e32 v2, 0x10000, v25
	v_cmp_eq_u32_sdwa s[26:27], v25, v3 src0_sel:WORD_0 src1_sel:DWORD
	s_nop 1
	v_cndmask_b32_e64 v21, v2, v25, s[26:27]
; %bb.1256:                             ;   in Loop: Header=BB17_47 Depth=1
	s_or_b64 exec, exec, s[40:41]
	v_and_b32_e32 v2, 0xffff0000, v22
	v_and_b32_e32 v18, 0xffff0000, v18
	v_max_f32_e32 v18, v18, v18
	v_max_f32_e32 v2, v2, v2
	v_min_f32_e32 v22, v2, v18
	v_max_f32_e32 v2, v2, v18
	v_cndmask_b32_e32 v22, v2, v22, vcc
	v_and_b32_e32 v2, 0x7f800000, v22
	v_cmp_ne_u32_e64 s[26:27], s96, v2
                                        ; implicit-def: $vgpr18
	s_and_saveexec_b64 s[40:41], s[26:27]
	s_xor_b64 s[26:27], exec, s[40:41]
; %bb.1257:                             ;   in Loop: Header=BB17_47 Depth=1
	v_bfe_u32 v2, v22, 16, 1
	v_add3_u32 v18, v22, v2, s97
                                        ; implicit-def: $vgpr22
; %bb.1258:                             ;   in Loop: Header=BB17_47 Depth=1
	s_andn2_saveexec_b64 s[40:41], s[26:27]
; %bb.1259:                             ;   in Loop: Header=BB17_47 Depth=1
	v_or_b32_e32 v2, 0x10000, v22
	v_cmp_eq_u32_sdwa s[26:27], v22, v3 src0_sel:WORD_0 src1_sel:DWORD
	s_nop 1
	v_cndmask_b32_e64 v18, v2, v22, s[26:27]
; %bb.1260:                             ;   in Loop: Header=BB17_47 Depth=1
	s_or_b64 exec, exec, s[40:41]
	v_lshlrev_b32_e32 v2, 16, v23
	v_lshlrev_b32_e32 v22, 16, v19
	v_max_f32_e32 v22, v22, v22
	v_max_f32_e32 v2, v2, v2
	v_min_f32_e32 v25, v2, v22
	v_max_f32_e32 v2, v2, v22
	v_cndmask_b32_e32 v25, v2, v25, vcc
	v_and_b32_e32 v2, 0x7f800000, v25
	v_cmp_ne_u32_e64 s[26:27], s96, v2
                                        ; implicit-def: $vgpr22
	s_and_saveexec_b64 s[40:41], s[26:27]
	s_xor_b64 s[26:27], exec, s[40:41]
; %bb.1261:                             ;   in Loop: Header=BB17_47 Depth=1
	v_bfe_u32 v2, v25, 16, 1
	v_add3_u32 v22, v25, v2, s97
                                        ; implicit-def: $vgpr25
; %bb.1262:                             ;   in Loop: Header=BB17_47 Depth=1
	s_andn2_saveexec_b64 s[40:41], s[26:27]
; %bb.1263:                             ;   in Loop: Header=BB17_47 Depth=1
	v_or_b32_e32 v2, 0x10000, v25
	v_cmp_eq_u32_sdwa s[26:27], v25, v3 src0_sel:WORD_0 src1_sel:DWORD
	s_nop 1
	v_cndmask_b32_e64 v22, v2, v25, s[26:27]
; %bb.1264:                             ;   in Loop: Header=BB17_47 Depth=1
	s_or_b64 exec, exec, s[40:41]
	v_and_b32_e32 v2, 0xffff0000, v23
	v_and_b32_e32 v19, 0xffff0000, v19
	v_max_f32_e32 v19, v19, v19
	v_max_f32_e32 v2, v2, v2
	v_min_f32_e32 v23, v2, v19
	v_max_f32_e32 v2, v2, v19
	v_cndmask_b32_e32 v23, v2, v23, vcc
	v_and_b32_e32 v2, 0x7f800000, v23
	v_cmp_ne_u32_e64 s[26:27], s96, v2
                                        ; implicit-def: $vgpr19
	s_and_saveexec_b64 s[40:41], s[26:27]
	s_xor_b64 s[26:27], exec, s[40:41]
; %bb.1265:                             ;   in Loop: Header=BB17_47 Depth=1
	v_bfe_u32 v2, v23, 16, 1
	v_add3_u32 v19, v23, v2, s97
                                        ; implicit-def: $vgpr23
; %bb.1266:                             ;   in Loop: Header=BB17_47 Depth=1
	s_andn2_saveexec_b64 s[40:41], s[26:27]
; %bb.1267:                             ;   in Loop: Header=BB17_47 Depth=1
	v_or_b32_e32 v2, 0x10000, v23
	v_cmp_eq_u32_sdwa s[26:27], v23, v3 src0_sel:WORD_0 src1_sel:DWORD
	s_nop 1
	v_cndmask_b32_e64 v19, v2, v23, s[26:27]
; %bb.1268:                             ;   in Loop: Header=BB17_47 Depth=1
	s_or_b64 exec, exec, s[40:41]
	v_lshlrev_b32_e32 v2, 16, v12
	v_lshlrev_b32_e32 v23, 16, v8
	v_max_f32_e32 v23, v23, v23
	v_max_f32_e32 v2, v2, v2
	v_min_f32_e32 v25, v2, v23
	v_max_f32_e32 v2, v2, v23
	v_cndmask_b32_e32 v25, v2, v25, vcc
	v_and_b32_e32 v2, 0x7f800000, v25
	v_cmp_ne_u32_e64 s[26:27], s96, v2
                                        ; implicit-def: $vgpr23
	s_and_saveexec_b64 s[40:41], s[26:27]
	s_xor_b64 s[26:27], exec, s[40:41]
; %bb.1269:                             ;   in Loop: Header=BB17_47 Depth=1
	v_bfe_u32 v2, v25, 16, 1
	v_add3_u32 v23, v25, v2, s97
                                        ; implicit-def: $vgpr25
; %bb.1270:                             ;   in Loop: Header=BB17_47 Depth=1
	s_andn2_saveexec_b64 s[40:41], s[26:27]
; %bb.1271:                             ;   in Loop: Header=BB17_47 Depth=1
	v_or_b32_e32 v2, 0x10000, v25
	v_cmp_eq_u32_sdwa s[26:27], v25, v3 src0_sel:WORD_0 src1_sel:DWORD
	s_nop 1
	v_cndmask_b32_e64 v23, v2, v25, s[26:27]
; %bb.1272:                             ;   in Loop: Header=BB17_47 Depth=1
	s_or_b64 exec, exec, s[40:41]
	v_and_b32_e32 v2, 0xffff0000, v12
	v_and_b32_e32 v8, 0xffff0000, v8
	v_max_f32_e32 v8, v8, v8
	v_max_f32_e32 v2, v2, v2
	v_min_f32_e32 v12, v2, v8
	v_max_f32_e32 v2, v2, v8
	v_cndmask_b32_e32 v12, v2, v12, vcc
	v_and_b32_e32 v2, 0x7f800000, v12
	v_cmp_ne_u32_e64 s[26:27], s96, v2
                                        ; implicit-def: $vgpr8
	s_and_saveexec_b64 s[40:41], s[26:27]
	s_xor_b64 s[26:27], exec, s[40:41]
; %bb.1273:                             ;   in Loop: Header=BB17_47 Depth=1
	v_bfe_u32 v2, v12, 16, 1
	v_add3_u32 v8, v12, v2, s97
                                        ; implicit-def: $vgpr12
; %bb.1274:                             ;   in Loop: Header=BB17_47 Depth=1
	s_andn2_saveexec_b64 s[40:41], s[26:27]
; %bb.1275:                             ;   in Loop: Header=BB17_47 Depth=1
	v_or_b32_e32 v2, 0x10000, v12
	v_cmp_eq_u32_sdwa s[26:27], v12, v3 src0_sel:WORD_0 src1_sel:DWORD
	s_nop 1
	v_cndmask_b32_e64 v8, v2, v12, s[26:27]
; %bb.1276:                             ;   in Loop: Header=BB17_47 Depth=1
	s_or_b64 exec, exec, s[40:41]
	v_lshlrev_b32_e32 v2, 16, v13
	v_lshlrev_b32_e32 v12, 16, v9
	v_max_f32_e32 v12, v12, v12
	v_max_f32_e32 v2, v2, v2
	v_min_f32_e32 v25, v2, v12
	v_max_f32_e32 v2, v2, v12
	v_cndmask_b32_e32 v25, v2, v25, vcc
	v_and_b32_e32 v2, 0x7f800000, v25
	v_cmp_ne_u32_e64 s[26:27], s96, v2
                                        ; implicit-def: $vgpr12
	s_and_saveexec_b64 s[40:41], s[26:27]
	s_xor_b64 s[26:27], exec, s[40:41]
; %bb.1277:                             ;   in Loop: Header=BB17_47 Depth=1
	v_bfe_u32 v2, v25, 16, 1
	v_add3_u32 v12, v25, v2, s97
                                        ; implicit-def: $vgpr25
; %bb.1278:                             ;   in Loop: Header=BB17_47 Depth=1
	s_andn2_saveexec_b64 s[40:41], s[26:27]
; %bb.1279:                             ;   in Loop: Header=BB17_47 Depth=1
	v_or_b32_e32 v2, 0x10000, v25
	v_cmp_eq_u32_sdwa s[26:27], v25, v3 src0_sel:WORD_0 src1_sel:DWORD
	s_nop 1
	v_cndmask_b32_e64 v12, v2, v25, s[26:27]
; %bb.1280:                             ;   in Loop: Header=BB17_47 Depth=1
	s_or_b64 exec, exec, s[40:41]
	v_and_b32_e32 v2, 0xffff0000, v13
	v_and_b32_e32 v9, 0xffff0000, v9
	v_max_f32_e32 v9, v9, v9
	v_max_f32_e32 v2, v2, v2
	v_min_f32_e32 v13, v2, v9
	v_max_f32_e32 v2, v2, v9
	v_cndmask_b32_e32 v13, v2, v13, vcc
	v_and_b32_e32 v2, 0x7f800000, v13
	v_cmp_ne_u32_e64 s[26:27], s96, v2
                                        ; implicit-def: $vgpr9
	s_and_saveexec_b64 s[40:41], s[26:27]
	s_xor_b64 s[26:27], exec, s[40:41]
; %bb.1281:                             ;   in Loop: Header=BB17_47 Depth=1
	v_bfe_u32 v2, v13, 16, 1
	v_add3_u32 v9, v13, v2, s97
                                        ; implicit-def: $vgpr13
; %bb.1282:                             ;   in Loop: Header=BB17_47 Depth=1
	s_andn2_saveexec_b64 s[40:41], s[26:27]
; %bb.1283:                             ;   in Loop: Header=BB17_47 Depth=1
	v_or_b32_e32 v2, 0x10000, v13
	v_cmp_eq_u32_sdwa s[26:27], v13, v3 src0_sel:WORD_0 src1_sel:DWORD
	s_nop 1
	v_cndmask_b32_e64 v9, v2, v13, s[26:27]
; %bb.1284:                             ;   in Loop: Header=BB17_47 Depth=1
	s_or_b64 exec, exec, s[40:41]
	v_lshlrev_b32_e32 v2, 16, v14
	v_lshlrev_b32_e32 v13, 16, v10
	v_max_f32_e32 v13, v13, v13
	v_max_f32_e32 v2, v2, v2
	v_min_f32_e32 v25, v2, v13
	v_max_f32_e32 v2, v2, v13
	v_cndmask_b32_e32 v25, v2, v25, vcc
	v_and_b32_e32 v2, 0x7f800000, v25
	v_cmp_ne_u32_e64 s[26:27], s96, v2
                                        ; implicit-def: $vgpr13
	s_and_saveexec_b64 s[40:41], s[26:27]
	s_xor_b64 s[26:27], exec, s[40:41]
; %bb.1285:                             ;   in Loop: Header=BB17_47 Depth=1
	v_bfe_u32 v2, v25, 16, 1
	v_add3_u32 v13, v25, v2, s97
                                        ; implicit-def: $vgpr25
; %bb.1286:                             ;   in Loop: Header=BB17_47 Depth=1
	s_andn2_saveexec_b64 s[40:41], s[26:27]
; %bb.1287:                             ;   in Loop: Header=BB17_47 Depth=1
	v_or_b32_e32 v2, 0x10000, v25
	v_cmp_eq_u32_sdwa s[26:27], v25, v3 src0_sel:WORD_0 src1_sel:DWORD
	s_nop 1
	v_cndmask_b32_e64 v13, v2, v25, s[26:27]
; %bb.1288:                             ;   in Loop: Header=BB17_47 Depth=1
	s_or_b64 exec, exec, s[40:41]
	v_and_b32_e32 v2, 0xffff0000, v14
	v_and_b32_e32 v10, 0xffff0000, v10
	v_max_f32_e32 v10, v10, v10
	v_max_f32_e32 v2, v2, v2
	v_min_f32_e32 v14, v2, v10
	v_max_f32_e32 v2, v2, v10
	v_cndmask_b32_e32 v14, v2, v14, vcc
	v_and_b32_e32 v2, 0x7f800000, v14
	v_cmp_ne_u32_e64 s[26:27], s96, v2
                                        ; implicit-def: $vgpr10
	s_and_saveexec_b64 s[40:41], s[26:27]
	s_xor_b64 s[26:27], exec, s[40:41]
; %bb.1289:                             ;   in Loop: Header=BB17_47 Depth=1
	v_bfe_u32 v2, v14, 16, 1
	v_add3_u32 v10, v14, v2, s97
                                        ; implicit-def: $vgpr14
; %bb.1290:                             ;   in Loop: Header=BB17_47 Depth=1
	s_andn2_saveexec_b64 s[40:41], s[26:27]
; %bb.1291:                             ;   in Loop: Header=BB17_47 Depth=1
	v_or_b32_e32 v2, 0x10000, v14
	v_cmp_eq_u32_sdwa s[26:27], v14, v3 src0_sel:WORD_0 src1_sel:DWORD
	s_nop 1
	v_cndmask_b32_e64 v10, v2, v14, s[26:27]
; %bb.1292:                             ;   in Loop: Header=BB17_47 Depth=1
	s_or_b64 exec, exec, s[40:41]
	v_lshlrev_b32_e32 v2, 16, v15
	v_lshlrev_b32_e32 v14, 16, v11
	v_max_f32_e32 v14, v14, v14
	v_max_f32_e32 v2, v2, v2
	v_min_f32_e32 v25, v2, v14
	v_max_f32_e32 v2, v2, v14
	v_cndmask_b32_e32 v25, v2, v25, vcc
	v_and_b32_e32 v2, 0x7f800000, v25
	v_cmp_ne_u32_e64 s[26:27], s96, v2
                                        ; implicit-def: $vgpr14
	s_and_saveexec_b64 s[40:41], s[26:27]
	s_xor_b64 s[26:27], exec, s[40:41]
; %bb.1293:                             ;   in Loop: Header=BB17_47 Depth=1
	v_bfe_u32 v2, v25, 16, 1
	v_add3_u32 v14, v25, v2, s97
                                        ; implicit-def: $vgpr25
; %bb.1294:                             ;   in Loop: Header=BB17_47 Depth=1
	s_andn2_saveexec_b64 s[40:41], s[26:27]
; %bb.1295:                             ;   in Loop: Header=BB17_47 Depth=1
	v_or_b32_e32 v2, 0x10000, v25
	v_cmp_eq_u32_sdwa s[26:27], v25, v3 src0_sel:WORD_0 src1_sel:DWORD
	s_nop 1
	v_cndmask_b32_e64 v14, v2, v25, s[26:27]
; %bb.1296:                             ;   in Loop: Header=BB17_47 Depth=1
	s_or_b64 exec, exec, s[40:41]
	v_and_b32_e32 v2, 0xffff0000, v15
	v_and_b32_e32 v11, 0xffff0000, v11
	v_max_f32_e32 v11, v11, v11
	v_max_f32_e32 v2, v2, v2
	v_min_f32_e32 v15, v2, v11
	v_max_f32_e32 v2, v2, v11
	v_cndmask_b32_e32 v15, v2, v15, vcc
	v_and_b32_e32 v2, 0x7f800000, v15
	v_cmp_ne_u32_e32 vcc, s96, v2
                                        ; implicit-def: $vgpr11
	s_and_saveexec_b64 s[26:27], vcc
	s_xor_b64 s[26:27], exec, s[26:27]
; %bb.1297:                             ;   in Loop: Header=BB17_47 Depth=1
	v_bfe_u32 v2, v15, 16, 1
	v_add3_u32 v11, v15, v2, s97
                                        ; implicit-def: $vgpr15
; %bb.1298:                             ;   in Loop: Header=BB17_47 Depth=1
	s_andn2_saveexec_b64 s[26:27], s[26:27]
; %bb.1299:                             ;   in Loop: Header=BB17_47 Depth=1
	v_or_b32_e32 v2, 0x10000, v15
	v_cmp_eq_u32_sdwa vcc, v15, v3 src0_sel:WORD_0 src1_sel:DWORD
	s_nop 1
	v_cndmask_b32_e32 v11, v2, v15, vcc
; %bb.1300:                             ;   in Loop: Header=BB17_47 Depth=1
	s_or_b64 exec, exec, s[26:27]
	v_lshrrev_b32_e32 v2, 16, v20
	v_and_or_b32 v17, v17, s46, v2
	v_lshrrev_b32_e32 v2, 16, v24
	v_and_or_b32 v16, v16, s46, v2
	;; [unrolled: 2-line block ×8, first 2 shown]
	global_store_dwordx4 v[88:89], v[16:19], off
	global_store_dwordx4 v[88:89], v[8:11], off offset:1024
	global_store_dwordx4 v[78:79], v[16:19], off
	global_store_dwordx4 v[78:79], v[8:11], off offset:1024
.LBB17_1301:                            ;   in Loop: Header=BB17_47 Depth=1
	s_or_b64 exec, exec, s[28:29]
	v_lshlrev_b32_e32 v24, 11, v125
	v_cmp_ne_u32_e32 vcc, v63, v24
                                        ; implicit-def: $vgpr17
                                        ; implicit-def: $vgpr16
                                        ; implicit-def: $vgpr8
                                        ; implicit-def: $vgpr18
	s_and_saveexec_b64 s[30:31], vcc
	s_cbranch_execz .LBB17_1421
; %bb.1302:                             ;   in Loop: Header=BB17_47 Depth=1
	v_lshlrev_b32_e32 v8, 6, v124
	v_sub_u32_e32 v8, v95, v8
	v_ashrrev_i32_e32 v9, 31, v8
	v_lshrrev_b32_e32 v9, 26, v9
	v_add_u32_e32 v9, v8, v9
	v_ashrrev_i32_e32 v10, 6, v9
	v_and_b32_e32 v9, 0xffffffc0, v9
	v_sub_u32_e32 v25, v8, v9
	v_lshlrev_b32_e32 v8, 4, v25
	v_sub_u32_e32 v2, v63, v24
	v_lshl_add_u32 v9, v10, 10, v8
	v_add_u32_e32 v8, v9, v24
	v_sub_u32_e32 v33, v2, v9
	v_ashrrev_i32_e32 v9, 31, v2
	v_lshrrev_b32_e32 v9, 22, v9
	v_add_u32_e32 v9, v2, v9
	v_and_b32_e32 v26, 0xfffffc00, v9
	v_sub_u32_e32 v27, v2, v26
	v_ashrrev_i32_e32 v11, 10, v9
	v_cmp_lt_i32_e64 s[26:27], 15, v27
	v_ashrrev_i32_e32 v9, 31, v8
	v_lshl_add_u64 v[16:17], v[8:9], 0, v[74:75]
	v_addc_co_u32_e64 v2, vcc, 0, v11, s[26:27]
	v_sub_u32_e32 v32, v2, v10
	v_lshl_add_u64 v[18:19], v[8:9], 0, v[76:77]
	v_cmp_lt_i32_e32 vcc, 15, v33
	s_mov_b64 s[28:29], 0
	s_and_saveexec_b64 s[34:35], vcc
	s_cbranch_execz .LBB17_1383
; %bb.1303:                             ;   in Loop: Header=BB17_47 Depth=1
	s_trap 2
	ds_read_b64 v[10:11], v0
	s_and_b32 s28, 0xffff, s44
	s_cmp_eq_u32 s28, 0
	v_lshl_add_u64 v[20:21], v[8:9], 0, v[72:73]
	s_mov_b64 s[48:49], 0
	s_waitcnt lgkmcnt(0)
	v_lshl_add_u64 v[22:23], v[10:11], 0, v[8:9]
	s_mov_b64 s[36:37], 0
	s_cselect_b64 s[28:29], -1, 0
                                        ; implicit-def: $sgpr38_sgpr39
	s_branch .LBB17_1305
.LBB17_1304:                            ;   in Loop: Header=BB17_1305 Depth=2
	s_or_b64 exec, exec, s[40:41]
	v_cmp_gt_i32_e32 vcc, 16, v33
	s_or_b64 s[36:37], vcc, s[36:37]
	s_andn2_b64 s[40:41], s[38:39], exec
	s_and_b64 s[42:43], s[48:49], exec
	s_or_b64 s[38:39], s[40:41], s[42:43]
	s_andn2_b64 exec, exec, s[36:37]
	s_cbranch_execz .LBB17_1382
.LBB17_1305:                            ;   Parent Loop BB17_47 Depth=1
                                        ; =>  This Loop Header: Depth=2
                                        ;       Child Loop BB17_1306 Depth 3
                                        ;       Child Loop BB17_1341 Depth 3
	;; [unrolled: 1-line block ×4, first 2 shown]
	s_add_i32 s40, s33, 0xc0
	s_mov_b32 s45, s40
	s_mov_b64 s[50:51], -1
	s_mov_b64 s[52:53], 0
.LBB17_1306:                            ;   Parent Loop BB17_47 Depth=1
                                        ;     Parent Loop BB17_1305 Depth=2
                                        ; =>    This Inner Loop Header: Depth=3
	s_cmp_eq_u32 s52, 1
	s_cselect_b64 vcc, -1, 0
	v_cndmask_b32_e32 v13, v21, v23, vcc
	v_cndmask_b32_e32 v12, v20, v22, vcc
	global_load_dwordx4 v[8:11], v[12:13], off nt
	s_cmp_eq_u32 s52, 0
	v_lshl_add_u64 v[12:13], v[12:13], 0, s[60:61]
	s_cselect_b64 s[40:41], -1, 0
	s_and_b64 s[42:43], exec, s[50:51]
	s_mov_b64 s[52:53], 1
	s_mov_b64 s[50:51], 0
	v_cndmask_b32_e64 v21, v21, v13, s[40:41]
	v_cndmask_b32_e64 v20, v20, v12, s[40:41]
	v_cndmask_b32_e32 v23, v23, v13, vcc
	v_cndmask_b32_e32 v22, v22, v12, vcc
	s_mov_b64 vcc, s[42:43]
	s_waitcnt vmcnt(0)
	scratch_store_dwordx4 off, v[8:11], s45
	s_mov_b32 s45, s81
	s_cbranch_vccnz .LBB17_1306
; %bb.1307:                             ;   in Loop: Header=BB17_1305 Depth=2
	s_and_saveexec_b64 s[50:51], s[48:49]
	s_cbranch_execz .LBB17_1343
; %bb.1308:                             ;   in Loop: Header=BB17_1305 Depth=2
	scratch_load_dwordx4 v[8:11], off, s33 offset:224
	scratch_load_dwordx4 v[12:15], off, s33 offset:240
                                        ; implicit-def: $vgpr34
	s_waitcnt vmcnt(1)
	v_lshlrev_b32_e32 v2, 16, v8
	s_waitcnt vmcnt(0)
	v_lshlrev_b32_e32 v28, 16, v12
	v_max_f32_e32 v28, v28, v28
	v_max_f32_e32 v2, v2, v2
	v_min_f32_e32 v29, v2, v28
	v_max_f32_e32 v2, v2, v28
	v_cndmask_b32_e64 v28, v2, v29, s[28:29]
	v_and_b32_e32 v2, 0x7f800000, v28
	v_cmp_ne_u32_e32 vcc, s96, v2
	s_and_saveexec_b64 s[40:41], vcc
	s_xor_b64 s[40:41], exec, s[40:41]
; %bb.1309:                             ;   in Loop: Header=BB17_1305 Depth=2
	v_bfe_u32 v2, v28, 16, 1
	v_add3_u32 v34, v28, v2, s97
                                        ; implicit-def: $vgpr28
; %bb.1310:                             ;   in Loop: Header=BB17_1305 Depth=2
	s_andn2_saveexec_b64 s[40:41], s[40:41]
; %bb.1311:                             ;   in Loop: Header=BB17_1305 Depth=2
	v_or_b32_e32 v2, 0x10000, v28
	v_cmp_eq_u32_sdwa vcc, v28, v3 src0_sel:WORD_0 src1_sel:DWORD
	s_nop 1
	v_cndmask_b32_e32 v34, v2, v28, vcc
; %bb.1312:                             ;   in Loop: Header=BB17_1305 Depth=2
	s_or_b64 exec, exec, s[40:41]
	v_and_b32_e32 v2, 0xffff0000, v8
	v_and_b32_e32 v8, 0xffff0000, v12
	v_max_f32_e32 v8, v8, v8
	v_max_f32_e32 v2, v2, v2
	v_min_f32_e32 v12, v2, v8
	v_max_f32_e32 v2, v2, v8
	v_cndmask_b32_e64 v12, v2, v12, s[28:29]
	v_and_b32_e32 v2, 0x7f800000, v12
	v_cmp_ne_u32_e32 vcc, s96, v2
                                        ; implicit-def: $vgpr8
	s_and_saveexec_b64 s[40:41], vcc
	s_xor_b64 s[40:41], exec, s[40:41]
; %bb.1313:                             ;   in Loop: Header=BB17_1305 Depth=2
	v_bfe_u32 v2, v12, 16, 1
	v_add3_u32 v8, v12, v2, s97
                                        ; implicit-def: $vgpr12
; %bb.1314:                             ;   in Loop: Header=BB17_1305 Depth=2
	s_andn2_saveexec_b64 s[40:41], s[40:41]
; %bb.1315:                             ;   in Loop: Header=BB17_1305 Depth=2
	v_or_b32_e32 v2, 0x10000, v12
	v_cmp_eq_u32_sdwa vcc, v12, v3 src0_sel:WORD_0 src1_sel:DWORD
	s_nop 1
	v_cndmask_b32_e32 v8, v2, v12, vcc
; %bb.1316:                             ;   in Loop: Header=BB17_1305 Depth=2
	s_or_b64 exec, exec, s[40:41]
	v_lshlrev_b32_e32 v2, 16, v9
	v_lshlrev_b32_e32 v12, 16, v13
	v_max_f32_e32 v12, v12, v12
	v_max_f32_e32 v2, v2, v2
	v_min_f32_e32 v28, v2, v12
	v_max_f32_e32 v2, v2, v12
	v_cndmask_b32_e64 v28, v2, v28, s[28:29]
	v_and_b32_e32 v2, 0x7f800000, v28
	v_cmp_ne_u32_e32 vcc, s96, v2
                                        ; implicit-def: $vgpr12
	s_and_saveexec_b64 s[40:41], vcc
	s_xor_b64 s[40:41], exec, s[40:41]
; %bb.1317:                             ;   in Loop: Header=BB17_1305 Depth=2
	v_bfe_u32 v2, v28, 16, 1
	v_add3_u32 v12, v28, v2, s97
                                        ; implicit-def: $vgpr28
; %bb.1318:                             ;   in Loop: Header=BB17_1305 Depth=2
	s_andn2_saveexec_b64 s[40:41], s[40:41]
; %bb.1319:                             ;   in Loop: Header=BB17_1305 Depth=2
	v_or_b32_e32 v2, 0x10000, v28
	v_cmp_eq_u32_sdwa vcc, v28, v3 src0_sel:WORD_0 src1_sel:DWORD
	s_nop 1
	v_cndmask_b32_e32 v12, v2, v28, vcc
; %bb.1320:                             ;   in Loop: Header=BB17_1305 Depth=2
	s_or_b64 exec, exec, s[40:41]
	v_and_b32_e32 v2, 0xffff0000, v9
	v_and_b32_e32 v9, 0xffff0000, v13
	v_max_f32_e32 v9, v9, v9
	v_max_f32_e32 v2, v2, v2
	v_min_f32_e32 v13, v2, v9
	v_max_f32_e32 v2, v2, v9
	v_cndmask_b32_e64 v13, v2, v13, s[28:29]
	v_and_b32_e32 v2, 0x7f800000, v13
	v_cmp_ne_u32_e32 vcc, s96, v2
                                        ; implicit-def: $vgpr9
	s_and_saveexec_b64 s[40:41], vcc
	s_xor_b64 s[40:41], exec, s[40:41]
; %bb.1321:                             ;   in Loop: Header=BB17_1305 Depth=2
	v_bfe_u32 v2, v13, 16, 1
	v_add3_u32 v9, v13, v2, s97
                                        ; implicit-def: $vgpr13
; %bb.1322:                             ;   in Loop: Header=BB17_1305 Depth=2
	s_andn2_saveexec_b64 s[40:41], s[40:41]
; %bb.1323:                             ;   in Loop: Header=BB17_1305 Depth=2
	v_or_b32_e32 v2, 0x10000, v13
	v_cmp_eq_u32_sdwa vcc, v13, v3 src0_sel:WORD_0 src1_sel:DWORD
	s_nop 1
	v_cndmask_b32_e32 v9, v2, v13, vcc
; %bb.1324:                             ;   in Loop: Header=BB17_1305 Depth=2
	s_or_b64 exec, exec, s[40:41]
	v_lshlrev_b32_e32 v2, 16, v10
	v_lshlrev_b32_e32 v13, 16, v14
	v_max_f32_e32 v13, v13, v13
	v_max_f32_e32 v2, v2, v2
	v_min_f32_e32 v28, v2, v13
	v_max_f32_e32 v2, v2, v13
	v_cndmask_b32_e64 v28, v2, v28, s[28:29]
	v_and_b32_e32 v2, 0x7f800000, v28
	v_cmp_ne_u32_e32 vcc, s96, v2
                                        ; implicit-def: $vgpr13
	s_and_saveexec_b64 s[40:41], vcc
	s_xor_b64 s[40:41], exec, s[40:41]
; %bb.1325:                             ;   in Loop: Header=BB17_1305 Depth=2
	v_bfe_u32 v2, v28, 16, 1
	v_add3_u32 v13, v28, v2, s97
                                        ; implicit-def: $vgpr28
; %bb.1326:                             ;   in Loop: Header=BB17_1305 Depth=2
	s_andn2_saveexec_b64 s[40:41], s[40:41]
; %bb.1327:                             ;   in Loop: Header=BB17_1305 Depth=2
	v_or_b32_e32 v2, 0x10000, v28
	v_cmp_eq_u32_sdwa vcc, v28, v3 src0_sel:WORD_0 src1_sel:DWORD
	s_nop 1
	v_cndmask_b32_e32 v13, v2, v28, vcc
; %bb.1328:                             ;   in Loop: Header=BB17_1305 Depth=2
	s_or_b64 exec, exec, s[40:41]
	v_and_b32_e32 v2, 0xffff0000, v10
	v_and_b32_e32 v10, 0xffff0000, v14
	v_max_f32_e32 v10, v10, v10
	v_max_f32_e32 v2, v2, v2
	v_min_f32_e32 v14, v2, v10
	v_max_f32_e32 v2, v2, v10
	v_cndmask_b32_e64 v14, v2, v14, s[28:29]
	v_and_b32_e32 v2, 0x7f800000, v14
	v_cmp_ne_u32_e32 vcc, s96, v2
                                        ; implicit-def: $vgpr10
	s_and_saveexec_b64 s[40:41], vcc
	s_xor_b64 s[40:41], exec, s[40:41]
; %bb.1329:                             ;   in Loop: Header=BB17_1305 Depth=2
	v_bfe_u32 v2, v14, 16, 1
	v_add3_u32 v10, v14, v2, s97
                                        ; implicit-def: $vgpr14
; %bb.1330:                             ;   in Loop: Header=BB17_1305 Depth=2
	s_andn2_saveexec_b64 s[40:41], s[40:41]
; %bb.1331:                             ;   in Loop: Header=BB17_1305 Depth=2
	v_or_b32_e32 v2, 0x10000, v14
	v_cmp_eq_u32_sdwa vcc, v14, v3 src0_sel:WORD_0 src1_sel:DWORD
	s_nop 1
	v_cndmask_b32_e32 v10, v2, v14, vcc
; %bb.1332:                             ;   in Loop: Header=BB17_1305 Depth=2
	s_or_b64 exec, exec, s[40:41]
	v_lshlrev_b32_e32 v2, 16, v11
	v_lshlrev_b32_e32 v14, 16, v15
	v_max_f32_e32 v14, v14, v14
	v_max_f32_e32 v2, v2, v2
	v_min_f32_e32 v28, v2, v14
	v_max_f32_e32 v2, v2, v14
	v_cndmask_b32_e64 v28, v2, v28, s[28:29]
	v_and_b32_e32 v2, 0x7f800000, v28
	v_cmp_ne_u32_e32 vcc, s96, v2
                                        ; implicit-def: $vgpr14
	s_and_saveexec_b64 s[40:41], vcc
	s_xor_b64 s[40:41], exec, s[40:41]
; %bb.1333:                             ;   in Loop: Header=BB17_1305 Depth=2
	v_bfe_u32 v2, v28, 16, 1
	v_add3_u32 v14, v28, v2, s97
                                        ; implicit-def: $vgpr28
; %bb.1334:                             ;   in Loop: Header=BB17_1305 Depth=2
	s_andn2_saveexec_b64 s[40:41], s[40:41]
; %bb.1335:                             ;   in Loop: Header=BB17_1305 Depth=2
	v_or_b32_e32 v2, 0x10000, v28
	v_cmp_eq_u32_sdwa vcc, v28, v3 src0_sel:WORD_0 src1_sel:DWORD
	s_nop 1
	v_cndmask_b32_e32 v14, v2, v28, vcc
; %bb.1336:                             ;   in Loop: Header=BB17_1305 Depth=2
	s_or_b64 exec, exec, s[40:41]
	v_and_b32_e32 v2, 0xffff0000, v11
	v_and_b32_e32 v11, 0xffff0000, v15
	v_max_f32_e32 v11, v11, v11
	v_max_f32_e32 v2, v2, v2
	v_min_f32_e32 v15, v2, v11
	v_max_f32_e32 v2, v2, v11
	v_cndmask_b32_e64 v15, v2, v15, s[28:29]
	v_and_b32_e32 v2, 0x7f800000, v15
	v_cmp_ne_u32_e32 vcc, s96, v2
                                        ; implicit-def: $vgpr11
	s_and_saveexec_b64 s[40:41], vcc
	s_xor_b64 s[40:41], exec, s[40:41]
; %bb.1337:                             ;   in Loop: Header=BB17_1305 Depth=2
	v_bfe_u32 v2, v15, 16, 1
	v_add3_u32 v11, v15, v2, s97
                                        ; implicit-def: $vgpr15
; %bb.1338:                             ;   in Loop: Header=BB17_1305 Depth=2
	s_andn2_saveexec_b64 s[40:41], s[40:41]
; %bb.1339:                             ;   in Loop: Header=BB17_1305 Depth=2
	v_or_b32_e32 v2, 0x10000, v15
	v_cmp_eq_u32_sdwa vcc, v15, v3 src0_sel:WORD_0 src1_sel:DWORD
	s_nop 1
	v_cndmask_b32_e32 v11, v2, v15, vcc
; %bb.1340:                             ;   in Loop: Header=BB17_1305 Depth=2
	s_or_b64 exec, exec, s[40:41]
	v_lshrrev_b32_e32 v2, 16, v12
	v_and_or_b32 v9, v9, s46, v2
	v_lshrrev_b32_e32 v2, 16, v34
	v_and_or_b32 v8, v8, s46, v2
	;; [unrolled: 2-line block ×4, first 2 shown]
	s_mov_b64 s[52:53], 0
	s_mov_b64 s[48:49], -1
	scratch_store_dwordx4 off, v[8:11], s33 offset:224
.LBB17_1341:                            ;   Parent Loop BB17_47 Depth=1
                                        ;     Parent Loop BB17_1305 Depth=2
                                        ; =>    This Inner Loop Header: Depth=3
	s_cmp_eq_u32 s52, 1
	s_cselect_b64 vcc, -1, 0
	v_cndmask_b32_e32 v13, v17, v19, vcc
	s_cmp_eq_u32 s52, 0
	v_cndmask_b32_e32 v12, v16, v18, vcc
	global_store_dwordx4 v[12:13], v[8:11], off
	v_lshl_add_u64 v[12:13], v[12:13], 0, s[60:61]
	s_cselect_b64 s[40:41], -1, 0
	s_and_b64 s[42:43], exec, s[48:49]
	s_mov_b64 s[52:53], 1
	s_mov_b64 s[48:49], 0
	v_cndmask_b32_e32 v19, v19, v13, vcc
	v_cndmask_b32_e32 v18, v18, v12, vcc
	v_cndmask_b32_e64 v17, v17, v13, s[40:41]
	v_cndmask_b32_e64 v16, v16, v12, s[40:41]
	s_mov_b64 vcc, s[42:43]
	s_cbranch_vccnz .LBB17_1341
; %bb.1342:                             ;   in Loop: Header=BB17_1305 Depth=2
	v_lshl_add_u64 v[16:17], v[16:17], 0, v[114:115]
	v_lshl_add_u64 v[18:19], v[18:19], 0, v[114:115]
.LBB17_1343:                            ;   in Loop: Header=BB17_1305 Depth=2
	s_or_b64 exec, exec, s[50:51]
	v_sub_u32_e32 v33, v33, v105
	v_lshl_add_u64 v[20:21], v[20:21], 0, v[114:115]
	v_lshl_add_u64 v[22:23], v[22:23], 0, v[114:115]
	v_cmp_lt_i32_e64 s[48:49], 15, v33
	s_and_saveexec_b64 s[50:51], s[48:49]
	s_cbranch_execz .LBB17_1346
; %bb.1344:                             ;   in Loop: Header=BB17_1305 Depth=2
	s_add_i32 s40, s33, 0xe0
	s_mov_b32 s45, s40
	s_mov_b64 s[54:55], 0
	s_mov_b64 s[52:53], -1
.LBB17_1345:                            ;   Parent Loop BB17_47 Depth=1
                                        ;     Parent Loop BB17_1305 Depth=2
                                        ; =>    This Inner Loop Header: Depth=3
	s_cmp_eq_u32 s54, 1
	s_cselect_b64 vcc, -1, 0
	v_cndmask_b32_e32 v13, v21, v23, vcc
	v_cndmask_b32_e32 v12, v20, v22, vcc
	global_load_dwordx4 v[8:11], v[12:13], off nt
	s_cmp_eq_u32 s54, 0
	v_lshl_add_u64 v[12:13], v[12:13], 0, s[60:61]
	s_cselect_b64 s[40:41], -1, 0
	s_and_b64 s[42:43], exec, s[52:53]
	s_mov_b64 s[54:55], 1
	s_mov_b64 s[52:53], 0
	v_cndmask_b32_e64 v21, v21, v13, s[40:41]
	v_cndmask_b32_e64 v20, v20, v12, s[40:41]
	v_cndmask_b32_e32 v23, v23, v13, vcc
	v_cndmask_b32_e32 v22, v22, v12, vcc
	s_mov_b64 vcc, s[42:43]
	s_waitcnt vmcnt(0)
	scratch_store_dwordx4 off, v[8:11], s45
	s_mov_b32 s45, s80
	s_cbranch_vccnz .LBB17_1345
.LBB17_1346:                            ;   in Loop: Header=BB17_1305 Depth=2
	s_or_b64 exec, exec, s[50:51]
	scratch_load_dwordx4 v[8:11], off, s33 offset:192
	scratch_load_dwordx4 v[12:15], off, s33 offset:208
                                        ; implicit-def: $vgpr34
	s_waitcnt vmcnt(1)
	v_lshlrev_b32_e32 v2, 16, v8
	s_waitcnt vmcnt(0)
	v_lshlrev_b32_e32 v28, 16, v12
	v_max_f32_e32 v28, v28, v28
	v_max_f32_e32 v2, v2, v2
	v_min_f32_e32 v29, v2, v28
	v_max_f32_e32 v2, v2, v28
	v_cndmask_b32_e64 v28, v2, v29, s[28:29]
	v_and_b32_e32 v2, 0x7f800000, v28
	v_cmp_ne_u32_e32 vcc, s96, v2
	s_and_saveexec_b64 s[40:41], vcc
	s_xor_b64 s[40:41], exec, s[40:41]
; %bb.1347:                             ;   in Loop: Header=BB17_1305 Depth=2
	v_bfe_u32 v2, v28, 16, 1
	v_add3_u32 v34, v28, v2, s97
                                        ; implicit-def: $vgpr28
; %bb.1348:                             ;   in Loop: Header=BB17_1305 Depth=2
	s_andn2_saveexec_b64 s[40:41], s[40:41]
; %bb.1349:                             ;   in Loop: Header=BB17_1305 Depth=2
	v_or_b32_e32 v2, 0x10000, v28
	v_cmp_eq_u32_sdwa vcc, v28, v3 src0_sel:WORD_0 src1_sel:DWORD
	s_nop 1
	v_cndmask_b32_e32 v34, v2, v28, vcc
; %bb.1350:                             ;   in Loop: Header=BB17_1305 Depth=2
	s_or_b64 exec, exec, s[40:41]
	v_and_b32_e32 v2, 0xffff0000, v8
	v_and_b32_e32 v8, 0xffff0000, v12
	v_max_f32_e32 v8, v8, v8
	v_max_f32_e32 v2, v2, v2
	v_min_f32_e32 v12, v2, v8
	v_max_f32_e32 v2, v2, v8
	v_cndmask_b32_e64 v12, v2, v12, s[28:29]
	v_and_b32_e32 v2, 0x7f800000, v12
	v_cmp_ne_u32_e32 vcc, s96, v2
                                        ; implicit-def: $vgpr8
	s_and_saveexec_b64 s[40:41], vcc
	s_xor_b64 s[40:41], exec, s[40:41]
; %bb.1351:                             ;   in Loop: Header=BB17_1305 Depth=2
	v_bfe_u32 v2, v12, 16, 1
	v_add3_u32 v8, v12, v2, s97
                                        ; implicit-def: $vgpr12
; %bb.1352:                             ;   in Loop: Header=BB17_1305 Depth=2
	s_andn2_saveexec_b64 s[40:41], s[40:41]
; %bb.1353:                             ;   in Loop: Header=BB17_1305 Depth=2
	v_or_b32_e32 v2, 0x10000, v12
	v_cmp_eq_u32_sdwa vcc, v12, v3 src0_sel:WORD_0 src1_sel:DWORD
	s_nop 1
	v_cndmask_b32_e32 v8, v2, v12, vcc
; %bb.1354:                             ;   in Loop: Header=BB17_1305 Depth=2
	s_or_b64 exec, exec, s[40:41]
	v_lshlrev_b32_e32 v2, 16, v9
	v_lshlrev_b32_e32 v12, 16, v13
	v_max_f32_e32 v12, v12, v12
	v_max_f32_e32 v2, v2, v2
	v_min_f32_e32 v28, v2, v12
	v_max_f32_e32 v2, v2, v12
	v_cndmask_b32_e64 v28, v2, v28, s[28:29]
	v_and_b32_e32 v2, 0x7f800000, v28
	v_cmp_ne_u32_e32 vcc, s96, v2
                                        ; implicit-def: $vgpr12
	s_and_saveexec_b64 s[40:41], vcc
	s_xor_b64 s[40:41], exec, s[40:41]
; %bb.1355:                             ;   in Loop: Header=BB17_1305 Depth=2
	v_bfe_u32 v2, v28, 16, 1
	v_add3_u32 v12, v28, v2, s97
                                        ; implicit-def: $vgpr28
; %bb.1356:                             ;   in Loop: Header=BB17_1305 Depth=2
	s_andn2_saveexec_b64 s[40:41], s[40:41]
; %bb.1357:                             ;   in Loop: Header=BB17_1305 Depth=2
	v_or_b32_e32 v2, 0x10000, v28
	v_cmp_eq_u32_sdwa vcc, v28, v3 src0_sel:WORD_0 src1_sel:DWORD
	s_nop 1
	v_cndmask_b32_e32 v12, v2, v28, vcc
; %bb.1358:                             ;   in Loop: Header=BB17_1305 Depth=2
	s_or_b64 exec, exec, s[40:41]
	v_and_b32_e32 v2, 0xffff0000, v9
	v_and_b32_e32 v9, 0xffff0000, v13
	v_max_f32_e32 v9, v9, v9
	v_max_f32_e32 v2, v2, v2
	v_min_f32_e32 v13, v2, v9
	v_max_f32_e32 v2, v2, v9
	v_cndmask_b32_e64 v13, v2, v13, s[28:29]
	v_and_b32_e32 v2, 0x7f800000, v13
	v_cmp_ne_u32_e32 vcc, s96, v2
                                        ; implicit-def: $vgpr9
	s_and_saveexec_b64 s[40:41], vcc
	s_xor_b64 s[40:41], exec, s[40:41]
; %bb.1359:                             ;   in Loop: Header=BB17_1305 Depth=2
	v_bfe_u32 v2, v13, 16, 1
	v_add3_u32 v9, v13, v2, s97
                                        ; implicit-def: $vgpr13
; %bb.1360:                             ;   in Loop: Header=BB17_1305 Depth=2
	s_andn2_saveexec_b64 s[40:41], s[40:41]
; %bb.1361:                             ;   in Loop: Header=BB17_1305 Depth=2
	v_or_b32_e32 v2, 0x10000, v13
	v_cmp_eq_u32_sdwa vcc, v13, v3 src0_sel:WORD_0 src1_sel:DWORD
	s_nop 1
	v_cndmask_b32_e32 v9, v2, v13, vcc
; %bb.1362:                             ;   in Loop: Header=BB17_1305 Depth=2
	s_or_b64 exec, exec, s[40:41]
	v_lshlrev_b32_e32 v2, 16, v10
	v_lshlrev_b32_e32 v13, 16, v14
	v_max_f32_e32 v13, v13, v13
	v_max_f32_e32 v2, v2, v2
	v_min_f32_e32 v28, v2, v13
	v_max_f32_e32 v2, v2, v13
	v_cndmask_b32_e64 v28, v2, v28, s[28:29]
	v_and_b32_e32 v2, 0x7f800000, v28
	v_cmp_ne_u32_e32 vcc, s96, v2
                                        ; implicit-def: $vgpr13
	s_and_saveexec_b64 s[40:41], vcc
	s_xor_b64 s[40:41], exec, s[40:41]
; %bb.1363:                             ;   in Loop: Header=BB17_1305 Depth=2
	v_bfe_u32 v2, v28, 16, 1
	v_add3_u32 v13, v28, v2, s97
                                        ; implicit-def: $vgpr28
; %bb.1364:                             ;   in Loop: Header=BB17_1305 Depth=2
	s_andn2_saveexec_b64 s[40:41], s[40:41]
; %bb.1365:                             ;   in Loop: Header=BB17_1305 Depth=2
	v_or_b32_e32 v2, 0x10000, v28
	v_cmp_eq_u32_sdwa vcc, v28, v3 src0_sel:WORD_0 src1_sel:DWORD
	s_nop 1
	v_cndmask_b32_e32 v13, v2, v28, vcc
; %bb.1366:                             ;   in Loop: Header=BB17_1305 Depth=2
	s_or_b64 exec, exec, s[40:41]
	v_and_b32_e32 v2, 0xffff0000, v10
	v_and_b32_e32 v10, 0xffff0000, v14
	v_max_f32_e32 v10, v10, v10
	v_max_f32_e32 v2, v2, v2
	v_min_f32_e32 v14, v2, v10
	v_max_f32_e32 v2, v2, v10
	v_cndmask_b32_e64 v14, v2, v14, s[28:29]
	v_and_b32_e32 v2, 0x7f800000, v14
	v_cmp_ne_u32_e32 vcc, s96, v2
                                        ; implicit-def: $vgpr10
	s_and_saveexec_b64 s[40:41], vcc
	s_xor_b64 s[40:41], exec, s[40:41]
; %bb.1367:                             ;   in Loop: Header=BB17_1305 Depth=2
	v_bfe_u32 v2, v14, 16, 1
	v_add3_u32 v10, v14, v2, s97
                                        ; implicit-def: $vgpr14
; %bb.1368:                             ;   in Loop: Header=BB17_1305 Depth=2
	s_andn2_saveexec_b64 s[40:41], s[40:41]
; %bb.1369:                             ;   in Loop: Header=BB17_1305 Depth=2
	v_or_b32_e32 v2, 0x10000, v14
	v_cmp_eq_u32_sdwa vcc, v14, v3 src0_sel:WORD_0 src1_sel:DWORD
	s_nop 1
	v_cndmask_b32_e32 v10, v2, v14, vcc
; %bb.1370:                             ;   in Loop: Header=BB17_1305 Depth=2
	s_or_b64 exec, exec, s[40:41]
	v_lshlrev_b32_e32 v2, 16, v11
	v_lshlrev_b32_e32 v14, 16, v15
	v_max_f32_e32 v14, v14, v14
	v_max_f32_e32 v2, v2, v2
	v_min_f32_e32 v28, v2, v14
	v_max_f32_e32 v2, v2, v14
	v_cndmask_b32_e64 v28, v2, v28, s[28:29]
	v_and_b32_e32 v2, 0x7f800000, v28
	v_cmp_ne_u32_e32 vcc, s96, v2
                                        ; implicit-def: $vgpr14
	s_and_saveexec_b64 s[40:41], vcc
	s_xor_b64 s[40:41], exec, s[40:41]
; %bb.1371:                             ;   in Loop: Header=BB17_1305 Depth=2
	v_bfe_u32 v2, v28, 16, 1
	v_add3_u32 v14, v28, v2, s97
                                        ; implicit-def: $vgpr28
; %bb.1372:                             ;   in Loop: Header=BB17_1305 Depth=2
	s_andn2_saveexec_b64 s[40:41], s[40:41]
; %bb.1373:                             ;   in Loop: Header=BB17_1305 Depth=2
	v_or_b32_e32 v2, 0x10000, v28
	v_cmp_eq_u32_sdwa vcc, v28, v3 src0_sel:WORD_0 src1_sel:DWORD
	s_nop 1
	v_cndmask_b32_e32 v14, v2, v28, vcc
; %bb.1374:                             ;   in Loop: Header=BB17_1305 Depth=2
	s_or_b64 exec, exec, s[40:41]
	v_and_b32_e32 v2, 0xffff0000, v11
	v_and_b32_e32 v11, 0xffff0000, v15
	v_max_f32_e32 v11, v11, v11
	v_max_f32_e32 v2, v2, v2
	v_min_f32_e32 v15, v2, v11
	v_max_f32_e32 v2, v2, v11
	v_cndmask_b32_e64 v15, v2, v15, s[28:29]
	v_and_b32_e32 v2, 0x7f800000, v15
	v_cmp_ne_u32_e32 vcc, s96, v2
                                        ; implicit-def: $vgpr11
	s_and_saveexec_b64 s[40:41], vcc
	s_xor_b64 s[40:41], exec, s[40:41]
; %bb.1375:                             ;   in Loop: Header=BB17_1305 Depth=2
	v_bfe_u32 v2, v15, 16, 1
	v_add3_u32 v11, v15, v2, s97
                                        ; implicit-def: $vgpr15
; %bb.1376:                             ;   in Loop: Header=BB17_1305 Depth=2
	s_andn2_saveexec_b64 s[40:41], s[40:41]
; %bb.1377:                             ;   in Loop: Header=BB17_1305 Depth=2
	v_or_b32_e32 v2, 0x10000, v15
	v_cmp_eq_u32_sdwa vcc, v15, v3 src0_sel:WORD_0 src1_sel:DWORD
	s_nop 1
	v_cndmask_b32_e32 v11, v2, v15, vcc
; %bb.1378:                             ;   in Loop: Header=BB17_1305 Depth=2
	s_or_b64 exec, exec, s[40:41]
	v_lshrrev_b32_e32 v2, 16, v12
	v_and_or_b32 v9, v9, s46, v2
	v_lshrrev_b32_e32 v2, 16, v34
	v_and_or_b32 v8, v8, s46, v2
	v_lshrrev_b32_e32 v2, 16, v13
	v_and_or_b32 v10, v10, s46, v2
	v_lshrrev_b32_e32 v2, 16, v14
	v_and_or_b32 v11, v11, s46, v2
	s_mov_b64 s[52:53], 0
	s_mov_b64 s[50:51], -1
	scratch_store_dwordx4 off, v[8:11], s33 offset:192
.LBB17_1379:                            ;   Parent Loop BB17_47 Depth=1
                                        ;     Parent Loop BB17_1305 Depth=2
                                        ; =>    This Inner Loop Header: Depth=3
	s_cmp_eq_u32 s52, 1
	s_cselect_b64 vcc, -1, 0
	v_cndmask_b32_e32 v13, v17, v19, vcc
	s_cmp_eq_u32 s52, 0
	v_cndmask_b32_e32 v12, v16, v18, vcc
	global_store_dwordx4 v[12:13], v[8:11], off
	v_lshl_add_u64 v[12:13], v[12:13], 0, s[60:61]
	s_cselect_b64 s[40:41], -1, 0
	s_and_b64 s[42:43], exec, s[50:51]
	s_mov_b64 s[52:53], 1
	s_mov_b64 s[50:51], 0
	v_cndmask_b32_e32 v19, v19, v13, vcc
	v_cndmask_b32_e32 v18, v18, v12, vcc
	v_cndmask_b32_e64 v17, v17, v13, s[40:41]
	v_cndmask_b32_e64 v16, v16, v12, s[40:41]
	s_mov_b64 vcc, s[42:43]
	s_cbranch_vccnz .LBB17_1379
; %bb.1380:                             ;   in Loop: Header=BB17_1305 Depth=2
	v_sub_u32_e32 v32, v32, v84
	s_and_saveexec_b64 s[40:41], s[48:49]
	s_cbranch_execz .LBB17_1304
; %bb.1381:                             ;   in Loop: Header=BB17_1305 Depth=2
	v_lshl_add_u64 v[16:17], v[16:17], 0, v[114:115]
	v_lshl_add_u64 v[18:19], v[18:19], 0, v[114:115]
	;; [unrolled: 1-line block ×4, first 2 shown]
	v_sub_u32_e32 v33, v33, v105
	v_sub_u32_e32 v32, v32, v84
	s_branch .LBB17_1304
.LBB17_1382:                            ;   in Loop: Header=BB17_47 Depth=1
	s_or_b64 exec, exec, s[36:37]
	s_and_b64 s[28:29], s[38:39], exec
.LBB17_1383:                            ;   in Loop: Header=BB17_47 Depth=1
	s_or_b64 exec, exec, s[34:35]
	s_and_saveexec_b64 s[42:43], s[28:29]
	s_cbranch_execz .LBB17_1418
; %bb.1384:                             ;   in Loop: Header=BB17_47 Depth=1
	scratch_load_dwordx4 v[8:11], off, s33 offset:224
	scratch_load_dwordx4 v[12:15], off, s33 offset:240
	s_and_b32 s28, 0xffff, s44
	s_cmp_eq_u32 s28, 0
	s_cselect_b64 vcc, -1, 0
	s_waitcnt vmcnt(0)
	v_lshlrev_b32_e32 v2, 16, v8
	v_lshlrev_b32_e32 v20, 16, v12
	v_max_f32_e32 v20, v20, v20
	v_max_f32_e32 v2, v2, v2
	v_min_f32_e32 v21, v2, v20
	v_max_f32_e32 v2, v2, v20
	v_cndmask_b32_e32 v21, v2, v21, vcc
	v_and_b32_e32 v2, 0x7f800000, v21
	v_cmp_ne_u32_e64 s[28:29], s96, v2
                                        ; implicit-def: $vgpr20
	s_and_saveexec_b64 s[40:41], s[28:29]
	s_xor_b64 s[28:29], exec, s[40:41]
; %bb.1385:                             ;   in Loop: Header=BB17_47 Depth=1
	v_bfe_u32 v2, v21, 16, 1
	v_add3_u32 v20, v21, v2, s97
                                        ; implicit-def: $vgpr21
; %bb.1386:                             ;   in Loop: Header=BB17_47 Depth=1
	s_andn2_saveexec_b64 s[40:41], s[28:29]
; %bb.1387:                             ;   in Loop: Header=BB17_47 Depth=1
	v_or_b32_e32 v2, 0x10000, v21
	v_cmp_eq_u32_sdwa s[28:29], v21, v3 src0_sel:WORD_0 src1_sel:DWORD
	s_nop 1
	v_cndmask_b32_e64 v20, v2, v21, s[28:29]
; %bb.1388:                             ;   in Loop: Header=BB17_47 Depth=1
	s_or_b64 exec, exec, s[40:41]
	v_and_b32_e32 v2, 0xffff0000, v8
	v_and_b32_e32 v8, 0xffff0000, v12
	v_max_f32_e32 v8, v8, v8
	v_max_f32_e32 v2, v2, v2
	v_min_f32_e32 v12, v2, v8
	v_max_f32_e32 v2, v2, v8
	v_cndmask_b32_e32 v12, v2, v12, vcc
	v_and_b32_e32 v2, 0x7f800000, v12
	v_cmp_ne_u32_e64 s[28:29], s96, v2
                                        ; implicit-def: $vgpr8
	s_and_saveexec_b64 s[40:41], s[28:29]
	s_xor_b64 s[28:29], exec, s[40:41]
; %bb.1389:                             ;   in Loop: Header=BB17_47 Depth=1
	v_bfe_u32 v2, v12, 16, 1
	v_add3_u32 v8, v12, v2, s97
                                        ; implicit-def: $vgpr12
; %bb.1390:                             ;   in Loop: Header=BB17_47 Depth=1
	s_andn2_saveexec_b64 s[40:41], s[28:29]
; %bb.1391:                             ;   in Loop: Header=BB17_47 Depth=1
	v_or_b32_e32 v2, 0x10000, v12
	v_cmp_eq_u32_sdwa s[28:29], v12, v3 src0_sel:WORD_0 src1_sel:DWORD
	s_nop 1
	v_cndmask_b32_e64 v8, v2, v12, s[28:29]
; %bb.1392:                             ;   in Loop: Header=BB17_47 Depth=1
	s_or_b64 exec, exec, s[40:41]
	v_lshlrev_b32_e32 v2, 16, v9
	v_lshlrev_b32_e32 v12, 16, v13
	v_max_f32_e32 v12, v12, v12
	v_max_f32_e32 v2, v2, v2
	v_min_f32_e32 v21, v2, v12
	v_max_f32_e32 v2, v2, v12
	v_cndmask_b32_e32 v21, v2, v21, vcc
	v_and_b32_e32 v2, 0x7f800000, v21
	v_cmp_ne_u32_e64 s[28:29], s96, v2
                                        ; implicit-def: $vgpr12
	s_and_saveexec_b64 s[40:41], s[28:29]
	s_xor_b64 s[28:29], exec, s[40:41]
; %bb.1393:                             ;   in Loop: Header=BB17_47 Depth=1
	v_bfe_u32 v2, v21, 16, 1
	v_add3_u32 v12, v21, v2, s97
                                        ; implicit-def: $vgpr21
; %bb.1394:                             ;   in Loop: Header=BB17_47 Depth=1
	s_andn2_saveexec_b64 s[40:41], s[28:29]
; %bb.1395:                             ;   in Loop: Header=BB17_47 Depth=1
	v_or_b32_e32 v2, 0x10000, v21
	v_cmp_eq_u32_sdwa s[28:29], v21, v3 src0_sel:WORD_0 src1_sel:DWORD
	s_nop 1
	v_cndmask_b32_e64 v12, v2, v21, s[28:29]
; %bb.1396:                             ;   in Loop: Header=BB17_47 Depth=1
	s_or_b64 exec, exec, s[40:41]
	v_and_b32_e32 v2, 0xffff0000, v9
	v_and_b32_e32 v9, 0xffff0000, v13
	v_max_f32_e32 v9, v9, v9
	v_max_f32_e32 v2, v2, v2
	v_min_f32_e32 v13, v2, v9
	v_max_f32_e32 v2, v2, v9
	v_cndmask_b32_e32 v13, v2, v13, vcc
	v_and_b32_e32 v2, 0x7f800000, v13
	v_cmp_ne_u32_e64 s[28:29], s96, v2
                                        ; implicit-def: $vgpr9
	s_and_saveexec_b64 s[40:41], s[28:29]
	s_xor_b64 s[28:29], exec, s[40:41]
; %bb.1397:                             ;   in Loop: Header=BB17_47 Depth=1
	v_bfe_u32 v2, v13, 16, 1
	v_add3_u32 v9, v13, v2, s97
                                        ; implicit-def: $vgpr13
; %bb.1398:                             ;   in Loop: Header=BB17_47 Depth=1
	s_andn2_saveexec_b64 s[40:41], s[28:29]
; %bb.1399:                             ;   in Loop: Header=BB17_47 Depth=1
	v_or_b32_e32 v2, 0x10000, v13
	v_cmp_eq_u32_sdwa s[28:29], v13, v3 src0_sel:WORD_0 src1_sel:DWORD
	s_nop 1
	v_cndmask_b32_e64 v9, v2, v13, s[28:29]
; %bb.1400:                             ;   in Loop: Header=BB17_47 Depth=1
	s_or_b64 exec, exec, s[40:41]
	v_lshlrev_b32_e32 v2, 16, v10
	v_lshlrev_b32_e32 v13, 16, v14
	v_max_f32_e32 v13, v13, v13
	v_max_f32_e32 v2, v2, v2
	v_min_f32_e32 v21, v2, v13
	v_max_f32_e32 v2, v2, v13
	v_cndmask_b32_e32 v21, v2, v21, vcc
	v_and_b32_e32 v2, 0x7f800000, v21
	v_cmp_ne_u32_e64 s[28:29], s96, v2
                                        ; implicit-def: $vgpr13
	s_and_saveexec_b64 s[40:41], s[28:29]
	s_xor_b64 s[28:29], exec, s[40:41]
; %bb.1401:                             ;   in Loop: Header=BB17_47 Depth=1
	v_bfe_u32 v2, v21, 16, 1
	v_add3_u32 v13, v21, v2, s97
                                        ; implicit-def: $vgpr21
; %bb.1402:                             ;   in Loop: Header=BB17_47 Depth=1
	s_andn2_saveexec_b64 s[40:41], s[28:29]
; %bb.1403:                             ;   in Loop: Header=BB17_47 Depth=1
	v_or_b32_e32 v2, 0x10000, v21
	v_cmp_eq_u32_sdwa s[28:29], v21, v3 src0_sel:WORD_0 src1_sel:DWORD
	s_nop 1
	v_cndmask_b32_e64 v13, v2, v21, s[28:29]
; %bb.1404:                             ;   in Loop: Header=BB17_47 Depth=1
	s_or_b64 exec, exec, s[40:41]
	v_and_b32_e32 v2, 0xffff0000, v10
	v_and_b32_e32 v10, 0xffff0000, v14
	v_max_f32_e32 v10, v10, v10
	v_max_f32_e32 v2, v2, v2
	v_min_f32_e32 v14, v2, v10
	v_max_f32_e32 v2, v2, v10
	v_cndmask_b32_e32 v14, v2, v14, vcc
	v_and_b32_e32 v2, 0x7f800000, v14
	v_cmp_ne_u32_e64 s[28:29], s96, v2
                                        ; implicit-def: $vgpr10
	s_and_saveexec_b64 s[40:41], s[28:29]
	s_xor_b64 s[28:29], exec, s[40:41]
; %bb.1405:                             ;   in Loop: Header=BB17_47 Depth=1
	v_bfe_u32 v2, v14, 16, 1
	v_add3_u32 v10, v14, v2, s97
                                        ; implicit-def: $vgpr14
; %bb.1406:                             ;   in Loop: Header=BB17_47 Depth=1
	s_andn2_saveexec_b64 s[40:41], s[28:29]
; %bb.1407:                             ;   in Loop: Header=BB17_47 Depth=1
	v_or_b32_e32 v2, 0x10000, v14
	v_cmp_eq_u32_sdwa s[28:29], v14, v3 src0_sel:WORD_0 src1_sel:DWORD
	s_nop 1
	v_cndmask_b32_e64 v10, v2, v14, s[28:29]
; %bb.1408:                             ;   in Loop: Header=BB17_47 Depth=1
	s_or_b64 exec, exec, s[40:41]
	v_lshlrev_b32_e32 v2, 16, v11
	v_lshlrev_b32_e32 v14, 16, v15
	v_max_f32_e32 v14, v14, v14
	v_max_f32_e32 v2, v2, v2
	v_min_f32_e32 v21, v2, v14
	v_max_f32_e32 v2, v2, v14
	v_cndmask_b32_e32 v21, v2, v21, vcc
	v_and_b32_e32 v2, 0x7f800000, v21
	v_cmp_ne_u32_e64 s[28:29], s96, v2
                                        ; implicit-def: $vgpr14
	s_and_saveexec_b64 s[40:41], s[28:29]
	s_xor_b64 s[28:29], exec, s[40:41]
; %bb.1409:                             ;   in Loop: Header=BB17_47 Depth=1
	v_bfe_u32 v2, v21, 16, 1
	v_add3_u32 v14, v21, v2, s97
                                        ; implicit-def: $vgpr21
; %bb.1410:                             ;   in Loop: Header=BB17_47 Depth=1
	s_andn2_saveexec_b64 s[40:41], s[28:29]
; %bb.1411:                             ;   in Loop: Header=BB17_47 Depth=1
	v_or_b32_e32 v2, 0x10000, v21
	v_cmp_eq_u32_sdwa s[28:29], v21, v3 src0_sel:WORD_0 src1_sel:DWORD
	s_nop 1
	v_cndmask_b32_e64 v14, v2, v21, s[28:29]
; %bb.1412:                             ;   in Loop: Header=BB17_47 Depth=1
	s_or_b64 exec, exec, s[40:41]
	v_and_b32_e32 v2, 0xffff0000, v11
	v_and_b32_e32 v11, 0xffff0000, v15
	v_max_f32_e32 v11, v11, v11
	v_max_f32_e32 v2, v2, v2
	v_min_f32_e32 v15, v2, v11
	v_max_f32_e32 v2, v2, v11
	v_cndmask_b32_e32 v15, v2, v15, vcc
	v_and_b32_e32 v2, 0x7f800000, v15
	v_cmp_ne_u32_e32 vcc, s96, v2
                                        ; implicit-def: $vgpr11
	s_and_saveexec_b64 s[28:29], vcc
	s_xor_b64 s[28:29], exec, s[28:29]
; %bb.1413:                             ;   in Loop: Header=BB17_47 Depth=1
	v_bfe_u32 v2, v15, 16, 1
	v_add3_u32 v11, v15, v2, s97
                                        ; implicit-def: $vgpr15
; %bb.1414:                             ;   in Loop: Header=BB17_47 Depth=1
	s_andn2_saveexec_b64 s[28:29], s[28:29]
; %bb.1415:                             ;   in Loop: Header=BB17_47 Depth=1
	v_or_b32_e32 v2, 0x10000, v15
	v_cmp_eq_u32_sdwa vcc, v15, v3 src0_sel:WORD_0 src1_sel:DWORD
	s_nop 1
	v_cndmask_b32_e32 v11, v2, v15, vcc
; %bb.1416:                             ;   in Loop: Header=BB17_47 Depth=1
	s_or_b64 exec, exec, s[28:29]
	v_lshrrev_b32_e32 v2, 16, v12
	v_and_or_b32 v9, v9, s46, v2
	v_lshrrev_b32_e32 v2, 16, v20
	v_and_or_b32 v8, v8, s46, v2
	;; [unrolled: 2-line block ×4, first 2 shown]
	s_mov_b64 s[36:37], 0
	s_mov_b64 s[34:35], -1
.LBB17_1417:                            ;   Parent Loop BB17_47 Depth=1
                                        ; =>  This Inner Loop Header: Depth=2
	s_cmp_eq_u32 s36, 1
	s_cselect_b64 vcc, -1, 0
	v_cndmask_b32_e32 v13, v17, v19, vcc
	s_cmp_eq_u32 s36, 0
	v_cndmask_b32_e32 v12, v16, v18, vcc
	global_store_dwordx4 v[12:13], v[8:11], off
	v_lshl_add_u64 v[12:13], v[12:13], 0, s[60:61]
	s_cselect_b64 s[28:29], -1, 0
	s_and_b64 s[40:41], exec, s[34:35]
	s_mov_b64 s[36:37], 1
	s_mov_b64 s[34:35], 0
	v_cndmask_b32_e32 v19, v19, v13, vcc
	v_cndmask_b32_e32 v18, v18, v12, vcc
	v_cndmask_b32_e64 v17, v17, v13, s[28:29]
	v_cndmask_b32_e64 v16, v16, v12, s[28:29]
	s_mov_b64 vcc, s[40:41]
	s_cbranch_vccnz .LBB17_1417
.LBB17_1418:                            ;   in Loop: Header=BB17_47 Depth=1
	s_or_b64 exec, exec, s[42:43]
	v_and_b32_e32 v9, 14, v63
	v_cndmask_b32_e64 v17, v27, v9, s[26:27]
	v_cmp_ne_u32_e32 vcc, 0, v17
	s_mov_b64 s[28:29], s[94:95]
                                        ; implicit-def: $vgpr16
                                        ; implicit-def: $vgpr8
                                        ; implicit-def: $vgpr18
	s_and_saveexec_b64 s[40:41], vcc
	s_cbranch_execz .LBB17_1420
; %bb.1419:                             ;   in Loop: Header=BB17_47 Depth=1
	v_sub_u32_e32 v2, v27, v9
	v_cndmask_b32_e64 v2, 0, v2, s[26:27]
	v_cmp_lt_i32_e32 vcc, 0, v32
	v_add3_u32 v16, v26, v24, v2
	s_or_b64 s[28:29], s[94:95], exec
	v_cndmask_b32_e32 v2, 0, v84, vcc
	v_sub_u32_e32 v2, v2, v32
	v_lshl_add_u32 v8, v2, 6, v25
	v_ashrrev_i32_e32 v2, 31, v8
	v_lshrrev_b32_e32 v2, 26, v2
	v_add_u32_e32 v2, v8, v2
	v_and_b32_e32 v2, 0xffffffc0, v2
	v_sub_u32_e32 v18, v8, v2
.LBB17_1420:                            ;   in Loop: Header=BB17_47 Depth=1
	s_or_b64 exec, exec, s[40:41]
	s_andn2_b64 s[26:27], s[94:95], exec
	s_and_b64 s[28:29], s[28:29], exec
	s_or_b64 s[94:95], s[26:27], s[28:29]
.LBB17_1421:                            ;   in Loop: Header=BB17_47 Depth=1
	s_or_b64 exec, exec, s[30:31]
	scratch_load_dwordx2 v[124:125], off, s33 offset:280 ; 8-byte Folded Reload
	s_and_saveexec_b64 s[42:43], s[94:95]
	s_cbranch_execz .LBB17_1562
.LBB17_1422:                            ;   in Loop: Header=BB17_47 Depth=1
	v_ashrrev_i32_e32 v2, 31, v8
	v_lshrrev_b32_e32 v2, 26, v2
	v_add_u32_e32 v2, v8, v2
	v_ashrrev_i32_e32 v2, 6, v2
	v_lshlrev_b32_e32 v8, 10, v2
	v_lshlrev_b32_e32 v9, 1, v18
	v_add3_u32 v14, v16, v9, v8
	v_ashrrev_i32_e32 v8, 31, v17
	v_lshrrev_b32_e32 v8, 22, v8
	v_add_u32_e32 v8, v17, v8
	v_ashrrev_i32_e32 v20, 10, v8
	v_ashrrev_i32_e32 v15, 31, v14
	v_sub_u32_e32 v19, v20, v2
	v_lshl_add_u64 v[10:11], v[74:75], 0, v[14:15]
	v_lshl_add_u64 v[8:9], v[76:77], 0, v[14:15]
	v_cmp_lt_i32_e32 vcc, 0, v19
	v_mov_b32_e32 v52, 0
	s_mov_b64 s[26:27], 0
	v_mov_b32_e32 v49, 0
	v_mov_b32_e32 v38, 0
	;; [unrolled: 1-line block ×15, first 2 shown]
	s_and_saveexec_b64 s[28:29], vcc
	s_cbranch_execz .LBB17_1496
; %bb.1423:                             ;   in Loop: Header=BB17_47 Depth=1
	s_trap 2
	ds_read_b64 v[22:23], v0
	s_and_b32 s26, s44, 0xff
	s_cmp_eq_u32 s26, 0
	v_lshl_add_u64 v[12:13], v[14:15], 0, v[72:73]
	s_mov_b64 s[30:31], 0
	s_waitcnt lgkmcnt(0)
	v_lshl_add_u64 v[14:15], v[22:23], 0, v[14:15]
	s_mov_b64 s[94:95], 0
	s_cselect_b64 vcc, -1, 0
                                        ; implicit-def: $sgpr40_sgpr41
                                        ; implicit-def: $vgpr52
                                        ; implicit-def: $vgpr79
                                        ; implicit-def: $vgpr50
                                        ; implicit-def: $vgpr39
                                        ; implicit-def: $vgpr36
                                        ; implicit-def: $vgpr35
                                        ; implicit-def: $vgpr34
                                        ; implicit-def: $vgpr33
                                        ; implicit-def: $vgpr21
                                        ; implicit-def: $vgpr22
                                        ; implicit-def: $vgpr23
                                        ; implicit-def: $vgpr24
                                        ; implicit-def: $vgpr25
                                        ; implicit-def: $vgpr26
                                        ; implicit-def: $vgpr27
                                        ; implicit-def: $vgpr32
	s_branch .LBB17_1425
.LBB17_1424:                            ;   in Loop: Header=BB17_1425 Depth=2
	s_or_b64 exec, exec, s[26:27]
	v_cmp_gt_i32_e64 s[26:27], 1, v19
	s_or_b64 s[94:95], s[26:27], s[94:95]
	s_andn2_b64 s[26:27], s[40:41], exec
	s_and_b64 s[40:41], s[30:31], exec
	s_or_b64 s[40:41], s[26:27], s[40:41]
	s_andn2_b64 exec, exec, s[94:95]
	s_cbranch_execz .LBB17_1495
.LBB17_1425:                            ;   Parent Loop BB17_47 Depth=1
                                        ; =>  This Inner Loop Header: Depth=2
	s_waitcnt vmcnt(0)
	flat_load_ushort v125, v[12:13] nt
	flat_load_ushort v93, v[12:13] offset:128 nt
	flat_load_ushort v91, v[12:13] offset:256 nt
	;; [unrolled: 1-line block ×7, first 2 shown]
	flat_load_ushort v82, v[14:15] nt
	flat_load_ushort v124, v[14:15] offset:128 nt
	flat_load_ushort v92, v[14:15] offset:256 nt
	;; [unrolled: 1-line block ×7, first 2 shown]
	s_and_saveexec_b64 s[34:35], s[30:31]
	s_cbranch_execz .LBB17_1459
; %bb.1426:                             ;   in Loop: Header=BB17_1425 Depth=2
	v_lshlrev_b32_e32 v2, 16, v52
	v_lshlrev_b32_e32 v28, 16, v21
	v_max_f32_e32 v28, v28, v28
	v_max_f32_e32 v2, v2, v2
	v_min_f32_e32 v29, v2, v28
	v_max_f32_e32 v2, v2, v28
	v_cndmask_b32_e32 v28, v2, v29, vcc
	v_and_b32_e32 v2, 0x7f800000, v28
	v_cmp_ne_u32_e64 s[26:27], s96, v2
                                        ; implicit-def: $vgpr52
	s_and_saveexec_b64 s[30:31], s[26:27]
	s_xor_b64 s[26:27], exec, s[30:31]
; %bb.1427:                             ;   in Loop: Header=BB17_1425 Depth=2
	v_bfe_u32 v2, v28, 16, 1
	v_add3_u32 v52, v28, v2, s97
                                        ; implicit-def: $vgpr28
; %bb.1428:                             ;   in Loop: Header=BB17_1425 Depth=2
	s_andn2_saveexec_b64 s[30:31], s[26:27]
; %bb.1429:                             ;   in Loop: Header=BB17_1425 Depth=2
	v_or_b32_e32 v2, 0x10000, v28
	v_cmp_eq_u32_sdwa s[26:27], v28, v3 src0_sel:WORD_0 src1_sel:DWORD
	s_nop 1
	v_cndmask_b32_e64 v52, v2, v28, s[26:27]
; %bb.1430:                             ;   in Loop: Header=BB17_1425 Depth=2
	s_or_b64 exec, exec, s[30:31]
	v_lshlrev_b32_e32 v2, 16, v79
	v_lshlrev_b32_e32 v28, 16, v22
	v_max_f32_e32 v28, v28, v28
	v_max_f32_e32 v2, v2, v2
	v_min_f32_e32 v29, v2, v28
	v_max_f32_e32 v2, v2, v28
	v_cndmask_b32_e32 v28, v2, v29, vcc
	v_and_b32_e32 v2, 0x7f800000, v28
	v_cmp_ne_u32_e64 s[26:27], s96, v2
                                        ; implicit-def: $vgpr54
	s_and_saveexec_b64 s[30:31], s[26:27]
	s_xor_b64 s[26:27], exec, s[30:31]
; %bb.1431:                             ;   in Loop: Header=BB17_1425 Depth=2
	v_bfe_u32 v2, v28, 16, 1
	v_add3_u32 v54, v28, v2, s97
                                        ; implicit-def: $vgpr28
; %bb.1432:                             ;   in Loop: Header=BB17_1425 Depth=2
	s_andn2_saveexec_b64 s[30:31], s[26:27]
; %bb.1433:                             ;   in Loop: Header=BB17_1425 Depth=2
	v_or_b32_e32 v2, 0x10000, v28
	v_cmp_eq_u32_sdwa s[26:27], v28, v3 src0_sel:WORD_0 src1_sel:DWORD
	s_nop 1
	v_cndmask_b32_e64 v54, v2, v28, s[26:27]
; %bb.1434:                             ;   in Loop: Header=BB17_1425 Depth=2
	s_or_b64 exec, exec, s[30:31]
	v_lshlrev_b32_e32 v2, 16, v50
	v_lshlrev_b32_e32 v28, 16, v23
	v_max_f32_e32 v28, v28, v28
	v_max_f32_e32 v2, v2, v2
	v_min_f32_e32 v29, v2, v28
	v_max_f32_e32 v2, v2, v28
	v_cndmask_b32_e32 v29, v2, v29, vcc
	v_and_b32_e32 v2, 0x7f800000, v29
	v_cmp_ne_u32_e64 s[26:27], s96, v2
                                        ; implicit-def: $vgpr28
	s_and_saveexec_b64 s[30:31], s[26:27]
	s_xor_b64 s[26:27], exec, s[30:31]
; %bb.1435:                             ;   in Loop: Header=BB17_1425 Depth=2
	v_bfe_u32 v2, v29, 16, 1
	v_add3_u32 v28, v29, v2, s97
                                        ; implicit-def: $vgpr29
; %bb.1436:                             ;   in Loop: Header=BB17_1425 Depth=2
	s_andn2_saveexec_b64 s[30:31], s[26:27]
; %bb.1437:                             ;   in Loop: Header=BB17_1425 Depth=2
	v_or_b32_e32 v2, 0x10000, v29
	v_cmp_eq_u32_sdwa s[26:27], v29, v3 src0_sel:WORD_0 src1_sel:DWORD
	s_nop 1
	v_cndmask_b32_e64 v28, v2, v29, s[26:27]
; %bb.1438:                             ;   in Loop: Header=BB17_1425 Depth=2
	s_or_b64 exec, exec, s[30:31]
	v_lshlrev_b32_e32 v2, 16, v39
	v_lshlrev_b32_e32 v29, 16, v24
	v_max_f32_e32 v29, v29, v29
	v_max_f32_e32 v2, v2, v2
	v_min_f32_e32 v39, v2, v29
	v_max_f32_e32 v2, v2, v29
	v_cndmask_b32_e32 v39, v2, v39, vcc
	v_and_b32_e32 v2, 0x7f800000, v39
	v_cmp_ne_u32_e64 s[26:27], s96, v2
                                        ; implicit-def: $vgpr29
	s_and_saveexec_b64 s[30:31], s[26:27]
	s_xor_b64 s[26:27], exec, s[30:31]
; %bb.1439:                             ;   in Loop: Header=BB17_1425 Depth=2
	v_bfe_u32 v2, v39, 16, 1
	v_add3_u32 v29, v39, v2, s97
                                        ; implicit-def: $vgpr39
; %bb.1440:                             ;   in Loop: Header=BB17_1425 Depth=2
	s_andn2_saveexec_b64 s[30:31], s[26:27]
; %bb.1441:                             ;   in Loop: Header=BB17_1425 Depth=2
	v_or_b32_e32 v2, 0x10000, v39
	v_cmp_eq_u32_sdwa s[26:27], v39, v3 src0_sel:WORD_0 src1_sel:DWORD
	s_nop 1
	v_cndmask_b32_e64 v29, v2, v39, s[26:27]
; %bb.1442:                             ;   in Loop: Header=BB17_1425 Depth=2
	s_or_b64 exec, exec, s[30:31]
	v_lshlrev_b32_e32 v2, 16, v36
	v_lshlrev_b32_e32 v36, 16, v25
	v_max_f32_e32 v36, v36, v36
	v_max_f32_e32 v2, v2, v2
	v_min_f32_e32 v39, v2, v36
	v_max_f32_e32 v2, v2, v36
	v_cndmask_b32_e32 v39, v2, v39, vcc
	v_and_b32_e32 v2, 0x7f800000, v39
	v_cmp_ne_u32_e64 s[26:27], s96, v2
                                        ; implicit-def: $vgpr36
	s_and_saveexec_b64 s[30:31], s[26:27]
	s_xor_b64 s[26:27], exec, s[30:31]
; %bb.1443:                             ;   in Loop: Header=BB17_1425 Depth=2
	v_bfe_u32 v2, v39, 16, 1
	v_add3_u32 v36, v39, v2, s97
                                        ; implicit-def: $vgpr39
; %bb.1444:                             ;   in Loop: Header=BB17_1425 Depth=2
	s_andn2_saveexec_b64 s[30:31], s[26:27]
; %bb.1445:                             ;   in Loop: Header=BB17_1425 Depth=2
	v_or_b32_e32 v2, 0x10000, v39
	v_cmp_eq_u32_sdwa s[26:27], v39, v3 src0_sel:WORD_0 src1_sel:DWORD
	s_nop 1
	v_cndmask_b32_e64 v36, v2, v39, s[26:27]
; %bb.1446:                             ;   in Loop: Header=BB17_1425 Depth=2
	s_or_b64 exec, exec, s[30:31]
	v_lshlrev_b32_e32 v2, 16, v35
	v_lshlrev_b32_e32 v35, 16, v26
	v_max_f32_e32 v35, v35, v35
	v_max_f32_e32 v2, v2, v2
	v_min_f32_e32 v39, v2, v35
	v_max_f32_e32 v2, v2, v35
	v_cndmask_b32_e32 v39, v2, v39, vcc
	v_and_b32_e32 v2, 0x7f800000, v39
	v_cmp_ne_u32_e64 s[26:27], s96, v2
                                        ; implicit-def: $vgpr35
	s_and_saveexec_b64 s[30:31], s[26:27]
	s_xor_b64 s[26:27], exec, s[30:31]
; %bb.1447:                             ;   in Loop: Header=BB17_1425 Depth=2
	v_bfe_u32 v2, v39, 16, 1
	v_add3_u32 v35, v39, v2, s97
                                        ; implicit-def: $vgpr39
; %bb.1448:                             ;   in Loop: Header=BB17_1425 Depth=2
	s_andn2_saveexec_b64 s[30:31], s[26:27]
; %bb.1449:                             ;   in Loop: Header=BB17_1425 Depth=2
	v_or_b32_e32 v2, 0x10000, v39
	v_cmp_eq_u32_sdwa s[26:27], v39, v3 src0_sel:WORD_0 src1_sel:DWORD
	s_nop 1
	v_cndmask_b32_e64 v35, v2, v39, s[26:27]
; %bb.1450:                             ;   in Loop: Header=BB17_1425 Depth=2
	s_or_b64 exec, exec, s[30:31]
	v_lshlrev_b32_e32 v2, 16, v34
	v_lshlrev_b32_e32 v34, 16, v27
	v_max_f32_e32 v34, v34, v34
	v_max_f32_e32 v2, v2, v2
	v_min_f32_e32 v39, v2, v34
	v_max_f32_e32 v2, v2, v34
	v_cndmask_b32_e32 v39, v2, v39, vcc
	v_and_b32_e32 v2, 0x7f800000, v39
	v_cmp_ne_u32_e64 s[26:27], s96, v2
                                        ; implicit-def: $vgpr34
	s_and_saveexec_b64 s[30:31], s[26:27]
	s_xor_b64 s[26:27], exec, s[30:31]
; %bb.1451:                             ;   in Loop: Header=BB17_1425 Depth=2
	v_bfe_u32 v2, v39, 16, 1
	v_add3_u32 v34, v39, v2, s97
                                        ; implicit-def: $vgpr39
; %bb.1452:                             ;   in Loop: Header=BB17_1425 Depth=2
	s_andn2_saveexec_b64 s[30:31], s[26:27]
; %bb.1453:                             ;   in Loop: Header=BB17_1425 Depth=2
	v_or_b32_e32 v2, 0x10000, v39
	v_cmp_eq_u32_sdwa s[26:27], v39, v3 src0_sel:WORD_0 src1_sel:DWORD
	s_nop 1
	v_cndmask_b32_e64 v34, v2, v39, s[26:27]
; %bb.1454:                             ;   in Loop: Header=BB17_1425 Depth=2
	s_or_b64 exec, exec, s[30:31]
	v_lshlrev_b32_e32 v2, 16, v33
	v_lshlrev_b32_e32 v33, 16, v32
	v_max_f32_e32 v33, v33, v33
	v_max_f32_e32 v2, v2, v2
	v_min_f32_e32 v39, v2, v33
	v_max_f32_e32 v2, v2, v33
	v_cndmask_b32_e32 v39, v2, v39, vcc
	v_and_b32_e32 v2, 0x7f800000, v39
	v_cmp_ne_u32_e64 s[26:27], s96, v2
                                        ; implicit-def: $vgpr33
	s_and_saveexec_b64 s[30:31], s[26:27]
	s_xor_b64 s[26:27], exec, s[30:31]
; %bb.1455:                             ;   in Loop: Header=BB17_1425 Depth=2
	v_bfe_u32 v2, v39, 16, 1
	v_add3_u32 v33, v39, v2, s97
                                        ; implicit-def: $vgpr39
; %bb.1456:                             ;   in Loop: Header=BB17_1425 Depth=2
	s_andn2_saveexec_b64 s[30:31], s[26:27]
; %bb.1457:                             ;   in Loop: Header=BB17_1425 Depth=2
	v_or_b32_e32 v2, 0x10000, v39
	v_cmp_eq_u32_sdwa s[26:27], v39, v3 src0_sel:WORD_0 src1_sel:DWORD
	s_nop 1
	v_cndmask_b32_e64 v33, v2, v39, s[26:27]
; %bb.1458:                             ;   in Loop: Header=BB17_1425 Depth=2
	s_or_b64 exec, exec, s[30:31]
	v_lshrrev_b32_e32 v52, 16, v52
	v_lshrrev_b32_e32 v34, 16, v34
	;; [unrolled: 1-line block ×8, first 2 shown]
	flat_store_short v[10:11], v52 nt
	flat_store_short v[10:11], v79 offset:128 nt
	flat_store_short v[10:11], v50 offset:256 nt
	;; [unrolled: 1-line block ×7, first 2 shown]
	flat_store_short v[8:9], v52 nt
	flat_store_short v[8:9], v79 offset:128 nt
	flat_store_short v[8:9], v50 offset:256 nt
	;; [unrolled: 1-line block ×7, first 2 shown]
	v_lshl_add_u64 v[10:11], v[10:11], 0, v[42:43]
	v_lshl_add_u64 v[8:9], v[8:9], 0, v[42:43]
.LBB17_1459:                            ;   in Loop: Header=BB17_1425 Depth=2
	s_or_b64 exec, exec, s[34:35]
	v_sub_u32_e32 v19, v19, v84
	v_lshl_add_u64 v[12:13], v[12:13], 0, v[42:43]
	v_lshl_add_u64 v[14:15], v[14:15], 0, v[42:43]
	v_cmp_lt_i32_e64 s[30:31], 0, v19
	s_and_saveexec_b64 s[26:27], s[30:31]
	s_cbranch_execz .LBB17_1461
; %bb.1460:                             ;   in Loop: Header=BB17_1425 Depth=2
	flat_load_ushort v52, v[12:13] nt
	flat_load_ushort v79, v[12:13] offset:128 nt
	flat_load_ushort v50, v[12:13] offset:256 nt
	;; [unrolled: 1-line block ×7, first 2 shown]
	flat_load_ushort v21, v[14:15] nt
	flat_load_ushort v22, v[14:15] offset:128 nt
	flat_load_ushort v23, v[14:15] offset:256 nt
	;; [unrolled: 1-line block ×7, first 2 shown]
	v_lshl_add_u64 v[12:13], v[12:13], 0, s[60:61]
	v_lshl_add_u64 v[14:15], v[14:15], 0, s[60:61]
.LBB17_1461:                            ;   in Loop: Header=BB17_1425 Depth=2
	s_or_b64 exec, exec, s[26:27]
	s_waitcnt vmcnt(0) lgkmcnt(0)
	v_lshlrev_b32_e32 v2, 16, v125
	v_lshlrev_b32_e32 v28, 16, v82
	v_max_f32_e32 v28, v28, v28
	v_max_f32_e32 v2, v2, v2
	v_min_f32_e32 v29, v2, v28
	v_max_f32_e32 v2, v2, v28
	v_cndmask_b32_e32 v28, v2, v29, vcc
	v_and_b32_e32 v2, 0x7f800000, v28
	v_cmp_ne_u32_e64 s[26:27], s96, v2
                                        ; implicit-def: $vgpr54
	s_and_saveexec_b64 s[34:35], s[26:27]
	s_xor_b64 s[26:27], exec, s[34:35]
; %bb.1462:                             ;   in Loop: Header=BB17_1425 Depth=2
	v_bfe_u32 v2, v28, 16, 1
	v_add3_u32 v54, v28, v2, s97
                                        ; implicit-def: $vgpr28
; %bb.1463:                             ;   in Loop: Header=BB17_1425 Depth=2
	s_andn2_saveexec_b64 s[34:35], s[26:27]
; %bb.1464:                             ;   in Loop: Header=BB17_1425 Depth=2
	v_or_b32_e32 v2, 0x10000, v28
	v_cmp_eq_u32_sdwa s[26:27], v28, v3 src0_sel:WORD_0 src1_sel:DWORD
	s_nop 1
	v_cndmask_b32_e64 v54, v2, v28, s[26:27]
; %bb.1465:                             ;   in Loop: Header=BB17_1425 Depth=2
	s_or_b64 exec, exec, s[34:35]
	v_lshlrev_b32_e32 v2, 16, v93
	v_lshlrev_b32_e32 v28, 16, v124
	v_max_f32_e32 v28, v28, v28
	v_max_f32_e32 v2, v2, v2
	v_min_f32_e32 v29, v2, v28
	v_max_f32_e32 v2, v2, v28
	v_cndmask_b32_e32 v28, v2, v29, vcc
	v_and_b32_e32 v2, 0x7f800000, v28
	v_cmp_ne_u32_e64 s[26:27], s96, v2
                                        ; implicit-def: $vgpr55
	s_and_saveexec_b64 s[34:35], s[26:27]
	s_xor_b64 s[26:27], exec, s[34:35]
; %bb.1466:                             ;   in Loop: Header=BB17_1425 Depth=2
	v_bfe_u32 v2, v28, 16, 1
	v_add3_u32 v55, v28, v2, s97
                                        ; implicit-def: $vgpr28
; %bb.1467:                             ;   in Loop: Header=BB17_1425 Depth=2
	s_andn2_saveexec_b64 s[34:35], s[26:27]
; %bb.1468:                             ;   in Loop: Header=BB17_1425 Depth=2
	v_or_b32_e32 v2, 0x10000, v28
	v_cmp_eq_u32_sdwa s[26:27], v28, v3 src0_sel:WORD_0 src1_sel:DWORD
	s_nop 1
	v_cndmask_b32_e64 v55, v2, v28, s[26:27]
; %bb.1469:                             ;   in Loop: Header=BB17_1425 Depth=2
	s_or_b64 exec, exec, s[34:35]
	v_lshlrev_b32_e32 v2, 16, v91
	v_lshlrev_b32_e32 v28, 16, v92
	v_max_f32_e32 v28, v28, v28
	v_max_f32_e32 v2, v2, v2
	v_min_f32_e32 v29, v2, v28
	v_max_f32_e32 v2, v2, v28
	v_cndmask_b32_e32 v29, v2, v29, vcc
	v_and_b32_e32 v2, 0x7f800000, v29
	v_cmp_ne_u32_e64 s[26:27], s96, v2
                                        ; implicit-def: $vgpr28
	s_and_saveexec_b64 s[34:35], s[26:27]
	s_xor_b64 s[26:27], exec, s[34:35]
; %bb.1470:                             ;   in Loop: Header=BB17_1425 Depth=2
	v_bfe_u32 v2, v29, 16, 1
	v_add3_u32 v28, v29, v2, s97
                                        ; implicit-def: $vgpr29
; %bb.1471:                             ;   in Loop: Header=BB17_1425 Depth=2
	s_andn2_saveexec_b64 s[34:35], s[26:27]
; %bb.1472:                             ;   in Loop: Header=BB17_1425 Depth=2
	v_or_b32_e32 v2, 0x10000, v29
	v_cmp_eq_u32_sdwa s[26:27], v29, v3 src0_sel:WORD_0 src1_sel:DWORD
	s_nop 1
	v_cndmask_b32_e64 v28, v2, v29, s[26:27]
; %bb.1473:                             ;   in Loop: Header=BB17_1425 Depth=2
	s_or_b64 exec, exec, s[34:35]
	v_lshlrev_b32_e32 v2, 16, v53
	v_lshlrev_b32_e32 v29, 16, v90
	v_max_f32_e32 v29, v29, v29
	v_max_f32_e32 v2, v2, v2
	v_min_f32_e32 v53, v2, v29
	v_max_f32_e32 v2, v2, v29
	v_cndmask_b32_e32 v53, v2, v53, vcc
	v_and_b32_e32 v2, 0x7f800000, v53
	v_cmp_ne_u32_e64 s[26:27], s96, v2
                                        ; implicit-def: $vgpr29
	s_and_saveexec_b64 s[34:35], s[26:27]
	s_xor_b64 s[26:27], exec, s[34:35]
; %bb.1474:                             ;   in Loop: Header=BB17_1425 Depth=2
	v_bfe_u32 v2, v53, 16, 1
	v_add3_u32 v29, v53, v2, s97
                                        ; implicit-def: $vgpr53
; %bb.1475:                             ;   in Loop: Header=BB17_1425 Depth=2
	s_andn2_saveexec_b64 s[34:35], s[26:27]
; %bb.1476:                             ;   in Loop: Header=BB17_1425 Depth=2
	v_or_b32_e32 v2, 0x10000, v53
	v_cmp_eq_u32_sdwa s[26:27], v53, v3 src0_sel:WORD_0 src1_sel:DWORD
	s_nop 1
	v_cndmask_b32_e64 v29, v2, v53, s[26:27]
; %bb.1477:                             ;   in Loop: Header=BB17_1425 Depth=2
	s_or_b64 exec, exec, s[34:35]
	v_lshlrev_b32_e32 v2, 16, v88
	v_lshlrev_b32_e32 v53, 16, v89
	v_max_f32_e32 v53, v53, v53
	v_max_f32_e32 v2, v2, v2
	v_min_f32_e32 v82, v2, v53
	v_max_f32_e32 v2, v2, v53
	v_cndmask_b32_e32 v82, v2, v82, vcc
	v_and_b32_e32 v2, 0x7f800000, v82
	v_cmp_ne_u32_e64 s[26:27], s96, v2
                                        ; implicit-def: $vgpr53
	s_and_saveexec_b64 s[34:35], s[26:27]
	s_xor_b64 s[26:27], exec, s[34:35]
; %bb.1478:                             ;   in Loop: Header=BB17_1425 Depth=2
	v_bfe_u32 v2, v82, 16, 1
	v_add3_u32 v53, v82, v2, s97
                                        ; implicit-def: $vgpr82
; %bb.1479:                             ;   in Loop: Header=BB17_1425 Depth=2
	s_andn2_saveexec_b64 s[34:35], s[26:27]
; %bb.1480:                             ;   in Loop: Header=BB17_1425 Depth=2
	v_or_b32_e32 v2, 0x10000, v82
	v_cmp_eq_u32_sdwa s[26:27], v82, v3 src0_sel:WORD_0 src1_sel:DWORD
	s_nop 1
	v_cndmask_b32_e64 v53, v2, v82, s[26:27]
; %bb.1481:                             ;   in Loop: Header=BB17_1425 Depth=2
	s_or_b64 exec, exec, s[34:35]
	v_lshlrev_b32_e32 v2, 16, v51
	v_lshlrev_b32_e32 v51, 16, v78
	v_max_f32_e32 v51, v51, v51
	v_max_f32_e32 v2, v2, v2
	v_min_f32_e32 v82, v2, v51
	v_max_f32_e32 v2, v2, v51
	v_cndmask_b32_e32 v82, v2, v82, vcc
	v_and_b32_e32 v2, 0x7f800000, v82
	v_cmp_ne_u32_e64 s[26:27], s96, v2
                                        ; implicit-def: $vgpr51
	s_and_saveexec_b64 s[34:35], s[26:27]
	s_xor_b64 s[26:27], exec, s[34:35]
; %bb.1482:                             ;   in Loop: Header=BB17_1425 Depth=2
	v_bfe_u32 v2, v82, 16, 1
	v_add3_u32 v51, v82, v2, s97
                                        ; implicit-def: $vgpr82
; %bb.1483:                             ;   in Loop: Header=BB17_1425 Depth=2
	s_andn2_saveexec_b64 s[34:35], s[26:27]
; %bb.1484:                             ;   in Loop: Header=BB17_1425 Depth=2
	v_or_b32_e32 v2, 0x10000, v82
	v_cmp_eq_u32_sdwa s[26:27], v82, v3 src0_sel:WORD_0 src1_sel:DWORD
	s_nop 1
	v_cndmask_b32_e64 v51, v2, v82, s[26:27]
; %bb.1485:                             ;   in Loop: Header=BB17_1425 Depth=2
	s_or_b64 exec, exec, s[34:35]
	v_lshlrev_b32_e32 v2, 16, v48
	v_lshlrev_b32_e32 v48, 16, v49
	v_max_f32_e32 v48, v48, v48
	v_max_f32_e32 v2, v2, v2
	v_min_f32_e32 v49, v2, v48
	v_max_f32_e32 v2, v2, v48
	v_cndmask_b32_e32 v49, v2, v49, vcc
	v_and_b32_e32 v2, 0x7f800000, v49
	v_cmp_ne_u32_e64 s[26:27], s96, v2
                                        ; implicit-def: $vgpr48
	s_and_saveexec_b64 s[34:35], s[26:27]
	s_xor_b64 s[26:27], exec, s[34:35]
; %bb.1486:                             ;   in Loop: Header=BB17_1425 Depth=2
	v_bfe_u32 v2, v49, 16, 1
	v_add3_u32 v48, v49, v2, s97
                                        ; implicit-def: $vgpr49
; %bb.1487:                             ;   in Loop: Header=BB17_1425 Depth=2
	s_andn2_saveexec_b64 s[34:35], s[26:27]
; %bb.1488:                             ;   in Loop: Header=BB17_1425 Depth=2
	v_or_b32_e32 v2, 0x10000, v49
	v_cmp_eq_u32_sdwa s[26:27], v49, v3 src0_sel:WORD_0 src1_sel:DWORD
	s_nop 1
	v_cndmask_b32_e64 v48, v2, v49, s[26:27]
; %bb.1489:                             ;   in Loop: Header=BB17_1425 Depth=2
	s_or_b64 exec, exec, s[34:35]
	v_lshlrev_b32_e32 v2, 16, v37
	v_lshlrev_b32_e32 v37, 16, v38
	v_max_f32_e32 v37, v37, v37
	v_max_f32_e32 v2, v2, v2
	v_min_f32_e32 v38, v2, v37
	v_max_f32_e32 v2, v2, v37
	v_cndmask_b32_e32 v38, v2, v38, vcc
	v_and_b32_e32 v2, 0x7f800000, v38
	v_cmp_ne_u32_e64 s[26:27], s96, v2
                                        ; implicit-def: $vgpr37
	s_and_saveexec_b64 s[34:35], s[26:27]
	s_xor_b64 s[26:27], exec, s[34:35]
; %bb.1490:                             ;   in Loop: Header=BB17_1425 Depth=2
	v_bfe_u32 v2, v38, 16, 1
	v_add3_u32 v37, v38, v2, s97
                                        ; implicit-def: $vgpr38
; %bb.1491:                             ;   in Loop: Header=BB17_1425 Depth=2
	s_andn2_saveexec_b64 s[34:35], s[26:27]
; %bb.1492:                             ;   in Loop: Header=BB17_1425 Depth=2
	v_or_b32_e32 v2, 0x10000, v38
	v_cmp_eq_u32_sdwa s[26:27], v38, v3 src0_sel:WORD_0 src1_sel:DWORD
	s_nop 1
	v_cndmask_b32_e64 v37, v2, v38, s[26:27]
; %bb.1493:                             ;   in Loop: Header=BB17_1425 Depth=2
	s_or_b64 exec, exec, s[34:35]
	v_lshrrev_b32_e32 v38, 16, v51
	v_lshrrev_b32_e32 v51, 16, v54
	;; [unrolled: 1-line block ×8, first 2 shown]
	flat_store_short v[10:11], v51 nt
	flat_store_short v[10:11], v49 offset:128 nt
	flat_store_short v[10:11], v28 offset:256 nt
	;; [unrolled: 1-line block ×7, first 2 shown]
	v_lshl_add_u64 v[10:11], v[10:11], 0, s[60:61]
	flat_store_short v[8:9], v51 nt
	flat_store_short v[8:9], v49 offset:128 nt
	flat_store_short v[8:9], v28 offset:256 nt
	;; [unrolled: 1-line block ×7, first 2 shown]
	v_lshl_add_u64 v[8:9], v[8:9], 0, s[60:61]
	s_and_saveexec_b64 s[26:27], s[30:31]
	s_cbranch_execz .LBB17_1424
; %bb.1494:                             ;   in Loop: Header=BB17_1425 Depth=2
	v_lshl_add_u64 v[10:11], v[10:11], 0, v[114:115]
	v_lshl_add_u64 v[8:9], v[8:9], 0, v[114:115]
	;; [unrolled: 1-line block ×4, first 2 shown]
	v_sub_u32_e32 v19, v19, v84
	s_branch .LBB17_1424
.LBB17_1495:                            ;   in Loop: Header=BB17_47 Depth=1
	s_or_b64 exec, exec, s[94:95]
	scratch_load_dwordx2 v[124:125], off, s33 offset:280 ; 8-byte Folded Reload
	v_lshlrev_b32_e32 v52, 16, v52
	v_lshlrev_b32_e32 v53, 16, v21
	;; [unrolled: 1-line block ×16, first 2 shown]
	s_and_b64 s[26:27], s[40:41], exec
.LBB17_1496:                            ;   in Loop: Header=BB17_47 Depth=1
	s_or_b64 exec, exec, s[28:29]
	s_and_saveexec_b64 s[28:29], s[26:27]
	s_cbranch_execz .LBB17_1530
; %bb.1497:                             ;   in Loop: Header=BB17_47 Depth=1
	s_and_b32 s26, s44, 0xff
	s_cmp_eq_u32 s26, 0
	v_max_f32_e32 v2, v53, v53
	v_max_f32_e32 v14, v52, v52
	v_min_f32_e32 v15, v14, v2
	v_max_f32_e32 v2, v14, v2
	s_cselect_b64 vcc, -1, 0
	v_cndmask_b32_e32 v15, v2, v15, vcc
	v_and_b32_e32 v2, 0x7f800000, v15
	v_cmp_ne_u32_e64 s[26:27], s96, v2
                                        ; implicit-def: $vgpr14
	s_and_saveexec_b64 s[40:41], s[26:27]
	s_xor_b64 s[26:27], exec, s[40:41]
; %bb.1498:                             ;   in Loop: Header=BB17_47 Depth=1
	v_bfe_u32 v2, v15, 16, 1
	v_add3_u32 v14, v15, v2, s97
                                        ; implicit-def: $vgpr15
; %bb.1499:                             ;   in Loop: Header=BB17_47 Depth=1
	s_andn2_saveexec_b64 s[40:41], s[26:27]
; %bb.1500:                             ;   in Loop: Header=BB17_47 Depth=1
	v_or_b32_e32 v2, 0x10000, v15
	v_cmp_eq_u32_sdwa s[26:27], v15, v3 src0_sel:WORD_0 src1_sel:DWORD
	s_nop 1
	v_cndmask_b32_e64 v14, v2, v15, s[26:27]
; %bb.1501:                             ;   in Loop: Header=BB17_47 Depth=1
	s_or_b64 exec, exec, s[40:41]
	v_max_f32_e32 v2, v51, v51
	v_max_f32_e32 v15, v49, v49
	v_min_f32_e32 v26, v15, v2
	v_max_f32_e32 v2, v15, v2
	v_cndmask_b32_e32 v26, v2, v26, vcc
	v_and_b32_e32 v2, 0x7f800000, v26
	v_cmp_ne_u32_e64 s[26:27], s96, v2
                                        ; implicit-def: $vgpr15
	s_and_saveexec_b64 s[40:41], s[26:27]
	s_xor_b64 s[26:27], exec, s[40:41]
; %bb.1502:                             ;   in Loop: Header=BB17_47 Depth=1
	v_bfe_u32 v2, v26, 16, 1
	v_add3_u32 v15, v26, v2, s97
                                        ; implicit-def: $vgpr26
; %bb.1503:                             ;   in Loop: Header=BB17_47 Depth=1
	s_andn2_saveexec_b64 s[40:41], s[26:27]
; %bb.1504:                             ;   in Loop: Header=BB17_47 Depth=1
	v_or_b32_e32 v2, 0x10000, v26
	v_cmp_eq_u32_sdwa s[26:27], v26, v3 src0_sel:WORD_0 src1_sel:DWORD
	s_nop 1
	v_cndmask_b32_e64 v15, v2, v26, s[26:27]
; %bb.1505:                             ;   in Loop: Header=BB17_47 Depth=1
	s_or_b64 exec, exec, s[40:41]
	v_max_f32_e32 v2, v48, v48
	v_max_f32_e32 v26, v38, v38
	v_min_f32_e32 v27, v26, v2
	v_max_f32_e32 v2, v26, v2
	v_cndmask_b32_e32 v27, v2, v27, vcc
	v_and_b32_e32 v2, 0x7f800000, v27
	v_cmp_ne_u32_e64 s[26:27], s96, v2
                                        ; implicit-def: $vgpr26
	s_and_saveexec_b64 s[40:41], s[26:27]
	s_xor_b64 s[26:27], exec, s[40:41]
; %bb.1506:                             ;   in Loop: Header=BB17_47 Depth=1
	v_bfe_u32 v2, v27, 16, 1
	v_add3_u32 v26, v27, v2, s97
                                        ; implicit-def: $vgpr27
; %bb.1507:                             ;   in Loop: Header=BB17_47 Depth=1
	s_andn2_saveexec_b64 s[40:41], s[26:27]
; %bb.1508:                             ;   in Loop: Header=BB17_47 Depth=1
	v_or_b32_e32 v2, 0x10000, v27
	v_cmp_eq_u32_sdwa s[26:27], v27, v3 src0_sel:WORD_0 src1_sel:DWORD
	s_nop 1
	v_cndmask_b32_e64 v26, v2, v27, s[26:27]
; %bb.1509:                             ;   in Loop: Header=BB17_47 Depth=1
	s_or_b64 exec, exec, s[40:41]
	v_max_f32_e32 v2, v37, v37
	v_max_f32_e32 v27, v29, v29
	v_min_f32_e32 v29, v27, v2
	v_max_f32_e32 v2, v27, v2
	v_cndmask_b32_e32 v29, v2, v29, vcc
	v_and_b32_e32 v2, 0x7f800000, v29
	v_cmp_ne_u32_e64 s[26:27], s96, v2
                                        ; implicit-def: $vgpr27
	s_and_saveexec_b64 s[40:41], s[26:27]
	s_xor_b64 s[26:27], exec, s[40:41]
; %bb.1510:                             ;   in Loop: Header=BB17_47 Depth=1
	v_bfe_u32 v2, v29, 16, 1
	v_add3_u32 v27, v29, v2, s97
                                        ; implicit-def: $vgpr29
; %bb.1511:                             ;   in Loop: Header=BB17_47 Depth=1
	s_andn2_saveexec_b64 s[40:41], s[26:27]
; %bb.1512:                             ;   in Loop: Header=BB17_47 Depth=1
	v_or_b32_e32 v2, 0x10000, v29
	v_cmp_eq_u32_sdwa s[26:27], v29, v3 src0_sel:WORD_0 src1_sel:DWORD
	s_nop 1
	v_cndmask_b32_e64 v27, v2, v29, s[26:27]
; %bb.1513:                             ;   in Loop: Header=BB17_47 Depth=1
	s_or_b64 exec, exec, s[40:41]
	v_max_f32_e32 v2, v25, v25
	v_max_f32_e32 v25, v28, v28
	v_min_f32_e32 v28, v25, v2
	v_max_f32_e32 v2, v25, v2
	v_cndmask_b32_e32 v28, v2, v28, vcc
	v_and_b32_e32 v2, 0x7f800000, v28
	v_cmp_ne_u32_e64 s[26:27], s96, v2
                                        ; implicit-def: $vgpr25
	s_and_saveexec_b64 s[40:41], s[26:27]
	s_xor_b64 s[26:27], exec, s[40:41]
; %bb.1514:                             ;   in Loop: Header=BB17_47 Depth=1
	v_bfe_u32 v2, v28, 16, 1
	v_add3_u32 v25, v28, v2, s97
                                        ; implicit-def: $vgpr28
; %bb.1515:                             ;   in Loop: Header=BB17_47 Depth=1
	s_andn2_saveexec_b64 s[40:41], s[26:27]
; %bb.1516:                             ;   in Loop: Header=BB17_47 Depth=1
	v_or_b32_e32 v2, 0x10000, v28
	v_cmp_eq_u32_sdwa s[26:27], v28, v3 src0_sel:WORD_0 src1_sel:DWORD
	s_nop 1
	v_cndmask_b32_e64 v25, v2, v28, s[26:27]
; %bb.1517:                             ;   in Loop: Header=BB17_47 Depth=1
	s_or_b64 exec, exec, s[40:41]
	v_max_f32_e32 v2, v24, v24
	v_max_f32_e32 v23, v23, v23
	v_min_f32_e32 v24, v23, v2
	v_max_f32_e32 v2, v23, v2
	v_cndmask_b32_e32 v24, v2, v24, vcc
	v_and_b32_e32 v2, 0x7f800000, v24
	v_cmp_ne_u32_e64 s[26:27], s96, v2
                                        ; implicit-def: $vgpr23
	s_and_saveexec_b64 s[40:41], s[26:27]
	s_xor_b64 s[26:27], exec, s[40:41]
; %bb.1518:                             ;   in Loop: Header=BB17_47 Depth=1
	v_bfe_u32 v2, v24, 16, 1
	v_add3_u32 v23, v24, v2, s97
                                        ; implicit-def: $vgpr24
; %bb.1519:                             ;   in Loop: Header=BB17_47 Depth=1
	s_andn2_saveexec_b64 s[40:41], s[26:27]
; %bb.1520:                             ;   in Loop: Header=BB17_47 Depth=1
	v_or_b32_e32 v2, 0x10000, v24
	v_cmp_eq_u32_sdwa s[26:27], v24, v3 src0_sel:WORD_0 src1_sel:DWORD
	s_nop 1
	v_cndmask_b32_e64 v23, v2, v24, s[26:27]
; %bb.1521:                             ;   in Loop: Header=BB17_47 Depth=1
	s_or_b64 exec, exec, s[40:41]
	v_max_f32_e32 v2, v22, v22
	v_max_f32_e32 v21, v21, v21
	v_min_f32_e32 v22, v21, v2
	v_max_f32_e32 v2, v21, v2
	v_cndmask_b32_e32 v22, v2, v22, vcc
	v_and_b32_e32 v2, 0x7f800000, v22
	v_cmp_ne_u32_e64 s[26:27], s96, v2
                                        ; implicit-def: $vgpr21
	s_and_saveexec_b64 s[40:41], s[26:27]
	s_xor_b64 s[26:27], exec, s[40:41]
; %bb.1522:                             ;   in Loop: Header=BB17_47 Depth=1
	v_bfe_u32 v2, v22, 16, 1
	v_add3_u32 v21, v22, v2, s97
                                        ; implicit-def: $vgpr22
; %bb.1523:                             ;   in Loop: Header=BB17_47 Depth=1
	s_andn2_saveexec_b64 s[40:41], s[26:27]
; %bb.1524:                             ;   in Loop: Header=BB17_47 Depth=1
	v_or_b32_e32 v2, 0x10000, v22
	v_cmp_eq_u32_sdwa s[26:27], v22, v3 src0_sel:WORD_0 src1_sel:DWORD
	s_nop 1
	v_cndmask_b32_e64 v21, v2, v22, s[26:27]
; %bb.1525:                             ;   in Loop: Header=BB17_47 Depth=1
	s_or_b64 exec, exec, s[40:41]
	v_max_f32_e32 v2, v13, v13
	v_max_f32_e32 v12, v12, v12
	v_min_f32_e32 v13, v12, v2
	v_max_f32_e32 v2, v12, v2
	v_cndmask_b32_e32 v13, v2, v13, vcc
	v_and_b32_e32 v2, 0x7f800000, v13
	v_cmp_ne_u32_e32 vcc, s96, v2
                                        ; implicit-def: $vgpr12
	s_and_saveexec_b64 s[26:27], vcc
	s_xor_b64 s[26:27], exec, s[26:27]
; %bb.1526:                             ;   in Loop: Header=BB17_47 Depth=1
	v_bfe_u32 v2, v13, 16, 1
	v_add3_u32 v12, v13, v2, s97
                                        ; implicit-def: $vgpr13
; %bb.1527:                             ;   in Loop: Header=BB17_47 Depth=1
	s_andn2_saveexec_b64 s[26:27], s[26:27]
; %bb.1528:                             ;   in Loop: Header=BB17_47 Depth=1
	v_or_b32_e32 v2, 0x10000, v13
	v_cmp_eq_u32_sdwa vcc, v13, v3 src0_sel:WORD_0 src1_sel:DWORD
	s_nop 1
	v_cndmask_b32_e32 v12, v2, v13, vcc
; %bb.1529:                             ;   in Loop: Header=BB17_47 Depth=1
	s_or_b64 exec, exec, s[26:27]
	v_lshrrev_b32_e32 v14, 16, v14
	v_lshrrev_b32_e32 v2, 16, v21
	;; [unrolled: 1-line block ×8, first 2 shown]
	flat_store_short v[10:11], v14 nt
	flat_store_short v[10:11], v15 offset:128 nt
	flat_store_short v[10:11], v23 offset:256 nt
	;; [unrolled: 1-line block ×7, first 2 shown]
	flat_store_short v[8:9], v14 nt
	flat_store_short v[8:9], v15 offset:128 nt
	flat_store_short v[8:9], v23 offset:256 nt
	;; [unrolled: 1-line block ×7, first 2 shown]
.LBB17_1530:                            ;   in Loop: Header=BB17_47 Depth=1
	s_or_b64 exec, exec, s[28:29]
	v_lshlrev_b32_e32 v8, 10, v20
	v_cmp_ne_u32_e32 vcc, v17, v8
	s_and_b64 exec, exec, vcc
	s_cbranch_execz .LBB17_1562
; %bb.1531:                             ;   in Loop: Header=BB17_47 Depth=1
	v_lshlrev_b32_e32 v2, 6, v19
	v_sub_u32_e32 v2, v18, v2
	v_ashrrev_i32_e32 v9, 31, v2
	v_lshrrev_b32_e32 v9, 26, v9
	v_add_u32_e32 v9, v2, v9
	v_and_b32_e32 v10, 0x7fffffc0, v9
	v_sub_u32_e32 v2, v2, v10
	v_lshlrev_b32_e32 v9, 1, v9
	v_and_b32_e32 v9, 0xffffff80, v9
	v_lshlrev_b32_e32 v2, 1, v2
	v_add3_u32 v8, v9, v2, v8
	v_sub_u32_e32 v17, v17, v8
	v_cmp_lt_i32_e32 vcc, 1, v17
	s_and_b64 exec, exec, vcc
	s_cbranch_execz .LBB17_1562
; %bb.1532:                             ;   in Loop: Header=BB17_47 Depth=1
	s_trap 2
	ds_read_b64 v[14:15], v0
	v_add_u32_e32 v18, v8, v16
	s_and_b32 s26, s44, 0xff
	v_ashrrev_i32_e32 v19, 31, v18
	s_cmp_eq_u32 s26, 0
	v_lshl_add_u64 v[8:9], v[74:75], 0, v[18:19]
	v_lshl_add_u64 v[10:11], v[76:77], 0, v[18:19]
	;; [unrolled: 1-line block ×3, first 2 shown]
	s_waitcnt lgkmcnt(0)
	v_lshl_add_u64 v[14:15], v[14:15], 0, v[18:19]
	s_mov_b64 s[34:35], 0
	s_mov_b64 s[94:95], 0
	s_cselect_b64 s[26:27], -1, 0
                                        ; implicit-def: $sgpr30_sgpr31
	s_branch .LBB17_1534
.LBB17_1533:                            ;   in Loop: Header=BB17_1534 Depth=2
	s_or_b64 exec, exec, s[28:29]
	v_cmp_gt_i32_e32 vcc, 2, v17
	s_or_b64 s[94:95], vcc, s[94:95]
	s_andn2_b64 s[28:29], s[30:31], exec
	s_and_b64 s[40:41], s[34:35], exec
	s_or_b64 s[30:31], s[28:29], s[40:41]
	s_andn2_b64 exec, exec, s[94:95]
	s_cbranch_execz .LBB17_1555
.LBB17_1534:                            ;   Parent Loop BB17_47 Depth=1
                                        ; =>  This Loop Header: Depth=2
                                        ;       Child Loop BB17_1535 Depth 3
                                        ;       Child Loop BB17_1542 Depth 3
	;; [unrolled: 1-line block ×4, first 2 shown]
	s_add_i32 s28, s33, 0xc0
	s_mov_b32 s44, s28
	s_mov_b64 s[36:37], -1
	s_mov_b64 s[38:39], 0
.LBB17_1535:                            ;   Parent Loop BB17_47 Depth=1
                                        ;     Parent Loop BB17_1534 Depth=2
                                        ; =>    This Inner Loop Header: Depth=3
	s_cmp_eq_u32 s38, 1
	s_cselect_b64 vcc, -1, 0
	v_cndmask_b32_e32 v19, v13, v15, vcc
	v_cndmask_b32_e32 v18, v12, v14, vcc
	flat_load_ushort v2, v[18:19] nt
	s_cmp_eq_u32 s38, 0
	v_lshl_add_u64 v[18:19], v[18:19], 0, s[62:63]
	s_cselect_b64 s[28:29], -1, 0
	s_and_b64 s[40:41], exec, s[36:37]
	v_cndmask_b32_e64 v13, v13, v19, s[28:29]
	v_cndmask_b32_e64 v12, v12, v18, s[28:29]
	s_add_i32 s28, s33, 0xe0
	s_mov_b64 s[38:39], 1
	s_mov_b64 s[36:37], 0
	v_cndmask_b32_e32 v15, v15, v19, vcc
	v_cndmask_b32_e32 v14, v14, v18, vcc
	s_mov_b64 vcc, s[40:41]
	s_waitcnt vmcnt(0) lgkmcnt(0)
	scratch_store_short off, v2, s44
	s_mov_b32 s44, s28
	s_cbranch_vccnz .LBB17_1535
; %bb.1536:                             ;   in Loop: Header=BB17_1534 Depth=2
	s_and_saveexec_b64 s[36:37], s[34:35]
	s_cbranch_execz .LBB17_1544
; %bb.1537:                             ;   in Loop: Header=BB17_1534 Depth=2
	scratch_load_ushort v2, off, s33 offset:184
	scratch_load_ushort v16, off, s33 offset:186
	s_waitcnt vmcnt(1)
	v_lshlrev_b32_e32 v2, 16, v2
	s_waitcnt vmcnt(0)
	v_lshlrev_b32_e32 v16, 16, v16
	v_max_f32_e32 v16, v16, v16
	v_max_f32_e32 v2, v2, v2
	v_min_f32_e32 v18, v2, v16
	v_max_f32_e32 v2, v2, v16
	v_cndmask_b32_e64 v16, v2, v18, s[26:27]
	v_and_b32_e32 v2, 0x7f800000, v16
	v_cmp_ne_u32_e32 vcc, s96, v2
                                        ; implicit-def: $vgpr18
	s_and_saveexec_b64 s[28:29], vcc
	s_xor_b64 s[28:29], exec, s[28:29]
; %bb.1538:                             ;   in Loop: Header=BB17_1534 Depth=2
	v_bfe_u32 v2, v16, 16, 1
	v_add3_u32 v18, v16, v2, s97
                                        ; implicit-def: $vgpr16
; %bb.1539:                             ;   in Loop: Header=BB17_1534 Depth=2
	s_andn2_saveexec_b64 s[28:29], s[28:29]
; %bb.1540:                             ;   in Loop: Header=BB17_1534 Depth=2
	v_or_b32_e32 v2, 0x10000, v16
	v_cmp_eq_u32_sdwa vcc, v16, v3 src0_sel:WORD_0 src1_sel:DWORD
	s_nop 1
	v_cndmask_b32_e32 v18, v2, v16, vcc
; %bb.1541:                             ;   in Loop: Header=BB17_1534 Depth=2
	s_or_b64 exec, exec, s[28:29]
	v_lshrrev_b32_e32 v16, 16, v18
	s_mov_b64 s[38:39], 0
	s_mov_b64 s[34:35], -1
	scratch_store_short off, v16, s33 offset:184
.LBB17_1542:                            ;   Parent Loop BB17_47 Depth=1
                                        ;     Parent Loop BB17_1534 Depth=2
                                        ; =>    This Inner Loop Header: Depth=3
	s_cmp_eq_u32 s38, 1
	s_cselect_b64 vcc, -1, 0
	v_cndmask_b32_e32 v19, v9, v11, vcc
	s_cmp_eq_u32 s38, 0
	v_cndmask_b32_e32 v18, v8, v10, vcc
	flat_store_short v[18:19], v16 nt
	v_lshl_add_u64 v[18:19], v[18:19], 0, s[62:63]
	s_cselect_b64 s[28:29], -1, 0
	s_and_b64 s[40:41], exec, s[34:35]
	s_mov_b64 s[38:39], 1
	s_mov_b64 s[34:35], 0
	v_cndmask_b32_e32 v11, v11, v19, vcc
	v_cndmask_b32_e32 v10, v10, v18, vcc
	v_cndmask_b32_e64 v9, v9, v19, s[28:29]
	v_cndmask_b32_e64 v8, v8, v18, s[28:29]
	s_mov_b64 vcc, s[40:41]
	s_cbranch_vccnz .LBB17_1542
; %bb.1543:                             ;   in Loop: Header=BB17_1534 Depth=2
	v_lshl_add_u64 v[8:9], v[8:9], 0, v[116:117]
	v_lshl_add_u64 v[10:11], v[10:11], 0, v[116:117]
.LBB17_1544:                            ;   in Loop: Header=BB17_1534 Depth=2
	s_or_b64 exec, exec, s[36:37]
	v_sub_u32_e32 v17, v17, v106
	v_lshl_add_u64 v[12:13], v[12:13], 0, v[116:117]
	v_lshl_add_u64 v[14:15], v[14:15], 0, v[116:117]
	v_cmp_lt_i32_e64 s[34:35], 1, v17
	s_and_saveexec_b64 s[36:37], s[34:35]
	s_cbranch_execz .LBB17_1547
; %bb.1545:                             ;   in Loop: Header=BB17_1534 Depth=2
	s_add_i32 s28, s33, 0xb8
	s_mov_b32 s44, s28
	s_mov_b64 s[48:49], 0
	s_mov_b64 s[38:39], -1
.LBB17_1546:                            ;   Parent Loop BB17_47 Depth=1
                                        ;     Parent Loop BB17_1534 Depth=2
                                        ; =>    This Inner Loop Header: Depth=3
	s_cmp_eq_u32 s48, 1
	s_cselect_b64 vcc, -1, 0
	v_cndmask_b32_e32 v19, v13, v15, vcc
	v_cndmask_b32_e32 v18, v12, v14, vcc
	flat_load_ushort v2, v[18:19] nt
	s_cmp_eq_u32 s48, 0
	v_lshl_add_u64 v[18:19], v[18:19], 0, s[62:63]
	s_cselect_b64 s[28:29], -1, 0
	s_and_b64 s[40:41], exec, s[38:39]
	v_cndmask_b32_e64 v13, v13, v19, s[28:29]
	v_cndmask_b32_e64 v12, v12, v18, s[28:29]
	s_add_i32 s28, s33, 0xba
	s_mov_b64 s[48:49], 1
	s_mov_b64 s[38:39], 0
	v_cndmask_b32_e32 v15, v15, v19, vcc
	v_cndmask_b32_e32 v14, v14, v18, vcc
	s_mov_b64 vcc, s[40:41]
	s_waitcnt vmcnt(0) lgkmcnt(0)
	scratch_store_short off, v2, s44
	s_mov_b32 s44, s28
	s_cbranch_vccnz .LBB17_1546
.LBB17_1547:                            ;   in Loop: Header=BB17_1534 Depth=2
	s_or_b64 exec, exec, s[36:37]
	scratch_load_ushort v2, off, s33 offset:192
	scratch_load_ushort v16, off, s33 offset:224
	s_waitcnt vmcnt(0)
	v_lshlrev_b32_e32 v2, 16, v2
	v_lshlrev_b32_e32 v16, 16, v16
	v_max_f32_e32 v16, v16, v16
	v_max_f32_e32 v2, v2, v2
	v_min_f32_e32 v18, v2, v16
	v_max_f32_e32 v2, v2, v16
	v_cndmask_b32_e64 v16, v2, v18, s[26:27]
	v_and_b32_e32 v2, 0x7f800000, v16
	v_cmp_ne_u32_e32 vcc, s96, v2
                                        ; implicit-def: $vgpr18
	s_and_saveexec_b64 s[28:29], vcc
	s_xor_b64 s[28:29], exec, s[28:29]
; %bb.1548:                             ;   in Loop: Header=BB17_1534 Depth=2
	v_bfe_u32 v2, v16, 16, 1
	v_add3_u32 v18, v16, v2, s97
                                        ; implicit-def: $vgpr16
; %bb.1549:                             ;   in Loop: Header=BB17_1534 Depth=2
	s_andn2_saveexec_b64 s[28:29], s[28:29]
; %bb.1550:                             ;   in Loop: Header=BB17_1534 Depth=2
	v_or_b32_e32 v2, 0x10000, v16
	v_cmp_eq_u32_sdwa vcc, v16, v3 src0_sel:WORD_0 src1_sel:DWORD
	s_nop 1
	v_cndmask_b32_e32 v18, v2, v16, vcc
; %bb.1551:                             ;   in Loop: Header=BB17_1534 Depth=2
	s_or_b64 exec, exec, s[28:29]
	v_lshrrev_b32_e32 v16, 16, v18
	s_mov_b64 s[38:39], 0
	s_mov_b64 s[36:37], -1
	scratch_store_short off, v16, s33 offset:192
.LBB17_1552:                            ;   Parent Loop BB17_47 Depth=1
                                        ;     Parent Loop BB17_1534 Depth=2
                                        ; =>    This Inner Loop Header: Depth=3
	s_cmp_eq_u32 s38, 1
	s_cselect_b64 vcc, -1, 0
	v_cndmask_b32_e32 v19, v9, v11, vcc
	s_cmp_eq_u32 s38, 0
	v_cndmask_b32_e32 v18, v8, v10, vcc
	flat_store_short v[18:19], v16 nt
	v_lshl_add_u64 v[18:19], v[18:19], 0, s[62:63]
	s_cselect_b64 s[28:29], -1, 0
	s_and_b64 s[40:41], exec, s[36:37]
	s_mov_b64 s[38:39], 1
	s_mov_b64 s[36:37], 0
	v_cndmask_b32_e32 v11, v11, v19, vcc
	v_cndmask_b32_e32 v10, v10, v18, vcc
	v_cndmask_b32_e64 v9, v9, v19, s[28:29]
	v_cndmask_b32_e64 v8, v8, v18, s[28:29]
	s_mov_b64 vcc, s[40:41]
	s_cbranch_vccnz .LBB17_1552
; %bb.1553:                             ;   in Loop: Header=BB17_1534 Depth=2
	s_and_saveexec_b64 s[28:29], s[34:35]
	s_cbranch_execz .LBB17_1533
; %bb.1554:                             ;   in Loop: Header=BB17_1534 Depth=2
	v_lshl_add_u64 v[8:9], v[8:9], 0, v[116:117]
	v_lshl_add_u64 v[10:11], v[10:11], 0, v[116:117]
	v_lshl_add_u64 v[12:13], v[12:13], 0, v[116:117]
	v_lshl_add_u64 v[14:15], v[14:15], 0, v[116:117]
	v_sub_u32_e32 v17, v17, v106
	s_branch .LBB17_1533
.LBB17_1555:                            ;   in Loop: Header=BB17_47 Depth=1
	s_or_b64 exec, exec, s[94:95]
	s_and_b64 exec, exec, s[30:31]
	s_cbranch_execz .LBB17_1562
; %bb.1556:                             ;   in Loop: Header=BB17_47 Depth=1
	scratch_load_ushort v2, off, s33 offset:184
	scratch_load_ushort v12, off, s33 offset:186
	s_waitcnt vmcnt(0)
	v_lshlrev_b32_e32 v2, 16, v2
	v_lshlrev_b32_e32 v12, 16, v12
	v_max_f32_e32 v12, v12, v12
	v_max_f32_e32 v2, v2, v2
	v_min_f32_e32 v13, v2, v12
	v_max_f32_e32 v2, v2, v12
	v_cndmask_b32_e64 v12, v2, v13, s[26:27]
	v_and_b32_e32 v2, 0x7f800000, v12
	v_cmp_ne_u32_e32 vcc, s96, v2
                                        ; implicit-def: $vgpr13
	s_and_saveexec_b64 s[26:27], vcc
	s_xor_b64 s[26:27], exec, s[26:27]
; %bb.1557:                             ;   in Loop: Header=BB17_47 Depth=1
	v_bfe_u32 v2, v12, 16, 1
	v_add3_u32 v13, v12, v2, s97
                                        ; implicit-def: $vgpr12
; %bb.1558:                             ;   in Loop: Header=BB17_47 Depth=1
	s_andn2_saveexec_b64 s[26:27], s[26:27]
; %bb.1559:                             ;   in Loop: Header=BB17_47 Depth=1
	v_or_b32_e32 v2, 0x10000, v12
	v_cmp_eq_u32_sdwa vcc, v12, v3 src0_sel:WORD_0 src1_sel:DWORD
	s_nop 1
	v_cndmask_b32_e32 v13, v2, v12, vcc
; %bb.1560:                             ;   in Loop: Header=BB17_47 Depth=1
	s_or_b64 exec, exec, s[26:27]
	v_lshrrev_b32_e32 v12, 16, v13
	s_mov_b64 s[94:95], 0
	s_mov_b64 s[40:41], -1
.LBB17_1561:                            ;   Parent Loop BB17_47 Depth=1
                                        ; =>  This Inner Loop Header: Depth=2
	s_cmp_eq_u32 s94, 1
	s_cselect_b64 vcc, -1, 0
	v_cndmask_b32_e32 v15, v9, v11, vcc
	s_cmp_eq_u32 s94, 0
	v_cndmask_b32_e32 v14, v8, v10, vcc
	flat_store_short v[14:15], v12 nt
	v_lshl_add_u64 v[14:15], v[14:15], 0, s[62:63]
	s_cselect_b64 s[26:27], -1, 0
	s_and_b64 s[28:29], exec, s[40:41]
	s_mov_b64 s[94:95], 1
	s_mov_b64 s[40:41], 0
	v_cndmask_b32_e32 v11, v11, v15, vcc
	v_cndmask_b32_e32 v10, v10, v14, vcc
	v_cndmask_b32_e64 v9, v9, v15, s[26:27]
	v_cndmask_b32_e64 v8, v8, v14, s[26:27]
	s_mov_b64 vcc, s[28:29]
	s_cbranch_vccnz .LBB17_1561
.LBB17_1562:                            ;   in Loop: Header=BB17_47 Depth=1
	s_or_b64 exec, exec, s[42:43]
	s_mov_b64 s[26:27], 0
.LBB17_1563:                            ;   in Loop: Header=BB17_47 Depth=1
	s_and_b64 vcc, exec, s[26:27]
	s_cbranch_vccz .LBB17_1705
; %bb.1564:                             ;   in Loop: Header=BB17_47 Depth=1
	s_mov_b64 s[26:27], -1
	s_and_saveexec_b64 s[28:29], s[20:21]
	s_cbranch_execz .LBB17_1566
; %bb.1565:                             ;   in Loop: Header=BB17_47 Depth=1
	ds_read_b32 v8, v0 offset:720
	s_waitcnt lgkmcnt(0)
	v_and_b32_e32 v8, 15, v8
	v_cmp_eq_u32_e32 vcc, 0, v8
	s_orn2_b64 s[26:27], vcc, exec
.LBB17_1566:                            ;   in Loop: Header=BB17_47 Depth=1
	s_or_b64 exec, exec, s[28:29]
	s_and_saveexec_b64 s[28:29], s[16:17]
	s_cbranch_execz .LBB17_1568
; %bb.1567:                             ;   in Loop: Header=BB17_47 Depth=1
	ds_read_b32 v8, v0 offset:784
	s_waitcnt lgkmcnt(0)
	v_and_b32_e32 v8, 15, v8
	v_cmp_eq_u32_e32 vcc, 0, v8
	s_and_b64 s[40:41], s[26:27], vcc
	s_andn2_b64 s[26:27], s[26:27], exec
	s_and_b64 s[40:41], s[40:41], exec
	s_or_b64 s[26:27], s[26:27], s[40:41]
.LBB17_1568:                            ;   in Loop: Header=BB17_47 Depth=1
	s_or_b64 exec, exec, s[28:29]
	s_xor_b64 s[26:27], s[26:27], -1
	v_cndmask_b32_e64 v8, 0, 1, s[26:27]
	s_mov_b64 s[28:29], -1
	v_cmp_ne_u32_e32 vcc, 0, v8
	s_cbranch_vccz .LBB17_1706
; %bb.1569:                             ;   in Loop: Header=BB17_47 Depth=1
	s_and_b32 s44, s47, 1
	s_mov_b64 s[94:95], -1
	v_mov_b32_e32 v14, 0
	s_cbranch_execnz .LBB17_1707
.LBB17_1570:                            ;   in Loop: Header=BB17_47 Depth=1
	v_ashrrev_i32_e32 v8, 31, v63
	v_lshrrev_b32_e32 v8, 21, v8
	v_add_u32_e32 v8, v63, v8
	v_ashrrev_i32_e32 v90, 11, v8
	v_sub_u32_e32 v91, v90, v104
	s_and_b32 s44, s47, 1
	v_lshl_add_u64 v[76:77], v[74:75], 0, v[102:103]
	v_cmp_lt_i32_e32 vcc, 0, v91
	s_mov_b64 s[26:27], 0
                                        ; implicit-def: $vgpr20_vgpr21
                                        ; implicit-def: $vgpr12_vgpr13
                                        ; implicit-def: $vgpr16_vgpr17
                                        ; implicit-def: $vgpr8_vgpr9
	s_and_saveexec_b64 s[28:29], vcc
	s_cbranch_execz .LBB17_1709
; %bb.1571:                             ;   in Loop: Header=BB17_47 Depth=1
	s_trap 2
	ds_read_b64 v[8:9], v0
	s_and_b32 s26, 0xffff, s44
	s_cmp_eq_u32 s26, 0
	v_lshl_add_u64 v[78:79], v[72:73], 0, v[102:103]
	s_mov_b64 s[30:31], 0
	s_waitcnt lgkmcnt(0)
	v_lshl_add_u64 v[88:89], v[8:9], 0, v[102:103]
	s_mov_b64 s[40:41], 0
	s_cselect_b64 vcc, -1, 0
                                        ; implicit-def: $sgpr42_sgpr43
                                        ; implicit-def: $vgpr20_vgpr21
                                        ; implicit-def: $vgpr12_vgpr13
                                        ; implicit-def: $vgpr16_vgpr17
                                        ; implicit-def: $vgpr8_vgpr9
	s_branch .LBB17_1573
.LBB17_1572:                            ;   in Loop: Header=BB17_1573 Depth=2
	s_or_b64 exec, exec, s[34:35]
	v_lshrrev_b32_e32 v33, 16, v48
	v_and_or_b32 v35, v37, s46, v33
	v_lshrrev_b32_e32 v33, 16, v52
	v_lshrrev_b32_e32 v28, 16, v28
	v_and_or_b32 v34, v36, s46, v33
	v_lshrrev_b32_e32 v33, 16, v49
	v_and_or_b32 v25, v25, s46, v28
	;; [unrolled: 2-line block ×5, first 2 shown]
	v_and_or_b32 v26, v26, s46, v28
	v_lshrrev_b32_e32 v28, 16, v32
	v_and_or_b32 v27, v27, s46, v28
	global_store_dwordx4 v[76:77], v[34:37], off
	global_store_dwordx4 v[76:77], v[24:27], off offset:1024
	v_cndmask_b32_e64 v29, 0, v41, s[30:31]
	v_cndmask_b32_e64 v28, v110, v40, s[30:31]
	v_lshl_add_u64 v[24:25], v[78:79], 0, v[112:113]
	v_cndmask_b32_e64 v78, v78, v24, s[30:31]
	v_cndmask_b32_e64 v24, 0, v84, s[30:31]
	v_sub_u32_e32 v91, v91, v24
	v_cmp_gt_i32_e64 s[26:27], 1, v91
	s_or_b64 s[40:41], s[26:27], s[40:41]
	v_lshl_add_u64 v[26:27], v[88:89], 0, v[112:113]
	s_andn2_b64 s[26:27], s[42:43], exec
	s_and_b64 s[42:43], s[30:31], exec
	v_lshl_add_u64 v[76:77], v[76:77], 0, v[28:29]
	v_cndmask_b32_e64 v79, v79, v25, s[30:31]
	v_cndmask_b32_e64 v89, v89, v27, s[30:31]
	;; [unrolled: 1-line block ×3, first 2 shown]
	s_or_b64 s[42:43], s[26:27], s[42:43]
	s_andn2_b64 exec, exec, s[40:41]
	s_cbranch_execz .LBB17_1708
.LBB17_1573:                            ;   Parent Loop BB17_47 Depth=1
                                        ; =>  This Inner Loop Header: Depth=2
	global_load_dwordx4 v[36:39], v[78:79], off nt
	global_load_dwordx4 v[24:27], v[78:79], off offset:1024 nt
	global_load_dwordx4 v[48:51], v[88:89], off nt
	global_load_dwordx4 v[32:35], v[88:89], off offset:1024 nt
	s_and_saveexec_b64 s[34:35], s[30:31]
	s_cbranch_execz .LBB17_1639
; %bb.1574:                             ;   in Loop: Header=BB17_1573 Depth=2
	v_lshlrev_b32_e32 v28, 16, v20
	v_lshlrev_b32_e32 v29, 16, v16
	v_max_f32_e32 v29, v29, v29
	v_max_f32_e32 v28, v28, v28
	v_min_f32_e32 v52, v28, v29
	v_max_f32_e32 v28, v28, v29
	v_cndmask_b32_e32 v28, v28, v52, vcc
	v_and_b32_e32 v29, 0x7f800000, v28
	v_cmp_ne_u32_e64 s[26:27], s96, v29
                                        ; implicit-def: $vgpr92
	s_and_saveexec_b64 s[30:31], s[26:27]
	s_xor_b64 s[26:27], exec, s[30:31]
; %bb.1575:                             ;   in Loop: Header=BB17_1573 Depth=2
	v_bfe_u32 v29, v28, 16, 1
	v_add3_u32 v92, v28, v29, s97
                                        ; implicit-def: $vgpr28
; %bb.1576:                             ;   in Loop: Header=BB17_1573 Depth=2
	s_andn2_saveexec_b64 s[30:31], s[26:27]
; %bb.1577:                             ;   in Loop: Header=BB17_1573 Depth=2
	v_or_b32_e32 v29, 0x10000, v28
	v_cmp_eq_u32_sdwa s[26:27], v28, v3 src0_sel:WORD_0 src1_sel:DWORD
	s_nop 1
	v_cndmask_b32_e64 v92, v29, v28, s[26:27]
; %bb.1578:                             ;   in Loop: Header=BB17_1573 Depth=2
	s_or_b64 exec, exec, s[30:31]
	v_and_b32_e32 v20, 0xffff0000, v20
	v_and_b32_e32 v28, 0xffff0000, v16
	v_max_f32_e32 v28, v28, v28
	v_max_f32_e32 v20, v20, v20
	v_min_f32_e32 v29, v20, v28
	v_max_f32_e32 v20, v20, v28
	v_cndmask_b32_e32 v28, v20, v29, vcc
	v_and_b32_e32 v20, 0x7f800000, v28
	v_cmp_ne_u32_e64 s[26:27], s96, v20
                                        ; implicit-def: $vgpr20
	s_and_saveexec_b64 s[30:31], s[26:27]
	s_xor_b64 s[26:27], exec, s[30:31]
; %bb.1579:                             ;   in Loop: Header=BB17_1573 Depth=2
	v_bfe_u32 v20, v28, 16, 1
	v_add3_u32 v20, v28, v20, s97
                                        ; implicit-def: $vgpr28
; %bb.1580:                             ;   in Loop: Header=BB17_1573 Depth=2
	s_andn2_saveexec_b64 s[30:31], s[26:27]
; %bb.1581:                             ;   in Loop: Header=BB17_1573 Depth=2
	v_or_b32_e32 v20, 0x10000, v28
	v_cmp_eq_u32_sdwa s[26:27], v28, v3 src0_sel:WORD_0 src1_sel:DWORD
	s_nop 1
	v_cndmask_b32_e64 v20, v20, v28, s[26:27]
; %bb.1582:                             ;   in Loop: Header=BB17_1573 Depth=2
	s_or_b64 exec, exec, s[30:31]
	v_lshlrev_b32_e32 v28, 16, v21
	v_lshlrev_b32_e32 v29, 16, v17
	v_max_f32_e32 v29, v29, v29
	v_max_f32_e32 v28, v28, v28
	v_min_f32_e32 v52, v28, v29
	v_max_f32_e32 v28, v28, v29
	v_cndmask_b32_e32 v28, v28, v52, vcc
	v_and_b32_e32 v29, 0x7f800000, v28
	v_cmp_ne_u32_e64 s[26:27], s96, v29
                                        ; implicit-def: $vgpr52
	s_and_saveexec_b64 s[30:31], s[26:27]
	s_xor_b64 s[26:27], exec, s[30:31]
; %bb.1583:                             ;   in Loop: Header=BB17_1573 Depth=2
	v_bfe_u32 v29, v28, 16, 1
	v_add3_u32 v52, v28, v29, s97
                                        ; implicit-def: $vgpr28
; %bb.1584:                             ;   in Loop: Header=BB17_1573 Depth=2
	s_andn2_saveexec_b64 s[30:31], s[26:27]
; %bb.1585:                             ;   in Loop: Header=BB17_1573 Depth=2
	v_or_b32_e32 v29, 0x10000, v28
	v_cmp_eq_u32_sdwa s[26:27], v28, v3 src0_sel:WORD_0 src1_sel:DWORD
	s_nop 1
	v_cndmask_b32_e64 v52, v29, v28, s[26:27]
; %bb.1586:                             ;   in Loop: Header=BB17_1573 Depth=2
	s_or_b64 exec, exec, s[30:31]
	v_and_b32_e32 v21, 0xffff0000, v21
	v_and_b32_e32 v28, 0xffff0000, v17
	v_max_f32_e32 v28, v28, v28
	v_max_f32_e32 v21, v21, v21
	v_min_f32_e32 v29, v21, v28
	v_max_f32_e32 v21, v21, v28
	v_cndmask_b32_e32 v28, v21, v29, vcc
	v_and_b32_e32 v21, 0x7f800000, v28
	v_cmp_ne_u32_e64 s[26:27], s96, v21
                                        ; implicit-def: $vgpr21
	s_and_saveexec_b64 s[30:31], s[26:27]
	s_xor_b64 s[26:27], exec, s[30:31]
; %bb.1587:                             ;   in Loop: Header=BB17_1573 Depth=2
	v_bfe_u32 v21, v28, 16, 1
	v_add3_u32 v21, v28, v21, s97
                                        ; implicit-def: $vgpr28
; %bb.1588:                             ;   in Loop: Header=BB17_1573 Depth=2
	s_andn2_saveexec_b64 s[30:31], s[26:27]
; %bb.1589:                             ;   in Loop: Header=BB17_1573 Depth=2
	v_or_b32_e32 v21, 0x10000, v28
	v_cmp_eq_u32_sdwa s[26:27], v28, v3 src0_sel:WORD_0 src1_sel:DWORD
	s_nop 1
	v_cndmask_b32_e64 v21, v21, v28, s[26:27]
; %bb.1590:                             ;   in Loop: Header=BB17_1573 Depth=2
	s_or_b64 exec, exec, s[30:31]
	v_lshlrev_b32_e32 v28, 16, v22
	v_lshlrev_b32_e32 v29, 16, v18
	v_max_f32_e32 v29, v29, v29
	v_max_f32_e32 v28, v28, v28
	v_min_f32_e32 v53, v28, v29
	v_max_f32_e32 v28, v28, v29
	v_cndmask_b32_e32 v28, v28, v53, vcc
	v_and_b32_e32 v29, 0x7f800000, v28
	v_cmp_ne_u32_e64 s[26:27], s96, v29
                                        ; implicit-def: $vgpr53
	s_and_saveexec_b64 s[30:31], s[26:27]
	s_xor_b64 s[26:27], exec, s[30:31]
; %bb.1591:                             ;   in Loop: Header=BB17_1573 Depth=2
	v_bfe_u32 v29, v28, 16, 1
	v_add3_u32 v53, v28, v29, s97
                                        ; implicit-def: $vgpr28
; %bb.1592:                             ;   in Loop: Header=BB17_1573 Depth=2
	s_andn2_saveexec_b64 s[30:31], s[26:27]
; %bb.1593:                             ;   in Loop: Header=BB17_1573 Depth=2
	v_or_b32_e32 v29, 0x10000, v28
	v_cmp_eq_u32_sdwa s[26:27], v28, v3 src0_sel:WORD_0 src1_sel:DWORD
	s_nop 1
	v_cndmask_b32_e64 v53, v29, v28, s[26:27]
; %bb.1594:                             ;   in Loop: Header=BB17_1573 Depth=2
	s_or_b64 exec, exec, s[30:31]
	v_and_b32_e32 v22, 0xffff0000, v22
	v_and_b32_e32 v28, 0xffff0000, v18
	v_max_f32_e32 v28, v28, v28
	v_max_f32_e32 v22, v22, v22
	v_min_f32_e32 v29, v22, v28
	v_max_f32_e32 v22, v22, v28
	v_cndmask_b32_e32 v28, v22, v29, vcc
	v_and_b32_e32 v22, 0x7f800000, v28
	v_cmp_ne_u32_e64 s[26:27], s96, v22
                                        ; implicit-def: $vgpr22
	s_and_saveexec_b64 s[30:31], s[26:27]
	s_xor_b64 s[26:27], exec, s[30:31]
; %bb.1595:                             ;   in Loop: Header=BB17_1573 Depth=2
	v_bfe_u32 v22, v28, 16, 1
	v_add3_u32 v22, v28, v22, s97
                                        ; implicit-def: $vgpr28
; %bb.1596:                             ;   in Loop: Header=BB17_1573 Depth=2
	s_andn2_saveexec_b64 s[30:31], s[26:27]
; %bb.1597:                             ;   in Loop: Header=BB17_1573 Depth=2
	v_or_b32_e32 v22, 0x10000, v28
	v_cmp_eq_u32_sdwa s[26:27], v28, v3 src0_sel:WORD_0 src1_sel:DWORD
	s_nop 1
	v_cndmask_b32_e64 v22, v22, v28, s[26:27]
; %bb.1598:                             ;   in Loop: Header=BB17_1573 Depth=2
	s_or_b64 exec, exec, s[30:31]
	v_lshlrev_b32_e32 v28, 16, v23
	v_lshlrev_b32_e32 v29, 16, v19
	v_max_f32_e32 v29, v29, v29
	v_max_f32_e32 v28, v28, v28
	v_min_f32_e32 v54, v28, v29
	v_max_f32_e32 v28, v28, v29
	v_cndmask_b32_e32 v28, v28, v54, vcc
	v_and_b32_e32 v29, 0x7f800000, v28
	v_cmp_ne_u32_e64 s[26:27], s96, v29
                                        ; implicit-def: $vgpr82
	s_and_saveexec_b64 s[30:31], s[26:27]
	s_xor_b64 s[26:27], exec, s[30:31]
; %bb.1599:                             ;   in Loop: Header=BB17_1573 Depth=2
	v_bfe_u32 v29, v28, 16, 1
	v_add3_u32 v82, v28, v29, s97
                                        ; implicit-def: $vgpr28
; %bb.1600:                             ;   in Loop: Header=BB17_1573 Depth=2
	s_andn2_saveexec_b64 s[30:31], s[26:27]
; %bb.1601:                             ;   in Loop: Header=BB17_1573 Depth=2
	v_or_b32_e32 v29, 0x10000, v28
	v_cmp_eq_u32_sdwa s[26:27], v28, v3 src0_sel:WORD_0 src1_sel:DWORD
	s_nop 1
	v_cndmask_b32_e64 v82, v29, v28, s[26:27]
; %bb.1602:                             ;   in Loop: Header=BB17_1573 Depth=2
	s_or_b64 exec, exec, s[30:31]
	v_and_b32_e32 v23, 0xffff0000, v23
	v_and_b32_e32 v28, 0xffff0000, v19
	v_max_f32_e32 v28, v28, v28
	v_max_f32_e32 v23, v23, v23
	v_min_f32_e32 v29, v23, v28
	v_max_f32_e32 v23, v23, v28
	v_cndmask_b32_e32 v28, v23, v29, vcc
	v_and_b32_e32 v23, 0x7f800000, v28
	v_cmp_ne_u32_e64 s[26:27], s96, v23
                                        ; implicit-def: $vgpr23
	s_and_saveexec_b64 s[30:31], s[26:27]
	s_xor_b64 s[26:27], exec, s[30:31]
; %bb.1603:                             ;   in Loop: Header=BB17_1573 Depth=2
	v_bfe_u32 v23, v28, 16, 1
	v_add3_u32 v23, v28, v23, s97
                                        ; implicit-def: $vgpr28
; %bb.1604:                             ;   in Loop: Header=BB17_1573 Depth=2
	s_andn2_saveexec_b64 s[30:31], s[26:27]
; %bb.1605:                             ;   in Loop: Header=BB17_1573 Depth=2
	v_or_b32_e32 v23, 0x10000, v28
	v_cmp_eq_u32_sdwa s[26:27], v28, v3 src0_sel:WORD_0 src1_sel:DWORD
	s_nop 1
	v_cndmask_b32_e64 v23, v23, v28, s[26:27]
; %bb.1606:                             ;   in Loop: Header=BB17_1573 Depth=2
	s_or_b64 exec, exec, s[30:31]
	v_lshlrev_b32_e32 v28, 16, v12
	v_lshlrev_b32_e32 v29, 16, v8
	v_max_f32_e32 v29, v29, v29
	v_max_f32_e32 v28, v28, v28
	v_min_f32_e32 v54, v28, v29
	v_max_f32_e32 v28, v28, v29
	v_cndmask_b32_e32 v28, v28, v54, vcc
	v_and_b32_e32 v29, 0x7f800000, v28
	v_cmp_ne_u32_e64 s[26:27], s96, v29
                                        ; implicit-def: $vgpr54
	s_and_saveexec_b64 s[30:31], s[26:27]
	s_xor_b64 s[26:27], exec, s[30:31]
; %bb.1607:                             ;   in Loop: Header=BB17_1573 Depth=2
	v_bfe_u32 v29, v28, 16, 1
	v_add3_u32 v54, v28, v29, s97
                                        ; implicit-def: $vgpr28
; %bb.1608:                             ;   in Loop: Header=BB17_1573 Depth=2
	s_andn2_saveexec_b64 s[30:31], s[26:27]
; %bb.1609:                             ;   in Loop: Header=BB17_1573 Depth=2
	v_or_b32_e32 v29, 0x10000, v28
	v_cmp_eq_u32_sdwa s[26:27], v28, v3 src0_sel:WORD_0 src1_sel:DWORD
	s_nop 1
	v_cndmask_b32_e64 v54, v29, v28, s[26:27]
; %bb.1610:                             ;   in Loop: Header=BB17_1573 Depth=2
	s_or_b64 exec, exec, s[30:31]
	v_and_b32_e32 v12, 0xffff0000, v12
	v_and_b32_e32 v28, 0xffff0000, v8
	v_max_f32_e32 v28, v28, v28
	v_max_f32_e32 v12, v12, v12
	v_min_f32_e32 v29, v12, v28
	v_max_f32_e32 v12, v12, v28
	v_cndmask_b32_e32 v28, v12, v29, vcc
	v_and_b32_e32 v12, 0x7f800000, v28
	v_cmp_ne_u32_e64 s[26:27], s96, v12
                                        ; implicit-def: $vgpr12
	s_and_saveexec_b64 s[30:31], s[26:27]
	s_xor_b64 s[26:27], exec, s[30:31]
; %bb.1611:                             ;   in Loop: Header=BB17_1573 Depth=2
	v_bfe_u32 v12, v28, 16, 1
	v_add3_u32 v12, v28, v12, s97
                                        ; implicit-def: $vgpr28
; %bb.1612:                             ;   in Loop: Header=BB17_1573 Depth=2
	s_andn2_saveexec_b64 s[30:31], s[26:27]
; %bb.1613:                             ;   in Loop: Header=BB17_1573 Depth=2
	v_or_b32_e32 v12, 0x10000, v28
	v_cmp_eq_u32_sdwa s[26:27], v28, v3 src0_sel:WORD_0 src1_sel:DWORD
	s_nop 1
	v_cndmask_b32_e64 v12, v12, v28, s[26:27]
; %bb.1614:                             ;   in Loop: Header=BB17_1573 Depth=2
	s_or_b64 exec, exec, s[30:31]
	v_lshlrev_b32_e32 v28, 16, v13
	v_lshlrev_b32_e32 v29, 16, v9
	v_max_f32_e32 v29, v29, v29
	v_max_f32_e32 v28, v28, v28
	v_min_f32_e32 v55, v28, v29
	v_max_f32_e32 v28, v28, v29
	v_cndmask_b32_e32 v28, v28, v55, vcc
	v_and_b32_e32 v29, 0x7f800000, v28
	v_cmp_ne_u32_e64 s[26:27], s96, v29
                                        ; implicit-def: $vgpr55
	s_and_saveexec_b64 s[30:31], s[26:27]
	s_xor_b64 s[26:27], exec, s[30:31]
; %bb.1615:                             ;   in Loop: Header=BB17_1573 Depth=2
	v_bfe_u32 v29, v28, 16, 1
	v_add3_u32 v55, v28, v29, s97
                                        ; implicit-def: $vgpr28
; %bb.1616:                             ;   in Loop: Header=BB17_1573 Depth=2
	s_andn2_saveexec_b64 s[30:31], s[26:27]
; %bb.1617:                             ;   in Loop: Header=BB17_1573 Depth=2
	v_or_b32_e32 v29, 0x10000, v28
	v_cmp_eq_u32_sdwa s[26:27], v28, v3 src0_sel:WORD_0 src1_sel:DWORD
	s_nop 1
	v_cndmask_b32_e64 v55, v29, v28, s[26:27]
; %bb.1618:                             ;   in Loop: Header=BB17_1573 Depth=2
	s_or_b64 exec, exec, s[30:31]
	v_and_b32_e32 v13, 0xffff0000, v13
	v_and_b32_e32 v28, 0xffff0000, v9
	v_max_f32_e32 v28, v28, v28
	v_max_f32_e32 v13, v13, v13
	v_min_f32_e32 v29, v13, v28
	v_max_f32_e32 v13, v13, v28
	v_cndmask_b32_e32 v28, v13, v29, vcc
	v_and_b32_e32 v13, 0x7f800000, v28
	v_cmp_ne_u32_e64 s[26:27], s96, v13
                                        ; implicit-def: $vgpr13
	s_and_saveexec_b64 s[30:31], s[26:27]
	s_xor_b64 s[26:27], exec, s[30:31]
; %bb.1619:                             ;   in Loop: Header=BB17_1573 Depth=2
	v_bfe_u32 v13, v28, 16, 1
	v_add3_u32 v13, v28, v13, s97
                                        ; implicit-def: $vgpr28
; %bb.1620:                             ;   in Loop: Header=BB17_1573 Depth=2
	s_andn2_saveexec_b64 s[30:31], s[26:27]
; %bb.1621:                             ;   in Loop: Header=BB17_1573 Depth=2
	v_or_b32_e32 v13, 0x10000, v28
	v_cmp_eq_u32_sdwa s[26:27], v28, v3 src0_sel:WORD_0 src1_sel:DWORD
	s_nop 1
	v_cndmask_b32_e64 v13, v13, v28, s[26:27]
; %bb.1622:                             ;   in Loop: Header=BB17_1573 Depth=2
	s_or_b64 exec, exec, s[30:31]
	v_lshlrev_b32_e32 v28, 16, v14
	v_lshlrev_b32_e32 v29, 16, v10
	v_max_f32_e32 v29, v29, v29
	v_max_f32_e32 v28, v28, v28
	v_min_f32_e32 v98, v28, v29
	v_max_f32_e32 v28, v28, v29
	v_cndmask_b32_e32 v29, v28, v98, vcc
	v_and_b32_e32 v28, 0x7f800000, v29
	v_cmp_ne_u32_e64 s[26:27], s96, v28
                                        ; implicit-def: $vgpr28
	s_and_saveexec_b64 s[30:31], s[26:27]
	s_xor_b64 s[26:27], exec, s[30:31]
; %bb.1623:                             ;   in Loop: Header=BB17_1573 Depth=2
	v_bfe_u32 v28, v29, 16, 1
	v_add3_u32 v28, v29, v28, s97
                                        ; implicit-def: $vgpr29
; %bb.1624:                             ;   in Loop: Header=BB17_1573 Depth=2
	s_andn2_saveexec_b64 s[30:31], s[26:27]
; %bb.1625:                             ;   in Loop: Header=BB17_1573 Depth=2
	v_or_b32_e32 v28, 0x10000, v29
	v_cmp_eq_u32_sdwa s[26:27], v29, v3 src0_sel:WORD_0 src1_sel:DWORD
	s_nop 1
	v_cndmask_b32_e64 v28, v28, v29, s[26:27]
; %bb.1626:                             ;   in Loop: Header=BB17_1573 Depth=2
	s_or_b64 exec, exec, s[30:31]
	v_and_b32_e32 v14, 0xffff0000, v14
	v_and_b32_e32 v29, 0xffff0000, v10
	v_max_f32_e32 v29, v29, v29
	v_max_f32_e32 v14, v14, v14
	v_min_f32_e32 v98, v14, v29
	v_max_f32_e32 v14, v14, v29
	v_cndmask_b32_e32 v29, v14, v98, vcc
	v_and_b32_e32 v14, 0x7f800000, v29
	v_cmp_ne_u32_e64 s[26:27], s96, v14
                                        ; implicit-def: $vgpr14
	s_and_saveexec_b64 s[30:31], s[26:27]
	s_xor_b64 s[26:27], exec, s[30:31]
; %bb.1627:                             ;   in Loop: Header=BB17_1573 Depth=2
	v_bfe_u32 v14, v29, 16, 1
	v_add3_u32 v14, v29, v14, s97
                                        ; implicit-def: $vgpr29
; %bb.1628:                             ;   in Loop: Header=BB17_1573 Depth=2
	s_andn2_saveexec_b64 s[30:31], s[26:27]
; %bb.1629:                             ;   in Loop: Header=BB17_1573 Depth=2
	v_or_b32_e32 v14, 0x10000, v29
	v_cmp_eq_u32_sdwa s[26:27], v29, v3 src0_sel:WORD_0 src1_sel:DWORD
	s_nop 1
	v_cndmask_b32_e64 v14, v14, v29, s[26:27]
; %bb.1630:                             ;   in Loop: Header=BB17_1573 Depth=2
	s_or_b64 exec, exec, s[30:31]
	v_lshlrev_b32_e32 v29, 16, v15
	v_lshlrev_b32_e32 v98, 16, v11
	v_max_f32_e32 v98, v98, v98
	v_max_f32_e32 v29, v29, v29
	v_min_f32_e32 v99, v29, v98
	v_max_f32_e32 v29, v29, v98
	v_cndmask_b32_e32 v98, v29, v99, vcc
	v_and_b32_e32 v29, 0x7f800000, v98
	v_cmp_ne_u32_e64 s[26:27], s96, v29
                                        ; implicit-def: $vgpr29
	s_and_saveexec_b64 s[30:31], s[26:27]
	s_xor_b64 s[26:27], exec, s[30:31]
; %bb.1631:                             ;   in Loop: Header=BB17_1573 Depth=2
	v_bfe_u32 v29, v98, 16, 1
	v_add3_u32 v29, v98, v29, s97
                                        ; implicit-def: $vgpr98
; %bb.1632:                             ;   in Loop: Header=BB17_1573 Depth=2
	s_andn2_saveexec_b64 s[30:31], s[26:27]
; %bb.1633:                             ;   in Loop: Header=BB17_1573 Depth=2
	v_or_b32_e32 v29, 0x10000, v98
	v_cmp_eq_u32_sdwa s[26:27], v98, v3 src0_sel:WORD_0 src1_sel:DWORD
	s_nop 1
	v_cndmask_b32_e64 v29, v29, v98, s[26:27]
; %bb.1634:                             ;   in Loop: Header=BB17_1573 Depth=2
	s_or_b64 exec, exec, s[30:31]
	v_and_b32_e32 v15, 0xffff0000, v15
	v_and_b32_e32 v98, 0xffff0000, v11
	v_max_f32_e32 v98, v98, v98
	v_max_f32_e32 v15, v15, v15
	v_min_f32_e32 v99, v15, v98
	v_max_f32_e32 v15, v15, v98
	v_cndmask_b32_e32 v98, v15, v99, vcc
	v_and_b32_e32 v15, 0x7f800000, v98
	v_cmp_ne_u32_e64 s[26:27], s96, v15
                                        ; implicit-def: $vgpr15
	s_and_saveexec_b64 s[30:31], s[26:27]
	s_xor_b64 s[26:27], exec, s[30:31]
; %bb.1635:                             ;   in Loop: Header=BB17_1573 Depth=2
	v_bfe_u32 v15, v98, 16, 1
	v_add3_u32 v15, v98, v15, s97
                                        ; implicit-def: $vgpr98
; %bb.1636:                             ;   in Loop: Header=BB17_1573 Depth=2
	s_andn2_saveexec_b64 s[30:31], s[26:27]
; %bb.1637:                             ;   in Loop: Header=BB17_1573 Depth=2
	v_or_b32_e32 v15, 0x10000, v98
	v_cmp_eq_u32_sdwa s[26:27], v98, v3 src0_sel:WORD_0 src1_sel:DWORD
	s_nop 1
	v_cndmask_b32_e64 v15, v15, v98, s[26:27]
; %bb.1638:                             ;   in Loop: Header=BB17_1573 Depth=2
	s_or_b64 exec, exec, s[30:31]
	v_lshrrev_b32_e32 v52, 16, v52
	v_and_or_b32 v21, v21, s46, v52
	v_lshrrev_b32_e32 v52, 16, v92
	v_and_or_b32 v20, v20, s46, v52
	v_lshrrev_b32_e32 v52, 16, v53
	v_and_or_b32 v22, v22, s46, v52
	v_lshrrev_b32_e32 v52, 16, v82
	v_and_or_b32 v23, v23, s46, v52
	v_lshrrev_b32_e32 v52, 16, v55
	v_lshrrev_b32_e32 v28, 16, v28
	v_and_or_b32 v13, v13, s46, v52
	v_lshrrev_b32_e32 v52, 16, v54
	v_and_or_b32 v14, v14, s46, v28
	;; [unrolled: 2-line block ×3, first 2 shown]
	v_and_or_b32 v15, v15, s46, v28
	global_store_dwordx4 v[76:77], v[20:23], off
	global_store_dwordx4 v[76:77], v[12:15], off offset:1024
	v_lshl_add_u64 v[76:77], v[76:77], 0, v[40:41]
.LBB17_1639:                            ;   in Loop: Header=BB17_1573 Depth=2
	s_or_b64 exec, exec, s[34:35]
	v_sub_u32_e32 v91, v91, v84
	v_lshl_add_u64 v[78:79], v[78:79], 0, v[40:41]
	v_lshl_add_u64 v[88:89], v[88:89], 0, v[40:41]
	v_cmp_lt_i32_e64 s[30:31], 0, v91
	s_and_saveexec_b64 s[26:27], s[30:31]
	s_cbranch_execz .LBB17_1641
; %bb.1640:                             ;   in Loop: Header=BB17_1573 Depth=2
	global_load_dwordx4 v[20:23], v[78:79], off nt
	global_load_dwordx4 v[12:15], v[78:79], off offset:1024 nt
	global_load_dwordx4 v[16:19], v[88:89], off nt
	global_load_dwordx4 v[8:11], v[88:89], off offset:1024 nt
	v_lshl_add_u64 v[78:79], v[78:79], 0, s[74:75]
	v_lshl_add_u64 v[88:89], v[88:89], 0, s[74:75]
.LBB17_1641:                            ;   in Loop: Header=BB17_1573 Depth=2
	s_or_b64 exec, exec, s[26:27]
	s_waitcnt vmcnt(0)
	v_lshlrev_b32_e32 v28, 16, v36
	v_lshlrev_b32_e32 v29, 16, v48
	v_max_f32_e32 v29, v29, v29
	v_max_f32_e32 v28, v28, v28
	v_min_f32_e32 v52, v28, v29
	v_max_f32_e32 v28, v28, v29
	v_cndmask_b32_e32 v28, v28, v52, vcc
	v_and_b32_e32 v29, 0x7f800000, v28
	v_cmp_ne_u32_e64 s[26:27], s96, v29
                                        ; implicit-def: $vgpr52
	s_and_saveexec_b64 s[34:35], s[26:27]
	s_xor_b64 s[26:27], exec, s[34:35]
; %bb.1642:                             ;   in Loop: Header=BB17_1573 Depth=2
	v_bfe_u32 v29, v28, 16, 1
	v_add3_u32 v52, v28, v29, s97
                                        ; implicit-def: $vgpr28
; %bb.1643:                             ;   in Loop: Header=BB17_1573 Depth=2
	s_andn2_saveexec_b64 s[34:35], s[26:27]
; %bb.1644:                             ;   in Loop: Header=BB17_1573 Depth=2
	v_or_b32_e32 v29, 0x10000, v28
	v_cmp_eq_u32_sdwa s[26:27], v28, v3 src0_sel:WORD_0 src1_sel:DWORD
	s_nop 1
	v_cndmask_b32_e64 v52, v29, v28, s[26:27]
; %bb.1645:                             ;   in Loop: Header=BB17_1573 Depth=2
	s_or_b64 exec, exec, s[34:35]
	v_and_b32_e32 v28, 0xffff0000, v36
	v_and_b32_e32 v29, 0xffff0000, v48
	v_max_f32_e32 v29, v29, v29
	v_max_f32_e32 v28, v28, v28
	v_min_f32_e32 v36, v28, v29
	v_max_f32_e32 v28, v28, v29
	v_cndmask_b32_e32 v28, v28, v36, vcc
	v_and_b32_e32 v29, 0x7f800000, v28
	v_cmp_ne_u32_e64 s[26:27], s96, v29
                                        ; implicit-def: $vgpr36
	s_and_saveexec_b64 s[34:35], s[26:27]
	s_xor_b64 s[26:27], exec, s[34:35]
; %bb.1646:                             ;   in Loop: Header=BB17_1573 Depth=2
	v_bfe_u32 v29, v28, 16, 1
	v_add3_u32 v36, v28, v29, s97
                                        ; implicit-def: $vgpr28
; %bb.1647:                             ;   in Loop: Header=BB17_1573 Depth=2
	s_andn2_saveexec_b64 s[34:35], s[26:27]
; %bb.1648:                             ;   in Loop: Header=BB17_1573 Depth=2
	v_or_b32_e32 v29, 0x10000, v28
	v_cmp_eq_u32_sdwa s[26:27], v28, v3 src0_sel:WORD_0 src1_sel:DWORD
	s_nop 1
	v_cndmask_b32_e64 v36, v29, v28, s[26:27]
; %bb.1649:                             ;   in Loop: Header=BB17_1573 Depth=2
	s_or_b64 exec, exec, s[34:35]
	v_lshlrev_b32_e32 v28, 16, v37
	v_lshlrev_b32_e32 v29, 16, v49
	v_max_f32_e32 v29, v29, v29
	v_max_f32_e32 v28, v28, v28
	v_min_f32_e32 v48, v28, v29
	v_max_f32_e32 v28, v28, v29
	v_cndmask_b32_e32 v28, v28, v48, vcc
	v_and_b32_e32 v29, 0x7f800000, v28
	v_cmp_ne_u32_e64 s[26:27], s96, v29
                                        ; implicit-def: $vgpr48
	s_and_saveexec_b64 s[34:35], s[26:27]
	s_xor_b64 s[26:27], exec, s[34:35]
; %bb.1650:                             ;   in Loop: Header=BB17_1573 Depth=2
	v_bfe_u32 v29, v28, 16, 1
	v_add3_u32 v48, v28, v29, s97
                                        ; implicit-def: $vgpr28
; %bb.1651:                             ;   in Loop: Header=BB17_1573 Depth=2
	s_andn2_saveexec_b64 s[34:35], s[26:27]
; %bb.1652:                             ;   in Loop: Header=BB17_1573 Depth=2
	v_or_b32_e32 v29, 0x10000, v28
	v_cmp_eq_u32_sdwa s[26:27], v28, v3 src0_sel:WORD_0 src1_sel:DWORD
	s_nop 1
	v_cndmask_b32_e64 v48, v29, v28, s[26:27]
; %bb.1653:                             ;   in Loop: Header=BB17_1573 Depth=2
	s_or_b64 exec, exec, s[34:35]
	v_and_b32_e32 v28, 0xffff0000, v37
	v_and_b32_e32 v29, 0xffff0000, v49
	v_max_f32_e32 v29, v29, v29
	v_max_f32_e32 v28, v28, v28
	v_min_f32_e32 v37, v28, v29
	v_max_f32_e32 v28, v28, v29
	v_cndmask_b32_e32 v28, v28, v37, vcc
	v_and_b32_e32 v29, 0x7f800000, v28
	v_cmp_ne_u32_e64 s[26:27], s96, v29
                                        ; implicit-def: $vgpr37
	s_and_saveexec_b64 s[34:35], s[26:27]
	s_xor_b64 s[26:27], exec, s[34:35]
; %bb.1654:                             ;   in Loop: Header=BB17_1573 Depth=2
	v_bfe_u32 v29, v28, 16, 1
	v_add3_u32 v37, v28, v29, s97
                                        ; implicit-def: $vgpr28
; %bb.1655:                             ;   in Loop: Header=BB17_1573 Depth=2
	s_andn2_saveexec_b64 s[34:35], s[26:27]
; %bb.1656:                             ;   in Loop: Header=BB17_1573 Depth=2
	v_or_b32_e32 v29, 0x10000, v28
	v_cmp_eq_u32_sdwa s[26:27], v28, v3 src0_sel:WORD_0 src1_sel:DWORD
	s_nop 1
	v_cndmask_b32_e64 v37, v29, v28, s[26:27]
; %bb.1657:                             ;   in Loop: Header=BB17_1573 Depth=2
	s_or_b64 exec, exec, s[34:35]
	v_lshlrev_b32_e32 v28, 16, v38
	v_lshlrev_b32_e32 v29, 16, v50
	v_max_f32_e32 v29, v29, v29
	v_max_f32_e32 v28, v28, v28
	v_min_f32_e32 v49, v28, v29
	v_max_f32_e32 v28, v28, v29
	v_cndmask_b32_e32 v28, v28, v49, vcc
	v_and_b32_e32 v29, 0x7f800000, v28
	v_cmp_ne_u32_e64 s[26:27], s96, v29
                                        ; implicit-def: $vgpr49
	s_and_saveexec_b64 s[34:35], s[26:27]
	s_xor_b64 s[26:27], exec, s[34:35]
; %bb.1658:                             ;   in Loop: Header=BB17_1573 Depth=2
	v_bfe_u32 v29, v28, 16, 1
	v_add3_u32 v49, v28, v29, s97
                                        ; implicit-def: $vgpr28
; %bb.1659:                             ;   in Loop: Header=BB17_1573 Depth=2
	s_andn2_saveexec_b64 s[34:35], s[26:27]
; %bb.1660:                             ;   in Loop: Header=BB17_1573 Depth=2
	v_or_b32_e32 v29, 0x10000, v28
	v_cmp_eq_u32_sdwa s[26:27], v28, v3 src0_sel:WORD_0 src1_sel:DWORD
	s_nop 1
	v_cndmask_b32_e64 v49, v29, v28, s[26:27]
; %bb.1661:                             ;   in Loop: Header=BB17_1573 Depth=2
	s_or_b64 exec, exec, s[34:35]
	v_and_b32_e32 v28, 0xffff0000, v38
	v_and_b32_e32 v29, 0xffff0000, v50
	v_max_f32_e32 v29, v29, v29
	v_max_f32_e32 v28, v28, v28
	v_min_f32_e32 v38, v28, v29
	v_max_f32_e32 v28, v28, v29
	v_cndmask_b32_e32 v28, v28, v38, vcc
	v_and_b32_e32 v29, 0x7f800000, v28
	v_cmp_ne_u32_e64 s[26:27], s96, v29
                                        ; implicit-def: $vgpr38
	s_and_saveexec_b64 s[34:35], s[26:27]
	s_xor_b64 s[26:27], exec, s[34:35]
; %bb.1662:                             ;   in Loop: Header=BB17_1573 Depth=2
	v_bfe_u32 v29, v28, 16, 1
	v_add3_u32 v38, v28, v29, s97
                                        ; implicit-def: $vgpr28
; %bb.1663:                             ;   in Loop: Header=BB17_1573 Depth=2
	s_andn2_saveexec_b64 s[34:35], s[26:27]
; %bb.1664:                             ;   in Loop: Header=BB17_1573 Depth=2
	v_or_b32_e32 v29, 0x10000, v28
	v_cmp_eq_u32_sdwa s[26:27], v28, v3 src0_sel:WORD_0 src1_sel:DWORD
	s_nop 1
	v_cndmask_b32_e64 v38, v29, v28, s[26:27]
; %bb.1665:                             ;   in Loop: Header=BB17_1573 Depth=2
	s_or_b64 exec, exec, s[34:35]
	v_lshlrev_b32_e32 v28, 16, v39
	v_lshlrev_b32_e32 v29, 16, v51
	v_max_f32_e32 v29, v29, v29
	v_max_f32_e32 v28, v28, v28
	v_min_f32_e32 v50, v28, v29
	v_max_f32_e32 v28, v28, v29
	v_cndmask_b32_e32 v28, v28, v50, vcc
	v_and_b32_e32 v29, 0x7f800000, v28
	v_cmp_ne_u32_e64 s[26:27], s96, v29
                                        ; implicit-def: $vgpr50
	s_and_saveexec_b64 s[34:35], s[26:27]
	s_xor_b64 s[26:27], exec, s[34:35]
; %bb.1666:                             ;   in Loop: Header=BB17_1573 Depth=2
	v_bfe_u32 v29, v28, 16, 1
	v_add3_u32 v50, v28, v29, s97
                                        ; implicit-def: $vgpr28
; %bb.1667:                             ;   in Loop: Header=BB17_1573 Depth=2
	s_andn2_saveexec_b64 s[34:35], s[26:27]
; %bb.1668:                             ;   in Loop: Header=BB17_1573 Depth=2
	v_or_b32_e32 v29, 0x10000, v28
	v_cmp_eq_u32_sdwa s[26:27], v28, v3 src0_sel:WORD_0 src1_sel:DWORD
	s_nop 1
	v_cndmask_b32_e64 v50, v29, v28, s[26:27]
; %bb.1669:                             ;   in Loop: Header=BB17_1573 Depth=2
	s_or_b64 exec, exec, s[34:35]
	v_and_b32_e32 v28, 0xffff0000, v39
	v_and_b32_e32 v29, 0xffff0000, v51
	v_max_f32_e32 v29, v29, v29
	v_max_f32_e32 v28, v28, v28
	v_min_f32_e32 v39, v28, v29
	v_max_f32_e32 v28, v28, v29
	v_cndmask_b32_e32 v28, v28, v39, vcc
	v_and_b32_e32 v29, 0x7f800000, v28
	v_cmp_ne_u32_e64 s[26:27], s96, v29
                                        ; implicit-def: $vgpr39
	s_and_saveexec_b64 s[34:35], s[26:27]
	s_xor_b64 s[26:27], exec, s[34:35]
; %bb.1670:                             ;   in Loop: Header=BB17_1573 Depth=2
	v_bfe_u32 v29, v28, 16, 1
	v_add3_u32 v39, v28, v29, s97
                                        ; implicit-def: $vgpr28
; %bb.1671:                             ;   in Loop: Header=BB17_1573 Depth=2
	s_andn2_saveexec_b64 s[34:35], s[26:27]
; %bb.1672:                             ;   in Loop: Header=BB17_1573 Depth=2
	v_or_b32_e32 v29, 0x10000, v28
	v_cmp_eq_u32_sdwa s[26:27], v28, v3 src0_sel:WORD_0 src1_sel:DWORD
	s_nop 1
	v_cndmask_b32_e64 v39, v29, v28, s[26:27]
; %bb.1673:                             ;   in Loop: Header=BB17_1573 Depth=2
	s_or_b64 exec, exec, s[34:35]
	v_lshlrev_b32_e32 v28, 16, v24
	v_lshlrev_b32_e32 v29, 16, v32
	v_max_f32_e32 v29, v29, v29
	v_max_f32_e32 v28, v28, v28
	v_min_f32_e32 v51, v28, v29
	v_max_f32_e32 v28, v28, v29
	v_cndmask_b32_e32 v28, v28, v51, vcc
	v_and_b32_e32 v29, 0x7f800000, v28
	v_cmp_ne_u32_e64 s[26:27], s96, v29
                                        ; implicit-def: $vgpr51
	s_and_saveexec_b64 s[34:35], s[26:27]
	s_xor_b64 s[26:27], exec, s[34:35]
; %bb.1674:                             ;   in Loop: Header=BB17_1573 Depth=2
	v_bfe_u32 v29, v28, 16, 1
	v_add3_u32 v51, v28, v29, s97
                                        ; implicit-def: $vgpr28
; %bb.1675:                             ;   in Loop: Header=BB17_1573 Depth=2
	s_andn2_saveexec_b64 s[34:35], s[26:27]
; %bb.1676:                             ;   in Loop: Header=BB17_1573 Depth=2
	v_or_b32_e32 v29, 0x10000, v28
	v_cmp_eq_u32_sdwa s[26:27], v28, v3 src0_sel:WORD_0 src1_sel:DWORD
	s_nop 1
	v_cndmask_b32_e64 v51, v29, v28, s[26:27]
; %bb.1677:                             ;   in Loop: Header=BB17_1573 Depth=2
	s_or_b64 exec, exec, s[34:35]
	v_and_b32_e32 v24, 0xffff0000, v24
	v_and_b32_e32 v28, 0xffff0000, v32
	v_max_f32_e32 v28, v28, v28
	v_max_f32_e32 v24, v24, v24
	v_min_f32_e32 v29, v24, v28
	v_max_f32_e32 v24, v24, v28
	v_cndmask_b32_e32 v28, v24, v29, vcc
	v_and_b32_e32 v24, 0x7f800000, v28
	v_cmp_ne_u32_e64 s[26:27], s96, v24
                                        ; implicit-def: $vgpr24
	s_and_saveexec_b64 s[34:35], s[26:27]
	s_xor_b64 s[26:27], exec, s[34:35]
; %bb.1678:                             ;   in Loop: Header=BB17_1573 Depth=2
	v_bfe_u32 v24, v28, 16, 1
	v_add3_u32 v24, v28, v24, s97
                                        ; implicit-def: $vgpr28
; %bb.1679:                             ;   in Loop: Header=BB17_1573 Depth=2
	s_andn2_saveexec_b64 s[34:35], s[26:27]
; %bb.1680:                             ;   in Loop: Header=BB17_1573 Depth=2
	v_or_b32_e32 v24, 0x10000, v28
	v_cmp_eq_u32_sdwa s[26:27], v28, v3 src0_sel:WORD_0 src1_sel:DWORD
	s_nop 1
	v_cndmask_b32_e64 v24, v24, v28, s[26:27]
; %bb.1681:                             ;   in Loop: Header=BB17_1573 Depth=2
	s_or_b64 exec, exec, s[34:35]
	v_lshlrev_b32_e32 v28, 16, v25
	v_lshlrev_b32_e32 v29, 16, v33
	v_max_f32_e32 v29, v29, v29
	v_max_f32_e32 v28, v28, v28
	v_min_f32_e32 v32, v28, v29
	v_max_f32_e32 v28, v28, v29
	v_cndmask_b32_e32 v29, v28, v32, vcc
	v_and_b32_e32 v28, 0x7f800000, v29
	v_cmp_ne_u32_e64 s[26:27], s96, v28
                                        ; implicit-def: $vgpr28
	s_and_saveexec_b64 s[34:35], s[26:27]
	s_xor_b64 s[26:27], exec, s[34:35]
; %bb.1682:                             ;   in Loop: Header=BB17_1573 Depth=2
	v_bfe_u32 v28, v29, 16, 1
	v_add3_u32 v28, v29, v28, s97
                                        ; implicit-def: $vgpr29
; %bb.1683:                             ;   in Loop: Header=BB17_1573 Depth=2
	s_andn2_saveexec_b64 s[34:35], s[26:27]
; %bb.1684:                             ;   in Loop: Header=BB17_1573 Depth=2
	v_or_b32_e32 v28, 0x10000, v29
	v_cmp_eq_u32_sdwa s[26:27], v29, v3 src0_sel:WORD_0 src1_sel:DWORD
	s_nop 1
	v_cndmask_b32_e64 v28, v28, v29, s[26:27]
; %bb.1685:                             ;   in Loop: Header=BB17_1573 Depth=2
	s_or_b64 exec, exec, s[34:35]
	v_and_b32_e32 v25, 0xffff0000, v25
	v_and_b32_e32 v29, 0xffff0000, v33
	v_max_f32_e32 v29, v29, v29
	v_max_f32_e32 v25, v25, v25
	v_min_f32_e32 v32, v25, v29
	v_max_f32_e32 v25, v25, v29
	v_cndmask_b32_e32 v29, v25, v32, vcc
	v_and_b32_e32 v25, 0x7f800000, v29
	v_cmp_ne_u32_e64 s[26:27], s96, v25
                                        ; implicit-def: $vgpr25
	s_and_saveexec_b64 s[34:35], s[26:27]
	s_xor_b64 s[26:27], exec, s[34:35]
; %bb.1686:                             ;   in Loop: Header=BB17_1573 Depth=2
	v_bfe_u32 v25, v29, 16, 1
	v_add3_u32 v25, v29, v25, s97
                                        ; implicit-def: $vgpr29
; %bb.1687:                             ;   in Loop: Header=BB17_1573 Depth=2
	s_andn2_saveexec_b64 s[34:35], s[26:27]
; %bb.1688:                             ;   in Loop: Header=BB17_1573 Depth=2
	v_or_b32_e32 v25, 0x10000, v29
	v_cmp_eq_u32_sdwa s[26:27], v29, v3 src0_sel:WORD_0 src1_sel:DWORD
	s_nop 1
	v_cndmask_b32_e64 v25, v25, v29, s[26:27]
; %bb.1689:                             ;   in Loop: Header=BB17_1573 Depth=2
	s_or_b64 exec, exec, s[34:35]
	v_lshlrev_b32_e32 v29, 16, v26
	v_lshlrev_b32_e32 v32, 16, v34
	v_max_f32_e32 v32, v32, v32
	v_max_f32_e32 v29, v29, v29
	v_min_f32_e32 v33, v29, v32
	v_max_f32_e32 v29, v29, v32
	v_cndmask_b32_e32 v32, v29, v33, vcc
	v_and_b32_e32 v29, 0x7f800000, v32
	v_cmp_ne_u32_e64 s[26:27], s96, v29
                                        ; implicit-def: $vgpr29
	s_and_saveexec_b64 s[34:35], s[26:27]
	s_xor_b64 s[26:27], exec, s[34:35]
; %bb.1690:                             ;   in Loop: Header=BB17_1573 Depth=2
	v_bfe_u32 v29, v32, 16, 1
	v_add3_u32 v29, v32, v29, s97
                                        ; implicit-def: $vgpr32
; %bb.1691:                             ;   in Loop: Header=BB17_1573 Depth=2
	s_andn2_saveexec_b64 s[34:35], s[26:27]
; %bb.1692:                             ;   in Loop: Header=BB17_1573 Depth=2
	v_or_b32_e32 v29, 0x10000, v32
	v_cmp_eq_u32_sdwa s[26:27], v32, v3 src0_sel:WORD_0 src1_sel:DWORD
	s_nop 1
	v_cndmask_b32_e64 v29, v29, v32, s[26:27]
; %bb.1693:                             ;   in Loop: Header=BB17_1573 Depth=2
	s_or_b64 exec, exec, s[34:35]
	v_and_b32_e32 v26, 0xffff0000, v26
	v_and_b32_e32 v32, 0xffff0000, v34
	v_max_f32_e32 v32, v32, v32
	v_max_f32_e32 v26, v26, v26
	v_min_f32_e32 v33, v26, v32
	v_max_f32_e32 v26, v26, v32
	v_cndmask_b32_e32 v32, v26, v33, vcc
	v_and_b32_e32 v26, 0x7f800000, v32
	v_cmp_ne_u32_e64 s[26:27], s96, v26
                                        ; implicit-def: $vgpr26
	s_and_saveexec_b64 s[34:35], s[26:27]
	s_xor_b64 s[26:27], exec, s[34:35]
; %bb.1694:                             ;   in Loop: Header=BB17_1573 Depth=2
	v_bfe_u32 v26, v32, 16, 1
	v_add3_u32 v26, v32, v26, s97
                                        ; implicit-def: $vgpr32
; %bb.1695:                             ;   in Loop: Header=BB17_1573 Depth=2
	s_andn2_saveexec_b64 s[34:35], s[26:27]
; %bb.1696:                             ;   in Loop: Header=BB17_1573 Depth=2
	v_or_b32_e32 v26, 0x10000, v32
	v_cmp_eq_u32_sdwa s[26:27], v32, v3 src0_sel:WORD_0 src1_sel:DWORD
	s_nop 1
	v_cndmask_b32_e64 v26, v26, v32, s[26:27]
; %bb.1697:                             ;   in Loop: Header=BB17_1573 Depth=2
	s_or_b64 exec, exec, s[34:35]
	v_lshlrev_b32_e32 v32, 16, v27
	v_lshlrev_b32_e32 v33, 16, v35
	v_max_f32_e32 v33, v33, v33
	v_max_f32_e32 v32, v32, v32
	v_min_f32_e32 v34, v32, v33
	v_max_f32_e32 v32, v32, v33
	v_cndmask_b32_e32 v33, v32, v34, vcc
	v_and_b32_e32 v32, 0x7f800000, v33
	v_cmp_ne_u32_e64 s[26:27], s96, v32
                                        ; implicit-def: $vgpr32
	s_and_saveexec_b64 s[34:35], s[26:27]
	s_xor_b64 s[26:27], exec, s[34:35]
; %bb.1698:                             ;   in Loop: Header=BB17_1573 Depth=2
	v_bfe_u32 v32, v33, 16, 1
	v_add3_u32 v32, v33, v32, s97
                                        ; implicit-def: $vgpr33
; %bb.1699:                             ;   in Loop: Header=BB17_1573 Depth=2
	s_andn2_saveexec_b64 s[34:35], s[26:27]
; %bb.1700:                             ;   in Loop: Header=BB17_1573 Depth=2
	v_or_b32_e32 v32, 0x10000, v33
	v_cmp_eq_u32_sdwa s[26:27], v33, v3 src0_sel:WORD_0 src1_sel:DWORD
	s_nop 1
	v_cndmask_b32_e64 v32, v32, v33, s[26:27]
; %bb.1701:                             ;   in Loop: Header=BB17_1573 Depth=2
	s_or_b64 exec, exec, s[34:35]
	v_and_b32_e32 v27, 0xffff0000, v27
	v_and_b32_e32 v33, 0xffff0000, v35
	v_max_f32_e32 v33, v33, v33
	v_max_f32_e32 v27, v27, v27
	v_min_f32_e32 v34, v27, v33
	v_max_f32_e32 v27, v27, v33
	v_cndmask_b32_e32 v33, v27, v34, vcc
	v_and_b32_e32 v27, 0x7f800000, v33
	v_cmp_ne_u32_e64 s[26:27], s96, v27
                                        ; implicit-def: $vgpr27
	s_and_saveexec_b64 s[34:35], s[26:27]
	s_xor_b64 s[26:27], exec, s[34:35]
; %bb.1702:                             ;   in Loop: Header=BB17_1573 Depth=2
	v_bfe_u32 v27, v33, 16, 1
	v_add3_u32 v27, v33, v27, s97
                                        ; implicit-def: $vgpr33
; %bb.1703:                             ;   in Loop: Header=BB17_1573 Depth=2
	s_andn2_saveexec_b64 s[34:35], s[26:27]
	s_cbranch_execz .LBB17_1572
; %bb.1704:                             ;   in Loop: Header=BB17_1573 Depth=2
	v_or_b32_e32 v27, 0x10000, v33
	v_cmp_eq_u32_sdwa s[26:27], v33, v3 src0_sel:WORD_0 src1_sel:DWORD
	s_nop 1
	v_cndmask_b32_e64 v27, v27, v33, s[26:27]
	s_branch .LBB17_1572
.LBB17_1705:                            ;   in Loop: Header=BB17_47 Depth=1
	v_cmp_lt_i32_e64 s[26:27], 0, v31
	s_and_saveexec_b64 s[28:29], s[6:7]
	s_cbranch_execnz .LBB17_2023
	s_branch .LBB17_2041
.LBB17_1706:                            ;   in Loop: Header=BB17_47 Depth=1
	s_mov_b64 s[94:95], 0
                                        ; implicit-def: $sgpr44
	s_andn2_b64 vcc, exec, s[28:29]
	v_mov_b32_e32 v14, 0
	s_cbranch_vccz .LBB17_1570
.LBB17_1707:                            ;   in Loop: Header=BB17_47 Depth=1
	v_mov_b32_e32 v8, v0
	v_mov_b32_e32 v15, v95
	s_and_saveexec_b64 s[42:43], s[94:95]
	s_cbranch_execnz .LBB17_1891
	s_branch .LBB17_2022
.LBB17_1708:                            ;   in Loop: Header=BB17_47 Depth=1
	s_or_b64 exec, exec, s[40:41]
	s_and_b64 s[26:27], s[42:43], exec
.LBB17_1709:                            ;   in Loop: Header=BB17_47 Depth=1
	s_or_b64 exec, exec, s[28:29]
	s_and_saveexec_b64 s[28:29], s[26:27]
	s_cbranch_execz .LBB17_1775
; %bb.1710:                             ;   in Loop: Header=BB17_47 Depth=1
	s_and_b32 s26, 0xffff, s44
	v_lshlrev_b32_e32 v24, 16, v20
	v_lshlrev_b32_e32 v25, 16, v16
	s_cmp_eq_u32 s26, 0
	v_max_f32_e32 v25, v25, v25
	v_max_f32_e32 v24, v24, v24
	v_min_f32_e32 v26, v24, v25
	v_max_f32_e32 v24, v24, v25
	s_cselect_b64 vcc, -1, 0
	v_cndmask_b32_e32 v25, v24, v26, vcc
	v_and_b32_e32 v24, 0x7f800000, v25
	v_cmp_ne_u32_e64 s[26:27], s96, v24
                                        ; implicit-def: $vgpr24
	s_and_saveexec_b64 s[40:41], s[26:27]
	s_xor_b64 s[26:27], exec, s[40:41]
; %bb.1711:                             ;   in Loop: Header=BB17_47 Depth=1
	v_bfe_u32 v24, v25, 16, 1
	v_add3_u32 v24, v25, v24, s97
                                        ; implicit-def: $vgpr25
; %bb.1712:                             ;   in Loop: Header=BB17_47 Depth=1
	s_andn2_saveexec_b64 s[40:41], s[26:27]
; %bb.1713:                             ;   in Loop: Header=BB17_47 Depth=1
	v_or_b32_e32 v24, 0x10000, v25
	v_cmp_eq_u32_sdwa s[26:27], v25, v3 src0_sel:WORD_0 src1_sel:DWORD
	s_nop 1
	v_cndmask_b32_e64 v24, v24, v25, s[26:27]
; %bb.1714:                             ;   in Loop: Header=BB17_47 Depth=1
	s_or_b64 exec, exec, s[40:41]
	v_and_b32_e32 v20, 0xffff0000, v20
	v_and_b32_e32 v16, 0xffff0000, v16
	v_max_f32_e32 v16, v16, v16
	v_max_f32_e32 v20, v20, v20
	v_min_f32_e32 v25, v20, v16
	v_max_f32_e32 v16, v20, v16
	v_cndmask_b32_e32 v20, v16, v25, vcc
	v_and_b32_e32 v16, 0x7f800000, v20
	v_cmp_ne_u32_e64 s[26:27], s96, v16
                                        ; implicit-def: $vgpr16
	s_and_saveexec_b64 s[40:41], s[26:27]
	s_xor_b64 s[26:27], exec, s[40:41]
; %bb.1715:                             ;   in Loop: Header=BB17_47 Depth=1
	v_bfe_u32 v16, v20, 16, 1
	v_add3_u32 v16, v20, v16, s97
                                        ; implicit-def: $vgpr20
; %bb.1716:                             ;   in Loop: Header=BB17_47 Depth=1
	s_andn2_saveexec_b64 s[40:41], s[26:27]
; %bb.1717:                             ;   in Loop: Header=BB17_47 Depth=1
	v_or_b32_e32 v16, 0x10000, v20
	v_cmp_eq_u32_sdwa s[26:27], v20, v3 src0_sel:WORD_0 src1_sel:DWORD
	s_nop 1
	v_cndmask_b32_e64 v16, v16, v20, s[26:27]
; %bb.1718:                             ;   in Loop: Header=BB17_47 Depth=1
	s_or_b64 exec, exec, s[40:41]
	v_lshlrev_b32_e32 v20, 16, v21
	v_lshlrev_b32_e32 v25, 16, v17
	v_max_f32_e32 v25, v25, v25
	v_max_f32_e32 v20, v20, v20
	v_min_f32_e32 v26, v20, v25
	v_max_f32_e32 v20, v20, v25
	v_cndmask_b32_e32 v25, v20, v26, vcc
	v_and_b32_e32 v20, 0x7f800000, v25
	v_cmp_ne_u32_e64 s[26:27], s96, v20
                                        ; implicit-def: $vgpr20
	s_and_saveexec_b64 s[40:41], s[26:27]
	s_xor_b64 s[26:27], exec, s[40:41]
; %bb.1719:                             ;   in Loop: Header=BB17_47 Depth=1
	v_bfe_u32 v20, v25, 16, 1
	v_add3_u32 v20, v25, v20, s97
                                        ; implicit-def: $vgpr25
; %bb.1720:                             ;   in Loop: Header=BB17_47 Depth=1
	s_andn2_saveexec_b64 s[40:41], s[26:27]
; %bb.1721:                             ;   in Loop: Header=BB17_47 Depth=1
	v_or_b32_e32 v20, 0x10000, v25
	v_cmp_eq_u32_sdwa s[26:27], v25, v3 src0_sel:WORD_0 src1_sel:DWORD
	s_nop 1
	v_cndmask_b32_e64 v20, v20, v25, s[26:27]
; %bb.1722:                             ;   in Loop: Header=BB17_47 Depth=1
	s_or_b64 exec, exec, s[40:41]
	v_and_b32_e32 v21, 0xffff0000, v21
	v_and_b32_e32 v17, 0xffff0000, v17
	v_max_f32_e32 v17, v17, v17
	v_max_f32_e32 v21, v21, v21
	v_min_f32_e32 v25, v21, v17
	v_max_f32_e32 v17, v21, v17
	v_cndmask_b32_e32 v21, v17, v25, vcc
	v_and_b32_e32 v17, 0x7f800000, v21
	v_cmp_ne_u32_e64 s[26:27], s96, v17
                                        ; implicit-def: $vgpr17
	s_and_saveexec_b64 s[40:41], s[26:27]
	s_xor_b64 s[26:27], exec, s[40:41]
; %bb.1723:                             ;   in Loop: Header=BB17_47 Depth=1
	v_bfe_u32 v17, v21, 16, 1
	v_add3_u32 v17, v21, v17, s97
                                        ; implicit-def: $vgpr21
; %bb.1724:                             ;   in Loop: Header=BB17_47 Depth=1
	s_andn2_saveexec_b64 s[40:41], s[26:27]
; %bb.1725:                             ;   in Loop: Header=BB17_47 Depth=1
	v_or_b32_e32 v17, 0x10000, v21
	v_cmp_eq_u32_sdwa s[26:27], v21, v3 src0_sel:WORD_0 src1_sel:DWORD
	s_nop 1
	v_cndmask_b32_e64 v17, v17, v21, s[26:27]
; %bb.1726:                             ;   in Loop: Header=BB17_47 Depth=1
	s_or_b64 exec, exec, s[40:41]
	v_lshlrev_b32_e32 v21, 16, v22
	v_lshlrev_b32_e32 v25, 16, v18
	v_max_f32_e32 v25, v25, v25
	v_max_f32_e32 v21, v21, v21
	v_min_f32_e32 v26, v21, v25
	v_max_f32_e32 v21, v21, v25
	v_cndmask_b32_e32 v25, v21, v26, vcc
	v_and_b32_e32 v21, 0x7f800000, v25
	v_cmp_ne_u32_e64 s[26:27], s96, v21
                                        ; implicit-def: $vgpr21
	s_and_saveexec_b64 s[40:41], s[26:27]
	s_xor_b64 s[26:27], exec, s[40:41]
; %bb.1727:                             ;   in Loop: Header=BB17_47 Depth=1
	v_bfe_u32 v21, v25, 16, 1
	v_add3_u32 v21, v25, v21, s97
                                        ; implicit-def: $vgpr25
; %bb.1728:                             ;   in Loop: Header=BB17_47 Depth=1
	s_andn2_saveexec_b64 s[40:41], s[26:27]
; %bb.1729:                             ;   in Loop: Header=BB17_47 Depth=1
	v_or_b32_e32 v21, 0x10000, v25
	v_cmp_eq_u32_sdwa s[26:27], v25, v3 src0_sel:WORD_0 src1_sel:DWORD
	s_nop 1
	v_cndmask_b32_e64 v21, v21, v25, s[26:27]
; %bb.1730:                             ;   in Loop: Header=BB17_47 Depth=1
	s_or_b64 exec, exec, s[40:41]
	v_and_b32_e32 v22, 0xffff0000, v22
	v_and_b32_e32 v18, 0xffff0000, v18
	v_max_f32_e32 v18, v18, v18
	v_max_f32_e32 v22, v22, v22
	v_min_f32_e32 v25, v22, v18
	v_max_f32_e32 v18, v22, v18
	v_cndmask_b32_e32 v22, v18, v25, vcc
	v_and_b32_e32 v18, 0x7f800000, v22
	v_cmp_ne_u32_e64 s[26:27], s96, v18
                                        ; implicit-def: $vgpr18
	s_and_saveexec_b64 s[40:41], s[26:27]
	s_xor_b64 s[26:27], exec, s[40:41]
; %bb.1731:                             ;   in Loop: Header=BB17_47 Depth=1
	v_bfe_u32 v18, v22, 16, 1
	v_add3_u32 v18, v22, v18, s97
                                        ; implicit-def: $vgpr22
; %bb.1732:                             ;   in Loop: Header=BB17_47 Depth=1
	s_andn2_saveexec_b64 s[40:41], s[26:27]
; %bb.1733:                             ;   in Loop: Header=BB17_47 Depth=1
	v_or_b32_e32 v18, 0x10000, v22
	v_cmp_eq_u32_sdwa s[26:27], v22, v3 src0_sel:WORD_0 src1_sel:DWORD
	s_nop 1
	v_cndmask_b32_e64 v18, v18, v22, s[26:27]
; %bb.1734:                             ;   in Loop: Header=BB17_47 Depth=1
	s_or_b64 exec, exec, s[40:41]
	v_lshlrev_b32_e32 v22, 16, v23
	v_lshlrev_b32_e32 v25, 16, v19
	v_max_f32_e32 v25, v25, v25
	v_max_f32_e32 v22, v22, v22
	v_min_f32_e32 v26, v22, v25
	v_max_f32_e32 v22, v22, v25
	v_cndmask_b32_e32 v25, v22, v26, vcc
	v_and_b32_e32 v22, 0x7f800000, v25
	v_cmp_ne_u32_e64 s[26:27], s96, v22
                                        ; implicit-def: $vgpr22
	s_and_saveexec_b64 s[40:41], s[26:27]
	s_xor_b64 s[26:27], exec, s[40:41]
; %bb.1735:                             ;   in Loop: Header=BB17_47 Depth=1
	v_bfe_u32 v22, v25, 16, 1
	v_add3_u32 v22, v25, v22, s97
                                        ; implicit-def: $vgpr25
; %bb.1736:                             ;   in Loop: Header=BB17_47 Depth=1
	s_andn2_saveexec_b64 s[40:41], s[26:27]
; %bb.1737:                             ;   in Loop: Header=BB17_47 Depth=1
	v_or_b32_e32 v22, 0x10000, v25
	v_cmp_eq_u32_sdwa s[26:27], v25, v3 src0_sel:WORD_0 src1_sel:DWORD
	s_nop 1
	v_cndmask_b32_e64 v22, v22, v25, s[26:27]
; %bb.1738:                             ;   in Loop: Header=BB17_47 Depth=1
	s_or_b64 exec, exec, s[40:41]
	v_and_b32_e32 v23, 0xffff0000, v23
	v_and_b32_e32 v19, 0xffff0000, v19
	v_max_f32_e32 v19, v19, v19
	v_max_f32_e32 v23, v23, v23
	v_min_f32_e32 v25, v23, v19
	v_max_f32_e32 v19, v23, v19
	v_cndmask_b32_e32 v23, v19, v25, vcc
	v_and_b32_e32 v19, 0x7f800000, v23
	v_cmp_ne_u32_e64 s[26:27], s96, v19
                                        ; implicit-def: $vgpr19
	s_and_saveexec_b64 s[40:41], s[26:27]
	s_xor_b64 s[26:27], exec, s[40:41]
; %bb.1739:                             ;   in Loop: Header=BB17_47 Depth=1
	v_bfe_u32 v19, v23, 16, 1
	v_add3_u32 v19, v23, v19, s97
                                        ; implicit-def: $vgpr23
; %bb.1740:                             ;   in Loop: Header=BB17_47 Depth=1
	s_andn2_saveexec_b64 s[40:41], s[26:27]
; %bb.1741:                             ;   in Loop: Header=BB17_47 Depth=1
	v_or_b32_e32 v19, 0x10000, v23
	v_cmp_eq_u32_sdwa s[26:27], v23, v3 src0_sel:WORD_0 src1_sel:DWORD
	s_nop 1
	v_cndmask_b32_e64 v19, v19, v23, s[26:27]
; %bb.1742:                             ;   in Loop: Header=BB17_47 Depth=1
	s_or_b64 exec, exec, s[40:41]
	v_lshlrev_b32_e32 v23, 16, v12
	v_lshlrev_b32_e32 v25, 16, v8
	v_max_f32_e32 v25, v25, v25
	v_max_f32_e32 v23, v23, v23
	v_min_f32_e32 v26, v23, v25
	v_max_f32_e32 v23, v23, v25
	v_cndmask_b32_e32 v25, v23, v26, vcc
	v_and_b32_e32 v23, 0x7f800000, v25
	v_cmp_ne_u32_e64 s[26:27], s96, v23
                                        ; implicit-def: $vgpr23
	s_and_saveexec_b64 s[40:41], s[26:27]
	s_xor_b64 s[26:27], exec, s[40:41]
; %bb.1743:                             ;   in Loop: Header=BB17_47 Depth=1
	v_bfe_u32 v23, v25, 16, 1
	v_add3_u32 v23, v25, v23, s97
                                        ; implicit-def: $vgpr25
; %bb.1744:                             ;   in Loop: Header=BB17_47 Depth=1
	s_andn2_saveexec_b64 s[40:41], s[26:27]
; %bb.1745:                             ;   in Loop: Header=BB17_47 Depth=1
	v_or_b32_e32 v23, 0x10000, v25
	v_cmp_eq_u32_sdwa s[26:27], v25, v3 src0_sel:WORD_0 src1_sel:DWORD
	s_nop 1
	v_cndmask_b32_e64 v23, v23, v25, s[26:27]
; %bb.1746:                             ;   in Loop: Header=BB17_47 Depth=1
	s_or_b64 exec, exec, s[40:41]
	v_and_b32_e32 v12, 0xffff0000, v12
	v_and_b32_e32 v8, 0xffff0000, v8
	v_max_f32_e32 v8, v8, v8
	v_max_f32_e32 v12, v12, v12
	v_min_f32_e32 v25, v12, v8
	v_max_f32_e32 v8, v12, v8
	v_cndmask_b32_e32 v12, v8, v25, vcc
	v_and_b32_e32 v8, 0x7f800000, v12
	v_cmp_ne_u32_e64 s[26:27], s96, v8
                                        ; implicit-def: $vgpr8
	s_and_saveexec_b64 s[40:41], s[26:27]
	s_xor_b64 s[26:27], exec, s[40:41]
; %bb.1747:                             ;   in Loop: Header=BB17_47 Depth=1
	v_bfe_u32 v8, v12, 16, 1
	v_add3_u32 v8, v12, v8, s97
                                        ; implicit-def: $vgpr12
; %bb.1748:                             ;   in Loop: Header=BB17_47 Depth=1
	s_andn2_saveexec_b64 s[40:41], s[26:27]
; %bb.1749:                             ;   in Loop: Header=BB17_47 Depth=1
	v_or_b32_e32 v8, 0x10000, v12
	v_cmp_eq_u32_sdwa s[26:27], v12, v3 src0_sel:WORD_0 src1_sel:DWORD
	s_nop 1
	v_cndmask_b32_e64 v8, v8, v12, s[26:27]
; %bb.1750:                             ;   in Loop: Header=BB17_47 Depth=1
	s_or_b64 exec, exec, s[40:41]
	v_lshlrev_b32_e32 v12, 16, v13
	v_lshlrev_b32_e32 v25, 16, v9
	v_max_f32_e32 v25, v25, v25
	v_max_f32_e32 v12, v12, v12
	v_min_f32_e32 v26, v12, v25
	v_max_f32_e32 v12, v12, v25
	v_cndmask_b32_e32 v25, v12, v26, vcc
	v_and_b32_e32 v12, 0x7f800000, v25
	v_cmp_ne_u32_e64 s[26:27], s96, v12
                                        ; implicit-def: $vgpr12
	s_and_saveexec_b64 s[40:41], s[26:27]
	s_xor_b64 s[26:27], exec, s[40:41]
; %bb.1751:                             ;   in Loop: Header=BB17_47 Depth=1
	v_bfe_u32 v12, v25, 16, 1
	v_add3_u32 v12, v25, v12, s97
                                        ; implicit-def: $vgpr25
; %bb.1752:                             ;   in Loop: Header=BB17_47 Depth=1
	s_andn2_saveexec_b64 s[40:41], s[26:27]
; %bb.1753:                             ;   in Loop: Header=BB17_47 Depth=1
	v_or_b32_e32 v12, 0x10000, v25
	v_cmp_eq_u32_sdwa s[26:27], v25, v3 src0_sel:WORD_0 src1_sel:DWORD
	s_nop 1
	v_cndmask_b32_e64 v12, v12, v25, s[26:27]
; %bb.1754:                             ;   in Loop: Header=BB17_47 Depth=1
	s_or_b64 exec, exec, s[40:41]
	v_and_b32_e32 v13, 0xffff0000, v13
	v_and_b32_e32 v9, 0xffff0000, v9
	v_max_f32_e32 v9, v9, v9
	v_max_f32_e32 v13, v13, v13
	v_min_f32_e32 v25, v13, v9
	v_max_f32_e32 v9, v13, v9
	v_cndmask_b32_e32 v13, v9, v25, vcc
	v_and_b32_e32 v9, 0x7f800000, v13
	v_cmp_ne_u32_e64 s[26:27], s96, v9
                                        ; implicit-def: $vgpr9
	s_and_saveexec_b64 s[40:41], s[26:27]
	s_xor_b64 s[26:27], exec, s[40:41]
; %bb.1755:                             ;   in Loop: Header=BB17_47 Depth=1
	v_bfe_u32 v9, v13, 16, 1
	v_add3_u32 v9, v13, v9, s97
                                        ; implicit-def: $vgpr13
; %bb.1756:                             ;   in Loop: Header=BB17_47 Depth=1
	s_andn2_saveexec_b64 s[40:41], s[26:27]
; %bb.1757:                             ;   in Loop: Header=BB17_47 Depth=1
	v_or_b32_e32 v9, 0x10000, v13
	v_cmp_eq_u32_sdwa s[26:27], v13, v3 src0_sel:WORD_0 src1_sel:DWORD
	s_nop 1
	v_cndmask_b32_e64 v9, v9, v13, s[26:27]
; %bb.1758:                             ;   in Loop: Header=BB17_47 Depth=1
	s_or_b64 exec, exec, s[40:41]
	v_lshlrev_b32_e32 v13, 16, v14
	v_lshlrev_b32_e32 v25, 16, v10
	v_max_f32_e32 v25, v25, v25
	v_max_f32_e32 v13, v13, v13
	v_min_f32_e32 v26, v13, v25
	v_max_f32_e32 v13, v13, v25
	v_cndmask_b32_e32 v25, v13, v26, vcc
	v_and_b32_e32 v13, 0x7f800000, v25
	v_cmp_ne_u32_e64 s[26:27], s96, v13
                                        ; implicit-def: $vgpr13
	s_and_saveexec_b64 s[40:41], s[26:27]
	s_xor_b64 s[26:27], exec, s[40:41]
; %bb.1759:                             ;   in Loop: Header=BB17_47 Depth=1
	v_bfe_u32 v13, v25, 16, 1
	v_add3_u32 v13, v25, v13, s97
                                        ; implicit-def: $vgpr25
; %bb.1760:                             ;   in Loop: Header=BB17_47 Depth=1
	s_andn2_saveexec_b64 s[40:41], s[26:27]
; %bb.1761:                             ;   in Loop: Header=BB17_47 Depth=1
	v_or_b32_e32 v13, 0x10000, v25
	v_cmp_eq_u32_sdwa s[26:27], v25, v3 src0_sel:WORD_0 src1_sel:DWORD
	s_nop 1
	v_cndmask_b32_e64 v13, v13, v25, s[26:27]
; %bb.1762:                             ;   in Loop: Header=BB17_47 Depth=1
	s_or_b64 exec, exec, s[40:41]
	v_and_b32_e32 v14, 0xffff0000, v14
	v_and_b32_e32 v10, 0xffff0000, v10
	v_max_f32_e32 v10, v10, v10
	v_max_f32_e32 v14, v14, v14
	v_min_f32_e32 v25, v14, v10
	v_max_f32_e32 v10, v14, v10
	v_cndmask_b32_e32 v14, v10, v25, vcc
	v_and_b32_e32 v10, 0x7f800000, v14
	v_cmp_ne_u32_e64 s[26:27], s96, v10
                                        ; implicit-def: $vgpr10
	s_and_saveexec_b64 s[40:41], s[26:27]
	s_xor_b64 s[26:27], exec, s[40:41]
; %bb.1763:                             ;   in Loop: Header=BB17_47 Depth=1
	v_bfe_u32 v10, v14, 16, 1
	v_add3_u32 v10, v14, v10, s97
                                        ; implicit-def: $vgpr14
; %bb.1764:                             ;   in Loop: Header=BB17_47 Depth=1
	s_andn2_saveexec_b64 s[40:41], s[26:27]
; %bb.1765:                             ;   in Loop: Header=BB17_47 Depth=1
	v_or_b32_e32 v10, 0x10000, v14
	v_cmp_eq_u32_sdwa s[26:27], v14, v3 src0_sel:WORD_0 src1_sel:DWORD
	s_nop 1
	v_cndmask_b32_e64 v10, v10, v14, s[26:27]
; %bb.1766:                             ;   in Loop: Header=BB17_47 Depth=1
	s_or_b64 exec, exec, s[40:41]
	v_lshlrev_b32_e32 v14, 16, v15
	v_lshlrev_b32_e32 v25, 16, v11
	v_max_f32_e32 v25, v25, v25
	v_max_f32_e32 v14, v14, v14
	v_min_f32_e32 v26, v14, v25
	v_max_f32_e32 v14, v14, v25
	v_cndmask_b32_e32 v25, v14, v26, vcc
	v_and_b32_e32 v14, 0x7f800000, v25
	v_cmp_ne_u32_e64 s[26:27], s96, v14
                                        ; implicit-def: $vgpr14
	s_and_saveexec_b64 s[40:41], s[26:27]
	s_xor_b64 s[26:27], exec, s[40:41]
; %bb.1767:                             ;   in Loop: Header=BB17_47 Depth=1
	v_bfe_u32 v14, v25, 16, 1
	v_add3_u32 v14, v25, v14, s97
                                        ; implicit-def: $vgpr25
; %bb.1768:                             ;   in Loop: Header=BB17_47 Depth=1
	s_andn2_saveexec_b64 s[40:41], s[26:27]
; %bb.1769:                             ;   in Loop: Header=BB17_47 Depth=1
	v_or_b32_e32 v14, 0x10000, v25
	v_cmp_eq_u32_sdwa s[26:27], v25, v3 src0_sel:WORD_0 src1_sel:DWORD
	s_nop 1
	v_cndmask_b32_e64 v14, v14, v25, s[26:27]
; %bb.1770:                             ;   in Loop: Header=BB17_47 Depth=1
	s_or_b64 exec, exec, s[40:41]
	v_and_b32_e32 v15, 0xffff0000, v15
	v_and_b32_e32 v11, 0xffff0000, v11
	v_max_f32_e32 v11, v11, v11
	v_max_f32_e32 v15, v15, v15
	v_min_f32_e32 v25, v15, v11
	v_max_f32_e32 v11, v15, v11
	v_cndmask_b32_e32 v15, v11, v25, vcc
	v_and_b32_e32 v11, 0x7f800000, v15
	v_cmp_ne_u32_e32 vcc, s96, v11
                                        ; implicit-def: $vgpr11
	s_and_saveexec_b64 s[26:27], vcc
	s_xor_b64 s[26:27], exec, s[26:27]
; %bb.1771:                             ;   in Loop: Header=BB17_47 Depth=1
	v_bfe_u32 v11, v15, 16, 1
	v_add3_u32 v11, v15, v11, s97
                                        ; implicit-def: $vgpr15
; %bb.1772:                             ;   in Loop: Header=BB17_47 Depth=1
	s_andn2_saveexec_b64 s[26:27], s[26:27]
; %bb.1773:                             ;   in Loop: Header=BB17_47 Depth=1
	v_or_b32_e32 v11, 0x10000, v15
	v_cmp_eq_u32_sdwa vcc, v15, v3 src0_sel:WORD_0 src1_sel:DWORD
	s_nop 1
	v_cndmask_b32_e32 v11, v11, v15, vcc
; %bb.1774:                             ;   in Loop: Header=BB17_47 Depth=1
	s_or_b64 exec, exec, s[26:27]
	v_lshrrev_b32_e32 v15, 16, v20
	v_and_or_b32 v17, v17, s46, v15
	v_lshrrev_b32_e32 v15, 16, v24
	v_lshrrev_b32_e32 v12, 16, v12
	v_and_or_b32 v16, v16, s46, v15
	v_lshrrev_b32_e32 v15, 16, v21
	v_and_or_b32 v9, v9, s46, v12
	;; [unrolled: 2-line block ×5, first 2 shown]
	v_and_or_b32 v10, v10, s46, v12
	v_lshrrev_b32_e32 v12, 16, v14
	v_and_or_b32 v11, v11, s46, v12
	global_store_dwordx4 v[76:77], v[16:19], off
	global_store_dwordx4 v[76:77], v[8:11], off offset:1024
.LBB17_1775:                            ;   in Loop: Header=BB17_47 Depth=1
	s_or_b64 exec, exec, s[28:29]
	v_lshlrev_b32_e32 v22, 11, v90
	v_cmp_ne_u32_e32 vcc, v63, v22
                                        ; implicit-def: $vgpr14
                                        ; implicit-def: $vgpr8
                                        ; implicit-def: $vgpr15
	s_and_saveexec_b64 s[30:31], vcc
	s_cbranch_execz .LBB17_1890
; %bb.1776:                             ;   in Loop: Header=BB17_47 Depth=1
	v_lshlrev_b32_e32 v8, 6, v91
	v_sub_u32_e32 v8, v95, v8
	v_ashrrev_i32_e32 v10, 31, v8
	v_lshrrev_b32_e32 v10, 26, v10
	v_add_u32_e32 v10, v8, v10
	v_ashrrev_i32_e32 v11, 6, v10
	v_and_b32_e32 v10, 0xffffffc0, v10
	v_sub_u32_e32 v23, v8, v10
	v_lshlrev_b32_e32 v8, 4, v23
	v_sub_u32_e32 v9, v63, v22
	v_lshl_add_u32 v10, v11, 10, v8
	v_add_u32_e32 v8, v10, v22
	v_sub_u32_e32 v27, v9, v10
	v_ashrrev_i32_e32 v10, 31, v9
	v_lshrrev_b32_e32 v10, 22, v10
	v_add_u32_e32 v10, v9, v10
	v_and_b32_e32 v24, 0xfffffc00, v10
	v_sub_u32_e32 v25, v9, v24
	v_ashrrev_i32_e32 v12, 10, v10
	v_cmp_lt_i32_e64 s[26:27], 15, v25
	v_ashrrev_i32_e32 v9, 31, v8
	v_lshl_add_u64 v[16:17], v[8:9], 0, v[74:75]
	v_addc_co_u32_e64 v10, vcc, 0, v12, s[26:27]
	v_sub_u32_e32 v26, v10, v11
	v_cmp_lt_i32_e32 vcc, 15, v27
	s_mov_b64 s[28:29], 0
	s_and_saveexec_b64 s[34:35], vcc
	s_cbranch_execz .LBB17_1853
; %bb.1777:                             ;   in Loop: Header=BB17_47 Depth=1
	s_trap 2
	ds_read_b64 v[10:11], v0
	s_and_b32 s28, 0xffff, s44
	s_cmp_eq_u32 s28, 0
	v_lshl_add_u64 v[18:19], v[8:9], 0, v[72:73]
	s_mov_b64 s[48:49], 0
	s_waitcnt lgkmcnt(0)
	v_lshl_add_u64 v[20:21], v[10:11], 0, v[8:9]
	s_mov_b64 s[36:37], 0
	s_cselect_b64 s[28:29], -1, 0
                                        ; implicit-def: $sgpr38_sgpr39
	s_branch .LBB17_1779
.LBB17_1778:                            ;   in Loop: Header=BB17_1779 Depth=2
	s_or_b64 exec, exec, s[40:41]
	v_cmp_gt_i32_e32 vcc, 16, v27
	s_or_b64 s[36:37], vcc, s[36:37]
	s_andn2_b64 s[40:41], s[38:39], exec
	s_and_b64 s[42:43], s[48:49], exec
	s_or_b64 s[38:39], s[40:41], s[42:43]
	s_andn2_b64 exec, exec, s[36:37]
	s_cbranch_execz .LBB17_1852
.LBB17_1779:                            ;   Parent Loop BB17_47 Depth=1
                                        ; =>  This Loop Header: Depth=2
                                        ;       Child Loop BB17_1780 Depth 3
                                        ;       Child Loop BB17_1817 Depth 3
	s_add_i32 s40, s33, 0xc0
	s_mov_b32 s45, s40
	s_mov_b64 s[50:51], -1
	s_mov_b64 s[52:53], 0
.LBB17_1780:                            ;   Parent Loop BB17_47 Depth=1
                                        ;     Parent Loop BB17_1779 Depth=2
                                        ; =>    This Inner Loop Header: Depth=3
	s_cmp_eq_u32 s52, 1
	s_cselect_b64 vcc, -1, 0
	v_cndmask_b32_e32 v13, v19, v21, vcc
	v_cndmask_b32_e32 v12, v18, v20, vcc
	global_load_dwordx4 v[8:11], v[12:13], off nt
	s_cmp_eq_u32 s52, 0
	v_lshl_add_u64 v[12:13], v[12:13], 0, s[60:61]
	s_cselect_b64 s[40:41], -1, 0
	s_and_b64 s[42:43], exec, s[50:51]
	s_mov_b64 s[52:53], 1
	s_mov_b64 s[50:51], 0
	v_cndmask_b32_e64 v19, v19, v13, s[40:41]
	v_cndmask_b32_e64 v18, v18, v12, s[40:41]
	v_cndmask_b32_e32 v21, v21, v13, vcc
	v_cndmask_b32_e32 v20, v20, v12, vcc
	s_mov_b64 vcc, s[42:43]
	s_waitcnt vmcnt(0)
	scratch_store_dwordx4 off, v[8:11], s45
	s_mov_b32 s45, s83
	s_cbranch_vccnz .LBB17_1780
; %bb.1781:                             ;   in Loop: Header=BB17_1779 Depth=2
	s_and_saveexec_b64 s[40:41], s[48:49]
	s_cbranch_execz .LBB17_1815
; %bb.1782:                             ;   in Loop: Header=BB17_1779 Depth=2
	scratch_load_dwordx4 v[8:11], off, s33 offset:224
	scratch_load_dwordx4 v[12:15], off, s33 offset:240
	s_waitcnt vmcnt(1)
	v_lshlrev_b32_e32 v28, 16, v8
	s_waitcnt vmcnt(0)
	v_lshlrev_b32_e32 v29, 16, v12
	v_max_f32_e32 v29, v29, v29
	v_max_f32_e32 v28, v28, v28
	v_min_f32_e32 v32, v28, v29
	v_max_f32_e32 v28, v28, v29
	v_cndmask_b32_e64 v28, v28, v32, s[28:29]
	v_and_b32_e32 v29, 0x7f800000, v28
	v_cmp_ne_u32_e32 vcc, s96, v29
                                        ; implicit-def: $vgpr32
	s_and_saveexec_b64 s[42:43], vcc
	s_xor_b64 s[42:43], exec, s[42:43]
; %bb.1783:                             ;   in Loop: Header=BB17_1779 Depth=2
	v_bfe_u32 v29, v28, 16, 1
	v_add3_u32 v32, v28, v29, s97
                                        ; implicit-def: $vgpr28
; %bb.1784:                             ;   in Loop: Header=BB17_1779 Depth=2
	s_andn2_saveexec_b64 s[42:43], s[42:43]
; %bb.1785:                             ;   in Loop: Header=BB17_1779 Depth=2
	v_or_b32_e32 v29, 0x10000, v28
	v_cmp_eq_u32_sdwa vcc, v28, v3 src0_sel:WORD_0 src1_sel:DWORD
	s_nop 1
	v_cndmask_b32_e32 v32, v29, v28, vcc
; %bb.1786:                             ;   in Loop: Header=BB17_1779 Depth=2
	s_or_b64 exec, exec, s[42:43]
	v_and_b32_e32 v8, 0xffff0000, v8
	v_and_b32_e32 v12, 0xffff0000, v12
	v_max_f32_e32 v12, v12, v12
	v_max_f32_e32 v8, v8, v8
	v_min_f32_e32 v28, v8, v12
	v_max_f32_e32 v8, v8, v12
	v_cndmask_b32_e64 v12, v8, v28, s[28:29]
	v_and_b32_e32 v8, 0x7f800000, v12
	v_cmp_ne_u32_e32 vcc, s96, v8
                                        ; implicit-def: $vgpr8
	s_and_saveexec_b64 s[42:43], vcc
	s_xor_b64 s[42:43], exec, s[42:43]
; %bb.1787:                             ;   in Loop: Header=BB17_1779 Depth=2
	v_bfe_u32 v8, v12, 16, 1
	v_add3_u32 v8, v12, v8, s97
                                        ; implicit-def: $vgpr12
; %bb.1788:                             ;   in Loop: Header=BB17_1779 Depth=2
	s_andn2_saveexec_b64 s[42:43], s[42:43]
; %bb.1789:                             ;   in Loop: Header=BB17_1779 Depth=2
	v_or_b32_e32 v8, 0x10000, v12
	v_cmp_eq_u32_sdwa vcc, v12, v3 src0_sel:WORD_0 src1_sel:DWORD
	s_nop 1
	v_cndmask_b32_e32 v8, v8, v12, vcc
; %bb.1790:                             ;   in Loop: Header=BB17_1779 Depth=2
	s_or_b64 exec, exec, s[42:43]
	v_lshlrev_b32_e32 v12, 16, v9
	v_lshlrev_b32_e32 v28, 16, v13
	v_max_f32_e32 v28, v28, v28
	v_max_f32_e32 v12, v12, v12
	v_min_f32_e32 v29, v12, v28
	v_max_f32_e32 v12, v12, v28
	v_cndmask_b32_e64 v28, v12, v29, s[28:29]
	v_and_b32_e32 v12, 0x7f800000, v28
	v_cmp_ne_u32_e32 vcc, s96, v12
                                        ; implicit-def: $vgpr12
	s_and_saveexec_b64 s[42:43], vcc
	s_xor_b64 s[42:43], exec, s[42:43]
; %bb.1791:                             ;   in Loop: Header=BB17_1779 Depth=2
	v_bfe_u32 v12, v28, 16, 1
	v_add3_u32 v12, v28, v12, s97
                                        ; implicit-def: $vgpr28
; %bb.1792:                             ;   in Loop: Header=BB17_1779 Depth=2
	s_andn2_saveexec_b64 s[42:43], s[42:43]
; %bb.1793:                             ;   in Loop: Header=BB17_1779 Depth=2
	v_or_b32_e32 v12, 0x10000, v28
	v_cmp_eq_u32_sdwa vcc, v28, v3 src0_sel:WORD_0 src1_sel:DWORD
	s_nop 1
	v_cndmask_b32_e32 v12, v12, v28, vcc
; %bb.1794:                             ;   in Loop: Header=BB17_1779 Depth=2
	s_or_b64 exec, exec, s[42:43]
	v_and_b32_e32 v9, 0xffff0000, v9
	v_and_b32_e32 v13, 0xffff0000, v13
	v_max_f32_e32 v13, v13, v13
	v_max_f32_e32 v9, v9, v9
	v_min_f32_e32 v28, v9, v13
	v_max_f32_e32 v9, v9, v13
	v_cndmask_b32_e64 v13, v9, v28, s[28:29]
	v_and_b32_e32 v9, 0x7f800000, v13
	v_cmp_ne_u32_e32 vcc, s96, v9
                                        ; implicit-def: $vgpr9
	s_and_saveexec_b64 s[42:43], vcc
	s_xor_b64 s[42:43], exec, s[42:43]
; %bb.1795:                             ;   in Loop: Header=BB17_1779 Depth=2
	v_bfe_u32 v9, v13, 16, 1
	v_add3_u32 v9, v13, v9, s97
                                        ; implicit-def: $vgpr13
; %bb.1796:                             ;   in Loop: Header=BB17_1779 Depth=2
	s_andn2_saveexec_b64 s[42:43], s[42:43]
; %bb.1797:                             ;   in Loop: Header=BB17_1779 Depth=2
	v_or_b32_e32 v9, 0x10000, v13
	v_cmp_eq_u32_sdwa vcc, v13, v3 src0_sel:WORD_0 src1_sel:DWORD
	s_nop 1
	v_cndmask_b32_e32 v9, v9, v13, vcc
; %bb.1798:                             ;   in Loop: Header=BB17_1779 Depth=2
	s_or_b64 exec, exec, s[42:43]
	v_lshlrev_b32_e32 v13, 16, v10
	v_lshlrev_b32_e32 v28, 16, v14
	v_max_f32_e32 v28, v28, v28
	v_max_f32_e32 v13, v13, v13
	v_min_f32_e32 v29, v13, v28
	v_max_f32_e32 v13, v13, v28
	v_cndmask_b32_e64 v28, v13, v29, s[28:29]
	v_and_b32_e32 v13, 0x7f800000, v28
	v_cmp_ne_u32_e32 vcc, s96, v13
                                        ; implicit-def: $vgpr13
	s_and_saveexec_b64 s[42:43], vcc
	s_xor_b64 s[42:43], exec, s[42:43]
; %bb.1799:                             ;   in Loop: Header=BB17_1779 Depth=2
	v_bfe_u32 v13, v28, 16, 1
	v_add3_u32 v13, v28, v13, s97
                                        ; implicit-def: $vgpr28
; %bb.1800:                             ;   in Loop: Header=BB17_1779 Depth=2
	s_andn2_saveexec_b64 s[42:43], s[42:43]
; %bb.1801:                             ;   in Loop: Header=BB17_1779 Depth=2
	v_or_b32_e32 v13, 0x10000, v28
	v_cmp_eq_u32_sdwa vcc, v28, v3 src0_sel:WORD_0 src1_sel:DWORD
	s_nop 1
	v_cndmask_b32_e32 v13, v13, v28, vcc
; %bb.1802:                             ;   in Loop: Header=BB17_1779 Depth=2
	s_or_b64 exec, exec, s[42:43]
	v_and_b32_e32 v10, 0xffff0000, v10
	v_and_b32_e32 v14, 0xffff0000, v14
	v_max_f32_e32 v14, v14, v14
	v_max_f32_e32 v10, v10, v10
	v_min_f32_e32 v28, v10, v14
	v_max_f32_e32 v10, v10, v14
	v_cndmask_b32_e64 v14, v10, v28, s[28:29]
	v_and_b32_e32 v10, 0x7f800000, v14
	v_cmp_ne_u32_e32 vcc, s96, v10
                                        ; implicit-def: $vgpr10
	s_and_saveexec_b64 s[42:43], vcc
	s_xor_b64 s[42:43], exec, s[42:43]
; %bb.1803:                             ;   in Loop: Header=BB17_1779 Depth=2
	v_bfe_u32 v10, v14, 16, 1
	v_add3_u32 v10, v14, v10, s97
                                        ; implicit-def: $vgpr14
; %bb.1804:                             ;   in Loop: Header=BB17_1779 Depth=2
	s_andn2_saveexec_b64 s[42:43], s[42:43]
; %bb.1805:                             ;   in Loop: Header=BB17_1779 Depth=2
	v_or_b32_e32 v10, 0x10000, v14
	v_cmp_eq_u32_sdwa vcc, v14, v3 src0_sel:WORD_0 src1_sel:DWORD
	s_nop 1
	v_cndmask_b32_e32 v10, v10, v14, vcc
; %bb.1806:                             ;   in Loop: Header=BB17_1779 Depth=2
	s_or_b64 exec, exec, s[42:43]
	v_lshlrev_b32_e32 v14, 16, v11
	v_lshlrev_b32_e32 v28, 16, v15
	v_max_f32_e32 v28, v28, v28
	v_max_f32_e32 v14, v14, v14
	v_min_f32_e32 v29, v14, v28
	v_max_f32_e32 v14, v14, v28
	v_cndmask_b32_e64 v28, v14, v29, s[28:29]
	v_and_b32_e32 v14, 0x7f800000, v28
	v_cmp_ne_u32_e32 vcc, s96, v14
                                        ; implicit-def: $vgpr14
	s_and_saveexec_b64 s[42:43], vcc
	s_xor_b64 s[42:43], exec, s[42:43]
; %bb.1807:                             ;   in Loop: Header=BB17_1779 Depth=2
	v_bfe_u32 v14, v28, 16, 1
	v_add3_u32 v14, v28, v14, s97
                                        ; implicit-def: $vgpr28
; %bb.1808:                             ;   in Loop: Header=BB17_1779 Depth=2
	s_andn2_saveexec_b64 s[42:43], s[42:43]
; %bb.1809:                             ;   in Loop: Header=BB17_1779 Depth=2
	v_or_b32_e32 v14, 0x10000, v28
	v_cmp_eq_u32_sdwa vcc, v28, v3 src0_sel:WORD_0 src1_sel:DWORD
	s_nop 1
	v_cndmask_b32_e32 v14, v14, v28, vcc
; %bb.1810:                             ;   in Loop: Header=BB17_1779 Depth=2
	s_or_b64 exec, exec, s[42:43]
	v_and_b32_e32 v11, 0xffff0000, v11
	v_and_b32_e32 v15, 0xffff0000, v15
	v_max_f32_e32 v15, v15, v15
	v_max_f32_e32 v11, v11, v11
	v_min_f32_e32 v28, v11, v15
	v_max_f32_e32 v11, v11, v15
	v_cndmask_b32_e64 v15, v11, v28, s[28:29]
	v_and_b32_e32 v11, 0x7f800000, v15
	v_cmp_ne_u32_e32 vcc, s96, v11
                                        ; implicit-def: $vgpr11
	s_and_saveexec_b64 s[42:43], vcc
	s_xor_b64 s[42:43], exec, s[42:43]
; %bb.1811:                             ;   in Loop: Header=BB17_1779 Depth=2
	v_bfe_u32 v11, v15, 16, 1
	v_add3_u32 v11, v15, v11, s97
                                        ; implicit-def: $vgpr15
; %bb.1812:                             ;   in Loop: Header=BB17_1779 Depth=2
	s_andn2_saveexec_b64 s[42:43], s[42:43]
; %bb.1813:                             ;   in Loop: Header=BB17_1779 Depth=2
	v_or_b32_e32 v11, 0x10000, v15
	v_cmp_eq_u32_sdwa vcc, v15, v3 src0_sel:WORD_0 src1_sel:DWORD
	s_nop 1
	v_cndmask_b32_e32 v11, v11, v15, vcc
; %bb.1814:                             ;   in Loop: Header=BB17_1779 Depth=2
	s_or_b64 exec, exec, s[42:43]
	v_lshrrev_b32_e32 v12, 16, v12
	v_and_or_b32 v9, v9, s46, v12
	v_lshrrev_b32_e32 v12, 16, v32
	v_and_or_b32 v8, v8, s46, v12
	v_lshrrev_b32_e32 v12, 16, v13
	v_and_or_b32 v10, v10, s46, v12
	v_lshrrev_b32_e32 v12, 16, v14
	v_and_or_b32 v11, v11, s46, v12
	scratch_store_dwordx4 off, v[8:11], s33 offset:224
	global_store_dwordx4 v[16:17], v[8:11], off
	v_lshl_add_u64 v[16:17], v[42:43], 0, v[16:17]
.LBB17_1815:                            ;   in Loop: Header=BB17_1779 Depth=2
	s_or_b64 exec, exec, s[40:41]
	v_sub_u32_e32 v27, v27, v105
	v_lshl_add_u64 v[18:19], v[18:19], 0, v[114:115]
	v_lshl_add_u64 v[20:21], v[20:21], 0, v[114:115]
	v_cmp_lt_i32_e64 s[48:49], 15, v27
	s_and_saveexec_b64 s[50:51], s[48:49]
	s_cbranch_execz .LBB17_1818
; %bb.1816:                             ;   in Loop: Header=BB17_1779 Depth=2
	s_add_i32 s40, s33, 0xe0
	s_mov_b32 s45, s40
	s_mov_b64 s[54:55], 0
	s_mov_b64 s[52:53], -1
.LBB17_1817:                            ;   Parent Loop BB17_47 Depth=1
                                        ;     Parent Loop BB17_1779 Depth=2
                                        ; =>    This Inner Loop Header: Depth=3
	s_cmp_eq_u32 s54, 1
	s_cselect_b64 vcc, -1, 0
	v_cndmask_b32_e32 v13, v19, v21, vcc
	v_cndmask_b32_e32 v12, v18, v20, vcc
	global_load_dwordx4 v[8:11], v[12:13], off nt
	s_cmp_eq_u32 s54, 0
	v_lshl_add_u64 v[12:13], v[12:13], 0, s[60:61]
	s_cselect_b64 s[40:41], -1, 0
	s_and_b64 s[42:43], exec, s[52:53]
	s_mov_b64 s[54:55], 1
	s_mov_b64 s[52:53], 0
	v_cndmask_b32_e64 v19, v19, v13, s[40:41]
	v_cndmask_b32_e64 v18, v18, v12, s[40:41]
	v_cndmask_b32_e32 v21, v21, v13, vcc
	v_cndmask_b32_e32 v20, v20, v12, vcc
	s_mov_b64 vcc, s[42:43]
	s_waitcnt vmcnt(0)
	scratch_store_dwordx4 off, v[8:11], s45
	s_mov_b32 s45, s82
	s_cbranch_vccnz .LBB17_1817
.LBB17_1818:                            ;   in Loop: Header=BB17_1779 Depth=2
	s_or_b64 exec, exec, s[50:51]
	scratch_load_dwordx4 v[8:11], off, s33 offset:192
	scratch_load_dwordx4 v[12:15], off, s33 offset:208
	s_waitcnt vmcnt(1)
	v_lshlrev_b32_e32 v28, 16, v8
	s_waitcnt vmcnt(0)
	v_lshlrev_b32_e32 v29, 16, v12
	v_max_f32_e32 v29, v29, v29
	v_max_f32_e32 v28, v28, v28
	v_min_f32_e32 v32, v28, v29
	v_max_f32_e32 v28, v28, v29
	v_cndmask_b32_e64 v28, v28, v32, s[28:29]
	v_and_b32_e32 v29, 0x7f800000, v28
	v_cmp_ne_u32_e32 vcc, s96, v29
                                        ; implicit-def: $vgpr32
	s_and_saveexec_b64 s[40:41], vcc
	s_xor_b64 s[40:41], exec, s[40:41]
; %bb.1819:                             ;   in Loop: Header=BB17_1779 Depth=2
	v_bfe_u32 v29, v28, 16, 1
	v_add3_u32 v32, v28, v29, s97
                                        ; implicit-def: $vgpr28
; %bb.1820:                             ;   in Loop: Header=BB17_1779 Depth=2
	s_andn2_saveexec_b64 s[40:41], s[40:41]
; %bb.1821:                             ;   in Loop: Header=BB17_1779 Depth=2
	v_or_b32_e32 v29, 0x10000, v28
	v_cmp_eq_u32_sdwa vcc, v28, v3 src0_sel:WORD_0 src1_sel:DWORD
	s_nop 1
	v_cndmask_b32_e32 v32, v29, v28, vcc
; %bb.1822:                             ;   in Loop: Header=BB17_1779 Depth=2
	s_or_b64 exec, exec, s[40:41]
	v_and_b32_e32 v8, 0xffff0000, v8
	v_and_b32_e32 v12, 0xffff0000, v12
	v_max_f32_e32 v12, v12, v12
	v_max_f32_e32 v8, v8, v8
	v_min_f32_e32 v28, v8, v12
	v_max_f32_e32 v8, v8, v12
	v_cndmask_b32_e64 v12, v8, v28, s[28:29]
	v_and_b32_e32 v8, 0x7f800000, v12
	v_cmp_ne_u32_e32 vcc, s96, v8
                                        ; implicit-def: $vgpr8
	s_and_saveexec_b64 s[40:41], vcc
	s_xor_b64 s[40:41], exec, s[40:41]
; %bb.1823:                             ;   in Loop: Header=BB17_1779 Depth=2
	v_bfe_u32 v8, v12, 16, 1
	v_add3_u32 v8, v12, v8, s97
                                        ; implicit-def: $vgpr12
; %bb.1824:                             ;   in Loop: Header=BB17_1779 Depth=2
	s_andn2_saveexec_b64 s[40:41], s[40:41]
; %bb.1825:                             ;   in Loop: Header=BB17_1779 Depth=2
	v_or_b32_e32 v8, 0x10000, v12
	v_cmp_eq_u32_sdwa vcc, v12, v3 src0_sel:WORD_0 src1_sel:DWORD
	s_nop 1
	v_cndmask_b32_e32 v8, v8, v12, vcc
; %bb.1826:                             ;   in Loop: Header=BB17_1779 Depth=2
	s_or_b64 exec, exec, s[40:41]
	v_lshlrev_b32_e32 v12, 16, v9
	v_lshlrev_b32_e32 v28, 16, v13
	v_max_f32_e32 v28, v28, v28
	v_max_f32_e32 v12, v12, v12
	v_min_f32_e32 v29, v12, v28
	v_max_f32_e32 v12, v12, v28
	v_cndmask_b32_e64 v28, v12, v29, s[28:29]
	v_and_b32_e32 v12, 0x7f800000, v28
	v_cmp_ne_u32_e32 vcc, s96, v12
                                        ; implicit-def: $vgpr12
	s_and_saveexec_b64 s[40:41], vcc
	s_xor_b64 s[40:41], exec, s[40:41]
; %bb.1827:                             ;   in Loop: Header=BB17_1779 Depth=2
	v_bfe_u32 v12, v28, 16, 1
	v_add3_u32 v12, v28, v12, s97
                                        ; implicit-def: $vgpr28
; %bb.1828:                             ;   in Loop: Header=BB17_1779 Depth=2
	s_andn2_saveexec_b64 s[40:41], s[40:41]
; %bb.1829:                             ;   in Loop: Header=BB17_1779 Depth=2
	v_or_b32_e32 v12, 0x10000, v28
	v_cmp_eq_u32_sdwa vcc, v28, v3 src0_sel:WORD_0 src1_sel:DWORD
	s_nop 1
	v_cndmask_b32_e32 v12, v12, v28, vcc
; %bb.1830:                             ;   in Loop: Header=BB17_1779 Depth=2
	s_or_b64 exec, exec, s[40:41]
	v_and_b32_e32 v9, 0xffff0000, v9
	v_and_b32_e32 v13, 0xffff0000, v13
	v_max_f32_e32 v13, v13, v13
	v_max_f32_e32 v9, v9, v9
	v_min_f32_e32 v28, v9, v13
	v_max_f32_e32 v9, v9, v13
	v_cndmask_b32_e64 v13, v9, v28, s[28:29]
	v_and_b32_e32 v9, 0x7f800000, v13
	v_cmp_ne_u32_e32 vcc, s96, v9
                                        ; implicit-def: $vgpr9
	s_and_saveexec_b64 s[40:41], vcc
	s_xor_b64 s[40:41], exec, s[40:41]
; %bb.1831:                             ;   in Loop: Header=BB17_1779 Depth=2
	v_bfe_u32 v9, v13, 16, 1
	v_add3_u32 v9, v13, v9, s97
                                        ; implicit-def: $vgpr13
; %bb.1832:                             ;   in Loop: Header=BB17_1779 Depth=2
	s_andn2_saveexec_b64 s[40:41], s[40:41]
; %bb.1833:                             ;   in Loop: Header=BB17_1779 Depth=2
	v_or_b32_e32 v9, 0x10000, v13
	v_cmp_eq_u32_sdwa vcc, v13, v3 src0_sel:WORD_0 src1_sel:DWORD
	s_nop 1
	v_cndmask_b32_e32 v9, v9, v13, vcc
; %bb.1834:                             ;   in Loop: Header=BB17_1779 Depth=2
	s_or_b64 exec, exec, s[40:41]
	v_lshlrev_b32_e32 v13, 16, v10
	v_lshlrev_b32_e32 v28, 16, v14
	v_max_f32_e32 v28, v28, v28
	v_max_f32_e32 v13, v13, v13
	v_min_f32_e32 v29, v13, v28
	v_max_f32_e32 v13, v13, v28
	v_cndmask_b32_e64 v28, v13, v29, s[28:29]
	v_and_b32_e32 v13, 0x7f800000, v28
	v_cmp_ne_u32_e32 vcc, s96, v13
                                        ; implicit-def: $vgpr13
	s_and_saveexec_b64 s[40:41], vcc
	s_xor_b64 s[40:41], exec, s[40:41]
; %bb.1835:                             ;   in Loop: Header=BB17_1779 Depth=2
	v_bfe_u32 v13, v28, 16, 1
	v_add3_u32 v13, v28, v13, s97
                                        ; implicit-def: $vgpr28
; %bb.1836:                             ;   in Loop: Header=BB17_1779 Depth=2
	s_andn2_saveexec_b64 s[40:41], s[40:41]
; %bb.1837:                             ;   in Loop: Header=BB17_1779 Depth=2
	v_or_b32_e32 v13, 0x10000, v28
	v_cmp_eq_u32_sdwa vcc, v28, v3 src0_sel:WORD_0 src1_sel:DWORD
	s_nop 1
	v_cndmask_b32_e32 v13, v13, v28, vcc
; %bb.1838:                             ;   in Loop: Header=BB17_1779 Depth=2
	s_or_b64 exec, exec, s[40:41]
	v_and_b32_e32 v10, 0xffff0000, v10
	v_and_b32_e32 v14, 0xffff0000, v14
	v_max_f32_e32 v14, v14, v14
	v_max_f32_e32 v10, v10, v10
	v_min_f32_e32 v28, v10, v14
	v_max_f32_e32 v10, v10, v14
	v_cndmask_b32_e64 v14, v10, v28, s[28:29]
	v_and_b32_e32 v10, 0x7f800000, v14
	v_cmp_ne_u32_e32 vcc, s96, v10
                                        ; implicit-def: $vgpr10
	s_and_saveexec_b64 s[40:41], vcc
	s_xor_b64 s[40:41], exec, s[40:41]
; %bb.1839:                             ;   in Loop: Header=BB17_1779 Depth=2
	v_bfe_u32 v10, v14, 16, 1
	v_add3_u32 v10, v14, v10, s97
                                        ; implicit-def: $vgpr14
; %bb.1840:                             ;   in Loop: Header=BB17_1779 Depth=2
	s_andn2_saveexec_b64 s[40:41], s[40:41]
; %bb.1841:                             ;   in Loop: Header=BB17_1779 Depth=2
	v_or_b32_e32 v10, 0x10000, v14
	v_cmp_eq_u32_sdwa vcc, v14, v3 src0_sel:WORD_0 src1_sel:DWORD
	s_nop 1
	v_cndmask_b32_e32 v10, v10, v14, vcc
; %bb.1842:                             ;   in Loop: Header=BB17_1779 Depth=2
	s_or_b64 exec, exec, s[40:41]
	v_lshlrev_b32_e32 v14, 16, v11
	v_lshlrev_b32_e32 v28, 16, v15
	v_max_f32_e32 v28, v28, v28
	v_max_f32_e32 v14, v14, v14
	v_min_f32_e32 v29, v14, v28
	v_max_f32_e32 v14, v14, v28
	v_cndmask_b32_e64 v28, v14, v29, s[28:29]
	v_and_b32_e32 v14, 0x7f800000, v28
	v_cmp_ne_u32_e32 vcc, s96, v14
                                        ; implicit-def: $vgpr14
	s_and_saveexec_b64 s[40:41], vcc
	s_xor_b64 s[40:41], exec, s[40:41]
; %bb.1843:                             ;   in Loop: Header=BB17_1779 Depth=2
	v_bfe_u32 v14, v28, 16, 1
	v_add3_u32 v14, v28, v14, s97
                                        ; implicit-def: $vgpr28
; %bb.1844:                             ;   in Loop: Header=BB17_1779 Depth=2
	s_andn2_saveexec_b64 s[40:41], s[40:41]
; %bb.1845:                             ;   in Loop: Header=BB17_1779 Depth=2
	v_or_b32_e32 v14, 0x10000, v28
	v_cmp_eq_u32_sdwa vcc, v28, v3 src0_sel:WORD_0 src1_sel:DWORD
	s_nop 1
	v_cndmask_b32_e32 v14, v14, v28, vcc
; %bb.1846:                             ;   in Loop: Header=BB17_1779 Depth=2
	s_or_b64 exec, exec, s[40:41]
	v_and_b32_e32 v11, 0xffff0000, v11
	v_and_b32_e32 v15, 0xffff0000, v15
	v_max_f32_e32 v15, v15, v15
	v_max_f32_e32 v11, v11, v11
	v_min_f32_e32 v28, v11, v15
	v_max_f32_e32 v11, v11, v15
	v_cndmask_b32_e64 v15, v11, v28, s[28:29]
	v_and_b32_e32 v11, 0x7f800000, v15
	v_cmp_ne_u32_e32 vcc, s96, v11
                                        ; implicit-def: $vgpr11
	s_and_saveexec_b64 s[40:41], vcc
	s_xor_b64 s[40:41], exec, s[40:41]
; %bb.1847:                             ;   in Loop: Header=BB17_1779 Depth=2
	v_bfe_u32 v11, v15, 16, 1
	v_add3_u32 v11, v15, v11, s97
                                        ; implicit-def: $vgpr15
; %bb.1848:                             ;   in Loop: Header=BB17_1779 Depth=2
	s_andn2_saveexec_b64 s[40:41], s[40:41]
; %bb.1849:                             ;   in Loop: Header=BB17_1779 Depth=2
	v_or_b32_e32 v11, 0x10000, v15
	v_cmp_eq_u32_sdwa vcc, v15, v3 src0_sel:WORD_0 src1_sel:DWORD
	s_nop 1
	v_cndmask_b32_e32 v11, v11, v15, vcc
; %bb.1850:                             ;   in Loop: Header=BB17_1779 Depth=2
	s_or_b64 exec, exec, s[40:41]
	v_lshrrev_b32_e32 v12, 16, v12
	v_and_or_b32 v9, v9, s46, v12
	v_lshrrev_b32_e32 v12, 16, v32
	v_and_or_b32 v8, v8, s46, v12
	;; [unrolled: 2-line block ×4, first 2 shown]
	v_sub_u32_e32 v26, v26, v84
	scratch_store_dwordx4 off, v[8:11], s33 offset:192
	global_store_dwordx4 v[16:17], v[8:11], off
	v_lshl_add_u64 v[16:17], v[16:17], 0, s[60:61]
	s_and_saveexec_b64 s[40:41], s[48:49]
	s_cbranch_execz .LBB17_1778
; %bb.1851:                             ;   in Loop: Header=BB17_1779 Depth=2
	v_lshl_add_u64 v[18:19], v[18:19], 0, v[114:115]
	v_lshl_add_u64 v[20:21], v[20:21], 0, v[114:115]
	;; [unrolled: 1-line block ×3, first 2 shown]
	v_sub_u32_e32 v27, v27, v105
	v_sub_u32_e32 v26, v26, v84
	s_branch .LBB17_1778
.LBB17_1852:                            ;   in Loop: Header=BB17_47 Depth=1
	s_or_b64 exec, exec, s[36:37]
	s_and_b64 s[28:29], s[38:39], exec
.LBB17_1853:                            ;   in Loop: Header=BB17_47 Depth=1
	s_or_b64 exec, exec, s[34:35]
	s_and_saveexec_b64 s[40:41], s[28:29]
	s_cbranch_execz .LBB17_1887
; %bb.1854:                             ;   in Loop: Header=BB17_47 Depth=1
	scratch_load_dwordx4 v[8:11], off, s33 offset:224
	scratch_load_dwordx4 v[12:15], off, s33 offset:240
	s_and_b32 s28, 0xffff, s44
	s_cmp_eq_u32 s28, 0
	s_cselect_b64 vcc, -1, 0
	s_waitcnt vmcnt(0)
	v_lshlrev_b32_e32 v18, 16, v8
	v_lshlrev_b32_e32 v19, 16, v12
	v_max_f32_e32 v19, v19, v19
	v_max_f32_e32 v18, v18, v18
	v_min_f32_e32 v20, v18, v19
	v_max_f32_e32 v18, v18, v19
	v_cndmask_b32_e32 v19, v18, v20, vcc
	v_and_b32_e32 v18, 0x7f800000, v19
	v_cmp_ne_u32_e64 s[28:29], s96, v18
                                        ; implicit-def: $vgpr18
	s_and_saveexec_b64 s[42:43], s[28:29]
	s_xor_b64 s[28:29], exec, s[42:43]
; %bb.1855:                             ;   in Loop: Header=BB17_47 Depth=1
	v_bfe_u32 v18, v19, 16, 1
	v_add3_u32 v18, v19, v18, s97
                                        ; implicit-def: $vgpr19
; %bb.1856:                             ;   in Loop: Header=BB17_47 Depth=1
	s_andn2_saveexec_b64 s[42:43], s[28:29]
; %bb.1857:                             ;   in Loop: Header=BB17_47 Depth=1
	v_or_b32_e32 v18, 0x10000, v19
	v_cmp_eq_u32_sdwa s[28:29], v19, v3 src0_sel:WORD_0 src1_sel:DWORD
	s_nop 1
	v_cndmask_b32_e64 v18, v18, v19, s[28:29]
; %bb.1858:                             ;   in Loop: Header=BB17_47 Depth=1
	s_or_b64 exec, exec, s[42:43]
	v_and_b32_e32 v8, 0xffff0000, v8
	v_and_b32_e32 v12, 0xffff0000, v12
	v_max_f32_e32 v12, v12, v12
	v_max_f32_e32 v8, v8, v8
	v_min_f32_e32 v19, v8, v12
	v_max_f32_e32 v8, v8, v12
	v_cndmask_b32_e32 v12, v8, v19, vcc
	v_and_b32_e32 v8, 0x7f800000, v12
	v_cmp_ne_u32_e64 s[28:29], s96, v8
                                        ; implicit-def: $vgpr8
	s_and_saveexec_b64 s[42:43], s[28:29]
	s_xor_b64 s[28:29], exec, s[42:43]
; %bb.1859:                             ;   in Loop: Header=BB17_47 Depth=1
	v_bfe_u32 v8, v12, 16, 1
	v_add3_u32 v8, v12, v8, s97
                                        ; implicit-def: $vgpr12
; %bb.1860:                             ;   in Loop: Header=BB17_47 Depth=1
	s_andn2_saveexec_b64 s[42:43], s[28:29]
; %bb.1861:                             ;   in Loop: Header=BB17_47 Depth=1
	v_or_b32_e32 v8, 0x10000, v12
	v_cmp_eq_u32_sdwa s[28:29], v12, v3 src0_sel:WORD_0 src1_sel:DWORD
	s_nop 1
	v_cndmask_b32_e64 v8, v8, v12, s[28:29]
; %bb.1862:                             ;   in Loop: Header=BB17_47 Depth=1
	s_or_b64 exec, exec, s[42:43]
	v_lshlrev_b32_e32 v12, 16, v9
	v_lshlrev_b32_e32 v19, 16, v13
	v_max_f32_e32 v19, v19, v19
	v_max_f32_e32 v12, v12, v12
	v_min_f32_e32 v20, v12, v19
	v_max_f32_e32 v12, v12, v19
	v_cndmask_b32_e32 v19, v12, v20, vcc
	v_and_b32_e32 v12, 0x7f800000, v19
	v_cmp_ne_u32_e64 s[28:29], s96, v12
                                        ; implicit-def: $vgpr12
	s_and_saveexec_b64 s[42:43], s[28:29]
	s_xor_b64 s[28:29], exec, s[42:43]
; %bb.1863:                             ;   in Loop: Header=BB17_47 Depth=1
	v_bfe_u32 v12, v19, 16, 1
	v_add3_u32 v12, v19, v12, s97
                                        ; implicit-def: $vgpr19
; %bb.1864:                             ;   in Loop: Header=BB17_47 Depth=1
	s_andn2_saveexec_b64 s[42:43], s[28:29]
; %bb.1865:                             ;   in Loop: Header=BB17_47 Depth=1
	v_or_b32_e32 v12, 0x10000, v19
	v_cmp_eq_u32_sdwa s[28:29], v19, v3 src0_sel:WORD_0 src1_sel:DWORD
	s_nop 1
	v_cndmask_b32_e64 v12, v12, v19, s[28:29]
; %bb.1866:                             ;   in Loop: Header=BB17_47 Depth=1
	s_or_b64 exec, exec, s[42:43]
	v_and_b32_e32 v9, 0xffff0000, v9
	v_and_b32_e32 v13, 0xffff0000, v13
	v_max_f32_e32 v13, v13, v13
	v_max_f32_e32 v9, v9, v9
	v_min_f32_e32 v19, v9, v13
	v_max_f32_e32 v9, v9, v13
	v_cndmask_b32_e32 v13, v9, v19, vcc
	v_and_b32_e32 v9, 0x7f800000, v13
	v_cmp_ne_u32_e64 s[28:29], s96, v9
                                        ; implicit-def: $vgpr9
	s_and_saveexec_b64 s[42:43], s[28:29]
	s_xor_b64 s[28:29], exec, s[42:43]
; %bb.1867:                             ;   in Loop: Header=BB17_47 Depth=1
	v_bfe_u32 v9, v13, 16, 1
	v_add3_u32 v9, v13, v9, s97
                                        ; implicit-def: $vgpr13
; %bb.1868:                             ;   in Loop: Header=BB17_47 Depth=1
	s_andn2_saveexec_b64 s[42:43], s[28:29]
; %bb.1869:                             ;   in Loop: Header=BB17_47 Depth=1
	v_or_b32_e32 v9, 0x10000, v13
	v_cmp_eq_u32_sdwa s[28:29], v13, v3 src0_sel:WORD_0 src1_sel:DWORD
	s_nop 1
	v_cndmask_b32_e64 v9, v9, v13, s[28:29]
; %bb.1870:                             ;   in Loop: Header=BB17_47 Depth=1
	s_or_b64 exec, exec, s[42:43]
	v_lshlrev_b32_e32 v13, 16, v10
	v_lshlrev_b32_e32 v19, 16, v14
	v_max_f32_e32 v19, v19, v19
	v_max_f32_e32 v13, v13, v13
	v_min_f32_e32 v20, v13, v19
	v_max_f32_e32 v13, v13, v19
	v_cndmask_b32_e32 v19, v13, v20, vcc
	v_and_b32_e32 v13, 0x7f800000, v19
	v_cmp_ne_u32_e64 s[28:29], s96, v13
                                        ; implicit-def: $vgpr13
	s_and_saveexec_b64 s[42:43], s[28:29]
	s_xor_b64 s[28:29], exec, s[42:43]
; %bb.1871:                             ;   in Loop: Header=BB17_47 Depth=1
	v_bfe_u32 v13, v19, 16, 1
	v_add3_u32 v13, v19, v13, s97
                                        ; implicit-def: $vgpr19
; %bb.1872:                             ;   in Loop: Header=BB17_47 Depth=1
	s_andn2_saveexec_b64 s[42:43], s[28:29]
; %bb.1873:                             ;   in Loop: Header=BB17_47 Depth=1
	v_or_b32_e32 v13, 0x10000, v19
	v_cmp_eq_u32_sdwa s[28:29], v19, v3 src0_sel:WORD_0 src1_sel:DWORD
	s_nop 1
	v_cndmask_b32_e64 v13, v13, v19, s[28:29]
; %bb.1874:                             ;   in Loop: Header=BB17_47 Depth=1
	s_or_b64 exec, exec, s[42:43]
	v_and_b32_e32 v10, 0xffff0000, v10
	v_and_b32_e32 v14, 0xffff0000, v14
	v_max_f32_e32 v14, v14, v14
	v_max_f32_e32 v10, v10, v10
	v_min_f32_e32 v19, v10, v14
	v_max_f32_e32 v10, v10, v14
	v_cndmask_b32_e32 v14, v10, v19, vcc
	v_and_b32_e32 v10, 0x7f800000, v14
	v_cmp_ne_u32_e64 s[28:29], s96, v10
                                        ; implicit-def: $vgpr10
	s_and_saveexec_b64 s[42:43], s[28:29]
	s_xor_b64 s[28:29], exec, s[42:43]
; %bb.1875:                             ;   in Loop: Header=BB17_47 Depth=1
	v_bfe_u32 v10, v14, 16, 1
	v_add3_u32 v10, v14, v10, s97
                                        ; implicit-def: $vgpr14
; %bb.1876:                             ;   in Loop: Header=BB17_47 Depth=1
	s_andn2_saveexec_b64 s[42:43], s[28:29]
; %bb.1877:                             ;   in Loop: Header=BB17_47 Depth=1
	v_or_b32_e32 v10, 0x10000, v14
	v_cmp_eq_u32_sdwa s[28:29], v14, v3 src0_sel:WORD_0 src1_sel:DWORD
	s_nop 1
	v_cndmask_b32_e64 v10, v10, v14, s[28:29]
; %bb.1878:                             ;   in Loop: Header=BB17_47 Depth=1
	s_or_b64 exec, exec, s[42:43]
	v_lshlrev_b32_e32 v14, 16, v11
	v_lshlrev_b32_e32 v19, 16, v15
	v_max_f32_e32 v19, v19, v19
	v_max_f32_e32 v14, v14, v14
	v_min_f32_e32 v20, v14, v19
	v_max_f32_e32 v14, v14, v19
	v_cndmask_b32_e32 v19, v14, v20, vcc
	v_and_b32_e32 v14, 0x7f800000, v19
	v_cmp_ne_u32_e64 s[28:29], s96, v14
                                        ; implicit-def: $vgpr14
	s_and_saveexec_b64 s[42:43], s[28:29]
	s_xor_b64 s[28:29], exec, s[42:43]
; %bb.1879:                             ;   in Loop: Header=BB17_47 Depth=1
	v_bfe_u32 v14, v19, 16, 1
	v_add3_u32 v14, v19, v14, s97
                                        ; implicit-def: $vgpr19
; %bb.1880:                             ;   in Loop: Header=BB17_47 Depth=1
	s_andn2_saveexec_b64 s[42:43], s[28:29]
; %bb.1881:                             ;   in Loop: Header=BB17_47 Depth=1
	v_or_b32_e32 v14, 0x10000, v19
	v_cmp_eq_u32_sdwa s[28:29], v19, v3 src0_sel:WORD_0 src1_sel:DWORD
	s_nop 1
	v_cndmask_b32_e64 v14, v14, v19, s[28:29]
; %bb.1882:                             ;   in Loop: Header=BB17_47 Depth=1
	s_or_b64 exec, exec, s[42:43]
	v_and_b32_e32 v11, 0xffff0000, v11
	v_and_b32_e32 v15, 0xffff0000, v15
	v_max_f32_e32 v15, v15, v15
	v_max_f32_e32 v11, v11, v11
	v_min_f32_e32 v19, v11, v15
	v_max_f32_e32 v11, v11, v15
	v_cndmask_b32_e32 v15, v11, v19, vcc
	v_and_b32_e32 v11, 0x7f800000, v15
	v_cmp_ne_u32_e32 vcc, s96, v11
                                        ; implicit-def: $vgpr11
	s_and_saveexec_b64 s[28:29], vcc
	s_xor_b64 s[28:29], exec, s[28:29]
; %bb.1883:                             ;   in Loop: Header=BB17_47 Depth=1
	v_bfe_u32 v11, v15, 16, 1
	v_add3_u32 v11, v15, v11, s97
                                        ; implicit-def: $vgpr15
; %bb.1884:                             ;   in Loop: Header=BB17_47 Depth=1
	s_andn2_saveexec_b64 s[28:29], s[28:29]
; %bb.1885:                             ;   in Loop: Header=BB17_47 Depth=1
	v_or_b32_e32 v11, 0x10000, v15
	v_cmp_eq_u32_sdwa vcc, v15, v3 src0_sel:WORD_0 src1_sel:DWORD
	s_nop 1
	v_cndmask_b32_e32 v11, v11, v15, vcc
; %bb.1886:                             ;   in Loop: Header=BB17_47 Depth=1
	s_or_b64 exec, exec, s[28:29]
	v_lshrrev_b32_e32 v12, 16, v12
	v_and_or_b32 v9, v9, s46, v12
	v_lshrrev_b32_e32 v12, 16, v18
	v_and_or_b32 v8, v8, s46, v12
	v_lshrrev_b32_e32 v12, 16, v13
	v_and_or_b32 v10, v10, s46, v12
	v_lshrrev_b32_e32 v12, 16, v14
	v_and_or_b32 v11, v11, s46, v12
	global_store_dwordx4 v[16:17], v[8:11], off
.LBB17_1887:                            ;   in Loop: Header=BB17_47 Depth=1
	s_or_b64 exec, exec, s[40:41]
	s_nop 0
	v_and_b32_e32 v9, 14, v63
	v_cndmask_b32_e64 v63, v25, v9, s[26:27]
	v_cmp_ne_u32_e32 vcc, 0, v63
	s_mov_b64 s[40:41], s[94:95]
                                        ; implicit-def: $vgpr14
                                        ; implicit-def: $vgpr8
                                        ; implicit-def: $vgpr15
	s_and_saveexec_b64 s[28:29], vcc
	s_cbranch_execz .LBB17_1889
; %bb.1888:                             ;   in Loop: Header=BB17_47 Depth=1
	v_sub_u32_e32 v8, v25, v9
	v_cndmask_b32_e64 v8, 0, v8, s[26:27]
	v_cmp_lt_i32_e32 vcc, 0, v26
	v_add3_u32 v14, v24, v22, v8
	s_or_b64 s[40:41], s[94:95], exec
	v_cndmask_b32_e32 v8, 0, v84, vcc
	v_sub_u32_e32 v8, v8, v26
	v_lshl_add_u32 v8, v8, 6, v23
	v_ashrrev_i32_e32 v9, 31, v8
	v_lshrrev_b32_e32 v9, 26, v9
	v_add_u32_e32 v9, v8, v9
	v_and_b32_e32 v9, 0xffffffc0, v9
	v_sub_u32_e32 v15, v8, v9
.LBB17_1889:                            ;   in Loop: Header=BB17_47 Depth=1
	s_or_b64 exec, exec, s[28:29]
	s_andn2_b64 s[26:27], s[94:95], exec
	s_and_b64 s[28:29], s[40:41], exec
	s_or_b64 s[94:95], s[26:27], s[28:29]
.LBB17_1890:                            ;   in Loop: Header=BB17_47 Depth=1
	s_or_b64 exec, exec, s[30:31]
	s_and_saveexec_b64 s[42:43], s[94:95]
	s_cbranch_execz .LBB17_2022
.LBB17_1891:                            ;   in Loop: Header=BB17_47 Depth=1
	v_ashrrev_i32_e32 v9, 31, v8
	v_lshrrev_b32_e32 v9, 26, v9
	v_add_u32_e32 v8, v8, v9
	v_ashrrev_i32_e32 v8, 6, v8
	v_lshlrev_b32_e32 v9, 10, v8
	v_lshlrev_b32_e32 v10, 1, v15
	v_add3_u32 v12, v14, v10, v9
	v_ashrrev_i32_e32 v9, 31, v63
	v_lshrrev_b32_e32 v9, 22, v9
	v_add_u32_e32 v9, v63, v9
	v_ashrrev_i32_e32 v16, 10, v9
	v_ashrrev_i32_e32 v13, 31, v12
	v_sub_u32_e32 v17, v16, v8
	v_lshl_add_u64 v[8:9], v[74:75], 0, v[12:13]
	v_cmp_lt_i32_e32 vcc, 0, v17
	v_mov_b32_e32 v48, 0
	s_mov_b64 s[26:27], 0
	v_mov_b32_e32 v37, 0
	v_mov_b32_e32 v34, 0
	;; [unrolled: 1-line block ×15, first 2 shown]
	s_and_saveexec_b64 s[28:29], vcc
	s_cbranch_execz .LBB17_1963
; %bb.1892:                             ;   in Loop: Header=BB17_47 Depth=1
	s_trap 2
	ds_read_b64 v[18:19], v0
	s_and_b32 s26, s44, 0xff
	s_cmp_eq_u32 s26, 0
	v_lshl_add_u64 v[10:11], v[12:13], 0, v[72:73]
	s_mov_b64 s[30:31], 0
	s_waitcnt lgkmcnt(0)
	v_lshl_add_u64 v[12:13], v[18:19], 0, v[12:13]
	s_mov_b64 s[94:95], 0
	s_cselect_b64 vcc, -1, 0
                                        ; implicit-def: $sgpr40_sgpr41
                                        ; implicit-def: $vgpr77
                                        ; implicit-def: $vgpr76
                                        ; implicit-def: $vgpr49
                                        ; implicit-def: $vgpr38
                                        ; implicit-def: $vgpr35
                                        ; implicit-def: $vgpr32
                                        ; implicit-def: $vgpr27
                                        ; implicit-def: $vgpr26
                                        ; implicit-def: $vgpr18
                                        ; implicit-def: $vgpr19
                                        ; implicit-def: $vgpr20
                                        ; implicit-def: $vgpr21
                                        ; implicit-def: $vgpr22
                                        ; implicit-def: $vgpr23
                                        ; implicit-def: $vgpr24
                                        ; implicit-def: $vgpr25
	s_branch .LBB17_1894
.LBB17_1893:                            ;   in Loop: Header=BB17_1894 Depth=2
	s_or_b64 exec, exec, s[34:35]
	flat_store_short_d16_hi v[8:9], v54 nt
	flat_store_short_d16_hi v[8:9], v55 offset:128 nt
	flat_store_short_d16_hi v[8:9], v28 offset:256 nt
	;; [unrolled: 1-line block ×7, first 2 shown]
	v_lshl_add_u64 v[28:29], v[10:11], 0, v[114:115]
	v_cndmask_b32_e64 v10, v10, v28, s[30:31]
	v_cndmask_b32_e64 v28, 0, v84, s[30:31]
	v_sub_u32_e32 v17, v17, v28
	v_cmp_gt_i32_e64 s[26:27], 1, v17
	s_or_b64 s[94:95], s[26:27], s[94:95]
	v_lshl_add_u64 v[36:37], v[12:13], 0, v[114:115]
	v_cndmask_b32_e64 v51, 0, v43, s[30:31]
	v_cndmask_b32_e64 v50, v111, v42, s[30:31]
	s_andn2_b64 s[26:27], s[40:41], exec
	s_and_b64 s[40:41], s[30:31], exec
	v_lshl_add_u64 v[8:9], v[8:9], 0, v[50:51]
	v_cndmask_b32_e64 v11, v11, v29, s[30:31]
	v_cndmask_b32_e64 v13, v13, v37, s[30:31]
	;; [unrolled: 1-line block ×3, first 2 shown]
	s_or_b64 s[40:41], s[26:27], s[40:41]
	s_andn2_b64 exec, exec, s[94:95]
	s_cbranch_execz .LBB17_1962
.LBB17_1894:                            ;   Parent Loop BB17_47 Depth=1
                                        ; =>  This Inner Loop Header: Depth=2
	flat_load_ushort v90, v[10:11] nt
	flat_load_ushort v88, v[10:11] offset:128 nt
	flat_load_ushort v78, v[10:11] offset:256 nt
	;; [unrolled: 1-line block ×7, first 2 shown]
	flat_load_ushort v91, v[12:13] nt
	flat_load_ushort v89, v[12:13] offset:128 nt
	flat_load_ushort v79, v[12:13] offset:256 nt
	;; [unrolled: 1-line block ×7, first 2 shown]
	s_and_saveexec_b64 s[34:35], s[30:31]
	s_cbranch_execz .LBB17_1928
; %bb.1895:                             ;   in Loop: Header=BB17_1894 Depth=2
	v_lshlrev_b32_e32 v28, 16, v77
	v_lshlrev_b32_e32 v29, 16, v18
	v_max_f32_e32 v29, v29, v29
	v_max_f32_e32 v28, v28, v28
	v_min_f32_e32 v54, v28, v29
	v_max_f32_e32 v28, v28, v29
	v_cndmask_b32_e32 v28, v28, v54, vcc
	v_and_b32_e32 v29, 0x7f800000, v28
	v_cmp_ne_u32_e64 s[26:27], s96, v29
                                        ; implicit-def: $vgpr54
	s_and_saveexec_b64 s[30:31], s[26:27]
	s_xor_b64 s[26:27], exec, s[30:31]
; %bb.1896:                             ;   in Loop: Header=BB17_1894 Depth=2
	v_bfe_u32 v29, v28, 16, 1
	v_add3_u32 v54, v28, v29, s97
                                        ; implicit-def: $vgpr28
; %bb.1897:                             ;   in Loop: Header=BB17_1894 Depth=2
	s_andn2_saveexec_b64 s[30:31], s[26:27]
; %bb.1898:                             ;   in Loop: Header=BB17_1894 Depth=2
	v_or_b32_e32 v29, 0x10000, v28
	v_cmp_eq_u32_sdwa s[26:27], v28, v3 src0_sel:WORD_0 src1_sel:DWORD
	s_nop 1
	v_cndmask_b32_e64 v54, v29, v28, s[26:27]
; %bb.1899:                             ;   in Loop: Header=BB17_1894 Depth=2
	s_or_b64 exec, exec, s[30:31]
	v_lshlrev_b32_e32 v28, 16, v76
	v_lshlrev_b32_e32 v29, 16, v19
	v_max_f32_e32 v29, v29, v29
	v_max_f32_e32 v28, v28, v28
	v_min_f32_e32 v55, v28, v29
	v_max_f32_e32 v28, v28, v29
	v_cndmask_b32_e32 v28, v28, v55, vcc
	v_and_b32_e32 v29, 0x7f800000, v28
	v_cmp_ne_u32_e64 s[26:27], s96, v29
                                        ; implicit-def: $vgpr55
	s_and_saveexec_b64 s[30:31], s[26:27]
	s_xor_b64 s[26:27], exec, s[30:31]
; %bb.1900:                             ;   in Loop: Header=BB17_1894 Depth=2
	v_bfe_u32 v29, v28, 16, 1
	v_add3_u32 v55, v28, v29, s97
                                        ; implicit-def: $vgpr28
; %bb.1901:                             ;   in Loop: Header=BB17_1894 Depth=2
	s_andn2_saveexec_b64 s[30:31], s[26:27]
; %bb.1902:                             ;   in Loop: Header=BB17_1894 Depth=2
	v_or_b32_e32 v29, 0x10000, v28
	v_cmp_eq_u32_sdwa s[26:27], v28, v3 src0_sel:WORD_0 src1_sel:DWORD
	s_nop 1
	v_cndmask_b32_e64 v55, v29, v28, s[26:27]
; %bb.1903:                             ;   in Loop: Header=BB17_1894 Depth=2
	s_or_b64 exec, exec, s[30:31]
	v_lshlrev_b32_e32 v28, 16, v49
	v_lshlrev_b32_e32 v29, 16, v20
	v_max_f32_e32 v29, v29, v29
	v_max_f32_e32 v28, v28, v28
	v_min_f32_e32 v49, v28, v29
	v_max_f32_e32 v28, v28, v29
	v_cndmask_b32_e32 v29, v28, v49, vcc
	v_and_b32_e32 v28, 0x7f800000, v29
	v_cmp_ne_u32_e64 s[26:27], s96, v28
                                        ; implicit-def: $vgpr28
	s_and_saveexec_b64 s[30:31], s[26:27]
	s_xor_b64 s[26:27], exec, s[30:31]
; %bb.1904:                             ;   in Loop: Header=BB17_1894 Depth=2
	v_bfe_u32 v28, v29, 16, 1
	v_add3_u32 v28, v29, v28, s97
                                        ; implicit-def: $vgpr29
; %bb.1905:                             ;   in Loop: Header=BB17_1894 Depth=2
	s_andn2_saveexec_b64 s[30:31], s[26:27]
; %bb.1906:                             ;   in Loop: Header=BB17_1894 Depth=2
	v_or_b32_e32 v28, 0x10000, v29
	v_cmp_eq_u32_sdwa s[26:27], v29, v3 src0_sel:WORD_0 src1_sel:DWORD
	s_nop 1
	v_cndmask_b32_e64 v28, v28, v29, s[26:27]
; %bb.1907:                             ;   in Loop: Header=BB17_1894 Depth=2
	s_or_b64 exec, exec, s[30:31]
	v_lshlrev_b32_e32 v29, 16, v38
	v_lshlrev_b32_e32 v38, 16, v21
	v_max_f32_e32 v38, v38, v38
	v_max_f32_e32 v29, v29, v29
	v_min_f32_e32 v49, v29, v38
	v_max_f32_e32 v29, v29, v38
	v_cndmask_b32_e32 v38, v29, v49, vcc
	v_and_b32_e32 v29, 0x7f800000, v38
	v_cmp_ne_u32_e64 s[26:27], s96, v29
                                        ; implicit-def: $vgpr29
	s_and_saveexec_b64 s[30:31], s[26:27]
	s_xor_b64 s[26:27], exec, s[30:31]
; %bb.1908:                             ;   in Loop: Header=BB17_1894 Depth=2
	v_bfe_u32 v29, v38, 16, 1
	v_add3_u32 v29, v38, v29, s97
                                        ; implicit-def: $vgpr38
; %bb.1909:                             ;   in Loop: Header=BB17_1894 Depth=2
	s_andn2_saveexec_b64 s[30:31], s[26:27]
; %bb.1910:                             ;   in Loop: Header=BB17_1894 Depth=2
	v_or_b32_e32 v29, 0x10000, v38
	v_cmp_eq_u32_sdwa s[26:27], v38, v3 src0_sel:WORD_0 src1_sel:DWORD
	s_nop 1
	v_cndmask_b32_e64 v29, v29, v38, s[26:27]
; %bb.1911:                             ;   in Loop: Header=BB17_1894 Depth=2
	s_or_b64 exec, exec, s[30:31]
	v_lshlrev_b32_e32 v35, 16, v35
	v_lshlrev_b32_e32 v38, 16, v22
	v_max_f32_e32 v38, v38, v38
	v_max_f32_e32 v35, v35, v35
	v_min_f32_e32 v49, v35, v38
	v_max_f32_e32 v35, v35, v38
	v_cndmask_b32_e32 v38, v35, v49, vcc
	v_and_b32_e32 v35, 0x7f800000, v38
	v_cmp_ne_u32_e64 s[26:27], s96, v35
                                        ; implicit-def: $vgpr35
	s_and_saveexec_b64 s[30:31], s[26:27]
	s_xor_b64 s[26:27], exec, s[30:31]
; %bb.1912:                             ;   in Loop: Header=BB17_1894 Depth=2
	v_bfe_u32 v35, v38, 16, 1
	v_add3_u32 v35, v38, v35, s97
                                        ; implicit-def: $vgpr38
; %bb.1913:                             ;   in Loop: Header=BB17_1894 Depth=2
	s_andn2_saveexec_b64 s[30:31], s[26:27]
; %bb.1914:                             ;   in Loop: Header=BB17_1894 Depth=2
	v_or_b32_e32 v35, 0x10000, v38
	v_cmp_eq_u32_sdwa s[26:27], v38, v3 src0_sel:WORD_0 src1_sel:DWORD
	s_nop 1
	v_cndmask_b32_e64 v35, v35, v38, s[26:27]
; %bb.1915:                             ;   in Loop: Header=BB17_1894 Depth=2
	s_or_b64 exec, exec, s[30:31]
	v_lshlrev_b32_e32 v32, 16, v32
	v_lshlrev_b32_e32 v38, 16, v23
	v_max_f32_e32 v38, v38, v38
	v_max_f32_e32 v32, v32, v32
	v_min_f32_e32 v49, v32, v38
	v_max_f32_e32 v32, v32, v38
	v_cndmask_b32_e32 v38, v32, v49, vcc
	v_and_b32_e32 v32, 0x7f800000, v38
	v_cmp_ne_u32_e64 s[26:27], s96, v32
                                        ; implicit-def: $vgpr32
	s_and_saveexec_b64 s[30:31], s[26:27]
	s_xor_b64 s[26:27], exec, s[30:31]
; %bb.1916:                             ;   in Loop: Header=BB17_1894 Depth=2
	v_bfe_u32 v32, v38, 16, 1
	v_add3_u32 v32, v38, v32, s97
                                        ; implicit-def: $vgpr38
; %bb.1917:                             ;   in Loop: Header=BB17_1894 Depth=2
	s_andn2_saveexec_b64 s[30:31], s[26:27]
; %bb.1918:                             ;   in Loop: Header=BB17_1894 Depth=2
	v_or_b32_e32 v32, 0x10000, v38
	v_cmp_eq_u32_sdwa s[26:27], v38, v3 src0_sel:WORD_0 src1_sel:DWORD
	s_nop 1
	v_cndmask_b32_e64 v32, v32, v38, s[26:27]
; %bb.1919:                             ;   in Loop: Header=BB17_1894 Depth=2
	s_or_b64 exec, exec, s[30:31]
	v_lshlrev_b32_e32 v27, 16, v27
	v_lshlrev_b32_e32 v38, 16, v24
	v_max_f32_e32 v38, v38, v38
	v_max_f32_e32 v27, v27, v27
	v_min_f32_e32 v49, v27, v38
	v_max_f32_e32 v27, v27, v38
	v_cndmask_b32_e32 v38, v27, v49, vcc
	v_and_b32_e32 v27, 0x7f800000, v38
	v_cmp_ne_u32_e64 s[26:27], s96, v27
                                        ; implicit-def: $vgpr27
	s_and_saveexec_b64 s[30:31], s[26:27]
	s_xor_b64 s[26:27], exec, s[30:31]
; %bb.1920:                             ;   in Loop: Header=BB17_1894 Depth=2
	v_bfe_u32 v27, v38, 16, 1
	v_add3_u32 v27, v38, v27, s97
                                        ; implicit-def: $vgpr38
; %bb.1921:                             ;   in Loop: Header=BB17_1894 Depth=2
	s_andn2_saveexec_b64 s[30:31], s[26:27]
; %bb.1922:                             ;   in Loop: Header=BB17_1894 Depth=2
	v_or_b32_e32 v27, 0x10000, v38
	v_cmp_eq_u32_sdwa s[26:27], v38, v3 src0_sel:WORD_0 src1_sel:DWORD
	s_nop 1
	v_cndmask_b32_e64 v27, v27, v38, s[26:27]
; %bb.1923:                             ;   in Loop: Header=BB17_1894 Depth=2
	s_or_b64 exec, exec, s[30:31]
	v_lshlrev_b32_e32 v26, 16, v26
	v_lshlrev_b32_e32 v38, 16, v25
	v_max_f32_e32 v38, v38, v38
	v_max_f32_e32 v26, v26, v26
	v_min_f32_e32 v49, v26, v38
	v_max_f32_e32 v26, v26, v38
	v_cndmask_b32_e32 v38, v26, v49, vcc
	v_and_b32_e32 v26, 0x7f800000, v38
	v_cmp_ne_u32_e64 s[26:27], s96, v26
                                        ; implicit-def: $vgpr26
	s_and_saveexec_b64 s[30:31], s[26:27]
	s_xor_b64 s[26:27], exec, s[30:31]
; %bb.1924:                             ;   in Loop: Header=BB17_1894 Depth=2
	v_bfe_u32 v26, v38, 16, 1
	v_add3_u32 v26, v38, v26, s97
                                        ; implicit-def: $vgpr38
; %bb.1925:                             ;   in Loop: Header=BB17_1894 Depth=2
	s_andn2_saveexec_b64 s[30:31], s[26:27]
; %bb.1926:                             ;   in Loop: Header=BB17_1894 Depth=2
	v_or_b32_e32 v26, 0x10000, v38
	v_cmp_eq_u32_sdwa s[26:27], v38, v3 src0_sel:WORD_0 src1_sel:DWORD
	s_nop 1
	v_cndmask_b32_e64 v26, v26, v38, s[26:27]
; %bb.1927:                             ;   in Loop: Header=BB17_1894 Depth=2
	s_or_b64 exec, exec, s[30:31]
	v_lshrrev_b32_e32 v77, 16, v54
	v_lshrrev_b32_e32 v27, 16, v27
	;; [unrolled: 1-line block ×8, first 2 shown]
	flat_store_short v[8:9], v77 nt
	flat_store_short v[8:9], v76 offset:128 nt
	flat_store_short v[8:9], v49 offset:256 nt
	;; [unrolled: 1-line block ×7, first 2 shown]
	v_lshl_add_u64 v[8:9], v[8:9], 0, v[42:43]
.LBB17_1928:                            ;   in Loop: Header=BB17_1894 Depth=2
	s_or_b64 exec, exec, s[34:35]
	v_sub_u32_e32 v17, v17, v84
	v_lshl_add_u64 v[10:11], v[10:11], 0, v[42:43]
	v_lshl_add_u64 v[12:13], v[12:13], 0, v[42:43]
	v_cmp_lt_i32_e64 s[30:31], 0, v17
	s_and_saveexec_b64 s[26:27], s[30:31]
	s_cbranch_execz .LBB17_1930
; %bb.1929:                             ;   in Loop: Header=BB17_1894 Depth=2
	flat_load_ushort v77, v[10:11] nt
	flat_load_ushort v76, v[10:11] offset:128 nt
	flat_load_ushort v49, v[10:11] offset:256 nt
	;; [unrolled: 1-line block ×7, first 2 shown]
	flat_load_ushort v18, v[12:13] nt
	flat_load_ushort v19, v[12:13] offset:128 nt
	flat_load_ushort v20, v[12:13] offset:256 nt
	;; [unrolled: 1-line block ×7, first 2 shown]
	v_lshl_add_u64 v[10:11], v[10:11], 0, s[60:61]
	v_lshl_add_u64 v[12:13], v[12:13], 0, s[60:61]
.LBB17_1930:                            ;   in Loop: Header=BB17_1894 Depth=2
	s_or_b64 exec, exec, s[26:27]
	s_waitcnt vmcnt(0) lgkmcnt(0)
	v_lshlrev_b32_e32 v28, 16, v90
	v_lshlrev_b32_e32 v29, 16, v91
	v_max_f32_e32 v29, v29, v29
	v_max_f32_e32 v28, v28, v28
	v_min_f32_e32 v54, v28, v29
	v_max_f32_e32 v28, v28, v29
	v_cndmask_b32_e32 v28, v28, v54, vcc
	v_and_b32_e32 v29, 0x7f800000, v28
	v_cmp_ne_u32_e64 s[26:27], s96, v29
                                        ; implicit-def: $vgpr54
	s_and_saveexec_b64 s[34:35], s[26:27]
	s_xor_b64 s[26:27], exec, s[34:35]
; %bb.1931:                             ;   in Loop: Header=BB17_1894 Depth=2
	v_bfe_u32 v29, v28, 16, 1
	v_add3_u32 v54, v28, v29, s97
                                        ; implicit-def: $vgpr28
; %bb.1932:                             ;   in Loop: Header=BB17_1894 Depth=2
	s_andn2_saveexec_b64 s[34:35], s[26:27]
; %bb.1933:                             ;   in Loop: Header=BB17_1894 Depth=2
	v_or_b32_e32 v29, 0x10000, v28
	v_cmp_eq_u32_sdwa s[26:27], v28, v3 src0_sel:WORD_0 src1_sel:DWORD
	s_nop 1
	v_cndmask_b32_e64 v54, v29, v28, s[26:27]
; %bb.1934:                             ;   in Loop: Header=BB17_1894 Depth=2
	s_or_b64 exec, exec, s[34:35]
	v_lshlrev_b32_e32 v28, 16, v88
	v_lshlrev_b32_e32 v29, 16, v89
	v_max_f32_e32 v29, v29, v29
	v_max_f32_e32 v28, v28, v28
	v_min_f32_e32 v55, v28, v29
	v_max_f32_e32 v28, v28, v29
	v_cndmask_b32_e32 v28, v28, v55, vcc
	v_and_b32_e32 v29, 0x7f800000, v28
	v_cmp_ne_u32_e64 s[26:27], s96, v29
                                        ; implicit-def: $vgpr55
	s_and_saveexec_b64 s[34:35], s[26:27]
	s_xor_b64 s[26:27], exec, s[34:35]
; %bb.1935:                             ;   in Loop: Header=BB17_1894 Depth=2
	v_bfe_u32 v29, v28, 16, 1
	v_add3_u32 v55, v28, v29, s97
                                        ; implicit-def: $vgpr28
; %bb.1936:                             ;   in Loop: Header=BB17_1894 Depth=2
	s_andn2_saveexec_b64 s[34:35], s[26:27]
; %bb.1937:                             ;   in Loop: Header=BB17_1894 Depth=2
	v_or_b32_e32 v29, 0x10000, v28
	v_cmp_eq_u32_sdwa s[26:27], v28, v3 src0_sel:WORD_0 src1_sel:DWORD
	s_nop 1
	v_cndmask_b32_e64 v55, v29, v28, s[26:27]
; %bb.1938:                             ;   in Loop: Header=BB17_1894 Depth=2
	s_or_b64 exec, exec, s[34:35]
	v_lshlrev_b32_e32 v28, 16, v78
	v_lshlrev_b32_e32 v29, 16, v79
	v_max_f32_e32 v29, v29, v29
	v_max_f32_e32 v28, v28, v28
	v_min_f32_e32 v82, v28, v29
	v_max_f32_e32 v28, v28, v29
	v_cndmask_b32_e32 v29, v28, v82, vcc
	v_and_b32_e32 v28, 0x7f800000, v29
	v_cmp_ne_u32_e64 s[26:27], s96, v28
                                        ; implicit-def: $vgpr28
	s_and_saveexec_b64 s[34:35], s[26:27]
	s_xor_b64 s[26:27], exec, s[34:35]
; %bb.1939:                             ;   in Loop: Header=BB17_1894 Depth=2
	v_bfe_u32 v28, v29, 16, 1
	v_add3_u32 v28, v29, v28, s97
                                        ; implicit-def: $vgpr29
; %bb.1940:                             ;   in Loop: Header=BB17_1894 Depth=2
	s_andn2_saveexec_b64 s[34:35], s[26:27]
; %bb.1941:                             ;   in Loop: Header=BB17_1894 Depth=2
	v_or_b32_e32 v28, 0x10000, v29
	v_cmp_eq_u32_sdwa s[26:27], v29, v3 src0_sel:WORD_0 src1_sel:DWORD
	s_nop 1
	v_cndmask_b32_e64 v28, v28, v29, s[26:27]
; %bb.1942:                             ;   in Loop: Header=BB17_1894 Depth=2
	s_or_b64 exec, exec, s[34:35]
	v_lshlrev_b32_e32 v29, 16, v52
	v_lshlrev_b32_e32 v52, 16, v53
	v_max_f32_e32 v52, v52, v52
	v_max_f32_e32 v29, v29, v29
	v_min_f32_e32 v53, v29, v52
	v_max_f32_e32 v29, v29, v52
	v_cndmask_b32_e32 v52, v29, v53, vcc
	v_and_b32_e32 v29, 0x7f800000, v52
	v_cmp_ne_u32_e64 s[26:27], s96, v29
                                        ; implicit-def: $vgpr29
	s_and_saveexec_b64 s[34:35], s[26:27]
	s_xor_b64 s[26:27], exec, s[34:35]
; %bb.1943:                             ;   in Loop: Header=BB17_1894 Depth=2
	v_bfe_u32 v29, v52, 16, 1
	v_add3_u32 v29, v52, v29, s97
                                        ; implicit-def: $vgpr52
; %bb.1944:                             ;   in Loop: Header=BB17_1894 Depth=2
	s_andn2_saveexec_b64 s[34:35], s[26:27]
; %bb.1945:                             ;   in Loop: Header=BB17_1894 Depth=2
	v_or_b32_e32 v29, 0x10000, v52
	v_cmp_eq_u32_sdwa s[26:27], v52, v3 src0_sel:WORD_0 src1_sel:DWORD
	s_nop 1
	v_cndmask_b32_e64 v29, v29, v52, s[26:27]
; %bb.1946:                             ;   in Loop: Header=BB17_1894 Depth=2
	s_or_b64 exec, exec, s[34:35]
	v_lshlrev_b32_e32 v50, 16, v50
	v_lshlrev_b32_e32 v51, 16, v51
	v_max_f32_e32 v51, v51, v51
	v_max_f32_e32 v50, v50, v50
	v_min_f32_e32 v52, v50, v51
	v_max_f32_e32 v50, v50, v51
	v_cndmask_b32_e32 v51, v50, v52, vcc
	v_and_b32_e32 v50, 0x7f800000, v51
	v_cmp_ne_u32_e64 s[26:27], s96, v50
                                        ; implicit-def: $vgpr50
	s_and_saveexec_b64 s[34:35], s[26:27]
	s_xor_b64 s[26:27], exec, s[34:35]
; %bb.1947:                             ;   in Loop: Header=BB17_1894 Depth=2
	v_bfe_u32 v50, v51, 16, 1
	v_add3_u32 v50, v51, v50, s97
                                        ; implicit-def: $vgpr51
; %bb.1948:                             ;   in Loop: Header=BB17_1894 Depth=2
	s_andn2_saveexec_b64 s[34:35], s[26:27]
; %bb.1949:                             ;   in Loop: Header=BB17_1894 Depth=2
	v_or_b32_e32 v50, 0x10000, v51
	v_cmp_eq_u32_sdwa s[26:27], v51, v3 src0_sel:WORD_0 src1_sel:DWORD
	s_nop 1
	v_cndmask_b32_e64 v50, v50, v51, s[26:27]
; %bb.1950:                             ;   in Loop: Header=BB17_1894 Depth=2
	s_or_b64 exec, exec, s[34:35]
	v_lshlrev_b32_e32 v39, 16, v39
	v_lshlrev_b32_e32 v48, 16, v48
	v_max_f32_e32 v48, v48, v48
	v_max_f32_e32 v39, v39, v39
	v_min_f32_e32 v51, v39, v48
	v_max_f32_e32 v39, v39, v48
	v_cndmask_b32_e32 v48, v39, v51, vcc
	v_and_b32_e32 v39, 0x7f800000, v48
	v_cmp_ne_u32_e64 s[26:27], s96, v39
                                        ; implicit-def: $vgpr39
	s_and_saveexec_b64 s[34:35], s[26:27]
	s_xor_b64 s[26:27], exec, s[34:35]
; %bb.1951:                             ;   in Loop: Header=BB17_1894 Depth=2
	v_bfe_u32 v39, v48, 16, 1
	v_add3_u32 v39, v48, v39, s97
                                        ; implicit-def: $vgpr48
; %bb.1952:                             ;   in Loop: Header=BB17_1894 Depth=2
	s_andn2_saveexec_b64 s[34:35], s[26:27]
; %bb.1953:                             ;   in Loop: Header=BB17_1894 Depth=2
	v_or_b32_e32 v39, 0x10000, v48
	v_cmp_eq_u32_sdwa s[26:27], v48, v3 src0_sel:WORD_0 src1_sel:DWORD
	s_nop 1
	v_cndmask_b32_e64 v39, v39, v48, s[26:27]
; %bb.1954:                             ;   in Loop: Header=BB17_1894 Depth=2
	s_or_b64 exec, exec, s[34:35]
	v_lshlrev_b32_e32 v36, 16, v36
	v_lshlrev_b32_e32 v37, 16, v37
	v_max_f32_e32 v37, v37, v37
	v_max_f32_e32 v36, v36, v36
	v_min_f32_e32 v48, v36, v37
	v_max_f32_e32 v36, v36, v37
	v_cndmask_b32_e32 v37, v36, v48, vcc
	v_and_b32_e32 v36, 0x7f800000, v37
	v_cmp_ne_u32_e64 s[26:27], s96, v36
                                        ; implicit-def: $vgpr36
	s_and_saveexec_b64 s[34:35], s[26:27]
	s_xor_b64 s[26:27], exec, s[34:35]
; %bb.1955:                             ;   in Loop: Header=BB17_1894 Depth=2
	v_bfe_u32 v36, v37, 16, 1
	v_add3_u32 v36, v37, v36, s97
                                        ; implicit-def: $vgpr37
; %bb.1956:                             ;   in Loop: Header=BB17_1894 Depth=2
	s_andn2_saveexec_b64 s[34:35], s[26:27]
; %bb.1957:                             ;   in Loop: Header=BB17_1894 Depth=2
	v_or_b32_e32 v36, 0x10000, v37
	v_cmp_eq_u32_sdwa s[26:27], v37, v3 src0_sel:WORD_0 src1_sel:DWORD
	s_nop 1
	v_cndmask_b32_e64 v36, v36, v37, s[26:27]
; %bb.1958:                             ;   in Loop: Header=BB17_1894 Depth=2
	s_or_b64 exec, exec, s[34:35]
	v_lshlrev_b32_e32 v33, 16, v33
	v_lshlrev_b32_e32 v34, 16, v34
	v_max_f32_e32 v34, v34, v34
	v_max_f32_e32 v33, v33, v33
	v_min_f32_e32 v37, v33, v34
	v_max_f32_e32 v33, v33, v34
	v_cndmask_b32_e32 v34, v33, v37, vcc
	v_and_b32_e32 v33, 0x7f800000, v34
	v_cmp_ne_u32_e64 s[26:27], s96, v33
                                        ; implicit-def: $vgpr33
	s_and_saveexec_b64 s[34:35], s[26:27]
	s_xor_b64 s[26:27], exec, s[34:35]
; %bb.1959:                             ;   in Loop: Header=BB17_1894 Depth=2
	v_bfe_u32 v33, v34, 16, 1
	v_add3_u32 v33, v34, v33, s97
                                        ; implicit-def: $vgpr34
; %bb.1960:                             ;   in Loop: Header=BB17_1894 Depth=2
	s_andn2_saveexec_b64 s[34:35], s[26:27]
	s_cbranch_execz .LBB17_1893
; %bb.1961:                             ;   in Loop: Header=BB17_1894 Depth=2
	v_or_b32_e32 v33, 0x10000, v34
	v_cmp_eq_u32_sdwa s[26:27], v34, v3 src0_sel:WORD_0 src1_sel:DWORD
	s_nop 1
	v_cndmask_b32_e64 v33, v33, v34, s[26:27]
	s_branch .LBB17_1893
.LBB17_1962:                            ;   in Loop: Header=BB17_47 Depth=1
	s_or_b64 exec, exec, s[94:95]
	v_lshlrev_b32_e32 v48, 16, v77
	v_lshlrev_b32_e32 v50, 16, v18
	;; [unrolled: 1-line block ×16, first 2 shown]
	s_and_b64 s[26:27], s[40:41], exec
.LBB17_1963:                            ;   in Loop: Header=BB17_47 Depth=1
	s_or_b64 exec, exec, s[28:29]
	s_and_saveexec_b64 s[28:29], s[26:27]
	s_cbranch_execz .LBB17_1997
; %bb.1964:                             ;   in Loop: Header=BB17_47 Depth=1
	s_and_b32 s26, s44, 0xff
	s_cmp_eq_u32 s26, 0
	v_max_f32_e32 v12, v50, v50
	v_max_f32_e32 v13, v48, v48
	v_min_f32_e32 v23, v13, v12
	v_max_f32_e32 v12, v13, v12
	s_cselect_b64 vcc, -1, 0
	v_cndmask_b32_e32 v13, v12, v23, vcc
	v_and_b32_e32 v12, 0x7f800000, v13
	v_cmp_ne_u32_e64 s[26:27], s96, v12
                                        ; implicit-def: $vgpr12
	s_and_saveexec_b64 s[40:41], s[26:27]
	s_xor_b64 s[26:27], exec, s[40:41]
; %bb.1965:                             ;   in Loop: Header=BB17_47 Depth=1
	v_bfe_u32 v12, v13, 16, 1
	v_add3_u32 v12, v13, v12, s97
                                        ; implicit-def: $vgpr13
; %bb.1966:                             ;   in Loop: Header=BB17_47 Depth=1
	s_andn2_saveexec_b64 s[40:41], s[26:27]
; %bb.1967:                             ;   in Loop: Header=BB17_47 Depth=1
	v_or_b32_e32 v12, 0x10000, v13
	v_cmp_eq_u32_sdwa s[26:27], v13, v3 src0_sel:WORD_0 src1_sel:DWORD
	s_nop 1
	v_cndmask_b32_e64 v12, v12, v13, s[26:27]
; %bb.1968:                             ;   in Loop: Header=BB17_47 Depth=1
	s_or_b64 exec, exec, s[40:41]
	v_max_f32_e32 v13, v39, v39
	v_max_f32_e32 v23, v37, v37
	v_min_f32_e32 v24, v23, v13
	v_max_f32_e32 v13, v23, v13
	v_cndmask_b32_e32 v23, v13, v24, vcc
	v_and_b32_e32 v13, 0x7f800000, v23
	v_cmp_ne_u32_e64 s[26:27], s96, v13
                                        ; implicit-def: $vgpr13
	s_and_saveexec_b64 s[40:41], s[26:27]
	s_xor_b64 s[26:27], exec, s[40:41]
; %bb.1969:                             ;   in Loop: Header=BB17_47 Depth=1
	v_bfe_u32 v13, v23, 16, 1
	v_add3_u32 v13, v23, v13, s97
                                        ; implicit-def: $vgpr23
; %bb.1970:                             ;   in Loop: Header=BB17_47 Depth=1
	s_andn2_saveexec_b64 s[40:41], s[26:27]
; %bb.1971:                             ;   in Loop: Header=BB17_47 Depth=1
	v_or_b32_e32 v13, 0x10000, v23
	v_cmp_eq_u32_sdwa s[26:27], v23, v3 src0_sel:WORD_0 src1_sel:DWORD
	s_nop 1
	v_cndmask_b32_e64 v13, v13, v23, s[26:27]
; %bb.1972:                             ;   in Loop: Header=BB17_47 Depth=1
	s_or_b64 exec, exec, s[40:41]
	v_max_f32_e32 v23, v36, v36
	v_max_f32_e32 v24, v34, v34
	v_min_f32_e32 v25, v24, v23
	v_max_f32_e32 v23, v24, v23
	v_cndmask_b32_e32 v24, v23, v25, vcc
	v_and_b32_e32 v23, 0x7f800000, v24
	v_cmp_ne_u32_e64 s[26:27], s96, v23
                                        ; implicit-def: $vgpr23
	s_and_saveexec_b64 s[40:41], s[26:27]
	s_xor_b64 s[26:27], exec, s[40:41]
; %bb.1973:                             ;   in Loop: Header=BB17_47 Depth=1
	v_bfe_u32 v23, v24, 16, 1
	v_add3_u32 v23, v24, v23, s97
                                        ; implicit-def: $vgpr24
; %bb.1974:                             ;   in Loop: Header=BB17_47 Depth=1
	s_andn2_saveexec_b64 s[40:41], s[26:27]
; %bb.1975:                             ;   in Loop: Header=BB17_47 Depth=1
	v_or_b32_e32 v23, 0x10000, v24
	v_cmp_eq_u32_sdwa s[26:27], v24, v3 src0_sel:WORD_0 src1_sel:DWORD
	s_nop 1
	v_cndmask_b32_e64 v23, v23, v24, s[26:27]
; %bb.1976:                             ;   in Loop: Header=BB17_47 Depth=1
	s_or_b64 exec, exec, s[40:41]
	v_max_f32_e32 v24, v33, v33
	v_max_f32_e32 v25, v29, v29
	v_min_f32_e32 v26, v25, v24
	v_max_f32_e32 v24, v25, v24
	v_cndmask_b32_e32 v25, v24, v26, vcc
	v_and_b32_e32 v24, 0x7f800000, v25
	v_cmp_ne_u32_e64 s[26:27], s96, v24
                                        ; implicit-def: $vgpr24
	s_and_saveexec_b64 s[40:41], s[26:27]
	s_xor_b64 s[26:27], exec, s[40:41]
; %bb.1977:                             ;   in Loop: Header=BB17_47 Depth=1
	v_bfe_u32 v24, v25, 16, 1
	v_add3_u32 v24, v25, v24, s97
                                        ; implicit-def: $vgpr25
; %bb.1978:                             ;   in Loop: Header=BB17_47 Depth=1
	s_andn2_saveexec_b64 s[40:41], s[26:27]
; %bb.1979:                             ;   in Loop: Header=BB17_47 Depth=1
	v_or_b32_e32 v24, 0x10000, v25
	v_cmp_eq_u32_sdwa s[26:27], v25, v3 src0_sel:WORD_0 src1_sel:DWORD
	s_nop 1
	v_cndmask_b32_e64 v24, v24, v25, s[26:27]
; %bb.1980:                             ;   in Loop: Header=BB17_47 Depth=1
	s_or_b64 exec, exec, s[40:41]
	v_max_f32_e32 v22, v22, v22
	v_max_f32_e32 v25, v28, v28
	v_min_f32_e32 v26, v25, v22
	v_max_f32_e32 v22, v25, v22
	v_cndmask_b32_e32 v25, v22, v26, vcc
	v_and_b32_e32 v22, 0x7f800000, v25
	v_cmp_ne_u32_e64 s[26:27], s96, v22
                                        ; implicit-def: $vgpr22
	s_and_saveexec_b64 s[40:41], s[26:27]
	s_xor_b64 s[26:27], exec, s[40:41]
; %bb.1981:                             ;   in Loop: Header=BB17_47 Depth=1
	v_bfe_u32 v22, v25, 16, 1
	v_add3_u32 v22, v25, v22, s97
                                        ; implicit-def: $vgpr25
; %bb.1982:                             ;   in Loop: Header=BB17_47 Depth=1
	s_andn2_saveexec_b64 s[40:41], s[26:27]
; %bb.1983:                             ;   in Loop: Header=BB17_47 Depth=1
	v_or_b32_e32 v22, 0x10000, v25
	v_cmp_eq_u32_sdwa s[26:27], v25, v3 src0_sel:WORD_0 src1_sel:DWORD
	s_nop 1
	v_cndmask_b32_e64 v22, v22, v25, s[26:27]
; %bb.1984:                             ;   in Loop: Header=BB17_47 Depth=1
	s_or_b64 exec, exec, s[40:41]
	v_max_f32_e32 v21, v21, v21
	v_max_f32_e32 v20, v20, v20
	v_min_f32_e32 v25, v20, v21
	v_max_f32_e32 v20, v20, v21
	v_cndmask_b32_e32 v21, v20, v25, vcc
	v_and_b32_e32 v20, 0x7f800000, v21
	v_cmp_ne_u32_e64 s[26:27], s96, v20
                                        ; implicit-def: $vgpr20
	s_and_saveexec_b64 s[40:41], s[26:27]
	s_xor_b64 s[26:27], exec, s[40:41]
; %bb.1985:                             ;   in Loop: Header=BB17_47 Depth=1
	v_bfe_u32 v20, v21, 16, 1
	v_add3_u32 v20, v21, v20, s97
                                        ; implicit-def: $vgpr21
; %bb.1986:                             ;   in Loop: Header=BB17_47 Depth=1
	s_andn2_saveexec_b64 s[40:41], s[26:27]
; %bb.1987:                             ;   in Loop: Header=BB17_47 Depth=1
	v_or_b32_e32 v20, 0x10000, v21
	v_cmp_eq_u32_sdwa s[26:27], v21, v3 src0_sel:WORD_0 src1_sel:DWORD
	s_nop 1
	v_cndmask_b32_e64 v20, v20, v21, s[26:27]
; %bb.1988:                             ;   in Loop: Header=BB17_47 Depth=1
	s_or_b64 exec, exec, s[40:41]
	v_max_f32_e32 v19, v19, v19
	v_max_f32_e32 v18, v18, v18
	v_min_f32_e32 v21, v18, v19
	v_max_f32_e32 v18, v18, v19
	v_cndmask_b32_e32 v19, v18, v21, vcc
	v_and_b32_e32 v18, 0x7f800000, v19
	v_cmp_ne_u32_e64 s[26:27], s96, v18
                                        ; implicit-def: $vgpr18
	s_and_saveexec_b64 s[40:41], s[26:27]
	s_xor_b64 s[26:27], exec, s[40:41]
; %bb.1989:                             ;   in Loop: Header=BB17_47 Depth=1
	v_bfe_u32 v18, v19, 16, 1
	v_add3_u32 v18, v19, v18, s97
                                        ; implicit-def: $vgpr19
; %bb.1990:                             ;   in Loop: Header=BB17_47 Depth=1
	s_andn2_saveexec_b64 s[40:41], s[26:27]
; %bb.1991:                             ;   in Loop: Header=BB17_47 Depth=1
	v_or_b32_e32 v18, 0x10000, v19
	v_cmp_eq_u32_sdwa s[26:27], v19, v3 src0_sel:WORD_0 src1_sel:DWORD
	s_nop 1
	v_cndmask_b32_e64 v18, v18, v19, s[26:27]
; %bb.1992:                             ;   in Loop: Header=BB17_47 Depth=1
	s_or_b64 exec, exec, s[40:41]
	v_max_f32_e32 v11, v11, v11
	v_max_f32_e32 v10, v10, v10
	v_min_f32_e32 v19, v10, v11
	v_max_f32_e32 v10, v10, v11
	v_cndmask_b32_e32 v11, v10, v19, vcc
	v_and_b32_e32 v10, 0x7f800000, v11
	v_cmp_ne_u32_e32 vcc, s96, v10
                                        ; implicit-def: $vgpr10
	s_and_saveexec_b64 s[26:27], vcc
	s_xor_b64 s[26:27], exec, s[26:27]
; %bb.1993:                             ;   in Loop: Header=BB17_47 Depth=1
	v_bfe_u32 v10, v11, 16, 1
	v_add3_u32 v10, v11, v10, s97
                                        ; implicit-def: $vgpr11
; %bb.1994:                             ;   in Loop: Header=BB17_47 Depth=1
	s_andn2_saveexec_b64 s[26:27], s[26:27]
; %bb.1995:                             ;   in Loop: Header=BB17_47 Depth=1
	v_or_b32_e32 v10, 0x10000, v11
	v_cmp_eq_u32_sdwa vcc, v11, v3 src0_sel:WORD_0 src1_sel:DWORD
	s_nop 1
	v_cndmask_b32_e32 v10, v10, v11, vcc
; %bb.1996:                             ;   in Loop: Header=BB17_47 Depth=1
	s_or_b64 exec, exec, s[26:27]
	flat_store_short_d16_hi v[8:9], v12 nt
	flat_store_short_d16_hi v[8:9], v13 offset:128 nt
	flat_store_short_d16_hi v[8:9], v23 offset:256 nt
	;; [unrolled: 1-line block ×7, first 2 shown]
.LBB17_1997:                            ;   in Loop: Header=BB17_47 Depth=1
	s_or_b64 exec, exec, s[28:29]
	v_lshlrev_b32_e32 v8, 10, v16
	v_cmp_ne_u32_e32 vcc, v63, v8
	s_and_b64 exec, exec, vcc
	s_cbranch_execz .LBB17_2022
; %bb.1998:                             ;   in Loop: Header=BB17_47 Depth=1
	v_lshlrev_b32_e32 v9, 6, v17
	v_sub_u32_e32 v9, v15, v9
	v_ashrrev_i32_e32 v10, 31, v9
	v_lshrrev_b32_e32 v10, 26, v10
	v_add_u32_e32 v10, v9, v10
	v_and_b32_e32 v11, 0x7fffffc0, v10
	v_sub_u32_e32 v9, v9, v11
	v_lshlrev_b32_e32 v10, 1, v10
	v_and_b32_e32 v10, 0xffffff80, v10
	v_lshlrev_b32_e32 v9, 1, v9
	v_add3_u32 v8, v10, v9, v8
	v_sub_u32_e32 v15, v63, v8
	v_cmp_lt_i32_e32 vcc, 1, v15
	s_and_b64 exec, exec, vcc
	s_cbranch_execz .LBB17_2022
; %bb.1999:                             ;   in Loop: Header=BB17_47 Depth=1
	s_trap 2
	ds_read_b64 v[10:11], v0
	v_add_u32_e32 v16, v8, v14
	s_and_b32 s26, s44, 0xff
	v_ashrrev_i32_e32 v17, 31, v16
	s_cmp_eq_u32 s26, 0
	v_lshl_add_u64 v[8:9], v[74:75], 0, v[16:17]
	v_lshl_add_u64 v[12:13], v[16:17], 0, v[72:73]
	s_waitcnt lgkmcnt(0)
	v_lshl_add_u64 v[10:11], v[10:11], 0, v[16:17]
	s_mov_b64 s[34:35], 0
	s_mov_b64 s[94:95], 0
	s_cselect_b64 s[26:27], -1, 0
                                        ; implicit-def: $sgpr30_sgpr31
	s_branch .LBB17_2001
.LBB17_2000:                            ;   in Loop: Header=BB17_2001 Depth=2
	s_or_b64 exec, exec, s[28:29]
	v_lshrrev_b32_e32 v15, 16, v16
	scratch_store_short off, v15, s33 offset:192
	flat_store_short v[8:9], v15 nt
	v_cndmask_b32_e64 v15, 0, v106, s[34:35]
	v_sub_u32_e32 v15, v14, v15
	v_cmp_gt_i32_e32 vcc, 2, v15
	s_or_b64 s[94:95], vcc, s[94:95]
	v_lshl_add_u64 v[16:17], v[12:13], 0, v[116:117]
	v_lshl_add_u64 v[18:19], v[10:11], 0, v[116:117]
	v_cndmask_b32_e64 v21, 0, v45, s[34:35]
	v_cndmask_b32_e64 v20, v120, v44, s[34:35]
	s_andn2_b64 s[28:29], s[30:31], exec
	s_and_b64 s[40:41], s[34:35], exec
	v_lshl_add_u64 v[8:9], v[8:9], 0, v[20:21]
	v_cndmask_b32_e64 v11, v11, v19, s[34:35]
	v_cndmask_b32_e64 v10, v10, v18, s[34:35]
	;; [unrolled: 1-line block ×4, first 2 shown]
	s_or_b64 s[30:31], s[28:29], s[40:41]
	s_andn2_b64 exec, exec, s[94:95]
	s_cbranch_execz .LBB17_2016
.LBB17_2001:                            ;   Parent Loop BB17_47 Depth=1
                                        ; =>  This Loop Header: Depth=2
                                        ;       Child Loop BB17_2002 Depth 3
                                        ;       Child Loop BB17_2011 Depth 3
	s_add_i32 s28, s33, 0xc0
	s_mov_b32 s44, s28
	s_mov_b64 s[36:37], -1
	s_mov_b64 s[38:39], 0
.LBB17_2002:                            ;   Parent Loop BB17_47 Depth=1
                                        ;     Parent Loop BB17_2001 Depth=2
                                        ; =>    This Inner Loop Header: Depth=3
	s_cmp_eq_u32 s38, 1
	s_cselect_b64 vcc, -1, 0
	v_cndmask_b32_e32 v17, v13, v11, vcc
	v_cndmask_b32_e32 v16, v12, v10, vcc
	flat_load_ushort v14, v[16:17] nt
	s_cmp_eq_u32 s38, 0
	v_lshl_add_u64 v[16:17], v[16:17], 0, s[62:63]
	s_cselect_b64 s[28:29], -1, 0
	s_and_b64 s[40:41], exec, s[36:37]
	v_cndmask_b32_e64 v13, v13, v17, s[28:29]
	v_cndmask_b32_e64 v12, v12, v16, s[28:29]
	s_add_i32 s28, s33, 0xe0
	s_mov_b64 s[38:39], 1
	s_mov_b64 s[36:37], 0
	v_cndmask_b32_e32 v11, v11, v17, vcc
	v_cndmask_b32_e32 v10, v10, v16, vcc
	s_mov_b64 vcc, s[40:41]
	s_waitcnt vmcnt(0) lgkmcnt(0)
	scratch_store_short off, v14, s44
	s_mov_b32 s44, s28
	s_cbranch_vccnz .LBB17_2002
; %bb.2003:                             ;   in Loop: Header=BB17_2001 Depth=2
	s_and_saveexec_b64 s[28:29], s[34:35]
	s_cbranch_execz .LBB17_2009
; %bb.2004:                             ;   in Loop: Header=BB17_2001 Depth=2
	scratch_load_ushort v14, off, s33 offset:184
	scratch_load_ushort v16, off, s33 offset:186
	s_waitcnt vmcnt(1)
	v_lshlrev_b32_e32 v14, 16, v14
	s_waitcnt vmcnt(0)
	v_lshlrev_b32_e32 v16, 16, v16
	v_max_f32_e32 v16, v16, v16
	v_max_f32_e32 v14, v14, v14
	v_min_f32_e32 v17, v14, v16
	v_max_f32_e32 v14, v14, v16
	v_cndmask_b32_e64 v14, v14, v17, s[26:27]
	v_and_b32_e32 v16, 0x7f800000, v14
	v_cmp_ne_u32_e32 vcc, s96, v16
                                        ; implicit-def: $vgpr16
	s_and_saveexec_b64 s[40:41], vcc
	s_xor_b64 s[40:41], exec, s[40:41]
; %bb.2005:                             ;   in Loop: Header=BB17_2001 Depth=2
	v_bfe_u32 v16, v14, 16, 1
	v_add3_u32 v16, v14, v16, s97
                                        ; implicit-def: $vgpr14
; %bb.2006:                             ;   in Loop: Header=BB17_2001 Depth=2
	s_andn2_saveexec_b64 s[40:41], s[40:41]
; %bb.2007:                             ;   in Loop: Header=BB17_2001 Depth=2
	v_or_b32_e32 v16, 0x10000, v14
	v_cmp_eq_u32_sdwa vcc, v14, v3 src0_sel:WORD_0 src1_sel:DWORD
	s_nop 1
	v_cndmask_b32_e32 v16, v16, v14, vcc
; %bb.2008:                             ;   in Loop: Header=BB17_2001 Depth=2
	s_or_b64 exec, exec, s[40:41]
	v_lshrrev_b32_e32 v14, 16, v16
	scratch_store_short off, v14, s33 offset:184
	flat_store_short v[8:9], v14 nt
	v_lshl_add_u64 v[8:9], v[8:9], 0, v[44:45]
.LBB17_2009:                            ;   in Loop: Header=BB17_2001 Depth=2
	s_or_b64 exec, exec, s[28:29]
	v_sub_u32_e32 v14, v15, v106
	v_lshl_add_u64 v[12:13], v[12:13], 0, v[116:117]
	v_lshl_add_u64 v[10:11], v[10:11], 0, v[116:117]
	v_cmp_lt_i32_e64 s[34:35], 1, v14
	s_and_saveexec_b64 s[36:37], s[34:35]
	s_cbranch_execz .LBB17_2012
; %bb.2010:                             ;   in Loop: Header=BB17_2001 Depth=2
	s_add_i32 s28, s33, 0xb8
	s_mov_b32 s44, s28
	s_mov_b64 s[48:49], 0
	s_mov_b64 s[38:39], -1
.LBB17_2011:                            ;   Parent Loop BB17_47 Depth=1
                                        ;     Parent Loop BB17_2001 Depth=2
                                        ; =>    This Inner Loop Header: Depth=3
	s_cmp_eq_u32 s48, 1
	s_cselect_b64 vcc, -1, 0
	v_cndmask_b32_e32 v17, v13, v11, vcc
	v_cndmask_b32_e32 v16, v12, v10, vcc
	flat_load_ushort v15, v[16:17] nt
	s_cmp_eq_u32 s48, 0
	v_lshl_add_u64 v[16:17], v[16:17], 0, s[62:63]
	s_cselect_b64 s[28:29], -1, 0
	s_and_b64 s[40:41], exec, s[38:39]
	v_cndmask_b32_e64 v13, v13, v17, s[28:29]
	v_cndmask_b32_e64 v12, v12, v16, s[28:29]
	s_add_i32 s28, s33, 0xba
	s_mov_b64 s[48:49], 1
	s_mov_b64 s[38:39], 0
	v_cndmask_b32_e32 v11, v11, v17, vcc
	v_cndmask_b32_e32 v10, v10, v16, vcc
	s_mov_b64 vcc, s[40:41]
	s_waitcnt vmcnt(0) lgkmcnt(0)
	scratch_store_short off, v15, s44
	s_mov_b32 s44, s28
	s_cbranch_vccnz .LBB17_2011
.LBB17_2012:                            ;   in Loop: Header=BB17_2001 Depth=2
	s_or_b64 exec, exec, s[36:37]
	scratch_load_ushort v15, off, s33 offset:192
	scratch_load_ushort v16, off, s33 offset:224
	s_waitcnt vmcnt(0)
	v_lshlrev_b32_e32 v15, 16, v15
	v_lshlrev_b32_e32 v16, 16, v16
	v_max_f32_e32 v16, v16, v16
	v_max_f32_e32 v15, v15, v15
	v_min_f32_e32 v17, v15, v16
	v_max_f32_e32 v15, v15, v16
	v_cndmask_b32_e64 v15, v15, v17, s[26:27]
	v_and_b32_e32 v16, 0x7f800000, v15
	v_cmp_ne_u32_e32 vcc, s96, v16
                                        ; implicit-def: $vgpr16
	s_and_saveexec_b64 s[28:29], vcc
	s_xor_b64 s[28:29], exec, s[28:29]
; %bb.2013:                             ;   in Loop: Header=BB17_2001 Depth=2
	v_bfe_u32 v16, v15, 16, 1
	v_add3_u32 v16, v15, v16, s97
                                        ; implicit-def: $vgpr15
; %bb.2014:                             ;   in Loop: Header=BB17_2001 Depth=2
	s_andn2_saveexec_b64 s[28:29], s[28:29]
	s_cbranch_execz .LBB17_2000
; %bb.2015:                             ;   in Loop: Header=BB17_2001 Depth=2
	v_or_b32_e32 v16, 0x10000, v15
	v_cmp_eq_u32_sdwa vcc, v15, v3 src0_sel:WORD_0 src1_sel:DWORD
	s_nop 1
	v_cndmask_b32_e32 v16, v16, v15, vcc
	s_branch .LBB17_2000
.LBB17_2016:                            ;   in Loop: Header=BB17_47 Depth=1
	s_or_b64 exec, exec, s[94:95]
	s_and_b64 exec, exec, s[30:31]
	s_cbranch_execz .LBB17_2022
; %bb.2017:                             ;   in Loop: Header=BB17_47 Depth=1
	scratch_load_ushort v10, off, s33 offset:184
	scratch_load_ushort v11, off, s33 offset:186
	s_waitcnt vmcnt(0)
	v_lshlrev_b32_e32 v10, 16, v10
	v_lshlrev_b32_e32 v11, 16, v11
	v_max_f32_e32 v11, v11, v11
	v_max_f32_e32 v10, v10, v10
	v_min_f32_e32 v12, v10, v11
	v_max_f32_e32 v10, v10, v11
	v_cndmask_b32_e64 v10, v10, v12, s[26:27]
	v_and_b32_e32 v11, 0x7f800000, v10
	v_cmp_ne_u32_e32 vcc, s96, v11
                                        ; implicit-def: $vgpr11
	s_and_saveexec_b64 s[26:27], vcc
	s_xor_b64 s[26:27], exec, s[26:27]
; %bb.2018:                             ;   in Loop: Header=BB17_47 Depth=1
	v_bfe_u32 v11, v10, 16, 1
	v_add3_u32 v11, v10, v11, s97
                                        ; implicit-def: $vgpr10
; %bb.2019:                             ;   in Loop: Header=BB17_47 Depth=1
	s_andn2_saveexec_b64 s[26:27], s[26:27]
; %bb.2020:                             ;   in Loop: Header=BB17_47 Depth=1
	v_or_b32_e32 v11, 0x10000, v10
	v_cmp_eq_u32_sdwa vcc, v10, v3 src0_sel:WORD_0 src1_sel:DWORD
	s_nop 1
	v_cndmask_b32_e32 v11, v11, v10, vcc
; %bb.2021:                             ;   in Loop: Header=BB17_47 Depth=1
	s_or_b64 exec, exec, s[26:27]
	flat_store_short_d16_hi v[8:9], v11 nt
.LBB17_2022:                            ;   in Loop: Header=BB17_47 Depth=1
	s_or_b64 exec, exec, s[42:43]
	v_cmp_lt_i32_e64 s[26:27], 0, v31
	s_and_saveexec_b64 s[28:29], s[6:7]
	s_cbranch_execz .LBB17_2041
.LBB17_2023:                            ;   in Loop: Header=BB17_47 Depth=1
	s_and_saveexec_b64 s[40:41], s[56:57]
	s_xor_b64 s[40:41], exec, s[40:41]
	s_cbranch_execz .LBB17_2038
; %bb.2024:                             ;   in Loop: Header=BB17_47 Depth=1
	s_and_saveexec_b64 s[42:43], s[14:15]
	s_cbranch_execz .LBB17_2037
; %bb.2025:                             ;   in Loop: Header=BB17_47 Depth=1
	s_mov_b64 s[30:31], exec
	v_mbcnt_lo_u32_b32 v2, s30, 0
	v_mbcnt_hi_u32_b32 v2, s31, v2
	v_cmp_eq_u32_e32 vcc, 0, v2
	s_waitcnt lgkmcnt(0)
	s_and_saveexec_b64 s[94:95], vcc
	s_cbranch_execz .LBB17_2027
; %bb.2026:                             ;   in Loop: Header=BB17_47 Depth=1
	s_bcnt1_i32_b64 s44, s[30:31]
	v_mov_b32_e32 v2, s44
	ds_add_u64 v0, v[2:3]
	s_trap 2
.LBB17_2027:                            ;   in Loop: Header=BB17_47 Depth=1
	s_or_b64 exec, exec, s[94:95]
	s_trap 2
	ds_read_b64 v[8:9], v0
	s_waitcnt lgkmcnt(0)
	v_lshl_add_u64 v[70:71], v[70:71], 0, v[84:85]
	v_cmp_lt_u64_e32 vcc, v[8:9], v[70:71]
	s_and_saveexec_b64 s[94:95], vcc
	s_cbranch_execz .LBB17_2036
; %bb.2028:                             ;   in Loop: Header=BB17_47 Depth=1
	s_mov_b32 s44, 0
	s_mov_b64 s[30:31], 0
                                        ; implicit-def: $sgpr34_sgpr35
                                        ; implicit-def: $sgpr36_sgpr37
	s_branch .LBB17_2030
.LBB17_2029:                            ;   in Loop: Header=BB17_2030 Depth=2
	s_or_b64 exec, exec, s[48:49]
	s_and_b64 vcc, exec, vcc
	s_or_b64 s[30:31], vcc, s[30:31]
	s_andn2_b64 vcc, s[34:35], exec
	s_and_b64 s[34:35], s[36:37], exec
	s_or_b64 s[34:35], vcc, s[34:35]
	s_andn2_b64 exec, exec, s[30:31]
	s_cbranch_execz .LBB17_2034
.LBB17_2030:                            ;   Parent Loop BB17_47 Depth=1
                                        ; =>  This Inner Loop Header: Depth=2
	s_add_i32 s44, s44, 1
	s_cmpk_lg_i32 s44, 0x2710
	s_cselect_b64 s[38:39], -1, 0
	s_and_b64 vcc, exec, s[38:39]
	s_cbranch_vccz .LBB17_2032
; %bb.2031:                             ;   in Loop: Header=BB17_2030 Depth=2
	s_mov_b64 vcc, -1
	s_or_b64 s[36:37], s[36:37], exec
	s_and_saveexec_b64 s[48:49], s[38:39]
	s_cbranch_execz .LBB17_2029
	s_branch .LBB17_2033
.LBB17_2032:                            ;   in Loop: Header=BB17_2030 Depth=2
	s_trap 2
	ds_read_b64 v[8:9], v0
	s_andn2_b64 s[38:39], s[38:39], exec
	s_mov_b32 s44, 0
	s_waitcnt vmcnt(0) lgkmcnt(0)
	flat_load_dword v2, v[8:9] sc0 sc1
	s_waitcnt vmcnt(0) lgkmcnt(0)
	buffer_inv sc0 sc1
	v_cmp_eq_u32_e32 vcc, 0, v2
	s_and_b64 vcc, vcc, exec
	s_or_b64 s[38:39], s[38:39], vcc
	s_mov_b64 vcc, -1
	s_or_b64 s[36:37], s[36:37], exec
	s_and_saveexec_b64 s[48:49], s[38:39]
	s_cbranch_execz .LBB17_2029
.LBB17_2033:                            ;   in Loop: Header=BB17_2030 Depth=2
	s_sleep 1
	s_trap 2
	ds_read_b64 v[8:9], v0
	s_waitcnt lgkmcnt(0)
	s_andn2_b64 s[36:37], s[36:37], exec
	v_cmp_ge_u64_e32 vcc, v[8:9], v[70:71]
	s_orn2_b64 vcc, vcc, exec
	s_branch .LBB17_2029
.LBB17_2034:                            ;   in Loop: Header=BB17_47 Depth=1
	s_or_b64 exec, exec, s[30:31]
	s_and_saveexec_b64 s[44:45], s[34:35]
	s_xor_b64 s[44:45], exec, s[44:45]
	s_cbranch_execz .LBB17_2036
; %bb.2035:                             ;   in Loop: Header=BB17_47 Depth=1
	ds_write_b32 v0, v107
	s_trap 2
.LBB17_2036:                            ;   in Loop: Header=BB17_47 Depth=1
	s_or_b64 exec, exec, s[94:95]
	;;#ASMSTART
	s_wakeup
	;;#ASMEND
.LBB17_2037:                            ;   in Loop: Header=BB17_47 Depth=1
	s_or_b64 exec, exec, s[42:43]
.LBB17_2038:                            ;   in Loop: Header=BB17_47 Depth=1
	s_andn2_saveexec_b64 s[40:41], s[40:41]
	s_cbranch_execz .LBB17_2040
; %bb.2039:                             ;   in Loop: Header=BB17_47 Depth=1
	s_waitcnt lgkmcnt(0)
	s_barrier
.LBB17_2040:                            ;   in Loop: Header=BB17_47 Depth=1
	s_or_b64 exec, exec, s[40:41]
.LBB17_2041:                            ;   in Loop: Header=BB17_47 Depth=1
	s_or_b64 exec, exec, s[28:29]
	v_and_b32_e32 v8, 16, v94
	s_and_saveexec_b64 s[28:29], s[22:23]
	s_xor_b64 s[28:29], exec, s[28:29]
	s_cbranch_execz .LBB17_2045
; %bb.2042:                             ;   in Loop: Header=BB17_47 Depth=1
	v_and_b32_e32 v2, 16, v94
	v_cmp_ne_u32_e32 vcc, 0, v2
	v_and_b32_e32 v8, 16, v94
	s_and_b64 s[40:41], vcc, s[26:27]
	s_and_saveexec_b64 s[26:27], s[40:41]
	s_cbranch_execz .LBB17_2044
; %bb.2043:                             ;   in Loop: Header=BB17_47 Depth=1
	v_mov_b32_e32 v8, 1
	buffer_wbl2 sc1
	s_waitcnt vmcnt(0) lgkmcnt(0)
	buffer_inv sc1
.LBB17_2044:                            ;   in Loop: Header=BB17_47 Depth=1
	s_or_b64 exec, exec, s[26:27]
.LBB17_2045:                            ;   in Loop: Header=BB17_47 Depth=1
	s_andn2_saveexec_b64 s[26:27], s[28:29]
	s_cbranch_execz .LBB17_2064
; %bb.2046:                             ;   in Loop: Header=BB17_47 Depth=1
	s_and_saveexec_b64 s[28:29], s[56:57]
	s_xor_b64 s[28:29], exec, s[28:29]
	s_cbranch_execz .LBB17_2061
; %bb.2047:                             ;   in Loop: Header=BB17_47 Depth=1
	s_and_saveexec_b64 s[40:41], s[14:15]
	s_cbranch_execz .LBB17_2060
; %bb.2048:                             ;   in Loop: Header=BB17_47 Depth=1
	s_mov_b64 s[94:95], exec
	v_mbcnt_lo_u32_b32 v2, s94, 0
	v_mbcnt_hi_u32_b32 v2, s95, v2
	v_cmp_eq_u32_e32 vcc, 0, v2
	;;#ASMSTART
	s_waitcnt lgkmcnt(0) vmcnt(0)
	;;#ASMEND
	s_and_saveexec_b64 s[42:43], vcc
	s_cbranch_execz .LBB17_2050
; %bb.2049:                             ;   in Loop: Header=BB17_47 Depth=1
	s_bcnt1_i32_b64 s44, s[94:95]
	v_mov_b32_e32 v2, s44
	s_waitcnt lgkmcnt(0)
	ds_add_u64 v0, v[2:3]
	s_trap 2
.LBB17_2050:                            ;   in Loop: Header=BB17_47 Depth=1
	s_or_b64 exec, exec, s[42:43]
	s_trap 2
	ds_read_b64 v[10:11], v0
	s_waitcnt lgkmcnt(0)
	v_lshl_add_u64 v[70:71], v[70:71], 0, v[84:85]
	v_cmp_lt_u64_e32 vcc, v[10:11], v[70:71]
	s_and_saveexec_b64 s[42:43], vcc
	s_cbranch_execz .LBB17_2059
; %bb.2051:                             ;   in Loop: Header=BB17_47 Depth=1
	s_mov_b32 s44, 0
	s_mov_b64 s[94:95], 0
                                        ; implicit-def: $sgpr30_sgpr31
                                        ; implicit-def: $sgpr34_sgpr35
	s_branch .LBB17_2053
.LBB17_2052:                            ;   in Loop: Header=BB17_2053 Depth=2
	s_or_b64 exec, exec, s[38:39]
	s_and_b64 vcc, exec, vcc
	s_or_b64 s[94:95], vcc, s[94:95]
	s_andn2_b64 vcc, s[30:31], exec
	s_and_b64 s[30:31], s[34:35], exec
	s_or_b64 s[30:31], vcc, s[30:31]
	s_andn2_b64 exec, exec, s[94:95]
	s_cbranch_execz .LBB17_2057
.LBB17_2053:                            ;   Parent Loop BB17_47 Depth=1
                                        ; =>  This Inner Loop Header: Depth=2
	s_add_i32 s44, s44, 1
	s_cmpk_lg_i32 s44, 0x2710
	s_cselect_b64 s[36:37], -1, 0
	s_and_b64 vcc, exec, s[36:37]
	s_cbranch_vccz .LBB17_2055
; %bb.2054:                             ;   in Loop: Header=BB17_2053 Depth=2
	s_mov_b64 vcc, -1
	s_or_b64 s[34:35], s[34:35], exec
	s_and_saveexec_b64 s[38:39], s[36:37]
	s_cbranch_execz .LBB17_2052
	s_branch .LBB17_2056
.LBB17_2055:                            ;   in Loop: Header=BB17_2053 Depth=2
	s_trap 2
	ds_read_b64 v[10:11], v0
	s_andn2_b64 s[36:37], s[36:37], exec
	s_mov_b32 s44, 0
	s_waitcnt vmcnt(0) lgkmcnt(0)
	flat_load_dword v2, v[10:11] sc0 sc1
	s_waitcnt vmcnt(0) lgkmcnt(0)
	buffer_inv sc0 sc1
	v_cmp_eq_u32_e32 vcc, 0, v2
	s_and_b64 vcc, vcc, exec
	s_or_b64 s[36:37], s[36:37], vcc
	s_mov_b64 vcc, -1
	s_or_b64 s[34:35], s[34:35], exec
	s_and_saveexec_b64 s[38:39], s[36:37]
	s_cbranch_execz .LBB17_2052
.LBB17_2056:                            ;   in Loop: Header=BB17_2053 Depth=2
	s_sleep 1
	s_trap 2
	ds_read_b64 v[10:11], v0
	s_waitcnt lgkmcnt(0)
	s_andn2_b64 s[34:35], s[34:35], exec
	v_cmp_ge_u64_e32 vcc, v[10:11], v[70:71]
	s_orn2_b64 vcc, vcc, exec
	s_branch .LBB17_2052
.LBB17_2057:                            ;   in Loop: Header=BB17_47 Depth=1
	s_or_b64 exec, exec, s[94:95]
	s_and_saveexec_b64 s[44:45], s[30:31]
	s_xor_b64 s[44:45], exec, s[44:45]
	s_cbranch_execz .LBB17_2059
; %bb.2058:                             ;   in Loop: Header=BB17_47 Depth=1
	ds_write_b32 v0, v107
	s_trap 2
.LBB17_2059:                            ;   in Loop: Header=BB17_47 Depth=1
	s_or_b64 exec, exec, s[42:43]
	;;#ASMSTART
	s_wakeup
	;;#ASMEND
.LBB17_2060:                            ;   in Loop: Header=BB17_47 Depth=1
	s_or_b64 exec, exec, s[40:41]
.LBB17_2061:                            ;   in Loop: Header=BB17_47 Depth=1
	s_andn2_saveexec_b64 s[28:29], s[28:29]
	s_cbranch_execz .LBB17_2063
; %bb.2062:                             ;   in Loop: Header=BB17_47 Depth=1
	;;#ASMSTART
	s_waitcnt lgkmcnt(0) vmcnt(0)
	;;#ASMEND
	s_barrier
.LBB17_2063:                            ;   in Loop: Header=BB17_47 Depth=1
	s_or_b64 exec, exec, s[28:29]
.LBB17_2064:                            ;   in Loop: Header=BB17_47 Depth=1
	s_or_b64 exec, exec, s[26:27]
	v_cmp_ne_u32_e32 vcc, 0, v8
	s_xor_b64 s[26:27], s[10:11], -1
	s_and_b64 s[28:29], vcc, s[26:27]
	s_and_saveexec_b64 s[26:27], s[28:29]
	s_cbranch_execz .LBB17_2066
; %bb.2065:                             ;   in Loop: Header=BB17_47 Depth=1
	flat_store_dword v[68:69], v107 sc0 sc1
.LBB17_2066:                            ;   in Loop: Header=BB17_47 Depth=1
	s_or_b64 exec, exec, s[26:27]
	v_and_b32_e32 v2, 48, v94
	v_cmp_ne_u32_e32 vcc, 0, v2
	s_and_saveexec_b64 s[26:27], vcc
	s_cbranch_execz .LBB17_2068
; %bb.2067:                             ;   in Loop: Header=BB17_47 Depth=1
	v_lshl_add_u64 v[56:57], v[56:57], 0, 4
	flat_store_dwordx2 v[64:65], v[56:57] sc0 sc1
.LBB17_2068:                            ;   in Loop: Header=BB17_47 Depth=1
	s_or_b64 exec, exec, s[26:27]
	v_mov_b32_e32 v2, v62
	s_or_b64 exec, exec, s[92:93]
	s_and_saveexec_b64 s[28:29], s[90:91]
	s_cbranch_execnz .LBB17_951
.LBB17_2069:                            ;   in Loop: Header=BB17_47 Depth=1
	s_or_b64 exec, exec, s[28:29]
	s_and_b64 vcc, exec, s[24:25]
	s_cbranch_vccnz .LBB17_2388
.LBB17_2070:                            ;   in Loop: Header=BB17_47 Depth=1
	s_mov_b32 s44, 1
.LBB17_2071:                            ;   Parent Loop BB17_47 Depth=1
                                        ; =>  This Loop Header: Depth=2
                                        ;       Child Loop BB17_2084 Depth 3
                                        ;       Child Loop BB17_2124 Depth 3
	;; [unrolled: 1-line block ×5, first 2 shown]
                                        ;         Child Loop BB17_2244 Depth 4
                                        ;         Child Loop BB17_2249 Depth 4
                                        ;       Child Loop BB17_2255 Depth 3
                                        ;       Child Loop BB17_2263 Depth 3
	;; [unrolled: 1-line block ×3, first 2 shown]
                                        ;         Child Loop BB17_2275 Depth 4
                                        ;         Child Loop BB17_2280 Depth 4
                                        ;       Child Loop BB17_2284 Depth 3
                                        ;       Child Loop BB17_2296 Depth 3
	;; [unrolled: 1-line block ×10, first 2 shown]
	s_sub_i32 s24, s66, s44
	s_cmp_ge_i32 s24, s64
	s_cselect_b32 s25, s64, 0
	s_sub_i32 s24, s24, s25
	s_ashr_i32 s25, s24, 31
	v_mul_lo_u32 v2, v46, s25
	v_mul_lo_u32 v10, v47, s24
	v_mad_u64_u32 v[8:9], s[24:25], v46, s24, 0
	v_add3_u32 v9, v9, v2, v10
	v_sub_co_u32_e32 v10, vcc, v58, v8
	s_nop 1
	v_subb_co_u32_e32 v11, vcc, v59, v9, vcc
	v_cmp_lt_i64_e32 vcc, v[46:47], v[10:11]
	s_nop 1
	v_cndmask_b32_e32 v2, v10, v46, vcc
	v_max_i32_e32 v90, 0, v2
	v_add_u32_e32 v10, 15, v90
	v_ashrrev_i32_e32 v11, 31, v10
	v_lshrrev_b32_e32 v11, 28, v11
	v_add_u32_e32 v10, v10, v11
	v_cmp_gt_i32_e32 vcc, 1, v2
	v_and_b32_e32 v10, -16, v10
	s_or_b64 s[40:41], s[2:3], vcc
	v_max_i32_e32 v62, s69, v10
	s_xor_b64 s[24:25], s[40:41], -1
	v_mov_b32_e32 v2, 0
	s_and_saveexec_b64 s[42:43], s[24:25]
	s_cbranch_execz .LBB17_2077
; %bb.2072:                             ;   in Loop: Header=BB17_2071 Depth=2
	s_and_saveexec_b64 s[24:25], s[0:1]
	s_cbranch_execz .LBB17_2074
; %bb.2073:                             ;   in Loop: Header=BB17_2071 Depth=2
	s_trap 2
	ds_read_b128 v[10:13], v0
	v_lshl_add_u64 v[8:9], v[8:9], 0, v[60:61]
	v_lshlrev_b64 v[8:9], 1, v[8:9]
	s_waitcnt lgkmcnt(0)
	v_lshl_add_u64 v[10:11], v[10:11], 0, v[8:9]
	v_lshl_add_u64 v[8:9], v[12:13], 0, v[8:9]
	v_cmp_ne_u64_e32 vcc, 0, v[12:13]
	ds_write_b64 v0, v[10:11]
	s_nop 0
	v_cndmask_b32_e32 v9, 0, v9, vcc
	v_cndmask_b32_e32 v8, 0, v8, vcc
	ds_write_b64 v0, v[8:9]
.LBB17_2074:                            ;   in Loop: Header=BB17_2071 Depth=2
	s_or_b64 exec, exec, s[24:25]
	v_and_b32_e32 v2, 12, v94
	v_min_i32_e32 v62, v62, v90
	v_cmp_ne_u32_e32 vcc, 0, v2
	s_and_saveexec_b64 s[26:27], vcc
	s_cbranch_execz .LBB17_2116
; %bb.2075:                             ;   in Loop: Header=BB17_2071 Depth=2
	v_and_b32_e32 v2, 8, v94
	s_waitcnt vmcnt(0) lgkmcnt(0)
	v_lshl_add_u64 v[10:11], v[80:81], 0, v[2:3]
	v_lshl_add_u64 v[8:9], v[56:57], 0, 4
	v_cmp_lt_u64_e32 vcc, v[10:11], v[8:9]
	s_and_saveexec_b64 s[28:29], vcc
	s_cbranch_execz .LBB17_2103
; %bb.2076:                             ;   in Loop: Header=BB17_2071 Depth=2
	v_and_b32_e32 v10, 64, v94
	s_mov_b32 s45, 0
	v_cmp_eq_u32_e32 vcc, 0, v10
	s_mov_b64 s[90:91], 0
                                        ; implicit-def: $sgpr92_sgpr93
                                        ; implicit-def: $sgpr94_sgpr95
                                        ; implicit-def: $sgpr30_sgpr31
	s_branch .LBB17_2084
.LBB17_2077:                            ;   in Loop: Header=BB17_2071 Depth=2
	s_or_b64 exec, exec, s[42:43]
	s_and_saveexec_b64 s[26:27], s[40:41]
	s_cbranch_execz .LBB17_2386
.LBB17_2078:                            ;   in Loop: Header=BB17_2071 Depth=2
	v_sub_u32_e32 v2, v90, v2
	v_min_i32_e32 v8, v62, v2
	v_and_b32_e32 v2, 12, v94
	v_cmp_ne_u32_e32 vcc, 0, v2
	s_and_saveexec_b64 s[28:29], vcc
	s_cbranch_execz .LBB17_2095
; %bb.2079:                             ;   in Loop: Header=BB17_2071 Depth=2
	v_and_b32_e32 v2, 8, v94
	s_waitcnt vmcnt(0) lgkmcnt(0)
	v_lshl_add_u64 v[12:13], v[80:81], 0, v[2:3]
	v_lshl_add_u64 v[10:11], v[56:57], 0, 4
	v_cmp_lt_u64_e32 vcc, v[12:13], v[10:11]
	s_and_saveexec_b64 s[40:41], vcc
	s_cbranch_execz .LBB17_2131
; %bb.2080:                             ;   in Loop: Header=BB17_2071 Depth=2
	v_and_b32_e32 v9, 64, v94
	s_mov_b32 s45, 0
	v_cmp_eq_u32_e32 vcc, 0, v9
	s_mov_b64 s[42:43], 0
                                        ; implicit-def: $sgpr90_sgpr91
                                        ; implicit-def: $sgpr92_sgpr93
                                        ; implicit-def: $sgpr94_sgpr95
	s_branch .LBB17_2091
.LBB17_2081:                            ;   in Loop: Header=BB17_2084 Depth=3
	s_waitcnt vmcnt(0) lgkmcnt(0)
	v_lshl_add_u64 v[12:13], v[80:81], 0, v[2:3]
	v_cmp_ge_u64_e64 s[24:25], v[12:13], v[8:9]
	s_or_b64 s[38:39], s[38:39], exec
	s_orn2_b64 s[36:37], s[24:25], exec
.LBB17_2082:                            ;   in Loop: Header=BB17_2084 Depth=3
	s_or_b64 exec, exec, s[50:51]
	s_andn2_b64 s[24:25], s[30:31], exec
	s_and_b64 s[30:31], s[38:39], exec
	s_or_b64 s[30:31], s[24:25], s[30:31]
	s_andn2_b64 s[24:25], s[94:95], exec
	s_and_b64 s[94:95], s[36:37], exec
	s_or_b64 s[94:95], s[24:25], s[94:95]
.LBB17_2083:                            ;   in Loop: Header=BB17_2084 Depth=3
	s_or_b64 exec, exec, s[34:35]
	s_and_b64 s[24:25], exec, s[94:95]
	s_or_b64 s[90:91], s[24:25], s[90:91]
	s_andn2_b64 s[24:25], s[92:93], exec
	s_and_b64 s[92:93], s[30:31], exec
	s_or_b64 s[92:93], s[24:25], s[92:93]
	s_andn2_b64 exec, exec, s[90:91]
	s_cbranch_execz .LBB17_2100
.LBB17_2084:                            ;   Parent Loop BB17_47 Depth=1
                                        ;     Parent Loop BB17_2071 Depth=2
                                        ; =>    This Inner Loop Header: Depth=3
	s_sleep 1
	s_waitcnt vmcnt(0) lgkmcnt(0)
	flat_load_dwordx2 v[80:81], v[64:65] sc0 sc1
	s_or_b64 s[30:31], s[30:31], exec
	s_or_b64 s[94:95], s[94:95], exec
                                        ; implicit-def: $vgpr10
	s_and_saveexec_b64 s[34:35], vcc
	s_cbranch_execz .LBB17_2083
; %bb.2085:                             ;   in Loop: Header=BB17_2084 Depth=3
	s_cmpk_lt_i32 s45, 0x270f
	s_cselect_b64 s[48:49], -1, 0
	s_cmpk_gt_i32 s45, 0x270e
	s_mov_b64 s[36:37], -1
	s_cbranch_scc0 .LBB17_2087
; %bb.2086:                             ;   in Loop: Header=BB17_2084 Depth=3
	s_trap 2
	ds_read_b64 v[10:11], v0
	s_andn2_b64 s[48:49], s[48:49], exec
	s_mov_b32 s45, 0
	s_mov_b64 s[38:39], 0
	s_waitcnt vmcnt(0) lgkmcnt(0)
	flat_load_dword v10, v[10:11] sc0 sc1
	s_waitcnt vmcnt(0) lgkmcnt(0)
	buffer_inv sc0 sc1
	v_cmp_eq_u32_e64 s[24:25], 0, v10
	s_and_b64 s[24:25], s[24:25], exec
	s_or_b64 s[48:49], s[48:49], s[24:25]
	s_and_saveexec_b64 s[50:51], s[48:49]
	s_cbranch_execz .LBB17_2082
	s_branch .LBB17_2081
.LBB17_2087:                            ;   in Loop: Header=BB17_2084 Depth=3
	s_add_i32 s45, s45, 1
	s_mov_b64 s[38:39], -1
                                        ; implicit-def: $vgpr10
	s_and_saveexec_b64 s[50:51], s[48:49]
	s_cbranch_execz .LBB17_2082
	s_branch .LBB17_2081
.LBB17_2088:                            ;   in Loop: Header=BB17_2091 Depth=3
	s_waitcnt vmcnt(0) lgkmcnt(0)
	v_lshl_add_u64 v[12:13], v[80:81], 0, v[2:3]
	v_cmp_ge_u64_e64 s[24:25], v[12:13], v[10:11]
	s_or_b64 s[36:37], s[36:37], exec
	s_orn2_b64 s[34:35], s[24:25], exec
.LBB17_2089:                            ;   in Loop: Header=BB17_2091 Depth=3
	s_or_b64 exec, exec, s[48:49]
	s_andn2_b64 s[24:25], s[94:95], exec
	s_and_b64 s[94:95], s[36:37], exec
	s_or_b64 s[94:95], s[24:25], s[94:95]
	s_andn2_b64 s[24:25], s[92:93], exec
	s_and_b64 s[92:93], s[34:35], exec
	s_or_b64 s[92:93], s[24:25], s[92:93]
.LBB17_2090:                            ;   in Loop: Header=BB17_2091 Depth=3
	s_or_b64 exec, exec, s[30:31]
	s_and_b64 s[24:25], exec, s[92:93]
	s_or_b64 s[42:43], s[24:25], s[42:43]
	s_andn2_b64 s[24:25], s[90:91], exec
	s_and_b64 s[90:91], s[94:95], exec
	s_or_b64 s[90:91], s[24:25], s[90:91]
	s_andn2_b64 exec, exec, s[42:43]
	s_cbranch_execz .LBB17_2128
.LBB17_2091:                            ;   Parent Loop BB17_47 Depth=1
                                        ;     Parent Loop BB17_2071 Depth=2
                                        ; =>    This Inner Loop Header: Depth=3
	s_sleep 1
	s_waitcnt vmcnt(0) lgkmcnt(0)
	flat_load_dwordx2 v[80:81], v[64:65] sc0 sc1
	s_or_b64 s[94:95], s[94:95], exec
	s_or_b64 s[92:93], s[92:93], exec
                                        ; implicit-def: $vgpr9
	s_and_saveexec_b64 s[30:31], vcc
	s_cbranch_execz .LBB17_2090
; %bb.2092:                             ;   in Loop: Header=BB17_2091 Depth=3
	s_cmpk_lt_i32 s45, 0x270f
	s_cselect_b64 s[38:39], -1, 0
	s_cmpk_gt_i32 s45, 0x270e
	s_mov_b64 s[34:35], -1
	s_cbranch_scc0 .LBB17_2094
; %bb.2093:                             ;   in Loop: Header=BB17_2091 Depth=3
	s_trap 2
	ds_read_b64 v[12:13], v0
	s_andn2_b64 s[38:39], s[38:39], exec
	s_mov_b32 s45, 0
	s_mov_b64 s[36:37], 0
	s_waitcnt vmcnt(0) lgkmcnt(0)
	flat_load_dword v9, v[12:13] sc0 sc1
	s_waitcnt vmcnt(0) lgkmcnt(0)
	buffer_inv sc0 sc1
	v_cmp_eq_u32_e64 s[24:25], 0, v9
	s_and_b64 s[24:25], s[24:25], exec
	s_or_b64 s[38:39], s[38:39], s[24:25]
	s_and_saveexec_b64 s[48:49], s[38:39]
	s_cbranch_execz .LBB17_2089
	s_branch .LBB17_2088
.LBB17_2094:                            ;   in Loop: Header=BB17_2091 Depth=3
	s_add_i32 s45, s45, 1
	s_mov_b64 s[36:37], -1
                                        ; implicit-def: $vgpr9
	s_and_saveexec_b64 s[48:49], s[38:39]
	s_cbranch_execz .LBB17_2089
	s_branch .LBB17_2088
.LBB17_2095:                            ;   in Loop: Header=BB17_2071 Depth=2
	s_or_b64 exec, exec, s[28:29]
	s_and_saveexec_b64 s[24:25], s[6:7]
	s_cbranch_execnz .LBB17_2144
.LBB17_2096:                            ;   in Loop: Header=BB17_2071 Depth=2
	s_or_b64 exec, exec, s[24:25]
                                        ; implicit-def: $vgpr2
	s_and_saveexec_b64 s[24:25], s[22:23]
	s_xor_b64 s[24:25], exec, s[24:25]
	s_cbranch_execz .LBB17_2181
.LBB17_2097:                            ;   in Loop: Header=BB17_2071 Depth=2
	s_trap 2
	ds_read_b32 v9, v0
	v_cmp_lt_i32_e32 vcc, 0, v8
	v_and_b32_e32 v8, 16, v94
	v_and_b32_e32 v2, 16, v94
	s_waitcnt lgkmcnt(0)
	v_readfirstlane_b32 s28, v9
	s_cmp_eq_u32 s28, 0
	s_cselect_b64 s[28:29], -1, 0
	s_and_b64 s[28:29], vcc, s[28:29]
	v_cmp_ne_u32_e32 vcc, 0, v8
	s_and_b64 s[40:41], vcc, s[28:29]
	s_and_saveexec_b64 s[28:29], s[40:41]
	s_cbranch_execz .LBB17_2099
; %bb.2098:                             ;   in Loop: Header=BB17_2071 Depth=2
	v_mov_b32_e32 v2, 1
	buffer_wbl2 sc1
	s_waitcnt vmcnt(0)
	buffer_inv sc1
.LBB17_2099:                            ;   in Loop: Header=BB17_2071 Depth=2
	s_or_b64 exec, exec, s[28:29]
	s_andn2_saveexec_b64 s[24:25], s[24:25]
	s_cbranch_execz .LBB17_2230
	s_branch .LBB17_2182
.LBB17_2100:                            ;   in Loop: Header=BB17_2071 Depth=2
	s_or_b64 exec, exec, s[90:91]
	s_xor_b64 s[24:25], s[92:93], -1
	s_and_saveexec_b64 s[90:91], s[24:25]
	s_xor_b64 s[24:25], exec, s[90:91]
	s_cbranch_execz .LBB17_2102
; %bb.2101:                             ;   in Loop: Header=BB17_2071 Depth=2
	v_or_b32_e32 v94, 64, v94
	s_waitcnt lgkmcnt(0)
	ds_write_b32 v0, v10
	s_trap 2
.LBB17_2102:                            ;   in Loop: Header=BB17_2071 Depth=2
	s_or_b64 exec, exec, s[24:25]
.LBB17_2103:                            ;   in Loop: Header=BB17_2071 Depth=2
	s_or_b64 exec, exec, s[28:29]
	v_and_b32_e32 v10, 0x108, v94
	v_cmp_ne_u32_e32 vcc, s87, v10
	;;#ASMSTART
	s_wakeup
	;;#ASMEND
                                        ; implicit-def: $vgpr10_vgpr11
	s_and_saveexec_b64 s[24:25], vcc
	s_xor_b64 s[24:25], exec, s[24:25]
; %bb.2104:                             ;   in Loop: Header=BB17_2071 Depth=2
	v_and_b32_e32 v10, 7, v56
	v_mov_b32_e32 v11, v3
                                        ; implicit-def: $vgpr56_vgpr57
; %bb.2105:                             ;   in Loop: Header=BB17_2071 Depth=2
	s_andn2_saveexec_b64 s[24:25], s[24:25]
	s_cbranch_execz .LBB17_2107
; %bb.2106:                             ;   in Loop: Header=BB17_2071 Depth=2
	v_and_b32_e32 v10, 7, v56
	v_ashrrev_i32_e32 v63, 31, v62
	v_mov_b32_e32 v11, v3
	v_mad_u64_u32 v[12:13], s[28:29], v10, 24, v[6:7]
	v_lshlrev_b64 v[14:15], 1, v[62:63]
	flat_store_dwordx2 v[12:13], v[14:15] offset:8
.LBB17_2107:                            ;   in Loop: Header=BB17_2071 Depth=2
	s_or_b64 exec, exec, s[24:25]
	v_and_b32_e32 v12, 0x100, v94
	v_cmp_ne_u32_e32 vcc, 0, v12
	s_mov_b64 s[24:25], -1
                                        ; implicit-def: $vgpr12_vgpr13
	s_and_saveexec_b64 s[28:29], vcc
	s_cbranch_execz .LBB17_2111
; %bb.2108:                             ;   in Loop: Header=BB17_2071 Depth=2
	v_mad_u64_u32 v[14:15], s[24:25], v10, 24, v[6:7]
	v_mov_b32_e32 v12, v15
	v_mad_u64_u32 v[12:13], s[24:25], v11, 24, v[12:13]
	v_mov_b32_e32 v15, v12
	flat_load_dword v12, v[14:15]
	s_waitcnt vmcnt(0) lgkmcnt(0)
	v_cmp_ne_u32_e32 vcc, 1, v12
	v_cmp_eq_u32_e64 s[24:25], 1, v12
                                        ; implicit-def: $vgpr12_vgpr13
	s_and_saveexec_b64 s[90:91], s[24:25]
	s_cbranch_execz .LBB17_2110
; %bb.2109:                             ;   in Loop: Header=BB17_2071 Depth=2
	flat_load_dword v12, v[14:15] offset:4 sc0 sc1
	s_waitcnt vmcnt(0) lgkmcnt(0)
	v_ashrrev_i32_e32 v13, 31, v12
	v_lshrrev_b64 v[12:13], 1, v[12:13]
.LBB17_2110:                            ;   in Loop: Header=BB17_2071 Depth=2
	s_or_b64 exec, exec, s[90:91]
	s_orn2_b64 s[24:25], vcc, exec
.LBB17_2111:                            ;   in Loop: Header=BB17_2071 Depth=2
	s_or_b64 exec, exec, s[28:29]
	s_and_saveexec_b64 s[28:29], s[24:25]
; %bb.2112:                             ;   in Loop: Header=BB17_2071 Depth=2
	v_mul_lo_u32 v11, v11, v30
	v_mul_lo_u32 v14, v10, v83
	v_mad_u64_u32 v[12:13], s[24:25], v10, v30, 0
	v_add3_u32 v13, v13, v14, v11
; %bb.2113:                             ;   in Loop: Header=BB17_2071 Depth=2
	s_or_b64 exec, exec, s[28:29]
	v_cmp_eq_u32_e32 vcc, 0, v2
	v_lshl_add_u64 v[10:11], v[12:13], 1, v[66:67]
	s_nop 0
	v_cndmask_b32_e32 v2, v121, v122, vcc
	v_add_u32_e32 v2, v0, v2
	ds_write_b64 v2, v[10:11] offset:584
	v_and_b32_e32 v2, 0x2000, v94
	v_cmp_ne_u32_e32 vcc, 0, v2
	s_and_saveexec_b64 s[24:25], vcc
	s_cbranch_execz .LBB17_2115
; %bb.2114:                             ;   in Loop: Header=BB17_2071 Depth=2
	ds_read_b64 v[10:11], v0 offset:872
	s_waitcnt lgkmcnt(0)
	v_lshl_add_u64 v[10:11], v[10:11], 0, 1
	ds_write_b64 v0, v[10:11] offset:872
.LBB17_2115:                            ;   in Loop: Header=BB17_2071 Depth=2
	s_or_b64 exec, exec, s[24:25]
	v_mov_b64_e32 v[56:57], v[8:9]
.LBB17_2116:                            ;   in Loop: Header=BB17_2071 Depth=2
	s_or_b64 exec, exec, s[26:27]
	s_and_saveexec_b64 s[24:25], s[6:7]
	s_cbranch_execz .LBB17_2162
; %bb.2117:                             ;   in Loop: Header=BB17_2071 Depth=2
	s_and_saveexec_b64 s[26:27], s[56:57]
	s_xor_b64 s[26:27], exec, s[26:27]
	s_cbranch_execz .LBB17_2159
; %bb.2118:                             ;   in Loop: Header=BB17_2071 Depth=2
	s_and_saveexec_b64 s[28:29], s[14:15]
	s_cbranch_execz .LBB17_2158
; %bb.2119:                             ;   in Loop: Header=BB17_2071 Depth=2
	s_mov_b64 s[92:93], exec
	v_mbcnt_lo_u32_b32 v2, s92, 0
	v_mbcnt_hi_u32_b32 v2, s93, v2
	v_cmp_eq_u32_e32 vcc, 0, v2
	s_waitcnt lgkmcnt(0)
	s_and_saveexec_b64 s[90:91], vcc
	s_cbranch_execz .LBB17_2121
; %bb.2120:                             ;   in Loop: Header=BB17_2071 Depth=2
	s_bcnt1_i32_b64 s45, s[92:93]
	v_mov_b32_e32 v2, s45
	ds_add_u64 v0, v[2:3]
	s_trap 2
.LBB17_2121:                            ;   in Loop: Header=BB17_2071 Depth=2
	s_or_b64 exec, exec, s[90:91]
	s_trap 2
	ds_read_b64 v[8:9], v0
	s_waitcnt lgkmcnt(0)
	v_lshl_add_u64 v[70:71], v[70:71], 0, v[84:85]
	v_cmp_lt_u64_e32 vcc, v[8:9], v[70:71]
	s_and_saveexec_b64 s[90:91], vcc
	s_cbranch_execz .LBB17_2157
; %bb.2122:                             ;   in Loop: Header=BB17_2071 Depth=2
	s_mov_b32 s45, 0
	s_mov_b64 s[92:93], 0
                                        ; implicit-def: $sgpr94_sgpr95
                                        ; implicit-def: $sgpr30_sgpr31
	s_branch .LBB17_2124
.LBB17_2123:                            ;   in Loop: Header=BB17_2124 Depth=3
	s_or_b64 exec, exec, s[36:37]
	s_and_b64 vcc, exec, vcc
	s_or_b64 s[92:93], vcc, s[92:93]
	s_andn2_b64 s[94:95], s[94:95], exec
	s_and_b64 vcc, s[30:31], exec
	s_or_b64 s[94:95], s[94:95], vcc
	s_andn2_b64 exec, exec, s[92:93]
	s_cbranch_execz .LBB17_2155
.LBB17_2124:                            ;   Parent Loop BB17_47 Depth=1
                                        ;     Parent Loop BB17_2071 Depth=2
                                        ; =>    This Inner Loop Header: Depth=3
	s_add_i32 s45, s45, 1
	s_cmpk_lg_i32 s45, 0x2710
	s_cselect_b64 s[34:35], -1, 0
	s_and_b64 vcc, exec, s[34:35]
	s_cbranch_vccz .LBB17_2126
; %bb.2125:                             ;   in Loop: Header=BB17_2124 Depth=3
	s_mov_b64 vcc, -1
	s_or_b64 s[30:31], s[30:31], exec
	s_and_saveexec_b64 s[36:37], s[34:35]
	s_cbranch_execz .LBB17_2123
	s_branch .LBB17_2127
.LBB17_2126:                            ;   in Loop: Header=BB17_2124 Depth=3
	s_trap 2
	ds_read_b64 v[8:9], v0
	s_andn2_b64 s[34:35], s[34:35], exec
	s_mov_b32 s45, 0
	s_waitcnt vmcnt(0) lgkmcnt(0)
	flat_load_dword v2, v[8:9] sc0 sc1
	s_waitcnt vmcnt(0) lgkmcnt(0)
	buffer_inv sc0 sc1
	v_cmp_eq_u32_e32 vcc, 0, v2
	s_and_b64 vcc, vcc, exec
	s_or_b64 s[34:35], s[34:35], vcc
	s_mov_b64 vcc, -1
	s_or_b64 s[30:31], s[30:31], exec
	s_and_saveexec_b64 s[36:37], s[34:35]
	s_cbranch_execz .LBB17_2123
.LBB17_2127:                            ;   in Loop: Header=BB17_2124 Depth=3
	s_sleep 1
	s_trap 2
	ds_read_b64 v[8:9], v0
	s_waitcnt lgkmcnt(0)
	s_andn2_b64 s[30:31], s[30:31], exec
	v_cmp_ge_u64_e32 vcc, v[8:9], v[70:71]
	s_orn2_b64 vcc, vcc, exec
	s_branch .LBB17_2123
.LBB17_2128:                            ;   in Loop: Header=BB17_2071 Depth=2
	s_or_b64 exec, exec, s[42:43]
	s_xor_b64 s[24:25], s[90:91], -1
	s_and_saveexec_b64 s[42:43], s[24:25]
	s_xor_b64 s[24:25], exec, s[42:43]
	s_cbranch_execz .LBB17_2130
; %bb.2129:                             ;   in Loop: Header=BB17_2071 Depth=2
	v_or_b32_e32 v94, 64, v94
	s_waitcnt lgkmcnt(0)
	ds_write_b32 v0, v9
	s_trap 2
.LBB17_2130:                            ;   in Loop: Header=BB17_2071 Depth=2
	s_or_b64 exec, exec, s[24:25]
.LBB17_2131:                            ;   in Loop: Header=BB17_2071 Depth=2
	s_or_b64 exec, exec, s[40:41]
	v_and_b32_e32 v9, 0x108, v94
	v_cmp_ne_u32_e32 vcc, s87, v9
	;;#ASMSTART
	s_wakeup
	;;#ASMEND
                                        ; implicit-def: $vgpr12_vgpr13
	s_and_saveexec_b64 s[24:25], vcc
	s_xor_b64 s[24:25], exec, s[24:25]
; %bb.2132:                             ;   in Loop: Header=BB17_2071 Depth=2
	v_and_b32_e32 v12, 7, v56
	v_mov_b32_e32 v13, v3
                                        ; implicit-def: $vgpr56_vgpr57
; %bb.2133:                             ;   in Loop: Header=BB17_2071 Depth=2
	s_andn2_saveexec_b64 s[24:25], s[24:25]
	s_cbranch_execz .LBB17_2135
; %bb.2134:                             ;   in Loop: Header=BB17_2071 Depth=2
	v_and_b32_e32 v12, 7, v56
	v_ashrrev_i32_e32 v9, 31, v8
	v_mov_b32_e32 v13, v3
	v_mad_u64_u32 v[14:15], s[40:41], v12, 24, v[6:7]
	v_lshlrev_b64 v[16:17], 1, v[8:9]
	flat_store_dwordx2 v[14:15], v[16:17] offset:8
.LBB17_2135:                            ;   in Loop: Header=BB17_2071 Depth=2
	s_or_b64 exec, exec, s[24:25]
	v_and_b32_e32 v9, 0x100, v94
	v_cmp_ne_u32_e32 vcc, 0, v9
	s_mov_b64 s[24:25], -1
                                        ; implicit-def: $vgpr14_vgpr15
	s_and_saveexec_b64 s[40:41], vcc
	s_cbranch_execz .LBB17_2139
; %bb.2136:                             ;   in Loop: Header=BB17_2071 Depth=2
	v_mad_u64_u32 v[16:17], s[24:25], v12, 24, v[6:7]
	v_mov_b32_e32 v14, v17
	v_mad_u64_u32 v[14:15], s[24:25], v13, 24, v[14:15]
	v_mov_b32_e32 v17, v14
	flat_load_dword v9, v[16:17]
                                        ; implicit-def: $vgpr14_vgpr15
	s_waitcnt vmcnt(0) lgkmcnt(0)
	v_cmp_ne_u32_e32 vcc, 1, v9
	v_cmp_eq_u32_e64 s[24:25], 1, v9
	s_and_saveexec_b64 s[42:43], s[24:25]
	s_cbranch_execz .LBB17_2138
; %bb.2137:                             ;   in Loop: Header=BB17_2071 Depth=2
	flat_load_dword v14, v[16:17] offset:4 sc0 sc1
	s_waitcnt vmcnt(0) lgkmcnt(0)
	v_ashrrev_i32_e32 v15, 31, v14
	v_lshrrev_b64 v[14:15], 1, v[14:15]
.LBB17_2138:                            ;   in Loop: Header=BB17_2071 Depth=2
	s_or_b64 exec, exec, s[42:43]
	s_orn2_b64 s[24:25], vcc, exec
.LBB17_2139:                            ;   in Loop: Header=BB17_2071 Depth=2
	s_or_b64 exec, exec, s[40:41]
	s_and_saveexec_b64 s[40:41], s[24:25]
; %bb.2140:                             ;   in Loop: Header=BB17_2071 Depth=2
	v_mul_lo_u32 v9, v13, v30
	v_mul_lo_u32 v13, v12, v83
	v_mad_u64_u32 v[14:15], s[24:25], v12, v30, 0
	v_add3_u32 v15, v15, v13, v9
; %bb.2141:                             ;   in Loop: Header=BB17_2071 Depth=2
	s_or_b64 exec, exec, s[40:41]
	v_cmp_eq_u32_e32 vcc, 0, v2
	v_lshl_add_u64 v[12:13], v[14:15], 1, v[66:67]
	s_nop 0
	v_cndmask_b32_e32 v2, v121, v122, vcc
	v_add_u32_e32 v2, v0, v2
	ds_write_b64 v2, v[12:13] offset:584
	v_and_b32_e32 v2, 0x2000, v94
	v_cmp_ne_u32_e32 vcc, 0, v2
	s_and_saveexec_b64 s[24:25], vcc
	s_cbranch_execz .LBB17_2143
; %bb.2142:                             ;   in Loop: Header=BB17_2071 Depth=2
	ds_read_b64 v[12:13], v0 offset:872
	s_waitcnt lgkmcnt(0)
	v_lshl_add_u64 v[12:13], v[12:13], 0, 1
	ds_write_b64 v0, v[12:13] offset:872
.LBB17_2143:                            ;   in Loop: Header=BB17_2071 Depth=2
	s_or_b64 exec, exec, s[24:25]
	v_mov_b64_e32 v[56:57], v[10:11]
	s_or_b64 exec, exec, s[28:29]
	s_and_saveexec_b64 s[24:25], s[6:7]
	s_cbranch_execz .LBB17_2096
.LBB17_2144:                            ;   in Loop: Header=BB17_2071 Depth=2
	s_and_saveexec_b64 s[28:29], s[56:57]
	s_xor_b64 s[28:29], exec, s[28:29]
	s_cbranch_execz .LBB17_2178
; %bb.2145:                             ;   in Loop: Header=BB17_2071 Depth=2
	s_and_saveexec_b64 s[40:41], s[14:15]
	s_cbranch_execz .LBB17_2177
; %bb.2146:                             ;   in Loop: Header=BB17_2071 Depth=2
	s_mov_b64 s[90:91], exec
	v_mbcnt_lo_u32_b32 v2, s90, 0
	v_mbcnt_hi_u32_b32 v2, s91, v2
	v_cmp_eq_u32_e32 vcc, 0, v2
	s_waitcnt lgkmcnt(0)
	s_and_saveexec_b64 s[42:43], vcc
	s_cbranch_execz .LBB17_2148
; %bb.2147:                             ;   in Loop: Header=BB17_2071 Depth=2
	s_bcnt1_i32_b64 s45, s[90:91]
	v_mov_b32_e32 v2, s45
	ds_add_u64 v0, v[2:3]
	s_trap 2
.LBB17_2148:                            ;   in Loop: Header=BB17_2071 Depth=2
	s_or_b64 exec, exec, s[42:43]
	s_trap 2
	ds_read_b64 v[10:11], v0
	s_waitcnt lgkmcnt(0)
	v_lshl_add_u64 v[70:71], v[70:71], 0, v[84:85]
	v_cmp_lt_u64_e32 vcc, v[10:11], v[70:71]
	s_and_saveexec_b64 s[42:43], vcc
	s_cbranch_execz .LBB17_2176
; %bb.2149:                             ;   in Loop: Header=BB17_2071 Depth=2
	s_mov_b32 s45, 0
	s_mov_b64 s[90:91], 0
                                        ; implicit-def: $sgpr92_sgpr93
                                        ; implicit-def: $sgpr94_sgpr95
	s_branch .LBB17_2151
.LBB17_2150:                            ;   in Loop: Header=BB17_2151 Depth=3
	s_or_b64 exec, exec, s[34:35]
	s_and_b64 vcc, exec, vcc
	s_or_b64 s[90:91], vcc, s[90:91]
	s_andn2_b64 s[92:93], s[92:93], exec
	s_and_b64 vcc, s[94:95], exec
	s_or_b64 s[92:93], s[92:93], vcc
	s_andn2_b64 exec, exec, s[90:91]
	s_cbranch_execz .LBB17_2174
.LBB17_2151:                            ;   Parent Loop BB17_47 Depth=1
                                        ;     Parent Loop BB17_2071 Depth=2
                                        ; =>    This Inner Loop Header: Depth=3
	s_add_i32 s45, s45, 1
	s_cmpk_lg_i32 s45, 0x2710
	s_cselect_b64 s[30:31], -1, 0
	s_and_b64 vcc, exec, s[30:31]
	s_cbranch_vccz .LBB17_2153
; %bb.2152:                             ;   in Loop: Header=BB17_2151 Depth=3
	s_mov_b64 vcc, -1
	s_or_b64 s[94:95], s[94:95], exec
	s_and_saveexec_b64 s[34:35], s[30:31]
	s_cbranch_execz .LBB17_2150
	s_branch .LBB17_2154
.LBB17_2153:                            ;   in Loop: Header=BB17_2151 Depth=3
	s_trap 2
	ds_read_b64 v[10:11], v0
	s_andn2_b64 s[30:31], s[30:31], exec
	s_mov_b32 s45, 0
	s_waitcnt vmcnt(0) lgkmcnt(0)
	flat_load_dword v2, v[10:11] sc0 sc1
	s_waitcnt vmcnt(0) lgkmcnt(0)
	buffer_inv sc0 sc1
	v_cmp_eq_u32_e32 vcc, 0, v2
	s_and_b64 vcc, vcc, exec
	s_or_b64 s[30:31], s[30:31], vcc
	s_mov_b64 vcc, -1
	s_or_b64 s[94:95], s[94:95], exec
	s_and_saveexec_b64 s[34:35], s[30:31]
	s_cbranch_execz .LBB17_2150
.LBB17_2154:                            ;   in Loop: Header=BB17_2151 Depth=3
	s_sleep 1
	s_trap 2
	ds_read_b64 v[10:11], v0
	s_waitcnt lgkmcnt(0)
	s_andn2_b64 s[94:95], s[94:95], exec
	v_cmp_ge_u64_e32 vcc, v[10:11], v[70:71]
	s_orn2_b64 vcc, vcc, exec
	s_branch .LBB17_2150
.LBB17_2155:                            ;   in Loop: Header=BB17_2071 Depth=2
	s_or_b64 exec, exec, s[92:93]
	s_and_saveexec_b64 s[92:93], s[94:95]
	s_xor_b64 s[92:93], exec, s[92:93]
	s_cbranch_execz .LBB17_2157
; %bb.2156:                             ;   in Loop: Header=BB17_2071 Depth=2
	ds_write_b32 v0, v107
	s_trap 2
.LBB17_2157:                            ;   in Loop: Header=BB17_2071 Depth=2
	s_or_b64 exec, exec, s[90:91]
	;;#ASMSTART
	s_wakeup
	;;#ASMEND
.LBB17_2158:                            ;   in Loop: Header=BB17_2071 Depth=2
	s_or_b64 exec, exec, s[28:29]
.LBB17_2159:                            ;   in Loop: Header=BB17_2071 Depth=2
	s_andn2_saveexec_b64 s[26:27], s[26:27]
	s_cbranch_execz .LBB17_2161
; %bb.2160:                             ;   in Loop: Header=BB17_2071 Depth=2
	s_waitcnt lgkmcnt(0)
	s_barrier
.LBB17_2161:                            ;   in Loop: Header=BB17_2071 Depth=2
	s_or_b64 exec, exec, s[26:27]
.LBB17_2162:                            ;   in Loop: Header=BB17_2071 Depth=2
	s_or_b64 exec, exec, s[24:25]
	s_trap 2
	ds_read_b32 v8, v0
	v_and_b32_e32 v2, 0x4000, v94
	v_cmp_ne_u32_e32 vcc, 0, v2
	s_xor_b64 s[24:25], s[4:5], -1
	s_and_b64 s[26:27], s[24:25], vcc
	s_and_saveexec_b64 s[24:25], s[26:27]
	s_cbranch_execz .LBB17_2200
; %bb.2163:                             ;   in Loop: Header=BB17_2071 Depth=2
	s_and_saveexec_b64 s[26:27], s[56:57]
	s_xor_b64 s[26:27], exec, s[26:27]
	s_cbranch_execz .LBB17_2197
; %bb.2164:                             ;   in Loop: Header=BB17_2071 Depth=2
	s_and_saveexec_b64 s[28:29], s[14:15]
	s_cbranch_execz .LBB17_2196
; %bb.2165:                             ;   in Loop: Header=BB17_2071 Depth=2
	s_mov_b64 s[92:93], exec
	v_mbcnt_lo_u32_b32 v2, s92, 0
	v_mbcnt_hi_u32_b32 v2, s93, v2
	v_cmp_eq_u32_e32 vcc, 0, v2
	s_waitcnt lgkmcnt(0)
	s_and_saveexec_b64 s[90:91], vcc
	s_cbranch_execz .LBB17_2167
; %bb.2166:                             ;   in Loop: Header=BB17_2071 Depth=2
	s_bcnt1_i32_b64 s45, s[92:93]
	v_mov_b32_e32 v2, s45
	ds_add_u64 v0, v[2:3]
	s_trap 2
.LBB17_2167:                            ;   in Loop: Header=BB17_2071 Depth=2
	s_or_b64 exec, exec, s[90:91]
	s_trap 2
	ds_read_b64 v[10:11], v0
	s_waitcnt lgkmcnt(0)
	v_lshl_add_u64 v[70:71], v[70:71], 0, v[84:85]
	v_cmp_lt_u64_e32 vcc, v[10:11], v[70:71]
	s_and_saveexec_b64 s[90:91], vcc
	s_cbranch_execz .LBB17_2195
; %bb.2168:                             ;   in Loop: Header=BB17_2071 Depth=2
	s_mov_b32 s45, 0
	s_mov_b64 s[92:93], 0
                                        ; implicit-def: $sgpr94_sgpr95
                                        ; implicit-def: $sgpr30_sgpr31
	s_branch .LBB17_2170
.LBB17_2169:                            ;   in Loop: Header=BB17_2170 Depth=3
	s_or_b64 exec, exec, s[36:37]
	s_and_b64 vcc, exec, vcc
	s_or_b64 s[92:93], vcc, s[92:93]
	s_andn2_b64 s[94:95], s[94:95], exec
	s_and_b64 vcc, s[30:31], exec
	s_or_b64 s[94:95], s[94:95], vcc
	s_andn2_b64 exec, exec, s[92:93]
	s_cbranch_execz .LBB17_2193
.LBB17_2170:                            ;   Parent Loop BB17_47 Depth=1
                                        ;     Parent Loop BB17_2071 Depth=2
                                        ; =>    This Inner Loop Header: Depth=3
	s_add_i32 s45, s45, 1
	s_cmpk_lg_i32 s45, 0x2710
	s_cselect_b64 s[34:35], -1, 0
	s_and_b64 vcc, exec, s[34:35]
	s_cbranch_vccz .LBB17_2172
; %bb.2171:                             ;   in Loop: Header=BB17_2170 Depth=3
	s_mov_b64 vcc, -1
	s_or_b64 s[30:31], s[30:31], exec
	s_and_saveexec_b64 s[36:37], s[34:35]
	s_cbranch_execz .LBB17_2169
	s_branch .LBB17_2173
.LBB17_2172:                            ;   in Loop: Header=BB17_2170 Depth=3
	s_trap 2
	ds_read_b64 v[10:11], v0
	s_andn2_b64 s[34:35], s[34:35], exec
	s_mov_b32 s45, 0
	s_waitcnt vmcnt(0) lgkmcnt(0)
	flat_load_dword v2, v[10:11] sc0 sc1
	s_waitcnt vmcnt(0) lgkmcnt(0)
	buffer_inv sc0 sc1
	v_cmp_eq_u32_e32 vcc, 0, v2
	s_and_b64 vcc, vcc, exec
	s_or_b64 s[34:35], s[34:35], vcc
	s_mov_b64 vcc, -1
	s_or_b64 s[30:31], s[30:31], exec
	s_and_saveexec_b64 s[36:37], s[34:35]
	s_cbranch_execz .LBB17_2169
.LBB17_2173:                            ;   in Loop: Header=BB17_2170 Depth=3
	s_sleep 1
	s_trap 2
	ds_read_b64 v[10:11], v0
	s_waitcnt lgkmcnt(0)
	s_andn2_b64 s[30:31], s[30:31], exec
	v_cmp_ge_u64_e32 vcc, v[10:11], v[70:71]
	s_orn2_b64 vcc, vcc, exec
	s_branch .LBB17_2169
.LBB17_2174:                            ;   in Loop: Header=BB17_2071 Depth=2
	s_or_b64 exec, exec, s[90:91]
	s_and_saveexec_b64 s[90:91], s[92:93]
	s_xor_b64 s[90:91], exec, s[90:91]
	s_cbranch_execz .LBB17_2176
; %bb.2175:                             ;   in Loop: Header=BB17_2071 Depth=2
	ds_write_b32 v0, v107
	s_trap 2
.LBB17_2176:                            ;   in Loop: Header=BB17_2071 Depth=2
	s_or_b64 exec, exec, s[42:43]
	;;#ASMSTART
	s_wakeup
	;;#ASMEND
.LBB17_2177:                            ;   in Loop: Header=BB17_2071 Depth=2
	s_or_b64 exec, exec, s[40:41]
.LBB17_2178:                            ;   in Loop: Header=BB17_2071 Depth=2
	s_andn2_saveexec_b64 s[28:29], s[28:29]
	s_cbranch_execz .LBB17_2180
; %bb.2179:                             ;   in Loop: Header=BB17_2071 Depth=2
	s_waitcnt lgkmcnt(0)
	s_barrier
.LBB17_2180:                            ;   in Loop: Header=BB17_2071 Depth=2
	s_or_b64 exec, exec, s[28:29]
	s_or_b64 exec, exec, s[24:25]
                                        ; implicit-def: $vgpr2
	s_and_saveexec_b64 s[24:25], s[22:23]
	s_xor_b64 s[24:25], exec, s[24:25]
	s_cbranch_execnz .LBB17_2097
.LBB17_2181:                            ;   in Loop: Header=BB17_2071 Depth=2
	s_andn2_saveexec_b64 s[24:25], s[24:25]
	s_cbranch_execz .LBB17_2230
.LBB17_2182:                            ;   in Loop: Header=BB17_2071 Depth=2
	s_and_saveexec_b64 s[28:29], s[56:57]
	s_xor_b64 s[28:29], exec, s[28:29]
	s_cbranch_execz .LBB17_2227
; %bb.2183:                             ;   in Loop: Header=BB17_2071 Depth=2
	s_and_saveexec_b64 s[40:41], s[14:15]
	s_cbranch_execz .LBB17_2226
; %bb.2184:                             ;   in Loop: Header=BB17_2071 Depth=2
	s_mov_b64 s[90:91], exec
	v_mbcnt_lo_u32_b32 v2, s90, 0
	v_mbcnt_hi_u32_b32 v2, s91, v2
	v_cmp_eq_u32_e32 vcc, 0, v2
	;;#ASMSTART
	s_waitcnt lgkmcnt(0) vmcnt(0)
	;;#ASMEND
	s_and_saveexec_b64 s[42:43], vcc
	s_cbranch_execz .LBB17_2186
; %bb.2185:                             ;   in Loop: Header=BB17_2071 Depth=2
	s_bcnt1_i32_b64 s45, s[90:91]
	v_mov_b32_e32 v2, s45
	s_waitcnt lgkmcnt(0)
	ds_add_u64 v0, v[2:3]
	s_trap 2
.LBB17_2186:                            ;   in Loop: Header=BB17_2071 Depth=2
	s_or_b64 exec, exec, s[42:43]
	s_trap 2
	ds_read_b64 v[8:9], v0
	s_waitcnt lgkmcnt(0)
	v_lshl_add_u64 v[70:71], v[70:71], 0, v[84:85]
	v_cmp_lt_u64_e32 vcc, v[8:9], v[70:71]
	s_and_saveexec_b64 s[42:43], vcc
	s_cbranch_execz .LBB17_2225
; %bb.2187:                             ;   in Loop: Header=BB17_2071 Depth=2
	s_mov_b32 s45, 0
	s_mov_b64 s[90:91], 0
                                        ; implicit-def: $sgpr92_sgpr93
                                        ; implicit-def: $sgpr94_sgpr95
	s_branch .LBB17_2189
.LBB17_2188:                            ;   in Loop: Header=BB17_2189 Depth=3
	s_or_b64 exec, exec, s[34:35]
	s_and_b64 vcc, exec, vcc
	s_or_b64 s[90:91], vcc, s[90:91]
	s_andn2_b64 s[92:93], s[92:93], exec
	s_and_b64 vcc, s[94:95], exec
	s_or_b64 s[92:93], s[92:93], vcc
	s_andn2_b64 exec, exec, s[90:91]
	s_cbranch_execz .LBB17_2223
.LBB17_2189:                            ;   Parent Loop BB17_47 Depth=1
                                        ;     Parent Loop BB17_2071 Depth=2
                                        ; =>    This Inner Loop Header: Depth=3
	s_add_i32 s45, s45, 1
	s_cmpk_lg_i32 s45, 0x2710
	s_cselect_b64 s[30:31], -1, 0
	s_and_b64 vcc, exec, s[30:31]
	s_cbranch_vccz .LBB17_2191
; %bb.2190:                             ;   in Loop: Header=BB17_2189 Depth=3
	s_mov_b64 vcc, -1
	s_or_b64 s[94:95], s[94:95], exec
	s_and_saveexec_b64 s[34:35], s[30:31]
	s_cbranch_execz .LBB17_2188
	s_branch .LBB17_2192
.LBB17_2191:                            ;   in Loop: Header=BB17_2189 Depth=3
	s_trap 2
	ds_read_b64 v[8:9], v0
	s_andn2_b64 s[30:31], s[30:31], exec
	s_mov_b32 s45, 0
	s_waitcnt vmcnt(0) lgkmcnt(0)
	flat_load_dword v2, v[8:9] sc0 sc1
	s_waitcnt vmcnt(0) lgkmcnt(0)
	buffer_inv sc0 sc1
	v_cmp_eq_u32_e32 vcc, 0, v2
	s_and_b64 vcc, vcc, exec
	s_or_b64 s[30:31], s[30:31], vcc
	s_mov_b64 vcc, -1
	s_or_b64 s[94:95], s[94:95], exec
	s_and_saveexec_b64 s[34:35], s[30:31]
	s_cbranch_execz .LBB17_2188
.LBB17_2192:                            ;   in Loop: Header=BB17_2189 Depth=3
	s_sleep 1
	s_trap 2
	ds_read_b64 v[8:9], v0
	s_waitcnt lgkmcnt(0)
	s_andn2_b64 s[94:95], s[94:95], exec
	v_cmp_ge_u64_e32 vcc, v[8:9], v[70:71]
	s_orn2_b64 vcc, vcc, exec
	s_branch .LBB17_2188
.LBB17_2193:                            ;   in Loop: Header=BB17_2071 Depth=2
	s_or_b64 exec, exec, s[92:93]
	s_and_saveexec_b64 s[92:93], s[94:95]
	s_xor_b64 s[92:93], exec, s[92:93]
	s_cbranch_execz .LBB17_2195
; %bb.2194:                             ;   in Loop: Header=BB17_2071 Depth=2
	ds_write_b32 v0, v107
	s_trap 2
.LBB17_2195:                            ;   in Loop: Header=BB17_2071 Depth=2
	s_or_b64 exec, exec, s[90:91]
	;;#ASMSTART
	s_wakeup
	;;#ASMEND
.LBB17_2196:                            ;   in Loop: Header=BB17_2071 Depth=2
	s_or_b64 exec, exec, s[28:29]
.LBB17_2197:                            ;   in Loop: Header=BB17_2071 Depth=2
	s_andn2_saveexec_b64 s[26:27], s[26:27]
	s_cbranch_execz .LBB17_2199
; %bb.2198:                             ;   in Loop: Header=BB17_2071 Depth=2
	s_waitcnt lgkmcnt(0)
	s_barrier
.LBB17_2199:                            ;   in Loop: Header=BB17_2071 Depth=2
	s_or_b64 exec, exec, s[26:27]
.LBB17_2200:                            ;   in Loop: Header=BB17_2071 Depth=2
	s_or_b64 exec, exec, s[24:25]
	s_trap 2
	ds_read_b64 v[72:73], v0
	s_waitcnt lgkmcnt(0)
	v_cmp_eq_u64_e32 vcc, 0, v[72:73]
	s_cbranch_vccnz .LBB17_2216
; %bb.2201:                             ;   in Loop: Header=BB17_2071 Depth=2
	s_trap 2
	ds_read_b64 v[74:75], v0
	s_waitcnt lgkmcnt(0)
	v_cmp_eq_u64_e32 vcc, 0, v[74:75]
	s_cbranch_vccnz .LBB17_2216
; %bb.2202:                             ;   in Loop: Header=BB17_2071 Depth=2
	s_trap 2
	ds_read_b64 v[24:25], v0
	v_cmp_eq_u32_e32 vcc, 0, v8
	s_mov_b64 s[24:25], -1
	s_nop 0
	v_cndmask_b32_e32 v2, 0, v62, vcc
	s_waitcnt lgkmcnt(0)
	v_cmp_ne_u64_e32 vcc, 0, v[24:25]
	v_lshlrev_b32_e32 v63, 1, v2
	s_cbranch_vccz .LBB17_2286
; %bb.2203:                             ;   in Loop: Header=BB17_2071 Depth=2
	s_and_saveexec_b64 s[26:27], s[18:19]
	s_cbranch_execz .LBB17_2205
; %bb.2204:                             ;   in Loop: Header=BB17_2071 Depth=2
	ds_read_b32 v8, v0 offset:720
	s_waitcnt lgkmcnt(0)
	v_and_b32_e32 v8, 15, v8
	v_cmp_eq_u32_e32 vcc, 0, v8
	s_orn2_b64 s[24:25], vcc, exec
.LBB17_2205:                            ;   in Loop: Header=BB17_2071 Depth=2
	s_or_b64 exec, exec, s[26:27]
	s_and_saveexec_b64 s[26:27], s[20:21]
	s_cbranch_execz .LBB17_2207
; %bb.2206:                             ;   in Loop: Header=BB17_2071 Depth=2
	ds_read_b32 v8, v0 offset:784
	s_waitcnt lgkmcnt(0)
	v_and_b32_e32 v8, 15, v8
	v_cmp_eq_u32_e32 vcc, 0, v8
	s_and_b64 s[28:29], s[24:25], vcc
	s_andn2_b64 s[24:25], s[24:25], exec
	s_and_b64 s[28:29], s[28:29], exec
	s_or_b64 s[24:25], s[24:25], s[28:29]
.LBB17_2207:                            ;   in Loop: Header=BB17_2071 Depth=2
	s_or_b64 exec, exec, s[26:27]
	s_xor_b64 s[24:25], s[24:25], -1
	v_cndmask_b32_e64 v8, 0, 1, s[24:25]
	s_mov_b64 s[26:27], -1
	v_cmp_ne_u32_e32 vcc, 0, v8
	s_cbranch_vccz .LBB17_2221
; %bb.2208:                             ;   in Loop: Header=BB17_2071 Depth=2
	s_mov_b64 s[90:91], -1
	v_mov_b32_e32 v16, 0
	s_cbranch_execnz .LBB17_2222
.LBB17_2209:                            ;   in Loop: Header=BB17_2071 Depth=2
	v_ashrrev_i32_e32 v8, 31, v63
	v_lshrrev_b32_e32 v8, 21, v8
	v_add_u32_e32 v8, v63, v8
	v_ashrrev_i32_e32 v28, 11, v8
	v_sub_u32_e32 v29, v28, v104
	v_lshl_add_u64 v[26:27], v[74:75], 0, v[102:103]
	v_lshl_add_u64 v[32:33], v[24:25], 0, v[102:103]
	v_cmp_lt_i32_e32 vcc, 0, v29
	s_mov_b64 s[26:27], 0
                                        ; implicit-def: $vgpr8_vgpr9
                                        ; implicit-def: $vgpr12_vgpr13
	s_and_saveexec_b64 s[24:25], vcc
	s_cbranch_execz .LBB17_2236
; %bb.2210:                             ;   in Loop: Header=BB17_2071 Depth=2
	v_lshl_add_u64 v[34:35], v[72:73], 0, v[102:103]
	s_mov_b64 s[92:93], 0
                                        ; implicit-def: $sgpr28_sgpr29
                                        ; implicit-def: $vgpr8_vgpr9
                                        ; implicit-def: $vgpr12_vgpr13
	s_branch .LBB17_2212
.LBB17_2211:                            ;   in Loop: Header=BB17_2212 Depth=3
	s_or_b64 exec, exec, s[94:95]
	v_sub_u32_e32 v29, v29, v38
	v_cmp_gt_i32_e32 vcc, 1, v29
	s_waitcnt vmcnt(0)
	global_store_dwordx4 v[26:27], v[16:19], off
	global_store_dwordx4 v[26:27], v[20:23], off offset:1024
	v_lshl_add_u64 v[26:27], v[26:27], 0, s[74:75]
	global_store_dwordx4 v[32:33], v[16:19], off
	global_store_dwordx4 v[32:33], v[20:23], off offset:1024
	s_or_b64 s[26:27], vcc, s[26:27]
	v_lshl_add_u64 v[16:17], v[32:33], 0, s[74:75]
	v_lshl_add_u64 v[18:19], v[26:27], 0, v[112:113]
	;; [unrolled: 1-line block ×3, first 2 shown]
	s_andn2_b64 s[28:29], s[28:29], exec
	s_and_b64 s[94:95], s[92:93], exec
	v_lshl_add_u64 v[34:35], v[34:35], 0, v[36:37]
	v_cndmask_b32_e64 v27, v27, v19, s[92:93]
	v_cndmask_b32_e64 v26, v26, v18, s[92:93]
	;; [unrolled: 1-line block ×4, first 2 shown]
	s_or_b64 s[28:29], s[28:29], s[94:95]
	s_andn2_b64 exec, exec, s[26:27]
	s_cbranch_execz .LBB17_2235
.LBB17_2212:                            ;   Parent Loop BB17_47 Depth=1
                                        ;     Parent Loop BB17_2071 Depth=2
                                        ; =>    This Inner Loop Header: Depth=3
	global_load_dwordx4 v[16:19], v[34:35], off nt
	global_load_dwordx4 v[20:23], v[34:35], off offset:1024 nt
	s_and_saveexec_b64 s[94:95], s[92:93]
	s_cbranch_execz .LBB17_2214
; %bb.2213:                             ;   in Loop: Header=BB17_2212 Depth=3
	global_store_dwordx4 v[26:27], v[8:11], off
	global_store_dwordx4 v[26:27], v[12:15], off offset:1024
	global_store_dwordx4 v[32:33], v[8:11], off
	global_store_dwordx4 v[32:33], v[12:15], off offset:1024
	v_lshl_add_u64 v[26:27], v[26:27], 0, v[40:41]
	v_lshl_add_u64 v[32:33], v[32:33], 0, v[40:41]
.LBB17_2214:                            ;   in Loop: Header=BB17_2212 Depth=3
	s_or_b64 exec, exec, s[94:95]
	v_sub_u32_e32 v29, v29, v84
	v_lshl_add_u64 v[34:35], v[34:35], 0, v[40:41]
	v_mov_b32_e32 v38, 0
	v_cmp_lt_i32_e64 s[92:93], 0, v29
	v_mov_b64_e32 v[36:37], 0
	s_and_saveexec_b64 s[94:95], s[92:93]
	s_cbranch_execz .LBB17_2211
; %bb.2215:                             ;   in Loop: Header=BB17_2212 Depth=3
	global_load_dwordx4 v[8:11], v[34:35], off nt
	global_load_dwordx4 v[12:15], v[34:35], off offset:1024 nt
	v_lshl_add_u64 v[34:35], v[34:35], 0, s[74:75]
	v_mov_b32_e32 v38, v84
	v_mov_b64_e32 v[36:37], v[112:113]
	s_branch .LBB17_2211
.LBB17_2216:                            ;   in Loop: Header=BB17_2071 Depth=2
	s_mov_b64 s[24:25], 0
	s_and_saveexec_b64 s[26:27], s[6:7]
	s_cbranch_execnz .LBB17_2344
.LBB17_2217:                            ;   in Loop: Header=BB17_2071 Depth=2
	s_or_b64 exec, exec, s[26:27]
                                        ; implicit-def: $vgpr2
	s_and_saveexec_b64 s[26:27], s[22:23]
	s_xor_b64 s[26:27], exec, s[26:27]
	s_cbranch_execz .LBB17_2362
.LBB17_2218:                            ;   in Loop: Header=BB17_2071 Depth=2
	v_and_b32_e32 v8, 16, v94
	v_cmp_ne_u32_e32 vcc, 0, v8
	v_and_b32_e32 v2, 16, v94
	s_and_b64 s[28:29], vcc, s[24:25]
	s_and_saveexec_b64 s[24:25], s[28:29]
	s_cbranch_execz .LBB17_2220
; %bb.2219:                             ;   in Loop: Header=BB17_2071 Depth=2
	v_mov_b32_e32 v2, 1
	buffer_wbl2 sc1
	s_waitcnt vmcnt(0) lgkmcnt(0)
	buffer_inv sc1
.LBB17_2220:                            ;   in Loop: Header=BB17_2071 Depth=2
	s_or_b64 exec, exec, s[24:25]
	s_andn2_saveexec_b64 s[24:25], s[26:27]
	s_cbranch_execz .LBB17_2381
	s_branch .LBB17_2363
.LBB17_2221:                            ;   in Loop: Header=BB17_2071 Depth=2
	s_mov_b64 s[90:91], 0
	s_andn2_b64 vcc, exec, s[26:27]
	v_mov_b32_e32 v16, 0
	s_cbranch_vccz .LBB17_2209
.LBB17_2222:                            ;   in Loop: Header=BB17_2071 Depth=2
	v_mov_b32_e32 v17, v63
	v_mov_b32_e32 v8, v0
	;; [unrolled: 1-line block ×3, first 2 shown]
	s_and_saveexec_b64 s[28:29], s[90:91]
	s_cbranch_execnz .LBB17_2260
	s_branch .LBB17_2285
.LBB17_2223:                            ;   in Loop: Header=BB17_2071 Depth=2
	s_or_b64 exec, exec, s[90:91]
	s_and_saveexec_b64 s[90:91], s[92:93]
	s_xor_b64 s[90:91], exec, s[90:91]
	s_cbranch_execz .LBB17_2225
; %bb.2224:                             ;   in Loop: Header=BB17_2071 Depth=2
	ds_write_b32 v0, v107
	s_trap 2
.LBB17_2225:                            ;   in Loop: Header=BB17_2071 Depth=2
	s_or_b64 exec, exec, s[42:43]
	;;#ASMSTART
	s_wakeup
	;;#ASMEND
.LBB17_2226:                            ;   in Loop: Header=BB17_2071 Depth=2
	s_or_b64 exec, exec, s[40:41]
.LBB17_2227:                            ;   in Loop: Header=BB17_2071 Depth=2
	s_andn2_saveexec_b64 s[28:29], s[28:29]
	s_cbranch_execz .LBB17_2229
; %bb.2228:                             ;   in Loop: Header=BB17_2071 Depth=2
	;;#ASMSTART
	s_waitcnt lgkmcnt(0) vmcnt(0)
	;;#ASMEND
	s_barrier
.LBB17_2229:                            ;   in Loop: Header=BB17_2071 Depth=2
	s_or_b64 exec, exec, s[28:29]
	v_and_b32_e32 v2, 16, v94
.LBB17_2230:                            ;   in Loop: Header=BB17_2071 Depth=2
	s_or_b64 exec, exec, s[24:25]
	v_cmp_ne_u32_e32 vcc, 0, v2
	s_xor_b64 s[24:25], s[10:11], -1
	s_and_b64 s[28:29], vcc, s[24:25]
	s_and_saveexec_b64 s[24:25], s[28:29]
	s_cbranch_execz .LBB17_2232
; %bb.2231:                             ;   in Loop: Header=BB17_2071 Depth=2
	flat_store_dword v[68:69], v107 sc0 sc1
.LBB17_2232:                            ;   in Loop: Header=BB17_2071 Depth=2
	s_or_b64 exec, exec, s[24:25]
	v_and_b32_e32 v2, 48, v94
	v_cmp_ne_u32_e32 vcc, 0, v2
	s_and_saveexec_b64 s[24:25], vcc
	s_cbranch_execz .LBB17_2234
; %bb.2233:                             ;   in Loop: Header=BB17_2071 Depth=2
	v_lshl_add_u64 v[56:57], v[56:57], 0, 4
	flat_store_dwordx2 v[64:65], v[56:57] sc0 sc1
.LBB17_2234:                            ;   in Loop: Header=BB17_2071 Depth=2
	s_or_b64 exec, exec, s[24:25]
	s_or_b64 exec, exec, s[26:27]
	s_add_i32 s24, s44, 1
	s_cmp_eq_u32 s44, s84
	s_cbranch_scc0 .LBB17_2387
	s_branch .LBB17_2388
.LBB17_2235:                            ;   in Loop: Header=BB17_2071 Depth=2
	s_or_b64 exec, exec, s[26:27]
	s_and_b64 s[26:27], s[28:29], exec
.LBB17_2236:                            ;   in Loop: Header=BB17_2071 Depth=2
	s_or_b64 exec, exec, s[24:25]
	s_and_saveexec_b64 s[24:25], s[26:27]
	s_cbranch_execz .LBB17_2238
; %bb.2237:                             ;   in Loop: Header=BB17_2071 Depth=2
	global_store_dwordx4 v[26:27], v[8:11], off
	global_store_dwordx4 v[26:27], v[12:15], off offset:1024
	global_store_dwordx4 v[32:33], v[8:11], off
	global_store_dwordx4 v[32:33], v[12:15], off offset:1024
.LBB17_2238:                            ;   in Loop: Header=BB17_2071 Depth=2
	s_or_b64 exec, exec, s[24:25]
	v_lshlrev_b32_e32 v22, 11, v28
	v_cmp_ne_u32_e32 vcc, v63, v22
                                        ; implicit-def: $vgpr17
                                        ; implicit-def: $vgpr16
                                        ; implicit-def: $vgpr8
                                        ; implicit-def: $vgpr18
	s_and_saveexec_b64 s[92:93], vcc
	s_cbranch_execz .LBB17_2259
; %bb.2239:                             ;   in Loop: Header=BB17_2071 Depth=2
	v_lshlrev_b32_e32 v9, 6, v29
	v_sub_u32_e32 v9, v95, v9
	v_ashrrev_i32_e32 v10, 31, v9
	v_lshrrev_b32_e32 v10, 26, v10
	v_add_u32_e32 v10, v9, v10
	v_ashrrev_i32_e32 v12, 6, v10
	v_and_b32_e32 v10, 0xffffffc0, v10
	v_sub_u32_e32 v23, v9, v10
	v_lshlrev_b32_e32 v9, 4, v23
	v_sub_u32_e32 v8, v63, v22
	v_lshl_add_u32 v9, v12, 10, v9
	v_add_u32_e32 v10, v9, v22
	v_sub_u32_e32 v33, v8, v9
	v_ashrrev_i32_e32 v9, 31, v8
	v_lshrrev_b32_e32 v9, 22, v9
	v_add_u32_e32 v9, v8, v9
	v_and_b32_e32 v26, 0xfffffc00, v9
	v_sub_u32_e32 v27, v8, v26
	v_ashrrev_i32_e32 v11, 10, v9
	v_cmp_lt_i32_e64 s[24:25], 15, v27
	s_mov_b64 s[26:27], 0
	s_nop 0
	v_addc_co_u32_e64 v8, vcc, 0, v11, s[24:25]
	v_ashrrev_i32_e32 v11, 31, v10
	v_lshl_add_u64 v[16:17], v[10:11], 0, v[74:75]
	v_lshl_add_u64 v[18:19], v[10:11], 0, v[24:25]
	v_sub_u32_e32 v32, v8, v12
	v_cmp_lt_i32_e32 vcc, 15, v33
                                        ; implicit-def: $vgpr8_vgpr9
	s_and_saveexec_b64 s[94:95], vcc
	s_cbranch_execz .LBB17_2253
; %bb.2240:                             ;   in Loop: Header=BB17_2071 Depth=2
	v_lshl_add_u64 v[20:21], v[10:11], 0, v[72:73]
	s_mov_b64 s[36:37], 0
	s_mov_b64 s[30:31], 0
                                        ; implicit-def: $sgpr34_sgpr35
                                        ; implicit-def: $vgpr8_vgpr9
	s_branch .LBB17_2242
.LBB17_2241:                            ;   in Loop: Header=BB17_2242 Depth=3
	s_or_b64 exec, exec, s[26:27]
	v_cmp_gt_i32_e32 vcc, 16, v33
	s_or_b64 s[30:31], vcc, s[30:31]
	s_andn2_b64 s[26:27], s[34:35], exec
	s_and_b64 s[28:29], s[36:37], exec
	s_or_b64 s[34:35], s[26:27], s[28:29]
	s_andn2_b64 exec, exec, s[30:31]
	s_cbranch_execz .LBB17_2252
.LBB17_2242:                            ;   Parent Loop BB17_47 Depth=1
                                        ;     Parent Loop BB17_2071 Depth=2
                                        ; =>    This Loop Header: Depth=3
                                        ;         Child Loop BB17_2244 Depth 4
                                        ;         Child Loop BB17_2249 Depth 4
	global_load_dwordx4 v[12:15], v[20:21], off nt
	s_and_saveexec_b64 s[38:39], s[36:37]
	s_cbranch_execz .LBB17_2246
; %bb.2243:                             ;   in Loop: Header=BB17_2242 Depth=3
	s_mov_b64 s[48:49], 0
	s_mov_b64 s[36:37], -1
.LBB17_2244:                            ;   Parent Loop BB17_47 Depth=1
                                        ;     Parent Loop BB17_2071 Depth=2
                                        ;       Parent Loop BB17_2242 Depth=3
                                        ; =>      This Inner Loop Header: Depth=4
	s_cmp_eq_u32 s48, 1
	s_cselect_b64 vcc, -1, 0
	v_cndmask_b32_e32 v29, v17, v19, vcc
	s_cmp_eq_u32 s48, 0
	v_cndmask_b32_e32 v28, v16, v18, vcc
	global_store_dwordx4 v[28:29], v[8:11], off
	v_lshl_add_u64 v[28:29], v[28:29], 0, s[60:61]
	s_cselect_b64 s[26:27], -1, 0
	s_and_b64 s[28:29], exec, s[36:37]
	s_mov_b64 s[48:49], 1
	s_mov_b64 s[36:37], 0
	v_cndmask_b32_e32 v19, v19, v29, vcc
	v_cndmask_b32_e32 v18, v18, v28, vcc
	v_cndmask_b32_e64 v17, v17, v29, s[26:27]
	v_cndmask_b32_e64 v16, v16, v28, s[26:27]
	s_mov_b64 vcc, s[28:29]
	s_cbranch_vccnz .LBB17_2244
; %bb.2245:                             ;   in Loop: Header=BB17_2242 Depth=3
	v_lshl_add_u64 v[16:17], v[16:17], 0, v[114:115]
	v_lshl_add_u64 v[18:19], v[18:19], 0, v[114:115]
.LBB17_2246:                            ;   in Loop: Header=BB17_2242 Depth=3
	s_or_b64 exec, exec, s[38:39]
	v_sub_u32_e32 v33, v33, v105
	v_lshl_add_u64 v[20:21], v[42:43], 0, v[20:21]
	v_cmp_lt_i32_e64 s[36:37], 15, v33
	s_and_saveexec_b64 s[26:27], s[36:37]
	s_cbranch_execz .LBB17_2248
; %bb.2247:                             ;   in Loop: Header=BB17_2242 Depth=3
	global_load_dwordx4 v[8:11], v[20:21], off nt
	v_lshl_add_u64 v[20:21], v[20:21], 0, s[60:61]
.LBB17_2248:                            ;   in Loop: Header=BB17_2242 Depth=3
	s_or_b64 exec, exec, s[26:27]
	s_mov_b64 s[48:49], 0
	s_mov_b64 s[38:39], -1
	s_waitcnt vmcnt(0)
.LBB17_2249:                            ;   Parent Loop BB17_47 Depth=1
                                        ;     Parent Loop BB17_2071 Depth=2
                                        ;       Parent Loop BB17_2242 Depth=3
                                        ; =>      This Inner Loop Header: Depth=4
	s_cmp_eq_u32 s48, 1
	s_cselect_b64 vcc, -1, 0
	v_cndmask_b32_e32 v29, v17, v19, vcc
	s_cmp_eq_u32 s48, 0
	v_cndmask_b32_e32 v28, v16, v18, vcc
	global_store_dwordx4 v[28:29], v[12:15], off
	v_lshl_add_u64 v[28:29], v[28:29], 0, s[60:61]
	s_cselect_b64 s[26:27], -1, 0
	s_and_b64 s[28:29], exec, s[38:39]
	s_mov_b64 s[48:49], 1
	s_mov_b64 s[38:39], 0
	v_cndmask_b32_e32 v19, v19, v29, vcc
	v_cndmask_b32_e32 v18, v18, v28, vcc
	v_cndmask_b32_e64 v17, v17, v29, s[26:27]
	v_cndmask_b32_e64 v16, v16, v28, s[26:27]
	s_mov_b64 vcc, s[28:29]
	s_cbranch_vccnz .LBB17_2249
; %bb.2250:                             ;   in Loop: Header=BB17_2242 Depth=3
	v_sub_u32_e32 v32, v32, v84
	s_and_saveexec_b64 s[26:27], s[36:37]
	s_cbranch_execz .LBB17_2241
; %bb.2251:                             ;   in Loop: Header=BB17_2242 Depth=3
	v_lshl_add_u64 v[16:17], v[16:17], 0, v[114:115]
	v_lshl_add_u64 v[18:19], v[18:19], 0, v[114:115]
	v_lshl_add_u64 v[20:21], v[20:21], 0, v[114:115]
	v_sub_u32_e32 v33, v33, v105
	v_sub_u32_e32 v32, v32, v84
	s_branch .LBB17_2241
.LBB17_2252:                            ;   in Loop: Header=BB17_2071 Depth=2
	s_or_b64 exec, exec, s[30:31]
	s_and_b64 s[26:27], s[34:35], exec
.LBB17_2253:                            ;   in Loop: Header=BB17_2071 Depth=2
	s_or_b64 exec, exec, s[94:95]
	s_and_saveexec_b64 s[94:95], s[26:27]
	s_cbranch_execz .LBB17_2256
; %bb.2254:                             ;   in Loop: Header=BB17_2071 Depth=2
	s_mov_b64 s[34:35], 0
	s_mov_b64 s[30:31], -1
.LBB17_2255:                            ;   Parent Loop BB17_47 Depth=1
                                        ;     Parent Loop BB17_2071 Depth=2
                                        ; =>    This Inner Loop Header: Depth=3
	s_cmp_eq_u32 s34, 1
	s_cselect_b64 vcc, -1, 0
	v_cndmask_b32_e32 v13, v17, v19, vcc
	s_cmp_eq_u32 s34, 0
	v_cndmask_b32_e32 v12, v16, v18, vcc
	global_store_dwordx4 v[12:13], v[8:11], off
	v_lshl_add_u64 v[12:13], v[12:13], 0, s[60:61]
	s_cselect_b64 s[26:27], -1, 0
	s_and_b64 s[28:29], exec, s[30:31]
	s_mov_b64 s[34:35], 1
	s_mov_b64 s[30:31], 0
	v_cndmask_b32_e32 v19, v19, v13, vcc
	v_cndmask_b32_e32 v18, v18, v12, vcc
	v_cndmask_b32_e64 v17, v17, v13, s[26:27]
	v_cndmask_b32_e64 v16, v16, v12, s[26:27]
	s_mov_b64 vcc, s[28:29]
	s_cbranch_vccnz .LBB17_2255
.LBB17_2256:                            ;   in Loop: Header=BB17_2071 Depth=2
	s_or_b64 exec, exec, s[94:95]
	v_and_b32_e32 v9, 14, v63
	v_cndmask_b32_e64 v17, v27, v9, s[24:25]
	v_cmp_ne_u32_e32 vcc, 0, v17
	s_mov_b64 s[26:27], s[90:91]
                                        ; implicit-def: $vgpr16
                                        ; implicit-def: $vgpr8
                                        ; implicit-def: $vgpr18
	s_and_saveexec_b64 s[28:29], vcc
	s_cbranch_execz .LBB17_2258
; %bb.2257:                             ;   in Loop: Header=BB17_2071 Depth=2
	v_sub_u32_e32 v8, v27, v9
	v_cndmask_b32_e64 v8, 0, v8, s[24:25]
	v_cmp_lt_i32_e32 vcc, 0, v32
	v_add3_u32 v16, v26, v22, v8
	s_or_b64 s[26:27], s[90:91], exec
	v_cndmask_b32_e32 v8, 0, v84, vcc
	v_sub_u32_e32 v8, v8, v32
	v_lshl_add_u32 v8, v8, 6, v23
	v_ashrrev_i32_e32 v9, 31, v8
	v_lshrrev_b32_e32 v9, 26, v9
	v_add_u32_e32 v9, v8, v9
	v_and_b32_e32 v9, 0xffffffc0, v9
	v_sub_u32_e32 v18, v8, v9
.LBB17_2258:                            ;   in Loop: Header=BB17_2071 Depth=2
	s_or_b64 exec, exec, s[28:29]
	s_andn2_b64 s[24:25], s[90:91], exec
	s_and_b64 s[26:27], s[26:27], exec
	s_or_b64 s[90:91], s[24:25], s[26:27]
.LBB17_2259:                            ;   in Loop: Header=BB17_2071 Depth=2
	s_or_b64 exec, exec, s[92:93]
	s_and_saveexec_b64 s[28:29], s[90:91]
	s_cbranch_execz .LBB17_2285
.LBB17_2260:                            ;   in Loop: Header=BB17_2071 Depth=2
	v_ashrrev_i32_e32 v9, 31, v8
	v_lshrrev_b32_e32 v9, 26, v9
	v_add_u32_e32 v8, v8, v9
	v_ashrrev_i32_e32 v14, 6, v8
	v_lshlrev_b32_e32 v8, 10, v14
	v_lshlrev_b32_e32 v9, 1, v18
	v_add3_u32 v12, v16, v9, v8
	v_ashrrev_i32_e32 v8, 31, v17
	v_lshrrev_b32_e32 v8, 22, v8
	v_add_u32_e32 v8, v17, v8
	v_ashrrev_i32_e32 v19, 10, v8
	v_ashrrev_i32_e32 v13, 31, v12
	v_sub_u32_e32 v14, v19, v14
	v_lshl_add_u64 v[10:11], v[74:75], 0, v[12:13]
	v_lshl_add_u64 v[8:9], v[24:25], 0, v[12:13]
	v_cmp_lt_i32_e32 vcc, 0, v14
	s_mov_b64 s[26:27], 0
                                        ; implicit-def: $vgpr20
                                        ; implicit-def: $vgpr21
                                        ; implicit-def: $vgpr22
                                        ; implicit-def: $vgpr23
                                        ; implicit-def: $vgpr26
                                        ; implicit-def: $vgpr27
                                        ; implicit-def: $vgpr28
                                        ; implicit-def: $vgpr29
	s_and_saveexec_b64 s[24:25], vcc
	s_cbranch_execz .LBB17_2268
; %bb.2261:                             ;   in Loop: Header=BB17_2071 Depth=2
	v_lshl_add_u64 v[12:13], v[12:13], 0, v[72:73]
	s_mov_b64 s[92:93], 0
                                        ; implicit-def: $sgpr90_sgpr91
                                        ; implicit-def: $vgpr20
                                        ; implicit-def: $vgpr21
                                        ; implicit-def: $vgpr22
                                        ; implicit-def: $vgpr23
                                        ; implicit-def: $vgpr26
                                        ; implicit-def: $vgpr27
                                        ; implicit-def: $vgpr28
                                        ; implicit-def: $vgpr29
	s_branch .LBB17_2263
.LBB17_2262:                            ;   in Loop: Header=BB17_2263 Depth=3
	s_or_b64 exec, exec, s[94:95]
	v_lshl_add_u64 v[12:13], v[12:13], 0, v[14:15]
	v_sub_u32_e32 v14, v48, v49
	v_cmp_gt_i32_e32 vcc, 1, v14
	s_waitcnt vmcnt(0) lgkmcnt(0)
	flat_store_short v[10:11], v32 nt
	flat_store_short v[10:11], v33 offset:128 nt
	flat_store_short v[10:11], v34 offset:256 nt
	;; [unrolled: 1-line block ×7, first 2 shown]
	v_lshl_add_u64 v[10:11], v[10:11], 0, s[60:61]
	flat_store_short v[8:9], v32 nt
	flat_store_short v[8:9], v33 offset:128 nt
	flat_store_short v[8:9], v34 offset:256 nt
	;; [unrolled: 1-line block ×7, first 2 shown]
	v_lshl_add_u64 v[8:9], v[8:9], 0, s[60:61]
	s_or_b64 s[26:27], vcc, s[26:27]
	v_lshl_add_u64 v[32:33], v[10:11], 0, v[114:115]
	v_lshl_add_u64 v[34:35], v[8:9], 0, v[114:115]
	s_andn2_b64 s[90:91], s[90:91], exec
	s_and_b64 s[94:95], s[92:93], exec
	v_cndmask_b32_e64 v11, v11, v33, s[92:93]
	v_cndmask_b32_e64 v10, v10, v32, s[92:93]
	;; [unrolled: 1-line block ×4, first 2 shown]
	s_or_b64 s[90:91], s[90:91], s[94:95]
	s_andn2_b64 exec, exec, s[26:27]
	s_cbranch_execz .LBB17_2267
.LBB17_2263:                            ;   Parent Loop BB17_47 Depth=1
                                        ;     Parent Loop BB17_2071 Depth=2
                                        ; =>    This Inner Loop Header: Depth=3
	flat_load_ushort v32, v[12:13] nt
	flat_load_ushort v33, v[12:13] offset:128 nt
	flat_load_ushort v34, v[12:13] offset:256 nt
	;; [unrolled: 1-line block ×7, first 2 shown]
	s_and_saveexec_b64 s[94:95], s[92:93]
	s_cbranch_execz .LBB17_2265
; %bb.2264:                             ;   in Loop: Header=BB17_2263 Depth=3
	flat_store_short v[10:11], v20 nt
	flat_store_short v[10:11], v21 offset:128 nt
	flat_store_short v[10:11], v22 offset:256 nt
	;; [unrolled: 1-line block ×7, first 2 shown]
	flat_store_short v[8:9], v20 nt
	flat_store_short v[8:9], v21 offset:128 nt
	flat_store_short v[8:9], v22 offset:256 nt
	;; [unrolled: 1-line block ×7, first 2 shown]
	v_lshl_add_u64 v[10:11], v[10:11], 0, v[42:43]
	v_lshl_add_u64 v[8:9], v[8:9], 0, v[42:43]
.LBB17_2265:                            ;   in Loop: Header=BB17_2263 Depth=3
	s_or_b64 exec, exec, s[94:95]
	v_sub_u32_e32 v48, v14, v84
	v_lshl_add_u64 v[12:13], v[12:13], 0, v[42:43]
	v_mov_b32_e32 v49, 0
	v_cmp_lt_i32_e64 s[92:93], 0, v48
	v_mov_b64_e32 v[14:15], 0
	s_and_saveexec_b64 s[94:95], s[92:93]
	s_cbranch_execz .LBB17_2262
; %bb.2266:                             ;   in Loop: Header=BB17_2263 Depth=3
	flat_load_ushort v20, v[12:13] nt
	flat_load_ushort v21, v[12:13] offset:128 nt
	flat_load_ushort v22, v[12:13] offset:256 nt
	;; [unrolled: 1-line block ×7, first 2 shown]
	v_lshl_add_u64 v[12:13], v[12:13], 0, s[60:61]
	v_mov_b32_e32 v49, v84
	v_mov_b64_e32 v[14:15], v[114:115]
	s_branch .LBB17_2262
.LBB17_2267:                            ;   in Loop: Header=BB17_2071 Depth=2
	s_or_b64 exec, exec, s[26:27]
	s_and_b64 s[26:27], s[90:91], exec
.LBB17_2268:                            ;   in Loop: Header=BB17_2071 Depth=2
	s_or_b64 exec, exec, s[24:25]
	s_and_saveexec_b64 s[24:25], s[26:27]
	s_cbranch_execz .LBB17_2270
; %bb.2269:                             ;   in Loop: Header=BB17_2071 Depth=2
	flat_store_short v[10:11], v20 nt
	flat_store_short v[10:11], v21 offset:128 nt
	flat_store_short v[10:11], v22 offset:256 nt
	;; [unrolled: 1-line block ×7, first 2 shown]
	flat_store_short v[8:9], v20 nt
	flat_store_short v[8:9], v21 offset:128 nt
	flat_store_short v[8:9], v22 offset:256 nt
	;; [unrolled: 1-line block ×7, first 2 shown]
.LBB17_2270:                            ;   in Loop: Header=BB17_2071 Depth=2
	s_or_b64 exec, exec, s[24:25]
	v_lshlrev_b32_e32 v8, 10, v19
	v_cmp_ne_u32_e32 vcc, v17, v8
	s_and_b64 exec, exec, vcc
	s_cbranch_execz .LBB17_2285
; %bb.2271:                             ;   in Loop: Header=BB17_2071 Depth=2
	v_lshlrev_b32_e32 v9, 6, v14
	v_sub_u32_e32 v9, v18, v9
	v_ashrrev_i32_e32 v10, 31, v9
	v_lshrrev_b32_e32 v10, 26, v10
	v_add_u32_e32 v10, v9, v10
	v_and_b32_e32 v11, 0x7fffffc0, v10
	v_sub_u32_e32 v9, v9, v11
	v_lshlrev_b32_e32 v10, 1, v10
	v_and_b32_e32 v10, 0xffffff80, v10
	v_lshlrev_b32_e32 v9, 1, v9
	v_add3_u32 v8, v10, v9, v8
	v_sub_u32_e32 v19, v17, v8
	v_cmp_lt_i32_e32 vcc, 1, v19
	s_and_b64 exec, exec, vcc
	s_cbranch_execz .LBB17_2285
; %bb.2272:                             ;   in Loop: Header=BB17_2071 Depth=2
	v_add_u32_e32 v12, v8, v16
	v_ashrrev_i32_e32 v13, 31, v12
	v_lshl_add_u64 v[8:9], v[74:75], 0, v[12:13]
	v_lshl_add_u64 v[10:11], v[24:25], 0, v[12:13]
	;; [unrolled: 1-line block ×3, first 2 shown]
	s_mov_b64 s[94:95], 0
	s_mov_b64 s[90:91], 0
                                        ; implicit-def: $sgpr92_sgpr93
                                        ; implicit-def: $vgpr18
.LBB17_2273:                            ;   Parent Loop BB17_47 Depth=1
                                        ;     Parent Loop BB17_2071 Depth=2
                                        ; =>    This Loop Header: Depth=3
                                        ;         Child Loop BB17_2275 Depth 4
                                        ;         Child Loop BB17_2280 Depth 4
	flat_load_ushort v14, v[12:13] nt
	s_and_saveexec_b64 s[30:31], s[94:95]
	s_cbranch_execz .LBB17_2277
; %bb.2274:                             ;   in Loop: Header=BB17_2273 Depth=3
	s_mov_b64 s[34:35], 0
	s_mov_b64 s[94:95], -1
.LBB17_2275:                            ;   Parent Loop BB17_47 Depth=1
                                        ;     Parent Loop BB17_2071 Depth=2
                                        ;       Parent Loop BB17_2273 Depth=3
                                        ; =>      This Inner Loop Header: Depth=4
	s_cmp_eq_u32 s34, 1
	s_cselect_b64 vcc, -1, 0
	v_cndmask_b32_e32 v17, v9, v11, vcc
	s_cmp_eq_u32 s34, 0
	v_cndmask_b32_e32 v16, v8, v10, vcc
	flat_store_short v[16:17], v18 nt
	v_lshl_add_u64 v[16:17], v[16:17], 0, s[62:63]
	s_cselect_b64 s[24:25], -1, 0
	s_and_b64 s[26:27], exec, s[94:95]
	s_mov_b64 s[34:35], 1
	s_mov_b64 s[94:95], 0
	v_cndmask_b32_e32 v11, v11, v17, vcc
	v_cndmask_b32_e32 v10, v10, v16, vcc
	v_cndmask_b32_e64 v9, v9, v17, s[24:25]
	v_cndmask_b32_e64 v8, v8, v16, s[24:25]
	s_mov_b64 vcc, s[26:27]
	s_cbranch_vccnz .LBB17_2275
; %bb.2276:                             ;   in Loop: Header=BB17_2273 Depth=3
	v_lshl_add_u64 v[8:9], v[8:9], 0, v[116:117]
	v_lshl_add_u64 v[10:11], v[10:11], 0, v[116:117]
.LBB17_2277:                            ;   in Loop: Header=BB17_2273 Depth=3
	s_or_b64 exec, exec, s[30:31]
	v_sub_u32_e32 v19, v19, v106
	v_lshl_add_u64 v[12:13], v[44:45], 0, v[12:13]
	v_cmp_lt_i32_e64 s[94:95], 1, v19
	s_and_saveexec_b64 s[24:25], s[94:95]
	s_cbranch_execz .LBB17_2279
; %bb.2278:                             ;   in Loop: Header=BB17_2273 Depth=3
	flat_load_ushort v18, v[12:13] nt
	v_lshl_add_u64 v[12:13], v[12:13], 0, s[62:63]
.LBB17_2279:                            ;   in Loop: Header=BB17_2273 Depth=3
	s_or_b64 exec, exec, s[24:25]
	s_mov_b64 s[34:35], 0
	s_mov_b64 s[30:31], -1
	s_waitcnt vmcnt(0)
.LBB17_2280:                            ;   Parent Loop BB17_47 Depth=1
                                        ;     Parent Loop BB17_2071 Depth=2
                                        ;       Parent Loop BB17_2273 Depth=3
                                        ; =>      This Inner Loop Header: Depth=4
	s_cmp_eq_u32 s34, 1
	s_cselect_b64 vcc, -1, 0
	v_cndmask_b32_e32 v17, v9, v11, vcc
	s_cmp_eq_u32 s34, 0
	v_cndmask_b32_e32 v16, v8, v10, vcc
	s_waitcnt lgkmcnt(0)
	flat_store_short v[16:17], v14 nt
	v_lshl_add_u64 v[16:17], v[16:17], 0, s[62:63]
	s_cselect_b64 s[24:25], -1, 0
	s_and_b64 s[26:27], exec, s[30:31]
	s_mov_b64 s[34:35], 1
	s_mov_b64 s[30:31], 0
	v_cndmask_b32_e32 v11, v11, v17, vcc
	v_cndmask_b32_e32 v10, v10, v16, vcc
	v_cndmask_b32_e64 v9, v9, v17, s[24:25]
	v_cndmask_b32_e64 v8, v8, v16, s[24:25]
	s_mov_b64 vcc, s[26:27]
	s_cbranch_vccnz .LBB17_2280
; %bb.2281:                             ;   in Loop: Header=BB17_2273 Depth=3
	v_cndmask_b32_e64 v21, 0, v117, s[94:95]
	v_cndmask_b32_e64 v20, 0, v116, s[94:95]
	v_lshl_add_u64 v[12:13], v[12:13], 0, v[20:21]
	v_cndmask_b32_e64 v20, 0, v106, s[94:95]
	v_sub_u32_e32 v19, v19, v20
	v_cmp_gt_i32_e32 vcc, 2, v19
	s_or_b64 s[90:91], vcc, s[90:91]
	v_lshl_add_u64 v[14:15], v[8:9], 0, v[116:117]
	v_lshl_add_u64 v[16:17], v[10:11], 0, v[116:117]
	s_andn2_b64 s[24:25], s[92:93], exec
	s_and_b64 s[26:27], s[94:95], exec
	v_cndmask_b32_e64 v11, v11, v17, s[94:95]
	v_cndmask_b32_e64 v10, v10, v16, s[94:95]
	;; [unrolled: 1-line block ×4, first 2 shown]
	s_or_b64 s[92:93], s[24:25], s[26:27]
	s_andn2_b64 exec, exec, s[90:91]
	s_cbranch_execnz .LBB17_2273
; %bb.2282:                             ;   in Loop: Header=BB17_2071 Depth=2
	s_or_b64 exec, exec, s[90:91]
	s_and_b64 exec, exec, s[92:93]
	s_cbranch_execz .LBB17_2285
; %bb.2283:                             ;   in Loop: Header=BB17_2071 Depth=2
	s_mov_b64 s[92:93], 0
	s_mov_b64 s[90:91], -1
.LBB17_2284:                            ;   Parent Loop BB17_47 Depth=1
                                        ;     Parent Loop BB17_2071 Depth=2
                                        ; =>    This Inner Loop Header: Depth=3
	s_cmp_eq_u32 s92, 1
	s_cselect_b64 vcc, -1, 0
	v_cndmask_b32_e32 v9, v15, v17, vcc
	s_cmp_eq_u32 s92, 0
	v_cndmask_b32_e32 v8, v14, v16, vcc
	flat_store_short v[8:9], v18 nt
	v_lshl_add_u64 v[8:9], v[8:9], 0, s[62:63]
	s_cselect_b64 s[24:25], -1, 0
	s_and_b64 s[26:27], exec, s[90:91]
	s_mov_b64 s[92:93], 1
	s_mov_b64 s[90:91], 0
	v_cndmask_b32_e64 v15, v15, v9, s[24:25]
	v_cndmask_b32_e64 v14, v14, v8, s[24:25]
	v_cndmask_b32_e32 v17, v17, v9, vcc
	v_cndmask_b32_e32 v16, v16, v8, vcc
	s_mov_b64 vcc, s[26:27]
	s_cbranch_vccnz .LBB17_2284
.LBB17_2285:                            ;   in Loop: Header=BB17_2071 Depth=2
	s_or_b64 exec, exec, s[28:29]
	s_mov_b64 s[24:25], 0
.LBB17_2286:                            ;   in Loop: Header=BB17_2071 Depth=2
	s_and_b64 vcc, exec, s[24:25]
	s_cbranch_vccz .LBB17_2300
; %bb.2287:                             ;   in Loop: Header=BB17_2071 Depth=2
	s_mov_b64 s[24:25], -1
	s_and_saveexec_b64 s[26:27], s[18:19]
	s_cbranch_execz .LBB17_2289
; %bb.2288:                             ;   in Loop: Header=BB17_2071 Depth=2
	ds_read_b32 v8, v0 offset:720
	s_waitcnt lgkmcnt(0)
	v_and_b32_e32 v8, 15, v8
	v_cmp_eq_u32_e32 vcc, 0, v8
	s_orn2_b64 s[24:25], vcc, exec
.LBB17_2289:                            ;   in Loop: Header=BB17_2071 Depth=2
	s_or_b64 exec, exec, s[26:27]
	s_and_saveexec_b64 s[26:27], s[16:17]
	s_cbranch_execz .LBB17_2291
; %bb.2290:                             ;   in Loop: Header=BB17_2071 Depth=2
	ds_read_b32 v8, v0 offset:784
	s_waitcnt lgkmcnt(0)
	v_and_b32_e32 v8, 15, v8
	v_cmp_eq_u32_e32 vcc, 0, v8
	s_and_b64 s[28:29], s[24:25], vcc
	s_andn2_b64 s[24:25], s[24:25], exec
	s_and_b64 s[28:29], s[28:29], exec
	s_or_b64 s[24:25], s[24:25], s[28:29]
.LBB17_2291:                            ;   in Loop: Header=BB17_2071 Depth=2
	s_or_b64 exec, exec, s[26:27]
	s_xor_b64 s[24:25], s[24:25], -1
	v_cndmask_b32_e64 v8, 0, 1, s[24:25]
	s_mov_b64 s[28:29], -1
	v_cmp_ne_u32_e32 vcc, 0, v8
	s_cbranch_vccz .LBB17_2301
; %bb.2292:                             ;   in Loop: Header=BB17_2071 Depth=2
	s_mov_b64 s[26:27], -1
	v_mov_b32_e32 v14, 0
	s_cbranch_execnz .LBB17_2302
.LBB17_2293:                            ;   in Loop: Header=BB17_2071 Depth=2
	v_ashrrev_i32_e32 v8, 31, v63
	v_lshrrev_b32_e32 v8, 20, v8
	v_add_u32_e32 v8, v63, v8
	v_ashrrev_i32_e32 v52, 12, v8
	scratch_load_dwordx2 v[8:9], off, s33 offset:256 ; 8-byte Folded Reload
	v_sub_u32_e32 v28, v52, v104
	v_cmp_lt_i32_e32 vcc, 0, v28
	s_mov_b64 s[28:29], 0
                                        ; implicit-def: $vgpr12_vgpr13
                                        ; implicit-def: $vgpr16_vgpr17
                                        ; implicit-def: $vgpr20_vgpr21
	s_waitcnt vmcnt(0)
	v_lshl_add_u64 v[76:77], v[74:75], 0, v[8:9]
                                        ; implicit-def: $vgpr8_vgpr9
	s_and_saveexec_b64 s[24:25], vcc
	s_cbranch_execz .LBB17_2304
; %bb.2294:                             ;   in Loop: Header=BB17_2071 Depth=2
	scratch_load_dwordx2 v[8:9], off, s33 offset:256 ; 8-byte Folded Reload
	s_mov_b64 s[92:93], 0
                                        ; implicit-def: $sgpr90_sgpr91
                                        ; implicit-def: $vgpr12_vgpr13
                                        ; implicit-def: $vgpr16_vgpr17
                                        ; implicit-def: $vgpr20_vgpr21
	s_waitcnt vmcnt(0)
	v_lshl_add_u64 v[78:79], v[72:73], 0, v[8:9]
                                        ; implicit-def: $vgpr8_vgpr9
	s_branch .LBB17_2296
.LBB17_2295:                            ;   in Loop: Header=BB17_2296 Depth=3
	s_or_b64 exec, exec, s[94:95]
	v_sub_u32_e32 v28, v28, v29
	v_cmp_gt_i32_e32 vcc, 1, v28
	s_or_b64 s[28:29], vcc, s[28:29]
	s_waitcnt vmcnt(0)
	global_store_dwordx4 v[76:77], v[24:27], off
	global_store_dwordx4 v[76:77], v[32:35], off offset:1024
	global_store_dwordx4 v[76:77], v[36:39], off offset:2048
	;; [unrolled: 1-line block ×3, first 2 shown]
	v_lshl_add_u64 v[24:25], v[76:77], 0, v[88:89]
	s_andn2_b64 s[90:91], s[90:91], exec
	s_and_b64 s[94:95], s[92:93], exec
	v_lshl_add_u64 v[76:77], v[24:25], 0, s[58:59]
	v_lshl_add_u64 v[78:79], v[78:79], 0, v[88:89]
	s_or_b64 s[90:91], s[90:91], s[94:95]
	s_andn2_b64 exec, exec, s[28:29]
	s_cbranch_execz .LBB17_2303
.LBB17_2296:                            ;   Parent Loop BB17_47 Depth=1
                                        ;     Parent Loop BB17_2071 Depth=2
                                        ; =>    This Inner Loop Header: Depth=3
	global_load_dwordx4 v[24:27], v[78:79], off nt
	global_load_dwordx4 v[32:35], v[78:79], off offset:1024 nt
	global_load_dwordx4 v[36:39], v[78:79], off offset:2048 nt
	;; [unrolled: 1-line block ×3, first 2 shown]
	s_and_saveexec_b64 s[94:95], s[92:93]
	s_cbranch_execz .LBB17_2298
; %bb.2297:                             ;   in Loop: Header=BB17_2296 Depth=3
	global_store_dwordx4 v[76:77], v[8:11], off
	global_store_dwordx4 v[76:77], v[12:15], off offset:1024
	global_store_dwordx4 v[76:77], v[16:19], off offset:2048
	;; [unrolled: 1-line block ×3, first 2 shown]
	v_lshl_add_u64 v[76:77], v[76:77], 0, v[118:119]
.LBB17_2298:                            ;   in Loop: Header=BB17_2296 Depth=3
	s_or_b64 exec, exec, s[94:95]
	v_sub_u32_e32 v28, v28, v84
	v_lshl_add_u64 v[78:79], v[78:79], 0, v[118:119]
	v_mov_b32_e32 v29, 0
	v_cmp_lt_i32_e64 s[92:93], 0, v28
	v_mov_b64_e32 v[88:89], 0
	s_and_saveexec_b64 s[94:95], s[92:93]
	s_cbranch_execz .LBB17_2295
; %bb.2299:                             ;   in Loop: Header=BB17_2296 Depth=3
	global_load_dwordx4 v[8:11], v[78:79], off nt
	global_load_dwordx4 v[12:15], v[78:79], off offset:1024 nt
	global_load_dwordx4 v[16:19], v[78:79], off offset:2048 nt
	;; [unrolled: 1-line block ×3, first 2 shown]
	v_lshl_add_u64 v[78:79], v[78:79], 0, s[58:59]
	v_mov_b32_e32 v29, v84
	v_mov_b64_e32 v[88:89], v[100:101]
	s_branch .LBB17_2295
.LBB17_2300:                            ;   in Loop: Header=BB17_2071 Depth=2
	v_cmp_lt_i32_e64 s[24:25], 0, v2
	s_and_saveexec_b64 s[26:27], s[6:7]
	s_cbranch_execnz .LBB17_2344
	s_branch .LBB17_2217
.LBB17_2301:                            ;   in Loop: Header=BB17_2071 Depth=2
	s_mov_b64 s[26:27], 0
	s_andn2_b64 vcc, exec, s[28:29]
	v_mov_b32_e32 v14, 0
	s_cbranch_vccz .LBB17_2293
.LBB17_2302:                            ;   in Loop: Header=BB17_2071 Depth=2
	v_mov_b32_e32 v8, v0
	v_mov_b32_e32 v15, v95
	s_and_saveexec_b64 s[24:25], s[26:27]
	s_cbranch_execnz .LBB17_2323
	s_branch .LBB17_2343
.LBB17_2303:                            ;   in Loop: Header=BB17_2071 Depth=2
	s_or_b64 exec, exec, s[28:29]
	s_and_b64 s[28:29], s[90:91], exec
.LBB17_2304:                            ;   in Loop: Header=BB17_2071 Depth=2
	s_or_b64 exec, exec, s[24:25]
	s_and_saveexec_b64 s[24:25], s[28:29]
	s_cbranch_execz .LBB17_2306
; %bb.2305:                             ;   in Loop: Header=BB17_2071 Depth=2
	global_store_dwordx4 v[76:77], v[8:11], off
	global_store_dwordx4 v[76:77], v[12:15], off offset:1024
	global_store_dwordx4 v[76:77], v[16:19], off offset:2048
	;; [unrolled: 1-line block ×3, first 2 shown]
.LBB17_2306:                            ;   in Loop: Header=BB17_2071 Depth=2
	s_or_b64 exec, exec, s[24:25]
	s_nop 0
	v_lshlrev_b32_e32 v20, 12, v52
	v_cmp_ne_u32_e32 vcc, v63, v20
                                        ; implicit-def: $vgpr14
                                        ; implicit-def: $vgpr8
                                        ; implicit-def: $vgpr15
	s_and_saveexec_b64 s[28:29], vcc
	s_cbranch_execz .LBB17_2322
; %bb.2307:                             ;   in Loop: Header=BB17_2071 Depth=2
	v_lshlrev_b32_e32 v9, 6, v28
	v_sub_u32_e32 v9, v95, v9
	v_ashrrev_i32_e32 v10, 31, v9
	v_lshrrev_b32_e32 v10, 26, v10
	v_add_u32_e32 v10, v9, v10
	v_ashrrev_i32_e32 v11, 6, v10
	v_and_b32_e32 v10, 0xffffffc0, v10
	v_sub_u32_e32 v21, v9, v10
	v_lshlrev_b32_e32 v9, 4, v21
	v_sub_u32_e32 v8, v63, v20
	v_lshl_add_u32 v9, v11, 10, v9
	v_add_u32_e32 v10, v9, v20
	v_sub_u32_e32 v25, v8, v9
	v_ashrrev_i32_e32 v9, 31, v8
	v_lshrrev_b32_e32 v9, 22, v9
	v_add_u32_e32 v9, v8, v9
	v_and_b32_e32 v22, 0xfffffc00, v9
	v_sub_u32_e32 v24, v8, v22
	v_ashrrev_i32_e32 v12, 10, v9
	v_cmp_lt_i32_e32 vcc, 15, v24
	s_mov_b64 s[92:93], 0
	s_nop 0
	v_addc_co_u32_e64 v8, s[24:25], 0, v12, vcc
	v_sub_u32_e32 v23, v8, v11
	v_ashrrev_i32_e32 v11, 31, v10
	v_lshl_add_u64 v[16:17], v[10:11], 0, v[74:75]
	v_cmp_lt_i32_e64 s[24:25], 15, v25
                                        ; implicit-def: $vgpr8_vgpr9
	s_and_saveexec_b64 s[90:91], s[24:25]
	s_cbranch_execz .LBB17_2317
; %bb.2308:                             ;   in Loop: Header=BB17_2071 Depth=2
	v_lshl_add_u64 v[18:19], v[10:11], 0, v[72:73]
	s_mov_b64 s[30:31], 0
                                        ; implicit-def: $sgpr94_sgpr95
                                        ; implicit-def: $vgpr8_vgpr9
	s_branch .LBB17_2310
.LBB17_2309:                            ;   in Loop: Header=BB17_2310 Depth=3
	s_or_b64 exec, exec, s[24:25]
	v_cmp_gt_i32_e64 s[24:25], 16, v25
	s_or_b64 s[92:93], s[24:25], s[92:93]
	s_andn2_b64 s[24:25], s[94:95], exec
	s_and_b64 s[94:95], s[30:31], exec
	s_or_b64 s[94:95], s[24:25], s[94:95]
	s_andn2_b64 exec, exec, s[92:93]
	s_cbranch_execz .LBB17_2316
.LBB17_2310:                            ;   Parent Loop BB17_47 Depth=1
                                        ;     Parent Loop BB17_2071 Depth=2
                                        ; =>    This Inner Loop Header: Depth=3
	global_load_dwordx4 v[12:15], v[18:19], off nt
	s_and_saveexec_b64 s[24:25], s[30:31]
	s_cbranch_execz .LBB17_2312
; %bb.2311:                             ;   in Loop: Header=BB17_2310 Depth=3
	v_lshl_add_u64 v[26:27], v[16:17], 0, v[42:43]
	global_store_dwordx4 v[16:17], v[8:11], off
	v_mov_b64_e32 v[16:17], v[26:27]
.LBB17_2312:                            ;   in Loop: Header=BB17_2310 Depth=3
	s_or_b64 exec, exec, s[24:25]
	v_sub_u32_e32 v25, v25, v105
	v_lshl_add_u64 v[18:19], v[18:19], 0, v[42:43]
	v_cmp_lt_i32_e64 s[30:31], 15, v25
	s_and_saveexec_b64 s[24:25], s[30:31]
	s_cbranch_execz .LBB17_2314
; %bb.2313:                             ;   in Loop: Header=BB17_2310 Depth=3
	global_load_dwordx4 v[8:11], v[18:19], off nt
	v_lshl_add_u64 v[18:19], v[18:19], 0, s[60:61]
.LBB17_2314:                            ;   in Loop: Header=BB17_2310 Depth=3
	s_or_b64 exec, exec, s[24:25]
	v_sub_u32_e32 v23, v23, v84
	s_waitcnt vmcnt(0)
	global_store_dwordx4 v[16:17], v[12:15], off
	v_lshl_add_u64 v[16:17], v[16:17], 0, s[60:61]
	s_and_saveexec_b64 s[24:25], s[30:31]
	s_cbranch_execz .LBB17_2309
; %bb.2315:                             ;   in Loop: Header=BB17_2310 Depth=3
	v_sub_u32_e32 v23, v23, v84
	v_sub_u32_e32 v25, v25, v105
	v_lshl_add_u64 v[18:19], v[18:19], 0, v[114:115]
	v_lshl_add_u64 v[16:17], v[16:17], 0, v[114:115]
	s_branch .LBB17_2309
.LBB17_2316:                            ;   in Loop: Header=BB17_2071 Depth=2
	s_or_b64 exec, exec, s[92:93]
	s_and_b64 s[92:93], s[94:95], exec
.LBB17_2317:                            ;   in Loop: Header=BB17_2071 Depth=2
	s_or_b64 exec, exec, s[90:91]
	s_and_saveexec_b64 s[24:25], s[92:93]
	s_cbranch_execz .LBB17_2319
; %bb.2318:                             ;   in Loop: Header=BB17_2071 Depth=2
	global_store_dwordx4 v[16:17], v[8:11], off
.LBB17_2319:                            ;   in Loop: Header=BB17_2071 Depth=2
	s_or_b64 exec, exec, s[24:25]
	s_nop 0
	v_and_b32_e32 v9, 14, v63
	v_cndmask_b32_e32 v63, v24, v9, vcc
	v_cmp_ne_u32_e64 s[24:25], 0, v63
	s_mov_b64 s[92:93], s[26:27]
                                        ; implicit-def: $vgpr14
                                        ; implicit-def: $vgpr8
                                        ; implicit-def: $vgpr15
	s_and_saveexec_b64 s[90:91], s[24:25]
	s_cbranch_execz .LBB17_2321
; %bb.2320:                             ;   in Loop: Header=BB17_2071 Depth=2
	v_sub_u32_e32 v8, v24, v9
	v_cndmask_b32_e32 v8, 0, v8, vcc
	v_cmp_lt_i32_e32 vcc, 0, v23
	v_add3_u32 v14, v22, v20, v8
	s_or_b64 s[92:93], s[26:27], exec
	v_cndmask_b32_e32 v8, 0, v84, vcc
	v_sub_u32_e32 v8, v8, v23
	v_lshl_add_u32 v8, v8, 6, v21
	v_ashrrev_i32_e32 v9, 31, v8
	v_lshrrev_b32_e32 v9, 26, v9
	v_add_u32_e32 v9, v8, v9
	v_and_b32_e32 v9, 0xffffffc0, v9
	v_sub_u32_e32 v15, v8, v9
.LBB17_2321:                            ;   in Loop: Header=BB17_2071 Depth=2
	s_or_b64 exec, exec, s[90:91]
	s_andn2_b64 s[24:25], s[26:27], exec
	s_and_b64 s[26:27], s[92:93], exec
	s_or_b64 s[26:27], s[24:25], s[26:27]
.LBB17_2322:                            ;   in Loop: Header=BB17_2071 Depth=2
	s_or_b64 exec, exec, s[28:29]
	s_and_saveexec_b64 s[24:25], s[26:27]
	s_cbranch_execz .LBB17_2343
.LBB17_2323:                            ;   in Loop: Header=BB17_2071 Depth=2
	v_ashrrev_i32_e32 v9, 31, v8
	v_lshrrev_b32_e32 v9, 26, v9
	v_add_u32_e32 v8, v8, v9
	v_ashrrev_i32_e32 v8, 6, v8
	v_lshlrev_b32_e32 v9, 10, v8
	v_lshlrev_b32_e32 v10, 1, v15
	v_add3_u32 v10, v14, v10, v9
	v_ashrrev_i32_e32 v9, 31, v63
	v_lshrrev_b32_e32 v9, 22, v9
	v_add_u32_e32 v9, v63, v9
	v_ashrrev_i32_e32 v16, 10, v9
	v_sub_u32_e32 v12, v16, v8
	v_ashrrev_i32_e32 v11, 31, v10
	v_lshl_add_u64 v[8:9], v[74:75], 0, v[10:11]
	v_cmp_lt_i32_e32 vcc, 0, v12
	s_mov_b64 s[28:29], 0
                                        ; implicit-def: $vgpr17
                                        ; implicit-def: $vgpr18
                                        ; implicit-def: $vgpr19
                                        ; implicit-def: $vgpr20
                                        ; implicit-def: $vgpr21
                                        ; implicit-def: $vgpr22
                                        ; implicit-def: $vgpr23
                                        ; implicit-def: $vgpr24
	s_and_saveexec_b64 s[26:27], vcc
	s_cbranch_execz .LBB17_2331
; %bb.2324:                             ;   in Loop: Header=BB17_2071 Depth=2
	v_lshl_add_u64 v[10:11], v[10:11], 0, v[72:73]
	s_mov_b64 s[92:93], 0
                                        ; implicit-def: $sgpr90_sgpr91
                                        ; implicit-def: $vgpr17
                                        ; implicit-def: $vgpr18
                                        ; implicit-def: $vgpr19
                                        ; implicit-def: $vgpr20
                                        ; implicit-def: $vgpr21
                                        ; implicit-def: $vgpr22
                                        ; implicit-def: $vgpr23
                                        ; implicit-def: $vgpr24
	s_branch .LBB17_2326
.LBB17_2325:                            ;   in Loop: Header=BB17_2326 Depth=3
	s_or_b64 exec, exec, s[94:95]
	s_waitcnt vmcnt(0) lgkmcnt(0)
	flat_store_short v[8:9], v25 nt
	flat_store_short v[8:9], v26 offset:128 nt
	flat_store_short v[8:9], v27 offset:256 nt
	;; [unrolled: 1-line block ×7, first 2 shown]
	v_lshl_add_u64 v[8:9], v[8:9], 0, v[12:13]
	v_lshl_add_u64 v[10:11], v[10:11], 0, v[12:13]
	v_sub_u32_e32 v12, v35, v36
	v_cmp_gt_i32_e32 vcc, 1, v12
	s_or_b64 s[28:29], vcc, s[28:29]
	s_andn2_b64 s[90:91], s[90:91], exec
	s_and_b64 s[94:95], s[92:93], exec
	v_lshl_add_u64 v[8:9], v[8:9], 0, s[60:61]
	s_or_b64 s[90:91], s[90:91], s[94:95]
	s_andn2_b64 exec, exec, s[28:29]
	s_cbranch_execz .LBB17_2330
.LBB17_2326:                            ;   Parent Loop BB17_47 Depth=1
                                        ;     Parent Loop BB17_2071 Depth=2
                                        ; =>    This Inner Loop Header: Depth=3
	flat_load_ushort v25, v[10:11] nt
	flat_load_ushort v26, v[10:11] offset:128 nt
	flat_load_ushort v27, v[10:11] offset:256 nt
	;; [unrolled: 1-line block ×7, first 2 shown]
	s_and_saveexec_b64 s[94:95], s[92:93]
	s_cbranch_execz .LBB17_2328
; %bb.2327:                             ;   in Loop: Header=BB17_2326 Depth=3
	flat_store_short v[8:9], v17 nt
	flat_store_short v[8:9], v18 offset:128 nt
	flat_store_short v[8:9], v19 offset:256 nt
	;; [unrolled: 1-line block ×7, first 2 shown]
	v_lshl_add_u64 v[8:9], v[8:9], 0, v[42:43]
.LBB17_2328:                            ;   in Loop: Header=BB17_2326 Depth=3
	s_or_b64 exec, exec, s[94:95]
	v_sub_u32_e32 v35, v12, v84
	v_lshl_add_u64 v[10:11], v[10:11], 0, v[42:43]
	v_mov_b32_e32 v36, 0
	v_cmp_lt_i32_e64 s[92:93], 0, v35
	v_mov_b64_e32 v[12:13], 0
	s_and_saveexec_b64 s[94:95], s[92:93]
	s_cbranch_execz .LBB17_2325
; %bb.2329:                             ;   in Loop: Header=BB17_2326 Depth=3
	flat_load_ushort v17, v[10:11] nt
	flat_load_ushort v18, v[10:11] offset:128 nt
	flat_load_ushort v19, v[10:11] offset:256 nt
	;; [unrolled: 1-line block ×7, first 2 shown]
	v_lshl_add_u64 v[10:11], v[10:11], 0, s[60:61]
	v_mov_b32_e32 v36, v84
	v_mov_b64_e32 v[12:13], v[114:115]
	s_branch .LBB17_2325
.LBB17_2330:                            ;   in Loop: Header=BB17_2071 Depth=2
	s_or_b64 exec, exec, s[28:29]
	s_and_b64 s[28:29], s[90:91], exec
.LBB17_2331:                            ;   in Loop: Header=BB17_2071 Depth=2
	s_or_b64 exec, exec, s[26:27]
	s_and_saveexec_b64 s[26:27], s[28:29]
	s_cbranch_execz .LBB17_2333
; %bb.2332:                             ;   in Loop: Header=BB17_2071 Depth=2
	flat_store_short v[8:9], v17 nt
	flat_store_short v[8:9], v18 offset:128 nt
	flat_store_short v[8:9], v19 offset:256 nt
	;; [unrolled: 1-line block ×7, first 2 shown]
.LBB17_2333:                            ;   in Loop: Header=BB17_2071 Depth=2
	s_or_b64 exec, exec, s[26:27]
	v_lshlrev_b32_e32 v8, 10, v16
	v_cmp_ne_u32_e32 vcc, v63, v8
	s_and_b64 exec, exec, vcc
	s_cbranch_execz .LBB17_2343
; %bb.2334:                             ;   in Loop: Header=BB17_2071 Depth=2
	v_lshlrev_b32_e32 v9, 6, v12
	v_sub_u32_e32 v9, v15, v9
	v_ashrrev_i32_e32 v10, 31, v9
	v_lshrrev_b32_e32 v10, 26, v10
	v_add_u32_e32 v10, v9, v10
	v_and_b32_e32 v11, 0x7fffffc0, v10
	v_sub_u32_e32 v9, v9, v11
	v_lshlrev_b32_e32 v10, 1, v10
	v_and_b32_e32 v10, 0xffffff80, v10
	v_lshlrev_b32_e32 v9, 1, v9
	v_add3_u32 v8, v10, v9, v8
	v_sub_u32_e32 v12, v63, v8
	v_cmp_lt_i32_e32 vcc, 1, v12
	s_and_b64 exec, exec, vcc
	s_cbranch_execz .LBB17_2343
; %bb.2335:                             ;   in Loop: Header=BB17_2071 Depth=2
	v_add_u32_e32 v10, v8, v14
	v_ashrrev_i32_e32 v11, 31, v10
	v_lshl_add_u64 v[8:9], v[74:75], 0, v[10:11]
	v_lshl_add_u64 v[10:11], v[10:11], 0, v[72:73]
	s_mov_b64 s[90:91], 0
	s_mov_b64 s[26:27], 0
                                        ; implicit-def: $sgpr28_sgpr29
                                        ; implicit-def: $vgpr14
	s_branch .LBB17_2337
.LBB17_2336:                            ;   in Loop: Header=BB17_2337 Depth=3
	s_or_b64 exec, exec, s[92:93]
	s_waitcnt vmcnt(0) lgkmcnt(0)
	flat_store_short v[8:9], v15 nt
	v_lshl_add_u64 v[8:9], v[8:9], 0, v[12:13]
	v_lshl_add_u64 v[10:11], v[10:11], 0, v[12:13]
	v_sub_u32_e32 v12, v16, v17
	v_cmp_gt_i32_e32 vcc, 2, v12
	s_or_b64 s[26:27], vcc, s[26:27]
	s_andn2_b64 s[28:29], s[28:29], exec
	s_and_b64 s[92:93], s[90:91], exec
	v_lshl_add_u64 v[8:9], v[8:9], 0, s[62:63]
	s_or_b64 s[28:29], s[28:29], s[92:93]
	s_andn2_b64 exec, exec, s[26:27]
	s_cbranch_execz .LBB17_2341
.LBB17_2337:                            ;   Parent Loop BB17_47 Depth=1
                                        ;     Parent Loop BB17_2071 Depth=2
                                        ; =>    This Inner Loop Header: Depth=3
	flat_load_ushort v15, v[10:11] nt
	s_and_saveexec_b64 s[92:93], s[90:91]
	s_cbranch_execz .LBB17_2339
; %bb.2338:                             ;   in Loop: Header=BB17_2337 Depth=3
	v_lshl_add_u64 v[16:17], v[8:9], 0, v[44:45]
	flat_store_short v[8:9], v14 nt
	v_mov_b64_e32 v[8:9], v[16:17]
.LBB17_2339:                            ;   in Loop: Header=BB17_2337 Depth=3
	s_or_b64 exec, exec, s[92:93]
	v_sub_u32_e32 v16, v12, v106
	v_lshl_add_u64 v[10:11], v[10:11], 0, v[44:45]
	v_cmp_lt_i32_e64 s[90:91], 1, v16
	v_mov_b64_e32 v[12:13], 0
	v_mov_b32_e32 v17, 0
	s_and_saveexec_b64 s[92:93], s[90:91]
	s_cbranch_execz .LBB17_2336
; %bb.2340:                             ;   in Loop: Header=BB17_2337 Depth=3
	flat_load_ushort v14, v[10:11] nt
	v_lshl_add_u64 v[10:11], v[10:11], 0, s[62:63]
	v_mov_b32_e32 v17, v106
	v_mov_b64_e32 v[12:13], v[116:117]
	s_branch .LBB17_2336
.LBB17_2341:                            ;   in Loop: Header=BB17_2071 Depth=2
	s_or_b64 exec, exec, s[26:27]
	s_and_b64 exec, exec, s[28:29]
	s_cbranch_execz .LBB17_2343
; %bb.2342:                             ;   in Loop: Header=BB17_2071 Depth=2
	flat_store_short v[8:9], v14 nt
.LBB17_2343:                            ;   in Loop: Header=BB17_2071 Depth=2
	s_or_b64 exec, exec, s[24:25]
	v_cmp_lt_i32_e64 s[24:25], 0, v2
	s_and_saveexec_b64 s[26:27], s[6:7]
	s_cbranch_execz .LBB17_2217
.LBB17_2344:                            ;   in Loop: Header=BB17_2071 Depth=2
	s_and_saveexec_b64 s[28:29], s[56:57]
	s_xor_b64 s[28:29], exec, s[28:29]
	s_cbranch_execz .LBB17_2359
; %bb.2345:                             ;   in Loop: Header=BB17_2071 Depth=2
	s_and_saveexec_b64 s[90:91], s[14:15]
	s_cbranch_execz .LBB17_2358
; %bb.2346:                             ;   in Loop: Header=BB17_2071 Depth=2
	s_mov_b64 s[94:95], exec
	v_mbcnt_lo_u32_b32 v2, s94, 0
	v_mbcnt_hi_u32_b32 v2, s95, v2
	v_cmp_eq_u32_e32 vcc, 0, v2
	s_waitcnt lgkmcnt(0)
	s_and_saveexec_b64 s[92:93], vcc
	s_cbranch_execz .LBB17_2348
; %bb.2347:                             ;   in Loop: Header=BB17_2071 Depth=2
	s_bcnt1_i32_b64 s45, s[94:95]
	v_mov_b32_e32 v2, s45
	ds_add_u64 v0, v[2:3]
	s_trap 2
.LBB17_2348:                            ;   in Loop: Header=BB17_2071 Depth=2
	s_or_b64 exec, exec, s[92:93]
	s_trap 2
	ds_read_b64 v[8:9], v0
	s_waitcnt lgkmcnt(0)
	v_lshl_add_u64 v[70:71], v[70:71], 0, v[84:85]
	v_cmp_lt_u64_e32 vcc, v[8:9], v[70:71]
	s_and_saveexec_b64 s[92:93], vcc
	s_cbranch_execz .LBB17_2357
; %bb.2349:                             ;   in Loop: Header=BB17_2071 Depth=2
	s_mov_b32 s45, 0
	s_mov_b64 s[94:95], 0
                                        ; implicit-def: $sgpr30_sgpr31
                                        ; implicit-def: $sgpr34_sgpr35
	s_branch .LBB17_2351
.LBB17_2350:                            ;   in Loop: Header=BB17_2351 Depth=3
	s_or_b64 exec, exec, s[38:39]
	s_and_b64 vcc, exec, vcc
	s_or_b64 s[94:95], vcc, s[94:95]
	s_andn2_b64 vcc, s[30:31], exec
	s_and_b64 s[30:31], s[34:35], exec
	s_or_b64 s[30:31], vcc, s[30:31]
	s_andn2_b64 exec, exec, s[94:95]
	s_cbranch_execz .LBB17_2355
.LBB17_2351:                            ;   Parent Loop BB17_47 Depth=1
                                        ;     Parent Loop BB17_2071 Depth=2
                                        ; =>    This Inner Loop Header: Depth=3
	s_add_i32 s45, s45, 1
	s_cmpk_lg_i32 s45, 0x2710
	s_cselect_b64 s[36:37], -1, 0
	s_and_b64 vcc, exec, s[36:37]
	s_cbranch_vccz .LBB17_2353
; %bb.2352:                             ;   in Loop: Header=BB17_2351 Depth=3
	s_mov_b64 vcc, -1
	s_or_b64 s[34:35], s[34:35], exec
	s_and_saveexec_b64 s[38:39], s[36:37]
	s_cbranch_execz .LBB17_2350
	s_branch .LBB17_2354
.LBB17_2353:                            ;   in Loop: Header=BB17_2351 Depth=3
	s_trap 2
	ds_read_b64 v[8:9], v0
	s_andn2_b64 s[36:37], s[36:37], exec
	s_mov_b32 s45, 0
	s_waitcnt vmcnt(0) lgkmcnt(0)
	flat_load_dword v2, v[8:9] sc0 sc1
	s_waitcnt vmcnt(0) lgkmcnt(0)
	buffer_inv sc0 sc1
	v_cmp_eq_u32_e32 vcc, 0, v2
	s_and_b64 vcc, vcc, exec
	s_or_b64 s[36:37], s[36:37], vcc
	s_mov_b64 vcc, -1
	s_or_b64 s[34:35], s[34:35], exec
	s_and_saveexec_b64 s[38:39], s[36:37]
	s_cbranch_execz .LBB17_2350
.LBB17_2354:                            ;   in Loop: Header=BB17_2351 Depth=3
	s_sleep 1
	s_trap 2
	ds_read_b64 v[8:9], v0
	s_waitcnt lgkmcnt(0)
	s_andn2_b64 s[34:35], s[34:35], exec
	v_cmp_ge_u64_e32 vcc, v[8:9], v[70:71]
	s_orn2_b64 vcc, vcc, exec
	s_branch .LBB17_2350
.LBB17_2355:                            ;   in Loop: Header=BB17_2071 Depth=2
	s_or_b64 exec, exec, s[94:95]
	s_and_saveexec_b64 s[94:95], s[30:31]
	s_xor_b64 s[94:95], exec, s[94:95]
	s_cbranch_execz .LBB17_2357
; %bb.2356:                             ;   in Loop: Header=BB17_2071 Depth=2
	ds_write_b32 v0, v107
	s_trap 2
.LBB17_2357:                            ;   in Loop: Header=BB17_2071 Depth=2
	s_or_b64 exec, exec, s[92:93]
	;;#ASMSTART
	s_wakeup
	;;#ASMEND
.LBB17_2358:                            ;   in Loop: Header=BB17_2071 Depth=2
	s_or_b64 exec, exec, s[90:91]
.LBB17_2359:                            ;   in Loop: Header=BB17_2071 Depth=2
	s_andn2_saveexec_b64 s[28:29], s[28:29]
	s_cbranch_execz .LBB17_2361
; %bb.2360:                             ;   in Loop: Header=BB17_2071 Depth=2
	s_waitcnt lgkmcnt(0)
	s_barrier
.LBB17_2361:                            ;   in Loop: Header=BB17_2071 Depth=2
	s_or_b64 exec, exec, s[28:29]
	s_or_b64 exec, exec, s[26:27]
                                        ; implicit-def: $vgpr2
	s_and_saveexec_b64 s[26:27], s[22:23]
	s_xor_b64 s[26:27], exec, s[26:27]
	s_cbranch_execnz .LBB17_2218
.LBB17_2362:                            ;   in Loop: Header=BB17_2071 Depth=2
	s_andn2_saveexec_b64 s[24:25], s[26:27]
	s_cbranch_execz .LBB17_2381
.LBB17_2363:                            ;   in Loop: Header=BB17_2071 Depth=2
	s_and_saveexec_b64 s[26:27], s[56:57]
	s_xor_b64 s[26:27], exec, s[26:27]
	s_cbranch_execz .LBB17_2378
; %bb.2364:                             ;   in Loop: Header=BB17_2071 Depth=2
	s_and_saveexec_b64 s[28:29], s[14:15]
	s_cbranch_execz .LBB17_2377
; %bb.2365:                             ;   in Loop: Header=BB17_2071 Depth=2
	s_mov_b64 s[92:93], exec
	v_mbcnt_lo_u32_b32 v2, s92, 0
	v_mbcnt_hi_u32_b32 v2, s93, v2
	v_cmp_eq_u32_e32 vcc, 0, v2
	;;#ASMSTART
	s_waitcnt lgkmcnt(0) vmcnt(0)
	;;#ASMEND
	s_and_saveexec_b64 s[90:91], vcc
	s_cbranch_execz .LBB17_2367
; %bb.2366:                             ;   in Loop: Header=BB17_2071 Depth=2
	s_bcnt1_i32_b64 s45, s[92:93]
	v_mov_b32_e32 v2, s45
	s_waitcnt lgkmcnt(0)
	ds_add_u64 v0, v[2:3]
	s_trap 2
.LBB17_2367:                            ;   in Loop: Header=BB17_2071 Depth=2
	s_or_b64 exec, exec, s[90:91]
	s_trap 2
	ds_read_b64 v[8:9], v0
	s_waitcnt lgkmcnt(0)
	v_lshl_add_u64 v[70:71], v[70:71], 0, v[84:85]
	v_cmp_lt_u64_e32 vcc, v[8:9], v[70:71]
	s_and_saveexec_b64 s[90:91], vcc
	s_cbranch_execz .LBB17_2376
; %bb.2368:                             ;   in Loop: Header=BB17_2071 Depth=2
	s_mov_b32 s45, 0
	s_mov_b64 s[92:93], 0
                                        ; implicit-def: $sgpr94_sgpr95
                                        ; implicit-def: $sgpr30_sgpr31
	s_branch .LBB17_2370
.LBB17_2369:                            ;   in Loop: Header=BB17_2370 Depth=3
	s_or_b64 exec, exec, s[36:37]
	s_and_b64 vcc, exec, vcc
	s_or_b64 s[92:93], vcc, s[92:93]
	s_andn2_b64 s[94:95], s[94:95], exec
	s_and_b64 vcc, s[30:31], exec
	s_or_b64 s[94:95], s[94:95], vcc
	s_andn2_b64 exec, exec, s[92:93]
	s_cbranch_execz .LBB17_2374
.LBB17_2370:                            ;   Parent Loop BB17_47 Depth=1
                                        ;     Parent Loop BB17_2071 Depth=2
                                        ; =>    This Inner Loop Header: Depth=3
	s_add_i32 s45, s45, 1
	s_cmpk_lg_i32 s45, 0x2710
	s_cselect_b64 s[34:35], -1, 0
	s_and_b64 vcc, exec, s[34:35]
	s_cbranch_vccz .LBB17_2372
; %bb.2371:                             ;   in Loop: Header=BB17_2370 Depth=3
	s_mov_b64 vcc, -1
	s_or_b64 s[30:31], s[30:31], exec
	s_and_saveexec_b64 s[36:37], s[34:35]
	s_cbranch_execz .LBB17_2369
	s_branch .LBB17_2373
.LBB17_2372:                            ;   in Loop: Header=BB17_2370 Depth=3
	s_trap 2
	ds_read_b64 v[8:9], v0
	s_andn2_b64 s[34:35], s[34:35], exec
	s_mov_b32 s45, 0
	s_waitcnt vmcnt(0) lgkmcnt(0)
	flat_load_dword v2, v[8:9] sc0 sc1
	s_waitcnt vmcnt(0) lgkmcnt(0)
	buffer_inv sc0 sc1
	v_cmp_eq_u32_e32 vcc, 0, v2
	s_and_b64 vcc, vcc, exec
	s_or_b64 s[34:35], s[34:35], vcc
	s_mov_b64 vcc, -1
	s_or_b64 s[30:31], s[30:31], exec
	s_and_saveexec_b64 s[36:37], s[34:35]
	s_cbranch_execz .LBB17_2369
.LBB17_2373:                            ;   in Loop: Header=BB17_2370 Depth=3
	s_sleep 1
	s_trap 2
	ds_read_b64 v[8:9], v0
	s_waitcnt lgkmcnt(0)
	s_andn2_b64 s[30:31], s[30:31], exec
	v_cmp_ge_u64_e32 vcc, v[8:9], v[70:71]
	s_orn2_b64 vcc, vcc, exec
	s_branch .LBB17_2369
.LBB17_2374:                            ;   in Loop: Header=BB17_2071 Depth=2
	s_or_b64 exec, exec, s[92:93]
	s_and_saveexec_b64 s[92:93], s[94:95]
	s_xor_b64 s[92:93], exec, s[92:93]
	s_cbranch_execz .LBB17_2376
; %bb.2375:                             ;   in Loop: Header=BB17_2071 Depth=2
	ds_write_b32 v0, v107
	s_trap 2
.LBB17_2376:                            ;   in Loop: Header=BB17_2071 Depth=2
	s_or_b64 exec, exec, s[90:91]
	;;#ASMSTART
	s_wakeup
	;;#ASMEND
.LBB17_2377:                            ;   in Loop: Header=BB17_2071 Depth=2
	s_or_b64 exec, exec, s[28:29]
.LBB17_2378:                            ;   in Loop: Header=BB17_2071 Depth=2
	s_andn2_saveexec_b64 s[26:27], s[26:27]
	s_cbranch_execz .LBB17_2380
; %bb.2379:                             ;   in Loop: Header=BB17_2071 Depth=2
	;;#ASMSTART
	s_waitcnt lgkmcnt(0) vmcnt(0)
	;;#ASMEND
	s_barrier
.LBB17_2380:                            ;   in Loop: Header=BB17_2071 Depth=2
	s_or_b64 exec, exec, s[26:27]
	v_and_b32_e32 v2, 16, v94
.LBB17_2381:                            ;   in Loop: Header=BB17_2071 Depth=2
	s_or_b64 exec, exec, s[24:25]
	v_cmp_ne_u32_e32 vcc, 0, v2
	s_xor_b64 s[24:25], s[10:11], -1
	s_and_b64 s[26:27], vcc, s[24:25]
	s_and_saveexec_b64 s[24:25], s[26:27]
	s_cbranch_execz .LBB17_2383
; %bb.2382:                             ;   in Loop: Header=BB17_2071 Depth=2
	flat_store_dword v[68:69], v107 sc0 sc1
.LBB17_2383:                            ;   in Loop: Header=BB17_2071 Depth=2
	s_or_b64 exec, exec, s[24:25]
	v_and_b32_e32 v2, 48, v94
	v_cmp_ne_u32_e32 vcc, 0, v2
	s_and_saveexec_b64 s[24:25], vcc
	s_cbranch_execz .LBB17_2385
; %bb.2384:                             ;   in Loop: Header=BB17_2071 Depth=2
	v_lshl_add_u64 v[56:57], v[56:57], 0, 4
	flat_store_dwordx2 v[64:65], v[56:57] sc0 sc1
.LBB17_2385:                            ;   in Loop: Header=BB17_2071 Depth=2
	s_or_b64 exec, exec, s[24:25]
	v_mov_b32_e32 v2, v62
	s_or_b64 exec, exec, s[42:43]
	s_and_saveexec_b64 s[26:27], s[40:41]
	s_cbranch_execnz .LBB17_2078
.LBB17_2386:                            ;   in Loop: Header=BB17_2071 Depth=2
	s_or_b64 exec, exec, s[26:27]
	s_add_i32 s24, s44, 1
	s_cmp_eq_u32 s44, s84
	s_cbranch_scc1 .LBB17_2388
.LBB17_2387:                            ;   in Loop: Header=BB17_2071 Depth=2
	s_mov_b32 s44, s24
	s_branch .LBB17_2071
.LBB17_2388:                            ;   in Loop: Header=BB17_47 Depth=1
	v_mul_lo_u32 v2, v47, s85
	v_mul_lo_u32 v10, v46, s86
	v_mad_u64_u32 v[8:9], s[24:25], v46, s85, 0
	v_add3_u32 v9, v9, v10, v2
	v_sub_co_u32_e32 v10, vcc, v58, v8
	v_mov_b32_e32 v14, 0
	s_nop 0
	v_subb_co_u32_e32 v11, vcc, v59, v9, vcc
	v_cmp_lt_i64_e32 vcc, v[46:47], v[10:11]
	s_nop 1
	v_cndmask_b32_e32 v2, v10, v46, vcc
	v_max_i32_e32 v76, 0, v2
	v_add_u32_e32 v10, 15, v76
	v_ashrrev_i32_e32 v11, 31, v10
	v_lshrrev_b32_e32 v11, 28, v11
	v_add_u32_e32 v10, v10, v11
	v_cmp_gt_i32_e32 vcc, 1, v2
	v_and_b32_e32 v10, -16, v10
	s_or_b64 s[26:27], s[2:3], vcc
	v_max_i32_e32 v77, s69, v10
	s_xor_b64 s[24:25], s[26:27], -1
	s_and_saveexec_b64 s[28:29], s[24:25]
	s_cbranch_execz .LBB17_2555
; %bb.2389:                             ;   in Loop: Header=BB17_47 Depth=1
	s_and_saveexec_b64 s[24:25], s[0:1]
	s_cbranch_execz .LBB17_2391
; %bb.2390:                             ;   in Loop: Header=BB17_47 Depth=1
	s_trap 2
	ds_read_b128 v[10:13], v0
	v_lshl_add_u64 v[8:9], v[8:9], 0, v[60:61]
	v_lshlrev_b64 v[8:9], 1, v[8:9]
	s_waitcnt lgkmcnt(0)
	v_lshl_add_u64 v[10:11], v[10:11], 0, v[8:9]
	v_lshl_add_u64 v[8:9], v[12:13], 0, v[8:9]
	v_cmp_ne_u64_e32 vcc, 0, v[12:13]
	ds_write_b64 v0, v[10:11]
	s_nop 0
	v_cndmask_b32_e32 v9, 0, v9, vcc
	v_cndmask_b32_e32 v8, 0, v8, vcc
	ds_write_b64 v0, v[8:9]
.LBB17_2391:                            ;   in Loop: Header=BB17_47 Depth=1
	s_or_b64 exec, exec, s[24:25]
	v_and_b32_e32 v2, 4, v94
	v_cmp_ne_u32_e32 vcc, 0, v2
	s_and_saveexec_b64 s[40:41], vcc
	s_cbranch_execz .LBB17_2413
; %bb.2392:                             ;   in Loop: Header=BB17_47 Depth=1
	v_lshl_add_u64 v[8:9], v[56:57], 0, 4
	s_waitcnt vmcnt(0) lgkmcnt(0)
	v_cmp_lt_u64_e32 vcc, v[80:81], v[8:9]
	s_and_saveexec_b64 s[42:43], vcc
	s_cbranch_execz .LBB17_2404
; %bb.2393:                             ;   in Loop: Header=BB17_47 Depth=1
	v_and_b32_e32 v2, 64, v94
	s_mov_b32 s44, 0
	v_cmp_eq_u32_e32 vcc, 0, v2
	s_mov_b64 s[90:91], 0
                                        ; implicit-def: $sgpr92_sgpr93
                                        ; implicit-def: $sgpr94_sgpr95
                                        ; implicit-def: $sgpr30_sgpr31
	s_branch .LBB17_2397
.LBB17_2394:                            ;   in Loop: Header=BB17_2397 Depth=2
	s_waitcnt vmcnt(0) lgkmcnt(0)
	v_cmp_ge_u64_e64 s[24:25], v[80:81], v[8:9]
	s_or_b64 s[38:39], s[38:39], exec
	s_orn2_b64 s[36:37], s[24:25], exec
.LBB17_2395:                            ;   in Loop: Header=BB17_2397 Depth=2
	s_or_b64 exec, exec, s[50:51]
	s_andn2_b64 s[24:25], s[30:31], exec
	s_and_b64 s[30:31], s[38:39], exec
	s_or_b64 s[30:31], s[24:25], s[30:31]
	s_andn2_b64 s[24:25], s[94:95], exec
	s_and_b64 s[94:95], s[36:37], exec
	s_or_b64 s[94:95], s[24:25], s[94:95]
.LBB17_2396:                            ;   in Loop: Header=BB17_2397 Depth=2
	s_or_b64 exec, exec, s[34:35]
	s_and_b64 s[24:25], exec, s[94:95]
	s_or_b64 s[90:91], s[24:25], s[90:91]
	s_andn2_b64 s[24:25], s[92:93], exec
	s_and_b64 s[92:93], s[30:31], exec
	s_or_b64 s[92:93], s[24:25], s[92:93]
	s_andn2_b64 exec, exec, s[90:91]
	s_cbranch_execz .LBB17_2401
.LBB17_2397:                            ;   Parent Loop BB17_47 Depth=1
                                        ; =>  This Inner Loop Header: Depth=2
	s_sleep 1
	s_waitcnt vmcnt(0) lgkmcnt(0)
	flat_load_dwordx2 v[80:81], v[64:65] sc0 sc1
	s_or_b64 s[30:31], s[30:31], exec
	s_or_b64 s[94:95], s[94:95], exec
                                        ; implicit-def: $vgpr2
	s_and_saveexec_b64 s[34:35], vcc
	s_cbranch_execz .LBB17_2396
; %bb.2398:                             ;   in Loop: Header=BB17_2397 Depth=2
	s_cmpk_lt_i32 s44, 0x270f
	s_cselect_b64 s[48:49], -1, 0
	s_cmpk_gt_i32 s44, 0x270e
	s_mov_b64 s[36:37], -1
	s_cbranch_scc0 .LBB17_2400
; %bb.2399:                             ;   in Loop: Header=BB17_2397 Depth=2
	s_trap 2
	ds_read_b64 v[10:11], v0
	s_andn2_b64 s[48:49], s[48:49], exec
	s_mov_b32 s44, 0
	s_mov_b64 s[38:39], 0
	s_waitcnt vmcnt(0) lgkmcnt(0)
	flat_load_dword v2, v[10:11] sc0 sc1
	s_waitcnt vmcnt(0) lgkmcnt(0)
	buffer_inv sc0 sc1
	v_cmp_eq_u32_e64 s[24:25], 0, v2
	s_and_b64 s[24:25], s[24:25], exec
	s_or_b64 s[48:49], s[48:49], s[24:25]
	s_and_saveexec_b64 s[50:51], s[48:49]
	s_cbranch_execz .LBB17_2395
	s_branch .LBB17_2394
.LBB17_2400:                            ;   in Loop: Header=BB17_2397 Depth=2
	s_add_i32 s44, s44, 1
	s_mov_b64 s[38:39], -1
                                        ; implicit-def: $vgpr2
	s_and_saveexec_b64 s[50:51], s[48:49]
	s_cbranch_execz .LBB17_2395
	s_branch .LBB17_2394
.LBB17_2401:                            ;   in Loop: Header=BB17_47 Depth=1
	s_or_b64 exec, exec, s[90:91]
	s_xor_b64 s[24:25], s[92:93], -1
	s_and_saveexec_b64 s[44:45], s[24:25]
	s_xor_b64 s[24:25], exec, s[44:45]
	s_cbranch_execz .LBB17_2403
; %bb.2402:                             ;   in Loop: Header=BB17_47 Depth=1
	v_or_b32_e32 v94, 64, v94
	s_waitcnt lgkmcnt(0)
	ds_write_b32 v0, v2
	s_trap 2
.LBB17_2403:                            ;   in Loop: Header=BB17_47 Depth=1
	s_or_b64 exec, exec, s[24:25]
.LBB17_2404:                            ;   in Loop: Header=BB17_47 Depth=1
	s_or_b64 exec, exec, s[42:43]
	v_and_b32_e32 v2, 0x100, v94
	v_cmp_ne_u32_e32 vcc, 0, v2
	v_and_b32_e32 v2, 7, v56
	s_mov_b64 s[24:25], -1
	;;#ASMSTART
	s_wakeup
	;;#ASMEND
                                        ; implicit-def: $vgpr10_vgpr11
	s_and_saveexec_b64 s[42:43], vcc
	s_cbranch_execz .LBB17_2408
; %bb.2405:                             ;   in Loop: Header=BB17_47 Depth=1
	v_mad_u64_u32 v[12:13], s[24:25], v2, 24, v[6:7]
	flat_load_dword v10, v[12:13]
	s_waitcnt vmcnt(0) lgkmcnt(0)
	v_cmp_ne_u32_e32 vcc, 1, v10
	v_cmp_eq_u32_e64 s[24:25], 1, v10
                                        ; implicit-def: $vgpr10_vgpr11
	s_and_saveexec_b64 s[90:91], s[24:25]
	s_cbranch_execz .LBB17_2407
; %bb.2406:                             ;   in Loop: Header=BB17_47 Depth=1
	flat_load_dword v10, v[12:13] offset:4 sc0 sc1
	s_waitcnt vmcnt(0) lgkmcnt(0)
	v_ashrrev_i32_e32 v11, 31, v10
	v_lshrrev_b64 v[10:11], 1, v[10:11]
.LBB17_2407:                            ;   in Loop: Header=BB17_47 Depth=1
	s_or_b64 exec, exec, s[90:91]
	s_orn2_b64 s[24:25], vcc, exec
.LBB17_2408:                            ;   in Loop: Header=BB17_47 Depth=1
	s_or_b64 exec, exec, s[42:43]
	s_and_saveexec_b64 s[42:43], s[24:25]
; %bb.2409:                             ;   in Loop: Header=BB17_47 Depth=1
	v_mad_i64_i32 v[10:11], s[24:25], v2, v30, 0
; %bb.2410:                             ;   in Loop: Header=BB17_47 Depth=1
	s_or_b64 exec, exec, s[42:43]
	v_and_b32_e32 v2, 0x2000, v94
	v_lshl_add_u64 v[10:11], v[10:11], 1, v[66:67]
	v_cmp_ne_u32_e32 vcc, 0, v2
	ds_write_b64 v0, v[10:11] offset:720
	s_and_saveexec_b64 s[24:25], vcc
	s_cbranch_execz .LBB17_2412
; %bb.2411:                             ;   in Loop: Header=BB17_47 Depth=1
	ds_read_b64 v[10:11], v0 offset:872
	s_waitcnt lgkmcnt(0)
	v_lshl_add_u64 v[10:11], v[10:11], 0, 1
	ds_write_b64 v0, v[10:11] offset:872
.LBB17_2412:                            ;   in Loop: Header=BB17_47 Depth=1
	s_or_b64 exec, exec, s[24:25]
	v_mov_b64_e32 v[56:57], v[8:9]
.LBB17_2413:                            ;   in Loop: Header=BB17_47 Depth=1
	s_or_b64 exec, exec, s[40:41]
	s_and_saveexec_b64 s[24:25], s[6:7]
	s_cbranch_execz .LBB17_2432
; %bb.2414:                             ;   in Loop: Header=BB17_47 Depth=1
	s_and_saveexec_b64 s[40:41], s[56:57]
	s_xor_b64 s[40:41], exec, s[40:41]
	s_cbranch_execz .LBB17_2429
; %bb.2415:                             ;   in Loop: Header=BB17_47 Depth=1
	s_and_saveexec_b64 s[42:43], s[14:15]
	s_cbranch_execz .LBB17_2428
; %bb.2416:                             ;   in Loop: Header=BB17_47 Depth=1
	s_mov_b64 s[92:93], exec
	v_mbcnt_lo_u32_b32 v2, s92, 0
	v_mbcnt_hi_u32_b32 v2, s93, v2
	v_cmp_eq_u32_e32 vcc, 0, v2
	s_waitcnt lgkmcnt(0)
	s_and_saveexec_b64 s[90:91], vcc
	s_cbranch_execz .LBB17_2418
; %bb.2417:                             ;   in Loop: Header=BB17_47 Depth=1
	s_bcnt1_i32_b64 s44, s[92:93]
	v_mov_b32_e32 v2, s44
	ds_add_u64 v0, v[2:3]
	s_trap 2
.LBB17_2418:                            ;   in Loop: Header=BB17_47 Depth=1
	s_or_b64 exec, exec, s[90:91]
	s_trap 2
	ds_read_b64 v[8:9], v0
	s_waitcnt lgkmcnt(0)
	v_lshl_add_u64 v[70:71], v[70:71], 0, v[84:85]
	v_cmp_lt_u64_e32 vcc, v[8:9], v[70:71]
	s_and_saveexec_b64 s[90:91], vcc
	s_cbranch_execz .LBB17_2427
; %bb.2419:                             ;   in Loop: Header=BB17_47 Depth=1
	s_mov_b32 s44, 0
	s_mov_b64 s[92:93], 0
                                        ; implicit-def: $sgpr94_sgpr95
                                        ; implicit-def: $sgpr30_sgpr31
	s_branch .LBB17_2421
.LBB17_2420:                            ;   in Loop: Header=BB17_2421 Depth=2
	s_or_b64 exec, exec, s[36:37]
	s_and_b64 vcc, exec, vcc
	s_or_b64 s[92:93], vcc, s[92:93]
	s_andn2_b64 s[94:95], s[94:95], exec
	s_and_b64 vcc, s[30:31], exec
	s_or_b64 s[94:95], s[94:95], vcc
	s_andn2_b64 exec, exec, s[92:93]
	s_cbranch_execz .LBB17_2425
.LBB17_2421:                            ;   Parent Loop BB17_47 Depth=1
                                        ; =>  This Inner Loop Header: Depth=2
	s_add_i32 s44, s44, 1
	s_cmpk_lg_i32 s44, 0x2710
	s_cselect_b64 s[34:35], -1, 0
	s_and_b64 vcc, exec, s[34:35]
	s_cbranch_vccz .LBB17_2423
; %bb.2422:                             ;   in Loop: Header=BB17_2421 Depth=2
	s_mov_b64 vcc, -1
	s_or_b64 s[30:31], s[30:31], exec
	s_and_saveexec_b64 s[36:37], s[34:35]
	s_cbranch_execz .LBB17_2420
	s_branch .LBB17_2424
.LBB17_2423:                            ;   in Loop: Header=BB17_2421 Depth=2
	s_trap 2
	ds_read_b64 v[8:9], v0
	s_andn2_b64 s[34:35], s[34:35], exec
	s_mov_b32 s44, 0
	s_waitcnt vmcnt(0) lgkmcnt(0)
	flat_load_dword v2, v[8:9] sc0 sc1
	s_waitcnt vmcnt(0) lgkmcnt(0)
	buffer_inv sc0 sc1
	v_cmp_eq_u32_e32 vcc, 0, v2
	s_and_b64 vcc, vcc, exec
	s_or_b64 s[34:35], s[34:35], vcc
	s_mov_b64 vcc, -1
	s_or_b64 s[30:31], s[30:31], exec
	s_and_saveexec_b64 s[36:37], s[34:35]
	s_cbranch_execz .LBB17_2420
.LBB17_2424:                            ;   in Loop: Header=BB17_2421 Depth=2
	s_sleep 1
	s_trap 2
	ds_read_b64 v[8:9], v0
	s_waitcnt lgkmcnt(0)
	s_andn2_b64 s[30:31], s[30:31], exec
	v_cmp_ge_u64_e32 vcc, v[8:9], v[70:71]
	s_orn2_b64 vcc, vcc, exec
	s_branch .LBB17_2420
.LBB17_2425:                            ;   in Loop: Header=BB17_47 Depth=1
	s_or_b64 exec, exec, s[92:93]
	s_and_saveexec_b64 s[44:45], s[94:95]
	s_xor_b64 s[44:45], exec, s[44:45]
	s_cbranch_execz .LBB17_2427
; %bb.2426:                             ;   in Loop: Header=BB17_47 Depth=1
	ds_write_b32 v0, v107
	s_trap 2
.LBB17_2427:                            ;   in Loop: Header=BB17_47 Depth=1
	s_or_b64 exec, exec, s[90:91]
	;;#ASMSTART
	s_wakeup
	;;#ASMEND
.LBB17_2428:                            ;   in Loop: Header=BB17_47 Depth=1
	s_or_b64 exec, exec, s[42:43]
.LBB17_2429:                            ;   in Loop: Header=BB17_47 Depth=1
	s_andn2_saveexec_b64 s[40:41], s[40:41]
	s_cbranch_execz .LBB17_2431
; %bb.2430:                             ;   in Loop: Header=BB17_47 Depth=1
	s_waitcnt lgkmcnt(0)
	s_barrier
.LBB17_2431:                            ;   in Loop: Header=BB17_47 Depth=1
	s_or_b64 exec, exec, s[40:41]
.LBB17_2432:                            ;   in Loop: Header=BB17_47 Depth=1
	s_or_b64 exec, exec, s[24:25]
	s_trap 2
	ds_read_b32 v8, v0
	v_and_b32_e32 v2, 0x4000, v94
	v_cmp_ne_u32_e32 vcc, 0, v2
	s_xor_b64 s[24:25], s[4:5], -1
	s_and_b64 s[40:41], s[24:25], vcc
	s_and_saveexec_b64 s[24:25], s[40:41]
	s_cbranch_execz .LBB17_2451
; %bb.2433:                             ;   in Loop: Header=BB17_47 Depth=1
	s_and_saveexec_b64 s[40:41], s[56:57]
	s_xor_b64 s[40:41], exec, s[40:41]
	s_cbranch_execz .LBB17_2448
; %bb.2434:                             ;   in Loop: Header=BB17_47 Depth=1
	s_and_saveexec_b64 s[42:43], s[14:15]
	s_cbranch_execz .LBB17_2447
; %bb.2435:                             ;   in Loop: Header=BB17_47 Depth=1
	s_mov_b64 s[92:93], exec
	v_mbcnt_lo_u32_b32 v2, s92, 0
	v_mbcnt_hi_u32_b32 v2, s93, v2
	v_cmp_eq_u32_e32 vcc, 0, v2
	s_waitcnt lgkmcnt(0)
	s_and_saveexec_b64 s[90:91], vcc
	s_cbranch_execz .LBB17_2437
; %bb.2436:                             ;   in Loop: Header=BB17_47 Depth=1
	s_bcnt1_i32_b64 s44, s[92:93]
	v_mov_b32_e32 v2, s44
	ds_add_u64 v0, v[2:3]
	s_trap 2
.LBB17_2437:                            ;   in Loop: Header=BB17_47 Depth=1
	s_or_b64 exec, exec, s[90:91]
	s_trap 2
	ds_read_b64 v[10:11], v0
	s_waitcnt lgkmcnt(0)
	v_lshl_add_u64 v[70:71], v[70:71], 0, v[84:85]
	v_cmp_lt_u64_e32 vcc, v[10:11], v[70:71]
	s_and_saveexec_b64 s[90:91], vcc
	s_cbranch_execz .LBB17_2446
; %bb.2438:                             ;   in Loop: Header=BB17_47 Depth=1
	s_mov_b32 s44, 0
	s_mov_b64 s[92:93], 0
                                        ; implicit-def: $sgpr94_sgpr95
                                        ; implicit-def: $sgpr30_sgpr31
	s_branch .LBB17_2440
.LBB17_2439:                            ;   in Loop: Header=BB17_2440 Depth=2
	s_or_b64 exec, exec, s[36:37]
	s_and_b64 vcc, exec, vcc
	s_or_b64 s[92:93], vcc, s[92:93]
	s_andn2_b64 s[94:95], s[94:95], exec
	s_and_b64 vcc, s[30:31], exec
	s_or_b64 s[94:95], s[94:95], vcc
	s_andn2_b64 exec, exec, s[92:93]
	s_cbranch_execz .LBB17_2444
.LBB17_2440:                            ;   Parent Loop BB17_47 Depth=1
                                        ; =>  This Inner Loop Header: Depth=2
	s_add_i32 s44, s44, 1
	s_cmpk_lg_i32 s44, 0x2710
	s_cselect_b64 s[34:35], -1, 0
	s_and_b64 vcc, exec, s[34:35]
	s_cbranch_vccz .LBB17_2442
; %bb.2441:                             ;   in Loop: Header=BB17_2440 Depth=2
	s_mov_b64 vcc, -1
	s_or_b64 s[30:31], s[30:31], exec
	s_and_saveexec_b64 s[36:37], s[34:35]
	s_cbranch_execz .LBB17_2439
	s_branch .LBB17_2443
.LBB17_2442:                            ;   in Loop: Header=BB17_2440 Depth=2
	s_trap 2
	ds_read_b64 v[10:11], v0
	s_andn2_b64 s[34:35], s[34:35], exec
	s_mov_b32 s44, 0
	s_waitcnt vmcnt(0) lgkmcnt(0)
	flat_load_dword v2, v[10:11] sc0 sc1
	s_waitcnt vmcnt(0) lgkmcnt(0)
	buffer_inv sc0 sc1
	v_cmp_eq_u32_e32 vcc, 0, v2
	s_and_b64 vcc, vcc, exec
	s_or_b64 s[34:35], s[34:35], vcc
	s_mov_b64 vcc, -1
	s_or_b64 s[30:31], s[30:31], exec
	s_and_saveexec_b64 s[36:37], s[34:35]
	s_cbranch_execz .LBB17_2439
.LBB17_2443:                            ;   in Loop: Header=BB17_2440 Depth=2
	s_sleep 1
	s_trap 2
	ds_read_b64 v[10:11], v0
	s_waitcnt lgkmcnt(0)
	s_andn2_b64 s[30:31], s[30:31], exec
	v_cmp_ge_u64_e32 vcc, v[10:11], v[70:71]
	s_orn2_b64 vcc, vcc, exec
	s_branch .LBB17_2439
.LBB17_2444:                            ;   in Loop: Header=BB17_47 Depth=1
	s_or_b64 exec, exec, s[92:93]
	s_and_saveexec_b64 s[44:45], s[94:95]
	s_xor_b64 s[44:45], exec, s[44:45]
	s_cbranch_execz .LBB17_2446
; %bb.2445:                             ;   in Loop: Header=BB17_47 Depth=1
	ds_write_b32 v0, v107
	s_trap 2
.LBB17_2446:                            ;   in Loop: Header=BB17_47 Depth=1
	s_or_b64 exec, exec, s[90:91]
	;;#ASMSTART
	s_wakeup
	;;#ASMEND
.LBB17_2447:                            ;   in Loop: Header=BB17_47 Depth=1
	s_or_b64 exec, exec, s[42:43]
.LBB17_2448:                            ;   in Loop: Header=BB17_47 Depth=1
	s_andn2_saveexec_b64 s[40:41], s[40:41]
	s_cbranch_execz .LBB17_2450
; %bb.2449:                             ;   in Loop: Header=BB17_47 Depth=1
	s_waitcnt lgkmcnt(0)
	s_barrier
.LBB17_2450:                            ;   in Loop: Header=BB17_47 Depth=1
	s_or_b64 exec, exec, s[40:41]
.LBB17_2451:                            ;   in Loop: Header=BB17_47 Depth=1
	s_or_b64 exec, exec, s[24:25]
	s_trap 2
	ds_read_b64 v[58:59], v0
	v_min_i32_e32 v77, v77, v76
	s_waitcnt lgkmcnt(0)
	v_cmp_eq_u64_e32 vcc, 0, v[58:59]
	s_cbranch_vccnz .LBB17_2459
; %bb.2452:                             ;   in Loop: Header=BB17_47 Depth=1
	s_trap 2
	ds_read_b64 v[60:61], v0
	s_waitcnt lgkmcnt(0)
	v_cmp_eq_u64_e32 vcc, 0, v[60:61]
	s_cbranch_vccnz .LBB17_2459
; %bb.2453:                             ;   in Loop: Header=BB17_47 Depth=1
	s_mov_b64 s[40:41], -1
	s_and_saveexec_b64 s[24:25], s[18:19]
	s_cbranch_execz .LBB17_2455
; %bb.2454:                             ;   in Loop: Header=BB17_47 Depth=1
	ds_read_b32 v2, v0 offset:720
	s_waitcnt lgkmcnt(0)
	v_and_b32_e32 v2, 15, v2
	v_cmp_eq_u32_e32 vcc, 0, v2
	s_orn2_b64 s[40:41], vcc, exec
.LBB17_2455:                            ;   in Loop: Header=BB17_47 Depth=1
	s_or_b64 exec, exec, s[24:25]
	s_and_saveexec_b64 s[24:25], s[16:17]
	s_cbranch_execz .LBB17_2457
; %bb.2456:                             ;   in Loop: Header=BB17_47 Depth=1
	ds_read_b32 v2, v0 offset:784
	s_waitcnt lgkmcnt(0)
	v_and_b32_e32 v2, 15, v2
	v_cmp_eq_u32_e32 vcc, 0, v2
	s_and_b64 s[42:43], s[40:41], vcc
	s_andn2_b64 s[40:41], s[40:41], exec
	s_and_b64 s[42:43], s[42:43], exec
	s_or_b64 s[40:41], s[40:41], s[42:43]
.LBB17_2457:                            ;   in Loop: Header=BB17_47 Depth=1
	s_or_b64 exec, exec, s[24:25]
	s_xor_b64 s[40:41], s[40:41], -1
	v_cndmask_b32_e64 v2, 0, 1, s[40:41]
	v_cmp_eq_u32_e64 s[24:25], 0, v8
	s_mov_b64 s[42:43], -1
	v_cmp_ne_u32_e32 vcc, 0, v2
	s_cbranch_vccz .LBB17_2464
; %bb.2458:                             ;   in Loop: Header=BB17_47 Depth=1
	s_mov_b64 s[42:43], 0
	s_mov_b64 s[40:41], -1
	s_branch .LBB17_2465
.LBB17_2459:                            ;   in Loop: Header=BB17_47 Depth=1
	s_mov_b64 s[24:25], 0
	s_and_saveexec_b64 s[40:41], s[6:7]
	s_cbranch_execnz .LBB17_2515
.LBB17_2460:                            ;   in Loop: Header=BB17_47 Depth=1
	s_or_b64 exec, exec, s[40:41]
	s_and_saveexec_b64 s[40:41], s[22:23]
	s_xor_b64 s[40:41], exec, s[40:41]
	s_cbranch_execz .LBB17_2533
.LBB17_2461:                            ;   in Loop: Header=BB17_47 Depth=1
	v_and_b32_e32 v2, 16, v94
	v_cmp_ne_u32_e32 vcc, 0, v2
	s_and_b64 s[42:43], vcc, s[24:25]
	s_and_saveexec_b64 s[24:25], s[42:43]
	s_cbranch_execz .LBB17_2463
; %bb.2462:                             ;   in Loop: Header=BB17_47 Depth=1
	buffer_wbl2 sc1
	s_waitcnt vmcnt(0) lgkmcnt(0)
	buffer_inv sc1
.LBB17_2463:                            ;   in Loop: Header=BB17_47 Depth=1
	s_or_b64 exec, exec, s[24:25]
	s_andn2_saveexec_b64 s[24:25], s[40:41]
	s_cbranch_execz .LBB17_2552
	s_branch .LBB17_2534
.LBB17_2464:                            ;   in Loop: Header=BB17_47 Depth=1
	s_mov_b64 s[40:41], 0
.LBB17_2465:                            ;   in Loop: Header=BB17_47 Depth=1
	v_cndmask_b32_e64 v2, 0, v77, s[24:25]
	v_lshlrev_b32_e32 v78, 1, v2
	s_andn2_b64 vcc, exec, s[42:43]
	v_mov_b32_e32 v14, 0
	s_cbranch_vccnz .LBB17_2473
; %bb.2466:                             ;   in Loop: Header=BB17_47 Depth=1
	v_ashrrev_i32_e32 v8, 31, v78
	v_lshrrev_b32_e32 v8, 20, v8
	v_add_u32_e32 v8, v78, v8
	v_ashrrev_i32_e32 v52, 12, v8
	scratch_load_dwordx2 v[8:9], off, s33 offset:256 ; 8-byte Folded Reload
	v_sub_u32_e32 v28, v52, v104
	v_cmp_lt_i32_e32 vcc, 0, v28
	s_mov_b64 s[42:43], 0
                                        ; implicit-def: $vgpr12_vgpr13
                                        ; implicit-def: $vgpr16_vgpr17
                                        ; implicit-def: $vgpr20_vgpr21
	s_waitcnt vmcnt(0)
	v_lshl_add_u64 v[62:63], v[60:61], 0, v[8:9]
                                        ; implicit-def: $vgpr8_vgpr9
	s_and_saveexec_b64 s[24:25], vcc
	s_cbranch_execz .LBB17_2475
; %bb.2467:                             ;   in Loop: Header=BB17_47 Depth=1
	scratch_load_dwordx2 v[8:9], off, s33 offset:256 ; 8-byte Folded Reload
	s_mov_b64 s[92:93], 0
                                        ; implicit-def: $sgpr90_sgpr91
                                        ; implicit-def: $vgpr12_vgpr13
                                        ; implicit-def: $vgpr16_vgpr17
                                        ; implicit-def: $vgpr20_vgpr21
	s_waitcnt vmcnt(0)
	v_lshl_add_u64 v[72:73], v[58:59], 0, v[8:9]
                                        ; implicit-def: $vgpr8_vgpr9
	s_branch .LBB17_2469
.LBB17_2468:                            ;   in Loop: Header=BB17_2469 Depth=2
	s_or_b64 exec, exec, s[94:95]
	v_sub_u32_e32 v28, v28, v29
	v_cmp_gt_i32_e32 vcc, 1, v28
	s_or_b64 s[42:43], vcc, s[42:43]
	s_waitcnt vmcnt(3)
	global_store_dwordx4 v[62:63], v[24:27], off
	s_waitcnt vmcnt(3)
	global_store_dwordx4 v[62:63], v[32:35], off offset:1024
	s_waitcnt vmcnt(3)
	global_store_dwordx4 v[62:63], v[36:39], off offset:2048
	;; [unrolled: 2-line block ×3, first 2 shown]
	v_lshl_add_u64 v[24:25], v[62:63], 0, v[74:75]
	s_andn2_b64 s[44:45], s[90:91], exec
	s_and_b64 s[90:91], s[92:93], exec
	v_lshl_add_u64 v[62:63], v[24:25], 0, s[58:59]
	v_lshl_add_u64 v[72:73], v[72:73], 0, v[74:75]
	s_or_b64 s[90:91], s[44:45], s[90:91]
	s_andn2_b64 exec, exec, s[42:43]
	s_cbranch_execz .LBB17_2474
.LBB17_2469:                            ;   Parent Loop BB17_47 Depth=1
                                        ; =>  This Inner Loop Header: Depth=2
	global_load_dwordx4 v[24:27], v[72:73], off nt
	global_load_dwordx4 v[32:35], v[72:73], off offset:1024 nt
	global_load_dwordx4 v[36:39], v[72:73], off offset:2048 nt
	;; [unrolled: 1-line block ×3, first 2 shown]
	s_and_saveexec_b64 s[94:95], s[92:93]
	s_cbranch_execz .LBB17_2471
; %bb.2470:                             ;   in Loop: Header=BB17_2469 Depth=2
	global_store_dwordx4 v[62:63], v[8:11], off
	global_store_dwordx4 v[62:63], v[12:15], off offset:1024
	global_store_dwordx4 v[62:63], v[16:19], off offset:2048
	;; [unrolled: 1-line block ×3, first 2 shown]
	v_lshl_add_u64 v[62:63], v[62:63], 0, v[118:119]
.LBB17_2471:                            ;   in Loop: Header=BB17_2469 Depth=2
	s_or_b64 exec, exec, s[94:95]
	v_sub_u32_e32 v28, v28, v84
	v_lshl_add_u64 v[72:73], v[72:73], 0, v[118:119]
	v_mov_b32_e32 v29, 0
	v_cmp_lt_i32_e64 s[92:93], 0, v28
	v_mov_b64_e32 v[74:75], 0
	s_and_saveexec_b64 s[94:95], s[92:93]
	s_cbranch_execz .LBB17_2468
; %bb.2472:                             ;   in Loop: Header=BB17_2469 Depth=2
	global_load_dwordx4 v[8:11], v[72:73], off nt
	global_load_dwordx4 v[12:15], v[72:73], off offset:1024 nt
	global_load_dwordx4 v[16:19], v[72:73], off offset:2048 nt
	;; [unrolled: 1-line block ×3, first 2 shown]
	v_lshl_add_u64 v[72:73], v[72:73], 0, s[58:59]
	v_mov_b32_e32 v29, v84
	v_mov_b64_e32 v[74:75], v[100:101]
	s_branch .LBB17_2468
.LBB17_2473:                            ;   in Loop: Header=BB17_47 Depth=1
	v_mov_b32_e32 v8, v0
	v_mov_b32_e32 v15, v95
	s_and_saveexec_b64 s[24:25], s[40:41]
	s_cbranch_execnz .LBB17_2494
	s_branch .LBB17_2514
.LBB17_2474:                            ;   in Loop: Header=BB17_47 Depth=1
	s_or_b64 exec, exec, s[42:43]
	s_and_b64 s[42:43], s[90:91], exec
.LBB17_2475:                            ;   in Loop: Header=BB17_47 Depth=1
	s_or_b64 exec, exec, s[24:25]
	s_and_saveexec_b64 s[24:25], s[42:43]
	s_cbranch_execz .LBB17_2477
; %bb.2476:                             ;   in Loop: Header=BB17_47 Depth=1
	global_store_dwordx4 v[62:63], v[8:11], off
	global_store_dwordx4 v[62:63], v[12:15], off offset:1024
	global_store_dwordx4 v[62:63], v[16:19], off offset:2048
	global_store_dwordx4 v[62:63], v[20:23], off offset:3072
.LBB17_2477:                            ;   in Loop: Header=BB17_47 Depth=1
	s_or_b64 exec, exec, s[24:25]
	s_nop 0
	v_lshlrev_b32_e32 v20, 12, v52
	v_cmp_ne_u32_e32 vcc, v78, v20
                                        ; implicit-def: $vgpr14
                                        ; implicit-def: $vgpr8
                                        ; implicit-def: $vgpr15
	s_and_saveexec_b64 s[42:43], vcc
	s_cbranch_execz .LBB17_2493
; %bb.2478:                             ;   in Loop: Header=BB17_47 Depth=1
	v_lshlrev_b32_e32 v9, 6, v28
	v_sub_u32_e32 v9, v95, v9
	v_ashrrev_i32_e32 v10, 31, v9
	v_lshrrev_b32_e32 v10, 26, v10
	v_add_u32_e32 v10, v9, v10
	v_ashrrev_i32_e32 v11, 6, v10
	v_and_b32_e32 v10, 0xffffffc0, v10
	v_sub_u32_e32 v21, v9, v10
	v_lshlrev_b32_e32 v9, 4, v21
	v_sub_u32_e32 v8, v78, v20
	v_lshl_add_u32 v9, v11, 10, v9
	v_add_u32_e32 v10, v9, v20
	v_sub_u32_e32 v25, v8, v9
	v_ashrrev_i32_e32 v9, 31, v8
	v_lshrrev_b32_e32 v9, 22, v9
	v_add_u32_e32 v9, v8, v9
	v_and_b32_e32 v22, 0xfffffc00, v9
	v_sub_u32_e32 v24, v8, v22
	v_ashrrev_i32_e32 v12, 10, v9
	v_cmp_lt_i32_e32 vcc, 15, v24
	s_mov_b64 s[92:93], 0
	s_nop 0
	v_addc_co_u32_e64 v8, s[24:25], 0, v12, vcc
	v_sub_u32_e32 v23, v8, v11
	v_ashrrev_i32_e32 v11, 31, v10
	v_lshl_add_u64 v[16:17], v[10:11], 0, v[60:61]
	v_cmp_lt_i32_e64 s[24:25], 15, v25
                                        ; implicit-def: $vgpr8_vgpr9
	s_and_saveexec_b64 s[90:91], s[24:25]
	s_cbranch_execz .LBB17_2488
; %bb.2479:                             ;   in Loop: Header=BB17_47 Depth=1
	v_lshl_add_u64 v[18:19], v[10:11], 0, v[58:59]
	s_mov_b64 s[30:31], 0
                                        ; implicit-def: $sgpr94_sgpr95
                                        ; implicit-def: $vgpr8_vgpr9
	s_branch .LBB17_2481
.LBB17_2480:                            ;   in Loop: Header=BB17_2481 Depth=2
	s_or_b64 exec, exec, s[24:25]
	v_cmp_gt_i32_e64 s[24:25], 16, v25
	s_or_b64 s[92:93], s[24:25], s[92:93]
	s_andn2_b64 s[24:25], s[94:95], exec
	s_and_b64 s[44:45], s[30:31], exec
	s_or_b64 s[94:95], s[24:25], s[44:45]
	s_andn2_b64 exec, exec, s[92:93]
	s_cbranch_execz .LBB17_2487
.LBB17_2481:                            ;   Parent Loop BB17_47 Depth=1
                                        ; =>  This Inner Loop Header: Depth=2
	global_load_dwordx4 v[12:15], v[18:19], off nt
	s_and_saveexec_b64 s[24:25], s[30:31]
	s_cbranch_execz .LBB17_2483
; %bb.2482:                             ;   in Loop: Header=BB17_2481 Depth=2
	v_lshl_add_u64 v[26:27], v[16:17], 0, v[42:43]
	global_store_dwordx4 v[16:17], v[8:11], off
	v_mov_b64_e32 v[16:17], v[26:27]
.LBB17_2483:                            ;   in Loop: Header=BB17_2481 Depth=2
	s_or_b64 exec, exec, s[24:25]
	v_sub_u32_e32 v25, v25, v105
	v_lshl_add_u64 v[18:19], v[18:19], 0, v[42:43]
	v_cmp_lt_i32_e64 s[30:31], 15, v25
	s_and_saveexec_b64 s[24:25], s[30:31]
	s_cbranch_execz .LBB17_2485
; %bb.2484:                             ;   in Loop: Header=BB17_2481 Depth=2
	global_load_dwordx4 v[8:11], v[18:19], off nt
	v_lshl_add_u64 v[18:19], v[18:19], 0, s[60:61]
.LBB17_2485:                            ;   in Loop: Header=BB17_2481 Depth=2
	s_or_b64 exec, exec, s[24:25]
	v_sub_u32_e32 v23, v23, v84
	s_waitcnt vmcnt(0)
	global_store_dwordx4 v[16:17], v[12:15], off
	v_lshl_add_u64 v[16:17], v[16:17], 0, s[60:61]
	s_and_saveexec_b64 s[24:25], s[30:31]
	s_cbranch_execz .LBB17_2480
; %bb.2486:                             ;   in Loop: Header=BB17_2481 Depth=2
	v_sub_u32_e32 v23, v23, v84
	v_sub_u32_e32 v25, v25, v105
	v_lshl_add_u64 v[18:19], v[18:19], 0, v[114:115]
	v_lshl_add_u64 v[16:17], v[16:17], 0, v[114:115]
	s_branch .LBB17_2480
.LBB17_2487:                            ;   in Loop: Header=BB17_47 Depth=1
	s_or_b64 exec, exec, s[92:93]
	s_and_b64 s[92:93], s[94:95], exec
.LBB17_2488:                            ;   in Loop: Header=BB17_47 Depth=1
	s_or_b64 exec, exec, s[90:91]
	s_and_saveexec_b64 s[24:25], s[92:93]
	s_cbranch_execz .LBB17_2490
; %bb.2489:                             ;   in Loop: Header=BB17_47 Depth=1
	global_store_dwordx4 v[16:17], v[8:11], off
.LBB17_2490:                            ;   in Loop: Header=BB17_47 Depth=1
	s_or_b64 exec, exec, s[24:25]
	s_nop 0
	v_and_b32_e32 v9, 14, v78
	v_cndmask_b32_e32 v78, v24, v9, vcc
	v_cmp_ne_u32_e64 s[24:25], 0, v78
	s_mov_b64 s[92:93], s[40:41]
                                        ; implicit-def: $vgpr14
                                        ; implicit-def: $vgpr8
                                        ; implicit-def: $vgpr15
	s_and_saveexec_b64 s[90:91], s[24:25]
	s_cbranch_execz .LBB17_2492
; %bb.2491:                             ;   in Loop: Header=BB17_47 Depth=1
	v_sub_u32_e32 v8, v24, v9
	v_cndmask_b32_e32 v8, 0, v8, vcc
	v_cmp_lt_i32_e32 vcc, 0, v23
	v_add3_u32 v14, v22, v20, v8
	s_or_b64 s[92:93], s[40:41], exec
	v_cndmask_b32_e32 v8, 0, v84, vcc
	v_sub_u32_e32 v8, v8, v23
	v_lshl_add_u32 v8, v8, 6, v21
	v_ashrrev_i32_e32 v9, 31, v8
	v_lshrrev_b32_e32 v9, 26, v9
	v_add_u32_e32 v9, v8, v9
	v_and_b32_e32 v9, 0xffffffc0, v9
	v_sub_u32_e32 v15, v8, v9
.LBB17_2492:                            ;   in Loop: Header=BB17_47 Depth=1
	s_or_b64 exec, exec, s[90:91]
	s_andn2_b64 s[24:25], s[40:41], exec
	s_and_b64 s[40:41], s[92:93], exec
	s_or_b64 s[40:41], s[24:25], s[40:41]
.LBB17_2493:                            ;   in Loop: Header=BB17_47 Depth=1
	s_or_b64 exec, exec, s[42:43]
	s_and_saveexec_b64 s[24:25], s[40:41]
	s_cbranch_execz .LBB17_2514
.LBB17_2494:                            ;   in Loop: Header=BB17_47 Depth=1
	v_ashrrev_i32_e32 v9, 31, v8
	v_lshrrev_b32_e32 v9, 26, v9
	v_add_u32_e32 v8, v8, v9
	v_ashrrev_i32_e32 v8, 6, v8
	v_lshlrev_b32_e32 v9, 10, v8
	v_lshlrev_b32_e32 v10, 1, v15
	v_add3_u32 v10, v14, v10, v9
	v_ashrrev_i32_e32 v9, 31, v78
	v_lshrrev_b32_e32 v9, 22, v9
	v_add_u32_e32 v9, v78, v9
	v_ashrrev_i32_e32 v16, 10, v9
	v_sub_u32_e32 v12, v16, v8
	v_ashrrev_i32_e32 v11, 31, v10
	v_lshl_add_u64 v[8:9], v[60:61], 0, v[10:11]
	v_cmp_lt_i32_e32 vcc, 0, v12
	s_mov_b64 s[42:43], 0
                                        ; implicit-def: $vgpr17
                                        ; implicit-def: $vgpr18
                                        ; implicit-def: $vgpr19
                                        ; implicit-def: $vgpr20
                                        ; implicit-def: $vgpr21
                                        ; implicit-def: $vgpr22
                                        ; implicit-def: $vgpr23
                                        ; implicit-def: $vgpr24
	s_and_saveexec_b64 s[40:41], vcc
	s_cbranch_execz .LBB17_2502
; %bb.2495:                             ;   in Loop: Header=BB17_47 Depth=1
	v_lshl_add_u64 v[10:11], v[10:11], 0, v[58:59]
	s_mov_b64 s[92:93], 0
                                        ; implicit-def: $sgpr90_sgpr91
                                        ; implicit-def: $vgpr17
                                        ; implicit-def: $vgpr18
                                        ; implicit-def: $vgpr19
                                        ; implicit-def: $vgpr20
                                        ; implicit-def: $vgpr21
                                        ; implicit-def: $vgpr22
                                        ; implicit-def: $vgpr23
                                        ; implicit-def: $vgpr24
	s_branch .LBB17_2497
.LBB17_2496:                            ;   in Loop: Header=BB17_2497 Depth=2
	s_or_b64 exec, exec, s[94:95]
	s_waitcnt vmcnt(0) lgkmcnt(0)
	flat_store_short v[8:9], v25 nt
	flat_store_short v[8:9], v26 offset:128 nt
	flat_store_short v[8:9], v27 offset:256 nt
	;; [unrolled: 1-line block ×7, first 2 shown]
	v_lshl_add_u64 v[8:9], v[8:9], 0, v[12:13]
	v_lshl_add_u64 v[10:11], v[10:11], 0, v[12:13]
	v_sub_u32_e32 v12, v35, v36
	v_cmp_gt_i32_e32 vcc, 1, v12
	s_or_b64 s[42:43], vcc, s[42:43]
	s_andn2_b64 s[44:45], s[90:91], exec
	s_and_b64 s[90:91], s[92:93], exec
	v_lshl_add_u64 v[8:9], v[8:9], 0, s[60:61]
	s_or_b64 s[90:91], s[44:45], s[90:91]
	s_andn2_b64 exec, exec, s[42:43]
	s_cbranch_execz .LBB17_2501
.LBB17_2497:                            ;   Parent Loop BB17_47 Depth=1
                                        ; =>  This Inner Loop Header: Depth=2
	flat_load_ushort v25, v[10:11] nt
	flat_load_ushort v26, v[10:11] offset:128 nt
	flat_load_ushort v27, v[10:11] offset:256 nt
	;; [unrolled: 1-line block ×7, first 2 shown]
	s_and_saveexec_b64 s[94:95], s[92:93]
	s_cbranch_execz .LBB17_2499
; %bb.2498:                             ;   in Loop: Header=BB17_2497 Depth=2
	flat_store_short v[8:9], v17 nt
	flat_store_short v[8:9], v18 offset:128 nt
	flat_store_short v[8:9], v19 offset:256 nt
	;; [unrolled: 1-line block ×7, first 2 shown]
	v_lshl_add_u64 v[8:9], v[8:9], 0, v[42:43]
.LBB17_2499:                            ;   in Loop: Header=BB17_2497 Depth=2
	s_or_b64 exec, exec, s[94:95]
	v_sub_u32_e32 v35, v12, v84
	v_lshl_add_u64 v[10:11], v[10:11], 0, v[42:43]
	v_mov_b32_e32 v36, 0
	v_cmp_lt_i32_e64 s[92:93], 0, v35
	v_mov_b64_e32 v[12:13], 0
	s_and_saveexec_b64 s[94:95], s[92:93]
	s_cbranch_execz .LBB17_2496
; %bb.2500:                             ;   in Loop: Header=BB17_2497 Depth=2
	flat_load_ushort v17, v[10:11] nt
	flat_load_ushort v18, v[10:11] offset:128 nt
	flat_load_ushort v19, v[10:11] offset:256 nt
	;; [unrolled: 1-line block ×7, first 2 shown]
	v_lshl_add_u64 v[10:11], v[10:11], 0, s[60:61]
	v_mov_b32_e32 v36, v84
	v_mov_b64_e32 v[12:13], v[114:115]
	s_branch .LBB17_2496
.LBB17_2501:                            ;   in Loop: Header=BB17_47 Depth=1
	s_or_b64 exec, exec, s[42:43]
	s_and_b64 s[42:43], s[90:91], exec
.LBB17_2502:                            ;   in Loop: Header=BB17_47 Depth=1
	s_or_b64 exec, exec, s[40:41]
	s_and_saveexec_b64 s[40:41], s[42:43]
	s_cbranch_execz .LBB17_2504
; %bb.2503:                             ;   in Loop: Header=BB17_47 Depth=1
	flat_store_short v[8:9], v17 nt
	flat_store_short v[8:9], v18 offset:128 nt
	flat_store_short v[8:9], v19 offset:256 nt
	;; [unrolled: 1-line block ×7, first 2 shown]
.LBB17_2504:                            ;   in Loop: Header=BB17_47 Depth=1
	s_or_b64 exec, exec, s[40:41]
	v_lshlrev_b32_e32 v8, 10, v16
	v_cmp_ne_u32_e32 vcc, v78, v8
	s_and_b64 exec, exec, vcc
	s_cbranch_execz .LBB17_2514
; %bb.2505:                             ;   in Loop: Header=BB17_47 Depth=1
	v_lshlrev_b32_e32 v9, 6, v12
	v_sub_u32_e32 v9, v15, v9
	v_ashrrev_i32_e32 v10, 31, v9
	v_lshrrev_b32_e32 v10, 26, v10
	v_add_u32_e32 v10, v9, v10
	v_and_b32_e32 v11, 0x7fffffc0, v10
	v_sub_u32_e32 v9, v9, v11
	v_lshlrev_b32_e32 v10, 1, v10
	v_and_b32_e32 v10, 0xffffff80, v10
	v_lshlrev_b32_e32 v9, 1, v9
	v_add3_u32 v8, v10, v9, v8
	v_sub_u32_e32 v12, v78, v8
	v_cmp_lt_i32_e32 vcc, 1, v12
	s_and_b64 exec, exec, vcc
	s_cbranch_execz .LBB17_2514
; %bb.2506:                             ;   in Loop: Header=BB17_47 Depth=1
	v_add_u32_e32 v10, v8, v14
	v_ashrrev_i32_e32 v11, 31, v10
	v_lshl_add_u64 v[8:9], v[60:61], 0, v[10:11]
	v_lshl_add_u64 v[10:11], v[10:11], 0, v[58:59]
	s_mov_b64 s[90:91], 0
	s_mov_b64 s[40:41], 0
                                        ; implicit-def: $sgpr42_sgpr43
                                        ; implicit-def: $vgpr14
	s_branch .LBB17_2508
.LBB17_2507:                            ;   in Loop: Header=BB17_2508 Depth=2
	s_or_b64 exec, exec, s[92:93]
	s_waitcnt vmcnt(0) lgkmcnt(0)
	flat_store_short v[8:9], v15 nt
	v_lshl_add_u64 v[8:9], v[8:9], 0, v[12:13]
	v_lshl_add_u64 v[10:11], v[10:11], 0, v[12:13]
	v_sub_u32_e32 v12, v16, v17
	v_cmp_gt_i32_e32 vcc, 2, v12
	s_or_b64 s[40:41], vcc, s[40:41]
	s_andn2_b64 s[42:43], s[42:43], exec
	s_and_b64 s[44:45], s[90:91], exec
	v_lshl_add_u64 v[8:9], v[8:9], 0, s[62:63]
	s_or_b64 s[42:43], s[42:43], s[44:45]
	s_andn2_b64 exec, exec, s[40:41]
	s_cbranch_execz .LBB17_2512
.LBB17_2508:                            ;   Parent Loop BB17_47 Depth=1
                                        ; =>  This Inner Loop Header: Depth=2
	flat_load_ushort v15, v[10:11] nt
	s_and_saveexec_b64 s[92:93], s[90:91]
	s_cbranch_execz .LBB17_2510
; %bb.2509:                             ;   in Loop: Header=BB17_2508 Depth=2
	v_lshl_add_u64 v[16:17], v[8:9], 0, v[44:45]
	flat_store_short v[8:9], v14 nt
	v_mov_b64_e32 v[8:9], v[16:17]
.LBB17_2510:                            ;   in Loop: Header=BB17_2508 Depth=2
	s_or_b64 exec, exec, s[92:93]
	v_sub_u32_e32 v16, v12, v106
	v_lshl_add_u64 v[10:11], v[10:11], 0, v[44:45]
	v_cmp_lt_i32_e64 s[90:91], 1, v16
	v_mov_b64_e32 v[12:13], 0
	v_mov_b32_e32 v17, 0
	s_and_saveexec_b64 s[92:93], s[90:91]
	s_cbranch_execz .LBB17_2507
; %bb.2511:                             ;   in Loop: Header=BB17_2508 Depth=2
	flat_load_ushort v14, v[10:11] nt
	v_lshl_add_u64 v[10:11], v[10:11], 0, s[62:63]
	v_mov_b32_e32 v17, v106
	v_mov_b64_e32 v[12:13], v[116:117]
	s_branch .LBB17_2507
.LBB17_2512:                            ;   in Loop: Header=BB17_47 Depth=1
	s_or_b64 exec, exec, s[40:41]
	s_and_b64 exec, exec, s[42:43]
	s_cbranch_execz .LBB17_2514
; %bb.2513:                             ;   in Loop: Header=BB17_47 Depth=1
	flat_store_short v[8:9], v14 nt
.LBB17_2514:                            ;   in Loop: Header=BB17_47 Depth=1
	s_or_b64 exec, exec, s[24:25]
	v_cmp_lt_i32_e64 s[24:25], 0, v2
	s_and_saveexec_b64 s[40:41], s[6:7]
	s_cbranch_execz .LBB17_2460
.LBB17_2515:                            ;   in Loop: Header=BB17_47 Depth=1
	s_and_saveexec_b64 s[42:43], s[56:57]
	s_xor_b64 s[42:43], exec, s[42:43]
	s_cbranch_execz .LBB17_2530
; %bb.2516:                             ;   in Loop: Header=BB17_47 Depth=1
	s_and_saveexec_b64 s[90:91], s[14:15]
	s_cbranch_execz .LBB17_2529
; %bb.2517:                             ;   in Loop: Header=BB17_47 Depth=1
	s_mov_b64 s[94:95], exec
	v_mbcnt_lo_u32_b32 v2, s94, 0
	v_mbcnt_hi_u32_b32 v2, s95, v2
	v_cmp_eq_u32_e32 vcc, 0, v2
	s_waitcnt lgkmcnt(0)
	s_and_saveexec_b64 s[92:93], vcc
	s_cbranch_execz .LBB17_2519
; %bb.2518:                             ;   in Loop: Header=BB17_47 Depth=1
	s_bcnt1_i32_b64 s44, s[94:95]
	v_mov_b32_e32 v2, s44
	ds_add_u64 v0, v[2:3]
	s_trap 2
.LBB17_2519:                            ;   in Loop: Header=BB17_47 Depth=1
	s_or_b64 exec, exec, s[92:93]
	s_trap 2
	ds_read_b64 v[8:9], v0
	s_waitcnt lgkmcnt(0)
	v_lshl_add_u64 v[70:71], v[70:71], 0, v[84:85]
	v_cmp_lt_u64_e32 vcc, v[8:9], v[70:71]
	s_and_saveexec_b64 s[92:93], vcc
	s_cbranch_execz .LBB17_2528
; %bb.2520:                             ;   in Loop: Header=BB17_47 Depth=1
	s_mov_b32 s44, 0
	s_mov_b64 s[94:95], 0
                                        ; implicit-def: $sgpr30_sgpr31
                                        ; implicit-def: $sgpr34_sgpr35
	s_branch .LBB17_2522
.LBB17_2521:                            ;   in Loop: Header=BB17_2522 Depth=2
	s_or_b64 exec, exec, s[38:39]
	s_and_b64 vcc, exec, vcc
	s_or_b64 s[94:95], vcc, s[94:95]
	s_andn2_b64 vcc, s[30:31], exec
	s_and_b64 s[30:31], s[34:35], exec
	s_or_b64 s[30:31], vcc, s[30:31]
	s_andn2_b64 exec, exec, s[94:95]
	s_cbranch_execz .LBB17_2526
.LBB17_2522:                            ;   Parent Loop BB17_47 Depth=1
                                        ; =>  This Inner Loop Header: Depth=2
	s_add_i32 s44, s44, 1
	s_cmpk_lg_i32 s44, 0x2710
	s_cselect_b64 s[36:37], -1, 0
	s_and_b64 vcc, exec, s[36:37]
	s_cbranch_vccz .LBB17_2524
; %bb.2523:                             ;   in Loop: Header=BB17_2522 Depth=2
	s_mov_b64 vcc, -1
	s_or_b64 s[34:35], s[34:35], exec
	s_and_saveexec_b64 s[38:39], s[36:37]
	s_cbranch_execz .LBB17_2521
	s_branch .LBB17_2525
.LBB17_2524:                            ;   in Loop: Header=BB17_2522 Depth=2
	s_trap 2
	ds_read_b64 v[8:9], v0
	s_andn2_b64 s[36:37], s[36:37], exec
	s_mov_b32 s44, 0
	s_waitcnt vmcnt(0) lgkmcnt(0)
	flat_load_dword v2, v[8:9] sc0 sc1
	s_waitcnt vmcnt(0) lgkmcnt(0)
	buffer_inv sc0 sc1
	v_cmp_eq_u32_e32 vcc, 0, v2
	s_and_b64 vcc, vcc, exec
	s_or_b64 s[36:37], s[36:37], vcc
	s_mov_b64 vcc, -1
	s_or_b64 s[34:35], s[34:35], exec
	s_and_saveexec_b64 s[38:39], s[36:37]
	s_cbranch_execz .LBB17_2521
.LBB17_2525:                            ;   in Loop: Header=BB17_2522 Depth=2
	s_sleep 1
	s_trap 2
	ds_read_b64 v[8:9], v0
	s_waitcnt lgkmcnt(0)
	s_andn2_b64 s[34:35], s[34:35], exec
	v_cmp_ge_u64_e32 vcc, v[8:9], v[70:71]
	s_orn2_b64 vcc, vcc, exec
	s_branch .LBB17_2521
.LBB17_2526:                            ;   in Loop: Header=BB17_47 Depth=1
	s_or_b64 exec, exec, s[94:95]
	s_and_saveexec_b64 s[44:45], s[30:31]
	s_xor_b64 s[44:45], exec, s[44:45]
	s_cbranch_execz .LBB17_2528
; %bb.2527:                             ;   in Loop: Header=BB17_47 Depth=1
	ds_write_b32 v0, v107
	s_trap 2
.LBB17_2528:                            ;   in Loop: Header=BB17_47 Depth=1
	s_or_b64 exec, exec, s[92:93]
	;;#ASMSTART
	s_wakeup
	;;#ASMEND
.LBB17_2529:                            ;   in Loop: Header=BB17_47 Depth=1
	s_or_b64 exec, exec, s[90:91]
.LBB17_2530:                            ;   in Loop: Header=BB17_47 Depth=1
	s_andn2_saveexec_b64 s[42:43], s[42:43]
	s_cbranch_execz .LBB17_2532
; %bb.2531:                             ;   in Loop: Header=BB17_47 Depth=1
	s_waitcnt lgkmcnt(0)
	s_barrier
.LBB17_2532:                            ;   in Loop: Header=BB17_47 Depth=1
	s_or_b64 exec, exec, s[42:43]
	s_or_b64 exec, exec, s[40:41]
	s_and_saveexec_b64 s[40:41], s[22:23]
	s_xor_b64 s[40:41], exec, s[40:41]
	s_cbranch_execnz .LBB17_2461
.LBB17_2533:                            ;   in Loop: Header=BB17_47 Depth=1
	s_andn2_saveexec_b64 s[24:25], s[40:41]
	s_cbranch_execz .LBB17_2552
.LBB17_2534:                            ;   in Loop: Header=BB17_47 Depth=1
	s_and_saveexec_b64 s[40:41], s[56:57]
	s_xor_b64 s[40:41], exec, s[40:41]
	s_cbranch_execz .LBB17_2549
; %bb.2535:                             ;   in Loop: Header=BB17_47 Depth=1
	s_and_saveexec_b64 s[42:43], s[14:15]
	s_cbranch_execz .LBB17_2548
; %bb.2536:                             ;   in Loop: Header=BB17_47 Depth=1
	s_mov_b64 s[92:93], exec
	v_mbcnt_lo_u32_b32 v2, s92, 0
	v_mbcnt_hi_u32_b32 v2, s93, v2
	v_cmp_eq_u32_e32 vcc, 0, v2
	;;#ASMSTART
	s_waitcnt lgkmcnt(0) vmcnt(0)
	;;#ASMEND
	s_and_saveexec_b64 s[90:91], vcc
	s_cbranch_execz .LBB17_2538
; %bb.2537:                             ;   in Loop: Header=BB17_47 Depth=1
	s_bcnt1_i32_b64 s44, s[92:93]
	v_mov_b32_e32 v2, s44
	s_waitcnt lgkmcnt(0)
	ds_add_u64 v0, v[2:3]
	s_trap 2
.LBB17_2538:                            ;   in Loop: Header=BB17_47 Depth=1
	s_or_b64 exec, exec, s[90:91]
	s_trap 2
	ds_read_b64 v[8:9], v0
	s_waitcnt lgkmcnt(0)
	v_lshl_add_u64 v[70:71], v[70:71], 0, v[84:85]
	v_cmp_lt_u64_e32 vcc, v[8:9], v[70:71]
	s_and_saveexec_b64 s[90:91], vcc
	s_cbranch_execz .LBB17_2547
; %bb.2539:                             ;   in Loop: Header=BB17_47 Depth=1
	s_mov_b32 s44, 0
	s_mov_b64 s[92:93], 0
                                        ; implicit-def: $sgpr94_sgpr95
                                        ; implicit-def: $sgpr30_sgpr31
	s_branch .LBB17_2541
.LBB17_2540:                            ;   in Loop: Header=BB17_2541 Depth=2
	s_or_b64 exec, exec, s[36:37]
	s_and_b64 vcc, exec, vcc
	s_or_b64 s[92:93], vcc, s[92:93]
	s_andn2_b64 s[94:95], s[94:95], exec
	s_and_b64 vcc, s[30:31], exec
	s_or_b64 s[94:95], s[94:95], vcc
	s_andn2_b64 exec, exec, s[92:93]
	s_cbranch_execz .LBB17_2545
.LBB17_2541:                            ;   Parent Loop BB17_47 Depth=1
                                        ; =>  This Inner Loop Header: Depth=2
	s_add_i32 s44, s44, 1
	s_cmpk_lg_i32 s44, 0x2710
	s_cselect_b64 s[34:35], -1, 0
	s_and_b64 vcc, exec, s[34:35]
	s_cbranch_vccz .LBB17_2543
; %bb.2542:                             ;   in Loop: Header=BB17_2541 Depth=2
	s_mov_b64 vcc, -1
	s_or_b64 s[30:31], s[30:31], exec
	s_and_saveexec_b64 s[36:37], s[34:35]
	s_cbranch_execz .LBB17_2540
	s_branch .LBB17_2544
.LBB17_2543:                            ;   in Loop: Header=BB17_2541 Depth=2
	s_trap 2
	ds_read_b64 v[8:9], v0
	s_andn2_b64 s[34:35], s[34:35], exec
	s_mov_b32 s44, 0
	s_waitcnt vmcnt(0) lgkmcnt(0)
	flat_load_dword v2, v[8:9] sc0 sc1
	s_waitcnt vmcnt(0) lgkmcnt(0)
	buffer_inv sc0 sc1
	v_cmp_eq_u32_e32 vcc, 0, v2
	s_and_b64 vcc, vcc, exec
	s_or_b64 s[34:35], s[34:35], vcc
	s_mov_b64 vcc, -1
	s_or_b64 s[30:31], s[30:31], exec
	s_and_saveexec_b64 s[36:37], s[34:35]
	s_cbranch_execz .LBB17_2540
.LBB17_2544:                            ;   in Loop: Header=BB17_2541 Depth=2
	s_sleep 1
	s_trap 2
	ds_read_b64 v[8:9], v0
	s_waitcnt lgkmcnt(0)
	s_andn2_b64 s[30:31], s[30:31], exec
	v_cmp_ge_u64_e32 vcc, v[8:9], v[70:71]
	s_orn2_b64 vcc, vcc, exec
	s_branch .LBB17_2540
.LBB17_2545:                            ;   in Loop: Header=BB17_47 Depth=1
	s_or_b64 exec, exec, s[92:93]
	s_and_saveexec_b64 s[44:45], s[94:95]
	s_xor_b64 s[44:45], exec, s[44:45]
	s_cbranch_execz .LBB17_2547
; %bb.2546:                             ;   in Loop: Header=BB17_47 Depth=1
	ds_write_b32 v0, v107
	s_trap 2
.LBB17_2547:                            ;   in Loop: Header=BB17_47 Depth=1
	s_or_b64 exec, exec, s[90:91]
	;;#ASMSTART
	s_wakeup
	;;#ASMEND
.LBB17_2548:                            ;   in Loop: Header=BB17_47 Depth=1
	s_or_b64 exec, exec, s[42:43]
.LBB17_2549:                            ;   in Loop: Header=BB17_47 Depth=1
	s_andn2_saveexec_b64 s[40:41], s[40:41]
	s_cbranch_execz .LBB17_2551
; %bb.2550:                             ;   in Loop: Header=BB17_47 Depth=1
	;;#ASMSTART
	s_waitcnt lgkmcnt(0) vmcnt(0)
	;;#ASMEND
	s_barrier
.LBB17_2551:                            ;   in Loop: Header=BB17_47 Depth=1
	s_or_b64 exec, exec, s[40:41]
.LBB17_2552:                            ;   in Loop: Header=BB17_47 Depth=1
	s_or_b64 exec, exec, s[24:25]
	v_and_b32_e32 v2, 32, v94
	v_cmp_ne_u32_e32 vcc, 0, v2
	s_and_saveexec_b64 s[24:25], vcc
	s_cbranch_execz .LBB17_2554
; %bb.2553:                             ;   in Loop: Header=BB17_47 Depth=1
	v_lshl_add_u64 v[56:57], v[56:57], 0, 4
	flat_store_dwordx2 v[64:65], v[56:57] sc0 sc1
.LBB17_2554:                            ;   in Loop: Header=BB17_47 Depth=1
	s_or_b64 exec, exec, s[24:25]
	v_mov_b32_e32 v14, v77
.LBB17_2555:                            ;   in Loop: Header=BB17_47 Depth=1
	s_or_b64 exec, exec, s[28:29]
	s_mov_b64 s[28:29], exec
	scratch_load_dwordx2 v[18:19], off, s33 offset:264 ; 8-byte Folded Reload
	s_and_b64 s[24:25], s[28:29], s[26:27]
	s_mov_b64 exec, s[24:25]
	s_cbranch_execz .LBB17_46
; %bb.2556:                             ;   in Loop: Header=BB17_47 Depth=1
	v_and_b32_e32 v2, 4, v94
	v_cmp_ne_u32_e32 vcc, 0, v2
	s_and_saveexec_b64 s[26:27], vcc
	s_cbranch_execz .LBB17_2566
; %bb.2557:                             ;   in Loop: Header=BB17_47 Depth=1
	v_lshl_add_u64 v[8:9], v[56:57], 0, 4
	s_waitcnt vmcnt(0) lgkmcnt(0)
	v_cmp_lt_u64_e32 vcc, v[80:81], v[8:9]
	s_and_saveexec_b64 s[40:41], vcc
	s_cbranch_execz .LBB17_2581
; %bb.2558:                             ;   in Loop: Header=BB17_47 Depth=1
	v_and_b32_e32 v2, 64, v94
	s_mov_b32 s44, 0
	v_cmp_eq_u32_e32 vcc, 0, v2
	s_mov_b64 s[42:43], 0
                                        ; implicit-def: $sgpr90_sgpr91
                                        ; implicit-def: $sgpr92_sgpr93
                                        ; implicit-def: $sgpr94_sgpr95
	s_branch .LBB17_2562
.LBB17_2559:                            ;   in Loop: Header=BB17_2562 Depth=2
	s_waitcnt vmcnt(0) lgkmcnt(0)
	v_cmp_ge_u64_e64 s[24:25], v[80:81], v[8:9]
	s_or_b64 s[36:37], s[36:37], exec
	s_orn2_b64 s[34:35], s[24:25], exec
.LBB17_2560:                            ;   in Loop: Header=BB17_2562 Depth=2
	s_or_b64 exec, exec, s[48:49]
	s_andn2_b64 s[24:25], s[94:95], exec
	s_and_b64 s[94:95], s[36:37], exec
	s_or_b64 s[94:95], s[24:25], s[94:95]
	s_andn2_b64 s[24:25], s[92:93], exec
	s_and_b64 s[92:93], s[34:35], exec
	s_or_b64 s[92:93], s[24:25], s[92:93]
.LBB17_2561:                            ;   in Loop: Header=BB17_2562 Depth=2
	s_or_b64 exec, exec, s[30:31]
	s_and_b64 s[24:25], exec, s[92:93]
	s_or_b64 s[42:43], s[24:25], s[42:43]
	s_andn2_b64 s[24:25], s[90:91], exec
	s_and_b64 s[90:91], s[94:95], exec
	s_or_b64 s[90:91], s[24:25], s[90:91]
	s_andn2_b64 exec, exec, s[42:43]
	s_cbranch_execz .LBB17_2578
.LBB17_2562:                            ;   Parent Loop BB17_47 Depth=1
                                        ; =>  This Inner Loop Header: Depth=2
	s_sleep 1
	s_waitcnt vmcnt(0) lgkmcnt(0)
	flat_load_dwordx2 v[80:81], v[64:65] sc0 sc1
	s_or_b64 s[94:95], s[94:95], exec
	s_or_b64 s[92:93], s[92:93], exec
                                        ; implicit-def: $vgpr2
	s_and_saveexec_b64 s[30:31], vcc
	s_cbranch_execz .LBB17_2561
; %bb.2563:                             ;   in Loop: Header=BB17_2562 Depth=2
	s_cmpk_lt_i32 s44, 0x270f
	s_cselect_b64 s[38:39], -1, 0
	s_cmpk_gt_i32 s44, 0x270e
	s_mov_b64 s[34:35], -1
	s_cbranch_scc0 .LBB17_2565
; %bb.2564:                             ;   in Loop: Header=BB17_2562 Depth=2
	s_trap 2
	ds_read_b64 v[10:11], v0
	s_andn2_b64 s[38:39], s[38:39], exec
	s_mov_b32 s44, 0
	s_mov_b64 s[36:37], 0
	s_waitcnt vmcnt(0) lgkmcnt(0)
	flat_load_dword v2, v[10:11] sc0 sc1
	s_waitcnt vmcnt(0) lgkmcnt(0)
	buffer_inv sc0 sc1
	v_cmp_eq_u32_e64 s[24:25], 0, v2
	s_and_b64 s[24:25], s[24:25], exec
	s_or_b64 s[38:39], s[38:39], s[24:25]
	s_and_saveexec_b64 s[48:49], s[38:39]
	s_cbranch_execz .LBB17_2560
	s_branch .LBB17_2559
.LBB17_2565:                            ;   in Loop: Header=BB17_2562 Depth=2
	s_add_i32 s44, s44, 1
	s_mov_b64 s[36:37], -1
                                        ; implicit-def: $vgpr2
	s_and_saveexec_b64 s[48:49], s[38:39]
	s_cbranch_execz .LBB17_2560
	s_branch .LBB17_2559
.LBB17_2566:                            ;   in Loop: Header=BB17_47 Depth=1
	s_or_b64 exec, exec, s[26:27]
	s_and_saveexec_b64 s[24:25], s[6:7]
	s_cbranch_execz .LBB17_2590
.LBB17_2567:                            ;   in Loop: Header=BB17_47 Depth=1
	s_and_saveexec_b64 s[26:27], s[56:57]
	s_xor_b64 s[26:27], exec, s[26:27]
	s_cbranch_execz .LBB17_2598
; %bb.2568:                             ;   in Loop: Header=BB17_47 Depth=1
	s_and_saveexec_b64 s[40:41], s[14:15]
	s_cbranch_execz .LBB17_2597
; %bb.2569:                             ;   in Loop: Header=BB17_47 Depth=1
	s_mov_b64 s[90:91], exec
	v_mbcnt_lo_u32_b32 v2, s90, 0
	v_mbcnt_hi_u32_b32 v2, s91, v2
	v_cmp_eq_u32_e32 vcc, 0, v2
	s_waitcnt lgkmcnt(0)
	s_and_saveexec_b64 s[42:43], vcc
	s_cbranch_execz .LBB17_2571
; %bb.2570:                             ;   in Loop: Header=BB17_47 Depth=1
	s_bcnt1_i32_b64 s44, s[90:91]
	v_mov_b32_e32 v2, s44
	ds_add_u64 v0, v[2:3]
	s_trap 2
.LBB17_2571:                            ;   in Loop: Header=BB17_47 Depth=1
	s_or_b64 exec, exec, s[42:43]
	s_trap 2
	ds_read_b64 v[8:9], v0
	s_waitcnt lgkmcnt(0)
	v_lshl_add_u64 v[70:71], v[70:71], 0, v[84:85]
	v_cmp_lt_u64_e32 vcc, v[8:9], v[70:71]
	s_and_saveexec_b64 s[42:43], vcc
	s_cbranch_execz .LBB17_2596
; %bb.2572:                             ;   in Loop: Header=BB17_47 Depth=1
	s_mov_b32 s44, 0
	s_mov_b64 s[90:91], 0
                                        ; implicit-def: $sgpr92_sgpr93
                                        ; implicit-def: $sgpr94_sgpr95
	s_branch .LBB17_2574
.LBB17_2573:                            ;   in Loop: Header=BB17_2574 Depth=2
	s_or_b64 exec, exec, s[34:35]
	s_and_b64 vcc, exec, vcc
	s_or_b64 s[90:91], vcc, s[90:91]
	s_andn2_b64 s[92:93], s[92:93], exec
	s_and_b64 vcc, s[94:95], exec
	s_or_b64 s[92:93], s[92:93], vcc
	s_andn2_b64 exec, exec, s[90:91]
	s_cbranch_execz .LBB17_2594
.LBB17_2574:                            ;   Parent Loop BB17_47 Depth=1
                                        ; =>  This Inner Loop Header: Depth=2
	s_add_i32 s44, s44, 1
	s_cmpk_lg_i32 s44, 0x2710
	s_cselect_b64 s[30:31], -1, 0
	s_and_b64 vcc, exec, s[30:31]
	s_cbranch_vccz .LBB17_2576
; %bb.2575:                             ;   in Loop: Header=BB17_2574 Depth=2
	s_mov_b64 vcc, -1
	s_or_b64 s[94:95], s[94:95], exec
	s_and_saveexec_b64 s[34:35], s[30:31]
	s_cbranch_execz .LBB17_2573
	s_branch .LBB17_2577
.LBB17_2576:                            ;   in Loop: Header=BB17_2574 Depth=2
	s_trap 2
	ds_read_b64 v[8:9], v0
	s_andn2_b64 s[30:31], s[30:31], exec
	s_mov_b32 s44, 0
	s_waitcnt vmcnt(0) lgkmcnt(0)
	flat_load_dword v2, v[8:9] sc0 sc1
	s_waitcnt vmcnt(0) lgkmcnt(0)
	buffer_inv sc0 sc1
	v_cmp_eq_u32_e32 vcc, 0, v2
	s_and_b64 vcc, vcc, exec
	s_or_b64 s[30:31], s[30:31], vcc
	s_mov_b64 vcc, -1
	s_or_b64 s[94:95], s[94:95], exec
	s_and_saveexec_b64 s[34:35], s[30:31]
	s_cbranch_execz .LBB17_2573
.LBB17_2577:                            ;   in Loop: Header=BB17_2574 Depth=2
	s_sleep 1
	s_trap 2
	ds_read_b64 v[8:9], v0
	s_waitcnt lgkmcnt(0)
	s_andn2_b64 s[94:95], s[94:95], exec
	v_cmp_ge_u64_e32 vcc, v[8:9], v[70:71]
	s_orn2_b64 vcc, vcc, exec
	s_branch .LBB17_2573
.LBB17_2578:                            ;   in Loop: Header=BB17_47 Depth=1
	s_or_b64 exec, exec, s[42:43]
	s_xor_b64 s[24:25], s[90:91], -1
	s_and_saveexec_b64 s[42:43], s[24:25]
	s_xor_b64 s[24:25], exec, s[42:43]
	s_cbranch_execz .LBB17_2580
; %bb.2579:                             ;   in Loop: Header=BB17_47 Depth=1
	v_or_b32_e32 v94, 64, v94
	s_waitcnt lgkmcnt(0)
	ds_write_b32 v0, v2
	s_trap 2
.LBB17_2580:                            ;   in Loop: Header=BB17_47 Depth=1
	s_or_b64 exec, exec, s[24:25]
.LBB17_2581:                            ;   in Loop: Header=BB17_47 Depth=1
	s_or_b64 exec, exec, s[40:41]
	v_and_b32_e32 v2, 0x100, v94
	v_cmp_ne_u32_e32 vcc, 0, v2
	v_and_b32_e32 v2, 7, v56
	s_mov_b64 s[24:25], -1
	;;#ASMSTART
	s_wakeup
	;;#ASMEND
                                        ; implicit-def: $vgpr10_vgpr11
	s_and_saveexec_b64 s[40:41], vcc
	s_cbranch_execz .LBB17_2585
; %bb.2582:                             ;   in Loop: Header=BB17_47 Depth=1
	v_mad_u64_u32 v[12:13], s[24:25], v2, 24, v[6:7]
	flat_load_dword v10, v[12:13]
	s_waitcnt vmcnt(0) lgkmcnt(0)
	v_cmp_ne_u32_e32 vcc, 1, v10
	v_cmp_eq_u32_e64 s[24:25], 1, v10
                                        ; implicit-def: $vgpr10_vgpr11
	s_and_saveexec_b64 s[42:43], s[24:25]
	s_cbranch_execz .LBB17_2584
; %bb.2583:                             ;   in Loop: Header=BB17_47 Depth=1
	flat_load_dword v10, v[12:13] offset:4 sc0 sc1
	s_waitcnt vmcnt(0) lgkmcnt(0)
	v_ashrrev_i32_e32 v11, 31, v10
	v_lshrrev_b64 v[10:11], 1, v[10:11]
.LBB17_2584:                            ;   in Loop: Header=BB17_47 Depth=1
	s_or_b64 exec, exec, s[42:43]
	s_orn2_b64 s[24:25], vcc, exec
.LBB17_2585:                            ;   in Loop: Header=BB17_47 Depth=1
	s_or_b64 exec, exec, s[40:41]
	s_and_saveexec_b64 s[40:41], s[24:25]
; %bb.2586:                             ;   in Loop: Header=BB17_47 Depth=1
	v_mad_i64_i32 v[10:11], s[24:25], v2, v30, 0
; %bb.2587:                             ;   in Loop: Header=BB17_47 Depth=1
	s_or_b64 exec, exec, s[40:41]
	v_and_b32_e32 v2, 0x2000, v94
	v_lshl_add_u64 v[10:11], v[10:11], 1, v[66:67]
	v_cmp_ne_u32_e32 vcc, 0, v2
	ds_write_b64 v0, v[10:11] offset:720
	s_and_saveexec_b64 s[24:25], vcc
	s_cbranch_execz .LBB17_2589
; %bb.2588:                             ;   in Loop: Header=BB17_47 Depth=1
	ds_read_b64 v[10:11], v0 offset:872
	s_waitcnt lgkmcnt(0)
	v_lshl_add_u64 v[10:11], v[10:11], 0, 1
	ds_write_b64 v0, v[10:11] offset:872
.LBB17_2589:                            ;   in Loop: Header=BB17_47 Depth=1
	s_or_b64 exec, exec, s[24:25]
	v_mov_b64_e32 v[56:57], v[8:9]
	s_or_b64 exec, exec, s[26:27]
	s_and_saveexec_b64 s[24:25], s[6:7]
	s_cbranch_execnz .LBB17_2567
.LBB17_2590:                            ;   in Loop: Header=BB17_47 Depth=1
	s_or_b64 exec, exec, s[24:25]
	s_and_saveexec_b64 s[24:25], s[22:23]
	s_xor_b64 s[24:25], exec, s[24:25]
	s_cbranch_execz .LBB17_2601
.LBB17_2591:                            ;   in Loop: Header=BB17_47 Depth=1
	s_trap 2
	ds_read_b32 v2, v0
	v_sub_u32_e32 v8, v76, v14
	v_min_i32_e32 v8, v77, v8
	v_cmp_lt_i32_e32 vcc, 0, v8
	s_waitcnt lgkmcnt(0)
	v_readfirstlane_b32 s26, v2
	s_cmp_eq_u32 s26, 0
	s_cselect_b64 s[26:27], -1, 0
	v_and_b32_e32 v2, 16, v94
	s_and_b64 s[26:27], vcc, s[26:27]
	v_cmp_ne_u32_e32 vcc, 0, v2
	s_and_b64 s[40:41], vcc, s[26:27]
	s_and_saveexec_b64 s[26:27], s[40:41]
	s_cbranch_execz .LBB17_2593
; %bb.2592:                             ;   in Loop: Header=BB17_47 Depth=1
	buffer_wbl2 sc1
	s_waitcnt vmcnt(0)
	buffer_inv sc1
.LBB17_2593:                            ;   in Loop: Header=BB17_47 Depth=1
	s_or_b64 exec, exec, s[26:27]
	s_andn2_saveexec_b64 s[24:25], s[24:25]
	s_cbranch_execz .LBB17_2620
	s_branch .LBB17_2602
.LBB17_2594:                            ;   in Loop: Header=BB17_47 Depth=1
	s_or_b64 exec, exec, s[90:91]
	s_and_saveexec_b64 s[44:45], s[92:93]
	s_xor_b64 s[44:45], exec, s[44:45]
	s_cbranch_execz .LBB17_2596
; %bb.2595:                             ;   in Loop: Header=BB17_47 Depth=1
	ds_write_b32 v0, v107
	s_trap 2
.LBB17_2596:                            ;   in Loop: Header=BB17_47 Depth=1
	s_or_b64 exec, exec, s[42:43]
	;;#ASMSTART
	s_wakeup
	;;#ASMEND
.LBB17_2597:                            ;   in Loop: Header=BB17_47 Depth=1
	s_or_b64 exec, exec, s[40:41]
.LBB17_2598:                            ;   in Loop: Header=BB17_47 Depth=1
	s_andn2_saveexec_b64 s[26:27], s[26:27]
	s_cbranch_execz .LBB17_2600
; %bb.2599:                             ;   in Loop: Header=BB17_47 Depth=1
	s_waitcnt lgkmcnt(0)
	s_barrier
.LBB17_2600:                            ;   in Loop: Header=BB17_47 Depth=1
	s_or_b64 exec, exec, s[26:27]
	s_or_b64 exec, exec, s[24:25]
	s_and_saveexec_b64 s[24:25], s[22:23]
	s_xor_b64 s[24:25], exec, s[24:25]
	s_cbranch_execnz .LBB17_2591
.LBB17_2601:                            ;   in Loop: Header=BB17_47 Depth=1
	s_andn2_saveexec_b64 s[24:25], s[24:25]
	s_cbranch_execz .LBB17_2620
.LBB17_2602:                            ;   in Loop: Header=BB17_47 Depth=1
	s_and_saveexec_b64 s[26:27], s[56:57]
	s_xor_b64 s[26:27], exec, s[26:27]
	s_cbranch_execz .LBB17_2617
; %bb.2603:                             ;   in Loop: Header=BB17_47 Depth=1
	s_and_saveexec_b64 s[40:41], s[14:15]
	s_cbranch_execz .LBB17_2616
; %bb.2604:                             ;   in Loop: Header=BB17_47 Depth=1
	s_mov_b64 s[90:91], exec
	v_mbcnt_lo_u32_b32 v2, s90, 0
	v_mbcnt_hi_u32_b32 v2, s91, v2
	v_cmp_eq_u32_e32 vcc, 0, v2
	;;#ASMSTART
	s_waitcnt lgkmcnt(0) vmcnt(0)
	;;#ASMEND
	s_and_saveexec_b64 s[42:43], vcc
	s_cbranch_execz .LBB17_2606
; %bb.2605:                             ;   in Loop: Header=BB17_47 Depth=1
	s_bcnt1_i32_b64 s44, s[90:91]
	v_mov_b32_e32 v2, s44
	s_waitcnt lgkmcnt(0)
	ds_add_u64 v0, v[2:3]
	s_trap 2
.LBB17_2606:                            ;   in Loop: Header=BB17_47 Depth=1
	s_or_b64 exec, exec, s[42:43]
	s_trap 2
	ds_read_b64 v[8:9], v0
	s_waitcnt lgkmcnt(0)
	v_lshl_add_u64 v[70:71], v[70:71], 0, v[84:85]
	v_cmp_lt_u64_e32 vcc, v[8:9], v[70:71]
	s_and_saveexec_b64 s[42:43], vcc
	s_cbranch_execz .LBB17_2615
; %bb.2607:                             ;   in Loop: Header=BB17_47 Depth=1
	s_mov_b32 s44, 0
	s_mov_b64 s[90:91], 0
                                        ; implicit-def: $sgpr92_sgpr93
                                        ; implicit-def: $sgpr94_sgpr95
	s_branch .LBB17_2609
.LBB17_2608:                            ;   in Loop: Header=BB17_2609 Depth=2
	s_or_b64 exec, exec, s[34:35]
	s_and_b64 vcc, exec, vcc
	s_or_b64 s[90:91], vcc, s[90:91]
	s_andn2_b64 s[92:93], s[92:93], exec
	s_and_b64 vcc, s[94:95], exec
	s_or_b64 s[92:93], s[92:93], vcc
	s_andn2_b64 exec, exec, s[90:91]
	s_cbranch_execz .LBB17_2613
.LBB17_2609:                            ;   Parent Loop BB17_47 Depth=1
                                        ; =>  This Inner Loop Header: Depth=2
	s_add_i32 s44, s44, 1
	s_cmpk_lg_i32 s44, 0x2710
	s_cselect_b64 s[30:31], -1, 0
	s_and_b64 vcc, exec, s[30:31]
	s_cbranch_vccz .LBB17_2611
; %bb.2610:                             ;   in Loop: Header=BB17_2609 Depth=2
	s_mov_b64 vcc, -1
	s_or_b64 s[94:95], s[94:95], exec
	s_and_saveexec_b64 s[34:35], s[30:31]
	s_cbranch_execz .LBB17_2608
	s_branch .LBB17_2612
.LBB17_2611:                            ;   in Loop: Header=BB17_2609 Depth=2
	s_trap 2
	ds_read_b64 v[8:9], v0
	s_andn2_b64 s[30:31], s[30:31], exec
	s_mov_b32 s44, 0
	s_waitcnt vmcnt(0) lgkmcnt(0)
	flat_load_dword v2, v[8:9] sc0 sc1
	s_waitcnt vmcnt(0) lgkmcnt(0)
	buffer_inv sc0 sc1
	v_cmp_eq_u32_e32 vcc, 0, v2
	s_and_b64 vcc, vcc, exec
	s_or_b64 s[30:31], s[30:31], vcc
	s_mov_b64 vcc, -1
	s_or_b64 s[94:95], s[94:95], exec
	s_and_saveexec_b64 s[34:35], s[30:31]
	s_cbranch_execz .LBB17_2608
.LBB17_2612:                            ;   in Loop: Header=BB17_2609 Depth=2
	s_sleep 1
	s_trap 2
	ds_read_b64 v[8:9], v0
	s_waitcnt lgkmcnt(0)
	s_andn2_b64 s[94:95], s[94:95], exec
	v_cmp_ge_u64_e32 vcc, v[8:9], v[70:71]
	s_orn2_b64 vcc, vcc, exec
	s_branch .LBB17_2608
.LBB17_2613:                            ;   in Loop: Header=BB17_47 Depth=1
	s_or_b64 exec, exec, s[90:91]
	s_and_saveexec_b64 s[44:45], s[92:93]
	s_xor_b64 s[44:45], exec, s[44:45]
	s_cbranch_execz .LBB17_2615
; %bb.2614:                             ;   in Loop: Header=BB17_47 Depth=1
	ds_write_b32 v0, v107
	s_trap 2
.LBB17_2615:                            ;   in Loop: Header=BB17_47 Depth=1
	s_or_b64 exec, exec, s[42:43]
	;;#ASMSTART
	s_wakeup
	;;#ASMEND
.LBB17_2616:                            ;   in Loop: Header=BB17_47 Depth=1
	s_or_b64 exec, exec, s[40:41]
.LBB17_2617:                            ;   in Loop: Header=BB17_47 Depth=1
	s_andn2_saveexec_b64 s[26:27], s[26:27]
	s_cbranch_execz .LBB17_2619
; %bb.2618:                             ;   in Loop: Header=BB17_47 Depth=1
	;;#ASMSTART
	s_waitcnt lgkmcnt(0) vmcnt(0)
	;;#ASMEND
	s_barrier
.LBB17_2619:                            ;   in Loop: Header=BB17_47 Depth=1
	s_or_b64 exec, exec, s[26:27]
.LBB17_2620:                            ;   in Loop: Header=BB17_47 Depth=1
	s_or_b64 exec, exec, s[24:25]
	v_and_b32_e32 v2, 32, v94
	v_cmp_ne_u32_e32 vcc, 0, v2
	s_and_saveexec_b64 s[24:25], vcc
	s_cbranch_execz .LBB17_45
; %bb.2621:                             ;   in Loop: Header=BB17_47 Depth=1
	v_lshl_add_u64 v[56:57], v[56:57], 0, 4
	flat_store_dwordx2 v[64:65], v[56:57] sc0 sc1
	s_branch .LBB17_45
.LBB17_2622:
	s_or_b64 exec, exec, s[72:73]
	scratch_load_dword v31, off, s33 offset:288 ; 4-byte Folded Reload
	scratch_load_dword v22, off, s33 offset:292 ; 4-byte Folded Reload
	v_readlane_b32 s24, v126, 2
	v_readlane_b32 s25, v126, 3
.LBB17_2623:
	v_readlane_b32 s0, v126, 0
	v_readlane_b32 s1, v126, 1
	s_or_b64 exec, exec, s[0:1]
	v_and_b32_e32 v0, 0x800, v94
	v_cmp_eq_u32_e32 vcc, 0, v0
	s_and_saveexec_b64 s[2:3], vcc
	s_cbranch_execz .LBB17_2656
; %bb.2624:
	v_and_b32_e32 v0, 48, v94
	v_cmp_ne_u32_e32 vcc, 0, v0
	s_and_saveexec_b64 s[0:1], vcc
	s_cbranch_execz .LBB17_2626
; %bb.2625:
	scratch_load_dwordx2 v[2:3], off, s33 offset:272 ; 8-byte Folded Reload
	s_waitcnt vmcnt(0)
	flat_store_dwordx2 v[2:3], v[56:57] offset:104
.LBB17_2626:
	s_or_b64 exec, exec, s[0:1]
	s_movk_i32 s0, 0x88
	v_and_b32_e32 v0, 0x88, v94
	v_cmp_eq_u32_e32 vcc, s0, v0
	s_and_saveexec_b64 s[4:5], vcc
	s_cbranch_execz .LBB17_2636
; %bb.2627:
	v_bitop3_b32 v0, v56, 4, 7 bitop3:0x6c
	v_mad_u64_u32 v[2:3], s[0:1], v0, 24, v[6:7]
	flat_load_dwordx2 v[4:5], v[2:3] offset:8 sc0 sc1
	s_waitcnt vmcnt(0)
	v_and_b32_e32 v0, 64, v94
	v_cmp_eq_u32_e64 s[0:1], 0, v0
	s_mov_b32 s18, 0
	s_waitcnt lgkmcnt(0)
	v_cmp_ne_u64_e32 vcc, -1, v[4:5]
	s_and_b64 s[0:1], vcc, s[0:1]
	s_and_b64 exec, exec, s[0:1]
	s_cbranch_execz .LBB17_2636
; %bb.2628:
	s_mov_b64 s[0:1], 0
                                        ; implicit-def: $sgpr6_sgpr7
                                        ; implicit-def: $sgpr10_sgpr11
	s_branch .LBB17_2631
.LBB17_2629:                            ;   in Loop: Header=BB17_2631 Depth=1
	flat_load_dwordx2 v[4:5], v[2:3] offset:8 sc0 sc1
	s_waitcnt vmcnt(0)
	s_andn2_b64 s[10:11], s[10:11], exec
	s_waitcnt lgkmcnt(0)
	v_cmp_eq_u64_e32 vcc, -1, v[4:5]
	s_orn2_b64 s[14:15], vcc, exec
.LBB17_2630:                            ;   in Loop: Header=BB17_2631 Depth=1
	s_or_b64 exec, exec, s[16:17]
	s_and_b64 s[12:13], exec, s[14:15]
	s_or_b64 s[0:1], s[12:13], s[0:1]
	s_andn2_b64 s[6:7], s[6:7], exec
	s_and_b64 s[12:13], s[10:11], exec
	s_or_b64 s[6:7], s[6:7], s[12:13]
	s_andn2_b64 exec, exec, s[0:1]
	s_cbranch_execz .LBB17_2634
.LBB17_2631:                            ; =>This Inner Loop Header: Depth=1
	s_cmpk_lt_i32 s18, 0x270f
	s_cselect_b64 s[12:13], -1, 0
	s_and_b64 vcc, exec, s[12:13]
	s_cbranch_vccnz .LBB17_2633
; %bb.2632:                             ;   in Loop: Header=BB17_2631 Depth=1
	s_trap 2
	ds_read_b64 v[4:5], v0
	s_andn2_b64 s[12:13], s[12:13], exec
	s_mov_b32 s18, 0
	s_waitcnt lgkmcnt(0)
	flat_load_dword v0, v[4:5] sc0 sc1
	s_waitcnt vmcnt(0) lgkmcnt(0)
	buffer_inv sc0 sc1
	v_cmp_eq_u32_e32 vcc, 0, v0
	s_and_b64 s[14:15], vcc, exec
	s_or_b64 s[12:13], s[12:13], s[14:15]
	s_mov_b64 s[14:15], -1
	s_or_b64 s[10:11], s[10:11], exec
	s_and_saveexec_b64 s[16:17], s[12:13]
	s_cbranch_execz .LBB17_2630
	s_branch .LBB17_2629
.LBB17_2633:                            ;   in Loop: Header=BB17_2631 Depth=1
	s_add_i32 s18, s18, 1
                                        ; implicit-def: $vgpr0
	s_mov_b64 s[14:15], -1
	s_or_b64 s[10:11], s[10:11], exec
	s_and_saveexec_b64 s[16:17], s[12:13]
	s_cbranch_execz .LBB17_2630
	s_branch .LBB17_2629
.LBB17_2634:
	s_or_b64 exec, exec, s[0:1]
	s_and_saveexec_b64 s[0:1], s[6:7]
	s_xor_b64 s[0:1], exec, s[0:1]
	s_cbranch_execz .LBB17_2636
; %bb.2635:
	ds_write_b32 v0, v0
	s_trap 2
.LBB17_2636:
	s_or_b64 exec, exec, s[4:5]
	v_and_b32_e32 v0, 0x2000, v94
	v_cmp_ne_u32_e32 vcc, 0, v0
	s_and_saveexec_b64 s[0:1], vcc
	s_cbranch_execz .LBB17_2638
; %bb.2637:
	scratch_load_dwordx2 v[4:5], off, s33 offset:296 ; 8-byte Folded Reload
	ds_read_b64 v[2:3], v0 offset:872
	s_waitcnt vmcnt(0) lgkmcnt(0)
	flat_store_dwordx2 v[4:5], v[2:3] offset:16
.LBB17_2638:
	s_or_b64 exec, exec, s[0:1]
	v_cmp_ne_u32_e32 vcc, 64, v1
	s_and_b64 exec, exec, vcc
	s_cbranch_execz .LBB17_2656
; %bb.2639:
	s_waitcnt vmcnt(0)
	v_cmp_ne_u32_sdwa s[0:1], v1, v22 src0_sel:DWORD src1_sel:WORD_0
	s_and_saveexec_b64 s[4:5], s[0:1]
	s_xor_b64 s[0:1], exec, s[4:5]
	s_cbranch_execz .LBB17_2654
; %bb.2640:
	v_and_b32_e32 v0, 63, v31
	v_cmp_eq_u32_e32 vcc, 0, v0
	s_and_saveexec_b64 s[4:5], vcc
	s_cbranch_execz .LBB17_2653
; %bb.2641:
	s_mov_b64 s[10:11], exec
	v_mbcnt_lo_u32_b32 v0, s10, 0
	v_mbcnt_hi_u32_b32 v0, s11, v0
	v_cmp_eq_u32_e32 vcc, 0, v0
	s_waitcnt lgkmcnt(0)
	s_and_saveexec_b64 s[6:7], vcc
	s_cbranch_execz .LBB17_2643
; %bb.2642:
	s_bcnt1_i32_b64 s10, s[10:11]
	v_mov_b32_e32 v2, s10
	v_mov_b32_e32 v3, 0
	ds_add_u64 v0, v[2:3]
	s_trap 2
.LBB17_2643:
	s_or_b64 exec, exec, s[6:7]
	s_trap 2
	ds_read_b64 v[2:3], v0
	s_waitcnt lgkmcnt(0)
	v_lshrrev_b32_e32 v0, 6, v1
	v_mov_b32_e32 v1, 0
	v_lshl_add_u64 v[0:1], v[70:71], 0, v[0:1]
	v_cmp_lt_u64_e32 vcc, v[2:3], v[0:1]
	s_and_saveexec_b64 s[6:7], vcc
	s_cbranch_execz .LBB17_2652
; %bb.2644:
	s_mov_b32 s22, 0
	s_mov_b64 s[10:11], 0
                                        ; implicit-def: $sgpr12_sgpr13
                                        ; implicit-def: $sgpr14_sgpr15
	s_branch .LBB17_2646
.LBB17_2645:                            ;   in Loop: Header=BB17_2646 Depth=1
	s_or_b64 exec, exec, s[18:19]
	s_and_b64 s[16:17], exec, s[20:21]
	s_or_b64 s[10:11], s[16:17], s[10:11]
	s_andn2_b64 s[12:13], s[12:13], exec
	s_and_b64 s[16:17], s[14:15], exec
	s_or_b64 s[12:13], s[12:13], s[16:17]
	s_andn2_b64 exec, exec, s[10:11]
	s_cbranch_execz .LBB17_2650
.LBB17_2646:                            ; =>This Inner Loop Header: Depth=1
	s_add_i32 s22, s22, 1
	s_cmpk_lg_i32 s22, 0x2710
	s_cselect_b64 s[16:17], -1, 0
	s_and_b64 vcc, exec, s[16:17]
	s_cbranch_vccz .LBB17_2648
; %bb.2647:                             ;   in Loop: Header=BB17_2646 Depth=1
	s_mov_b64 s[20:21], -1
	s_or_b64 s[14:15], s[14:15], exec
	s_and_saveexec_b64 s[18:19], s[16:17]
	s_cbranch_execz .LBB17_2645
	s_branch .LBB17_2649
.LBB17_2648:                            ;   in Loop: Header=BB17_2646 Depth=1
	s_trap 2
	ds_read_b64 v[2:3], v0
	s_andn2_b64 s[16:17], s[16:17], exec
	s_mov_b32 s22, 0
	s_waitcnt lgkmcnt(0)
	flat_load_dword v2, v[2:3] sc0 sc1
	s_waitcnt vmcnt(0) lgkmcnt(0)
	buffer_inv sc0 sc1
	v_cmp_eq_u32_e32 vcc, 0, v2
	s_and_b64 s[18:19], vcc, exec
	s_or_b64 s[16:17], s[16:17], s[18:19]
	s_mov_b64 s[20:21], -1
	s_or_b64 s[14:15], s[14:15], exec
	s_and_saveexec_b64 s[18:19], s[16:17]
	s_cbranch_execz .LBB17_2645
.LBB17_2649:                            ;   in Loop: Header=BB17_2646 Depth=1
	s_sleep 1
	s_trap 2
	ds_read_b64 v[2:3], v0
	s_waitcnt lgkmcnt(0)
	s_andn2_b64 s[14:15], s[14:15], exec
	v_cmp_ge_u64_e32 vcc, v[2:3], v[0:1]
	s_orn2_b64 s[20:21], vcc, exec
	s_branch .LBB17_2645
.LBB17_2650:
	s_or_b64 exec, exec, s[10:11]
	s_and_saveexec_b64 s[10:11], s[12:13]
	s_xor_b64 s[10:11], exec, s[10:11]
	s_cbranch_execz .LBB17_2652
; %bb.2651:
	v_mov_b32_e32 v0, 1
	ds_write_b32 v0, v0
	s_trap 2
.LBB17_2652:
	s_or_b64 exec, exec, s[6:7]
	;;#ASMSTART
	s_wakeup
	;;#ASMEND
.LBB17_2653:
	s_or_b64 exec, exec, s[4:5]
.LBB17_2654:
	s_andn2_saveexec_b64 s[0:1], s[0:1]
	s_cbranch_execz .LBB17_2656
; %bb.2655:
	s_waitcnt lgkmcnt(0)
	s_barrier
.LBB17_2656:
	s_or_b64 exec, exec, s[2:3]
.LBB17_2657:
	s_andn2_saveexec_b64 s[22:23], s[24:25]
	s_cbranch_execz .LBB17_2659
; %bb.2658:
	s_getpc_b64 s[0:1]
	s_add_u32 s0, s0, __PRETTY_FUNCTION__._ZN10PrimitivesI12hip_bfloat1610FuncMinMaxIS0_E12FanSymmetricILi1EELi0E11ProtoSimpleILi1ELi4ELi0ELi2ELi0ELi0EELi0ELb0ELi0ELi1ELi0EEC2EiiPKiS9_PKvPvmhhhP15ncclDevWorkCollP14ncclDevWorkP2pii@rel32@lo+4
	s_addc_u32 s1, s1, __PRETTY_FUNCTION__._ZN10PrimitivesI12hip_bfloat1610FuncMinMaxIS0_E12FanSymmetricILi1EELi0E11ProtoSimpleILi1ELi4ELi0ELi2ELi0ELi0EELi0ELb0ELi0ELi1ELi0EEC2EiiPKiS9_PKvPvmhhhP15ncclDevWorkCollP14ncclDevWorkP2pii@rel32@hi+12
	s_getpc_b64 s[2:3]
	s_add_u32 s2, s2, __assert_fail@rel32@lo+4
	s_addc_u32 s3, s3, __assert_fail@rel32@hi+12
	v_mov_b32_e32 v0, s0
	v_mov_b32_e32 v1, s1
	s_swappc_b64 s[30:31], s[2:3]
	; divergent unreachable
.LBB17_2659:
	s_or_b64 exec, exec, s[22:23]
	scratch_load_dword v125, off, s33       ; 4-byte Folded Reload
	scratch_load_dword v124, off, s33 offset:4 ; 4-byte Folded Reload
	scratch_load_dword v123, off, s33 offset:8 ; 4-byte Folded Reload
	;; [unrolled: 1-line block ×45, first 2 shown]
	v_readlane_b32 s30, v127, 32
	v_readlane_b32 s31, v127, 33
	;; [unrolled: 1-line block ×34, first 2 shown]
	s_mov_b32 s32, s33
	v_readlane_b32 s0, v127, 34
	s_or_saveexec_b64 s[2:3], -1
	scratch_load_dword v127, off, s33 offset:304 ; 4-byte Folded Reload
	scratch_load_dword v126, off, s33 offset:308 ; 4-byte Folded Reload
	s_mov_b64 exec, s[2:3]
	s_mov_b32 s33, s0
	s_waitcnt vmcnt(0) lgkmcnt(0)
	s_setpc_b64 s[30:31]
.Lfunc_end17:
	.size	_ZN12_GLOBAL__N_17runRingI12hip_bfloat1610FuncMinMaxIS1_E11ProtoSimpleILi1ELi4ELi0ELi2ELi0ELi0EELi0ELi0ELi2ELi1EEEviiP15ncclDevWorkColl, .Lfunc_end17-_ZN12_GLOBAL__N_17runRingI12hip_bfloat1610FuncMinMaxIS1_E11ProtoSimpleILi1ELi4ELi0ELi2ELi0ELi0EELi0ELi0ELi2ELi1EEEviiP15ncclDevWorkColl
                                        ; -- End function
	.set .L_ZN12_GLOBAL__N_17runRingI12hip_bfloat1610FuncMinMaxIS1_E11ProtoSimpleILi1ELi4ELi0ELi2ELi0ELi0EELi0ELi0ELi2ELi1EEEviiP15ncclDevWorkColl.num_vgpr, max(128, .L__assert_fail.num_vgpr)
	.set .L_ZN12_GLOBAL__N_17runRingI12hip_bfloat1610FuncMinMaxIS1_E11ProtoSimpleILi1ELi4ELi0ELi2ELi0ELi0EELi0ELi0ELi2ELi1EEEviiP15ncclDevWorkColl.num_agpr, max(0, .L__assert_fail.num_agpr)
	.set .L_ZN12_GLOBAL__N_17runRingI12hip_bfloat1610FuncMinMaxIS1_E11ProtoSimpleILi1ELi4ELi0ELi2ELi0ELi0EELi0ELi0ELi2ELi1EEEviiP15ncclDevWorkColl.numbered_sgpr, max(98, .L__assert_fail.numbered_sgpr)
	.set .L_ZN12_GLOBAL__N_17runRingI12hip_bfloat1610FuncMinMaxIS1_E11ProtoSimpleILi1ELi4ELi0ELi2ELi0ELi0EELi0ELi0ELi2ELi1EEEviiP15ncclDevWorkColl.num_named_barrier, max(0, .L__assert_fail.num_named_barrier)
	.set .L_ZN12_GLOBAL__N_17runRingI12hip_bfloat1610FuncMinMaxIS1_E11ProtoSimpleILi1ELi4ELi0ELi2ELi0ELi0EELi0ELi0ELi2ELi1EEEviiP15ncclDevWorkColl.private_seg_size, 320+max(.L__assert_fail.private_seg_size)
	.set .L_ZN12_GLOBAL__N_17runRingI12hip_bfloat1610FuncMinMaxIS1_E11ProtoSimpleILi1ELi4ELi0ELi2ELi0ELi0EELi0ELi0ELi2ELi1EEEviiP15ncclDevWorkColl.uses_vcc, or(1, .L__assert_fail.uses_vcc)
	.set .L_ZN12_GLOBAL__N_17runRingI12hip_bfloat1610FuncMinMaxIS1_E11ProtoSimpleILi1ELi4ELi0ELi2ELi0ELi0EELi0ELi0ELi2ELi1EEEviiP15ncclDevWorkColl.uses_flat_scratch, or(0, .L__assert_fail.uses_flat_scratch)
	.set .L_ZN12_GLOBAL__N_17runRingI12hip_bfloat1610FuncMinMaxIS1_E11ProtoSimpleILi1ELi4ELi0ELi2ELi0ELi0EELi0ELi0ELi2ELi1EEEviiP15ncclDevWorkColl.has_dyn_sized_stack, or(0, .L__assert_fail.has_dyn_sized_stack)
	.set .L_ZN12_GLOBAL__N_17runRingI12hip_bfloat1610FuncMinMaxIS1_E11ProtoSimpleILi1ELi4ELi0ELi2ELi0ELi0EELi0ELi0ELi2ELi1EEEviiP15ncclDevWorkColl.has_recursion, or(1, .L__assert_fail.has_recursion)
	.set .L_ZN12_GLOBAL__N_17runRingI12hip_bfloat1610FuncMinMaxIS1_E11ProtoSimpleILi1ELi4ELi0ELi2ELi0ELi0EELi0ELi0ELi2ELi1EEEviiP15ncclDevWorkColl.has_indirect_call, or(0, .L__assert_fail.has_indirect_call)
	.section	.AMDGPU.csdata,"",@progbits
; Function info:
; codeLenInByte = 79400
; TotalNumSgprs: 104
; NumVgprs: 128
; NumAgprs: 0
; TotalNumVgprs: 128
; ScratchSize: 384
; MemoryBound: 1
	.text
	.p2align	2                               ; -- Begin function _ZN12_GLOBAL__N_17runRingI12hip_bfloat1610FuncMinMaxIS1_E11ProtoSimpleILi2ELi2ELi0ELi2ELi0ELi0EELi0ELi0ELi2ELi1EEEviiP15ncclDevWorkColl
	.type	_ZN12_GLOBAL__N_17runRingI12hip_bfloat1610FuncMinMaxIS1_E11ProtoSimpleILi2ELi2ELi0ELi2ELi0ELi0EELi0ELi0ELi2ELi1EEEviiP15ncclDevWorkColl,@function
_ZN12_GLOBAL__N_17runRingI12hip_bfloat1610FuncMinMaxIS1_E11ProtoSimpleILi2ELi2ELi0ELi2ELi0ELi0EELi0ELi0ELi2ELi1EEEviiP15ncclDevWorkColl: ; @_ZN12_GLOBAL__N_17runRingI12hip_bfloat1610FuncMinMaxIS1_E11ProtoSimpleILi2ELi2ELi0ELi2ELi0ELi0EELi0ELi0ELi2ELi1EEEviiP15ncclDevWorkColl
; %bb.0:
	s_waitcnt vmcnt(0) expcnt(0) lgkmcnt(0)
	s_mov_b32 s0, s33
	s_mov_b32 s33, s32
	s_or_saveexec_b64 s[2:3], -1
	scratch_store_dword off, v127, s33 offset:340 ; 4-byte Folded Spill
	scratch_store_dword off, v126, s33 offset:344 ; 4-byte Folded Spill
	s_mov_b64 exec, s[2:3]
	v_writelane_b32 v127, s0, 34
	s_addk_i32 s32, 0x160
	scratch_store_dword off, v40, s33 offset:180 ; 4-byte Folded Spill
	scratch_store_dword off, v41, s33 offset:176 ; 4-byte Folded Spill
	scratch_store_dword off, v42, s33 offset:172 ; 4-byte Folded Spill
	scratch_store_dword off, v43, s33 offset:168 ; 4-byte Folded Spill
	scratch_store_dword off, v44, s33 offset:164 ; 4-byte Folded Spill
	scratch_store_dword off, v45, s33 offset:160 ; 4-byte Folded Spill
	scratch_store_dword off, v46, s33 offset:156 ; 4-byte Folded Spill
	scratch_store_dword off, v47, s33 offset:152 ; 4-byte Folded Spill
	scratch_store_dword off, v56, s33 offset:148 ; 4-byte Folded Spill
	scratch_store_dword off, v57, s33 offset:144 ; 4-byte Folded Spill
	scratch_store_dword off, v58, s33 offset:140 ; 4-byte Folded Spill
	scratch_store_dword off, v59, s33 offset:136 ; 4-byte Folded Spill
	scratch_store_dword off, v60, s33 offset:132 ; 4-byte Folded Spill
	scratch_store_dword off, v61, s33 offset:128 ; 4-byte Folded Spill
	scratch_store_dword off, v62, s33 offset:124 ; 4-byte Folded Spill
	scratch_store_dword off, v63, s33 offset:120 ; 4-byte Folded Spill
	scratch_store_dword off, v72, s33 offset:116 ; 4-byte Folded Spill
	scratch_store_dword off, v73, s33 offset:112 ; 4-byte Folded Spill
	scratch_store_dword off, v74, s33 offset:108 ; 4-byte Folded Spill
	scratch_store_dword off, v75, s33 offset:104 ; 4-byte Folded Spill
	scratch_store_dword off, v76, s33 offset:100 ; 4-byte Folded Spill
	scratch_store_dword off, v77, s33 offset:96 ; 4-byte Folded Spill
	scratch_store_dword off, v78, s33 offset:92 ; 4-byte Folded Spill
	scratch_store_dword off, v79, s33 offset:88 ; 4-byte Folded Spill
	scratch_store_dword off, v88, s33 offset:84 ; 4-byte Folded Spill
	scratch_store_dword off, v89, s33 offset:80 ; 4-byte Folded Spill
	scratch_store_dword off, v90, s33 offset:76 ; 4-byte Folded Spill
	scratch_store_dword off, v91, s33 offset:72 ; 4-byte Folded Spill
	scratch_store_dword off, v92, s33 offset:68 ; 4-byte Folded Spill
	scratch_store_dword off, v93, s33 offset:64 ; 4-byte Folded Spill
	scratch_store_dword off, v94, s33 offset:60 ; 4-byte Folded Spill
	scratch_store_dword off, v95, s33 offset:56 ; 4-byte Folded Spill
	scratch_store_dword off, v104, s33 offset:52 ; 4-byte Folded Spill
	scratch_store_dword off, v105, s33 offset:48 ; 4-byte Folded Spill
	scratch_store_dword off, v106, s33 offset:44 ; 4-byte Folded Spill
	scratch_store_dword off, v107, s33 offset:40 ; 4-byte Folded Spill
	scratch_store_dword off, v108, s33 offset:36 ; 4-byte Folded Spill
	scratch_store_dword off, v109, s33 offset:32 ; 4-byte Folded Spill
	scratch_store_dword off, v110, s33 offset:28 ; 4-byte Folded Spill
	scratch_store_dword off, v111, s33 offset:24 ; 4-byte Folded Spill
	scratch_store_dword off, v120, s33 offset:20 ; 4-byte Folded Spill
	scratch_store_dword off, v121, s33 offset:16 ; 4-byte Folded Spill
	scratch_store_dword off, v122, s33 offset:12 ; 4-byte Folded Spill
	scratch_store_dword off, v123, s33 offset:8 ; 4-byte Folded Spill
	scratch_store_dword off, v124, s33 offset:4 ; 4-byte Folded Spill
	scratch_store_dword off, v125, s33      ; 4-byte Folded Spill
	v_writelane_b32 v127, s34, 0
	v_writelane_b32 v127, s35, 1
	;; [unrolled: 1-line block ×33, first 2 shown]
	s_nop 1
	v_writelane_b32 v127, s31, 33
	s_trap 2
	flat_load_dword v5, v[2:3]
	ds_read_b32 v6, v0
	s_mov_b64 s[24:25], s[8:9]
                                        ; implicit-def: $vgpr14_vgpr15
                                        ; implicit-def: $vgpr8_vgpr9
                                        ; kill: killed $vgpr8_vgpr9
                                        ; implicit-def: $vgpr22_vgpr23
	s_waitcnt lgkmcnt(0)
	v_readfirstlane_b32 s64, v6
	s_waitcnt vmcnt(0)
	v_cmp_ne_u32_sdwa s[0:1], v6, v5 src0_sel:DWORD src1_sel:BYTE_0
	s_and_saveexec_b64 s[2:3], s[0:1]
	s_xor_b64 s[0:1], exec, s[2:3]
	s_cbranch_execz .LBB18_6
; %bb.1:
	v_not_b32_sdwa v4, v5 dst_sel:DWORD dst_unused:UNUSED_PAD src0_sel:BYTE_0
	v_cmp_ne_u32_sdwa s[2:3], v6, v5 src0_sel:DWORD src1_sel:BYTE_1
                                        ; implicit-def: $vgpr14_vgpr15
                                        ; implicit-def: $vgpr8_vgpr9
                                        ; kill: killed $vgpr8_vgpr9
                                        ; implicit-def: $vgpr22_vgpr23
	s_and_saveexec_b64 s[4:5], s[2:3]
	s_xor_b64 s[2:3], exec, s[4:5]
	s_cbranch_execz .LBB18_3
; %bb.2:
	flat_load_dwordx4 v[8:11], v[2:3] offset:72
	flat_load_dwordx2 v[12:13], v[2:3] offset:96
	v_add_u32_e32 v4, v6, v4
	v_ashrrev_i32_e32 v5, 31, v4
	s_waitcnt vmcnt(0) lgkmcnt(0)
	v_mul_lo_u32 v5, v10, v5
	v_mad_u64_u32 v[6:7], s[4:5], v10, v4, v[8:9]
	v_mul_lo_u32 v4, v11, v4
	v_add3_u32 v7, v4, v7, v5
	v_lshrrev_b64 v[14:15], 13, v[12:13]
	scratch_store_dwordx2 off, v[6:7], s33 offset:288 ; 8-byte Folded Spill
	v_mov_b64_e32 v[22:23], v[10:11]
                                        ; implicit-def: $vgpr5
                                        ; implicit-def: $vgpr4
.LBB18_3:
	s_andn2_saveexec_b64 s[2:3], s[2:3]
	s_cbranch_execz .LBB18_5
; %bb.4:
	flat_load_dwordx4 v[6:9], v[2:3] offset:72
	flat_load_dwordx4 v[22:25], v[2:3] offset:88
	v_add_u32_sdwa v4, v5, v4 dst_sel:DWORD dst_unused:UNUSED_PAD src0_sel:BYTE_1 src1_sel:DWORD
	v_ashrrev_i32_e32 v5, 31, v4
	s_waitcnt vmcnt(0) lgkmcnt(0)
	v_mul_lo_u32 v5, v8, v5
	v_mad_u64_u32 v[6:7], s[4:5], v8, v4, v[6:7]
	v_mul_lo_u32 v4, v9, v4
	v_add3_u32 v7, v4, v7, v5
	v_lshrrev_b32_e32 v14, 2, v25
	scratch_store_dwordx2 off, v[6:7], s33 offset:288 ; 8-byte Folded Spill
.LBB18_5:
	s_or_b64 exec, exec, s[2:3]
.LBB18_6:
	s_andn2_saveexec_b64 s[0:1], s[0:1]
	s_cbranch_execz .LBB18_8
; %bb.7:
	flat_load_dwordx2 v[4:5], v[2:3] offset:96
	flat_load_dwordx2 v[22:23], v[2:3] offset:72
	s_waitcnt vmcnt(0) lgkmcnt(0)
	v_lshlrev_b64 v[14:15], 8, v[4:5]
	v_mov_b64_e32 v[4:5], 0
	scratch_store_dwordx2 off, v[4:5], s33 offset:288 ; 8-byte Folded Spill
.LBB18_8:
	s_or_b64 exec, exec, s[0:1]
	s_trap 2
	ds_read_b64 v[4:5], v0
	s_waitcnt lgkmcnt(0)
	v_cmp_ne_u32_e32 vcc, -1, v4
	s_nop 1
	v_cndmask_b32_e64 v15, 0, 1, vcc
	v_cmp_ne_u32_e32 vcc, -1, v5
	s_nop 1
	v_addc_co_u32_e64 v4, s[0:1], 0, v15, vcc
	v_lshlrev_b32_e32 v5, 1, v4
	v_cmp_le_u32_e64 s[0:1], v5, v1
	s_and_saveexec_b64 s[2:3], s[0:1]
	s_xor_b64 s[2:3], exec, s[2:3]
                                        ; implicit-def: $vgpr126 : SGPR spill to VGPR lane
	v_writelane_b32 v126, s2, 0
	s_nop 1
	v_writelane_b32 v126, s3, 1
	s_cbranch_execz .LBB18_2677
; %bb.9:
	flat_load_dwordx4 v[10:13], v[2:3] offset:16
	flat_load_dwordx2 v[16:17], v[2:3] offset:104
	flat_load_ushort v7, v[2:3] offset:8
	flat_load_dword v6, v[2:3] offset:4
	s_trap 2
	s_load_dword s0, s[24:25], 0x0
	v_mov_b32_e32 v5, 0
	v_mov_b32_e32 v106, 4
	s_waitcnt lgkmcnt(0)
	s_cmp_lt_u32 s12, s0
	s_cselect_b32 s0, 12, 18
	s_add_u32 s0, s24, s0
	s_addc_u32 s1, s25, 0
	global_load_ushort v21, v5, s[0:1]
	ds_read_b32 v5, v0
	v_cmp_ge_u32_e64 s[0:1], v0, v15
	s_waitcnt lgkmcnt(0)
	v_readfirstlane_b32 s20, v5
	s_and_saveexec_b64 s[2:3], s[0:1]
	s_cbranch_execz .LBB18_19
; %bb.10:
	v_cmp_ge_u32_e64 s[0:1], v0, v4
                                        ; implicit-def: $vgpr106
	s_and_saveexec_b64 s[4:5], s[0:1]
	s_xor_b64 s[0:1], exec, s[4:5]
	s_cbranch_execz .LBB18_16
; %bb.11:
	v_cndmask_b32_e64 v5, 0, 1, vcc
	v_sub_u32_e32 v5, v1, v5
	v_cmp_ge_u32_e32 vcc, v0, v5
	s_and_saveexec_b64 s[4:5], vcc
	s_xor_b64 s[4:5], exec, s[4:5]
; %bb.12:
                                        ; implicit-def: $vgpr4
; %bb.13:
	s_or_saveexec_b64 s[4:5], s[4:5]
	v_mov_b32_e32 v106, 16
	s_xor_b64 exec, exec, s[4:5]
; %bb.14:
	v_sub_u32_e32 v4, v1, v4
	v_cmp_lt_i32_e32 vcc, v0, v4
	s_nop 1
	v_cndmask_b32_e64 v106, 32, 0, vcc
; %bb.15:
	s_or_b64 exec, exec, s[4:5]
.LBB18_16:
	s_andn2_saveexec_b64 s[0:1], s[0:1]
; %bb.17:
	v_mov_b32_e32 v106, 8
; %bb.18:
	s_or_b64 exec, exec, s[0:1]
.LBB18_19:
	s_or_b64 exec, exec, s[2:3]
	v_and_b32_e32 v4, 36, v106
	v_cmp_ne_u32_e32 vcc, 0, v4
	v_mov_b32_e32 v8, -1
	s_and_saveexec_b64 s[0:1], vcc
	s_cbranch_execz .LBB18_21
; %bb.20:
	s_trap 2
	ds_read_b32 v8, v0
.LBB18_21:
	s_or_b64 exec, exec, s[0:1]
	v_and_b32_e32 v4, 24, v106
	v_cmp_ne_u32_e64 s[0:1], 0, v4
	s_and_saveexec_b64 s[2:3], s[0:1]
	s_cbranch_execz .LBB18_23
; %bb.22:
	s_trap 2
	s_waitcnt lgkmcnt(0)
	ds_read_b32 v8, v0
.LBB18_23:
	s_or_b64 exec, exec, s[2:3]
	s_waitcnt vmcnt(0)
	v_lshrrev_b64 v[4:5], 31, v[6:7]
	v_and_b32_e32 v20, 3, v4
	v_mov_b64_e32 v[4:5], 0
	s_waitcnt lgkmcnt(0)
	v_ashrrev_i32_e32 v9, 31, v8
	v_mov_b64_e32 v[6:7], 0
	scratch_store_dwordx2 off, v[4:5], s33 offset:320 ; 8-byte Folded Spill
                                        ; implicit-def: $vgpr4_vgpr5
                                        ; kill: killed $vgpr4_vgpr5
                                        ; implicit-def: $vgpr30
                                        ; implicit-def: $vgpr56_vgpr57
                                        ; implicit-def: $vgpr66_vgpr67
                                        ; implicit-def: $vgpr80_vgpr81
                                        ; implicit-def: $vgpr64_vgpr65
	s_and_saveexec_b64 s[0:1], vcc
	s_cbranch_execz .LBB18_33
; %bb.24:
	s_trap 2
	ds_read_b64 v[4:5], v0
	v_and_b32_e32 v6, 0xffff, v20
	s_movk_i32 s2, 0xa8
	s_waitcnt lgkmcnt(0)
	v_lshl_add_u64 v[4:5], v[8:9], 3, v[4:5]
	flat_load_dwordx2 v[4:5], v[4:5]
	s_waitcnt vmcnt(0) lgkmcnt(0)
	v_mad_u64_u32 v[18:19], s[2:3], v6, s2, v[4:5]
	flat_load_dword v4, v[18:19] offset:640
	s_waitcnt vmcnt(0) lgkmcnt(0)
	v_cmp_eq_u32_e32 vcc, 1, v4
                                        ; implicit-def: $vgpr4_vgpr5
                                        ; kill: killed $vgpr4_vgpr5
	s_and_saveexec_b64 s[2:3], vcc
	s_cbranch_execz .LBB18_26
; %bb.25:
	flat_load_dwordx2 v[6:7], v[18:19] offset:648
	v_or_b32_e32 v106, 0x2000, v106
	s_waitcnt vmcnt(0) lgkmcnt(0)
	flat_load_dwordx2 v[4:5], v[6:7]
	s_trap 2
	scratch_store_dwordx2 off, v[6:7], s33 offset:332 ; 8-byte Folded Spill
	s_waitcnt vmcnt(0) lgkmcnt(0)
	ds_write_b64 v0, v[4:5]
	flat_load_dwordx2 v[4:5], v[6:7] offset:8
	s_waitcnt vmcnt(0) lgkmcnt(0)
	ds_write_b64 v0, v[4:5]
	flat_load_dwordx2 v[4:5], v[6:7] offset:16
	s_waitcnt vmcnt(0) lgkmcnt(0)
	ds_write_b64 v0, v[4:5]
.LBB18_26:
	s_or_b64 exec, exec, s[2:3]
	flat_load_dwordx2 v[4:5], v[18:19] offset:608
	v_and_b32_e32 v6, 32, v106
	v_cmp_ne_u32_e32 vcc, 0, v6
                                        ; implicit-def: $vgpr64_vgpr65
	s_waitcnt vmcnt(0) lgkmcnt(0)
	v_lshl_add_u64 v[56:57], v[4:5], 0, 3
	v_and_b32_e32 v56, -4, v56
	s_and_saveexec_b64 s[2:3], vcc
	s_cbranch_execz .LBB18_28
; %bb.27:
	flat_load_dwordx2 v[64:65], v[18:19] offset:560
	s_waitcnt vmcnt(0) lgkmcnt(0)
	flat_store_dwordx2 v[64:65], v[56:57] sc0 sc1
.LBB18_28:
	s_or_b64 exec, exec, s[2:3]
	s_mov_b64 s[2:3], 0x1f8
	v_lshl_add_u64 v[4:5], v[18:19], 0, s[2:3]
	scratch_store_dwordx2 off, v[4:5], s33 offset:320 ; 8-byte Folded Spill
	v_and_b32_e32 v4, 4, v106
	v_cmp_ne_u32_e32 vcc, 0, v4
	v_mov_b64_e32 v[6:7], 0
                                        ; implicit-def: $vgpr30
                                        ; implicit-def: $vgpr66_vgpr67
                                        ; implicit-def: $vgpr80_vgpr81
	s_and_saveexec_b64 s[2:3], vcc
	s_cbranch_execz .LBB18_32
; %bb.29:
	v_and_b32_e32 v4, 0x800, v106
	v_cmp_eq_u32_e32 vcc, 0, v4
	s_and_saveexec_b64 s[4:5], vcc
	s_cbranch_execz .LBB18_31
; %bb.30:
	s_trap 2
	scratch_load_dwordx2 v[4:5], off, s33 offset:320 ; 8-byte Folded Reload
	s_waitcnt vmcnt(0)
	ds_write_b64 v0, v[4:5]
.LBB18_31:
	s_or_b64 exec, exec, s[4:5]
	flat_load_dwordx2 v[64:65], v[18:19] offset:552
	v_or_b32_e32 v5, 0x100, v106
	s_waitcnt vmcnt(0) lgkmcnt(0)
	flat_load_dwordx2 v[80:81], v[64:65] sc0 sc1
	flat_load_dword v4, v[18:19] offset:576
	flat_load_dwordx2 v[6:7], v[18:19] offset:600
	flat_load_dwordx2 v[66:67], v[18:19] offset:520
	s_waitcnt vmcnt(0) lgkmcnt(0)
	v_ashrrev_i32_e32 v30, 1, v4
	v_cmp_eq_u64_e32 vcc, 0, v[6:7]
	s_nop 1
	v_cndmask_b32_e32 v106, v5, v106, vcc
.LBB18_32:
	s_or_b64 exec, exec, s[2:3]
.LBB18_33:
	s_or_b64 exec, exec, s[0:1]
	v_and_b32_e32 v4, 24, v106
	v_cmp_ne_u32_e32 vcc, 0, v4
                                        ; implicit-def: $vgpr68_vgpr69
	s_and_saveexec_b64 s[0:1], vcc
	s_cbranch_execz .LBB18_41
; %bb.34:
	s_trap 2
	ds_read_b64 v[4:5], v0
	v_and_b32_e32 v6, 0xffff, v20
	s_movk_i32 s2, 0xa8
                                        ; implicit-def: $vgpr68_vgpr69
	s_waitcnt lgkmcnt(0)
	v_lshl_add_u64 v[4:5], v[8:9], 3, v[4:5]
	flat_load_dwordx2 v[4:5], v[4:5]
	s_waitcnt vmcnt(0) lgkmcnt(0)
	v_mad_u64_u32 v[4:5], s[2:3], v6, s2, v[4:5]
	flat_load_dwordx4 v[6:9], v[4:5] offset:96
	s_waitcnt vmcnt(0) lgkmcnt(0)
	v_cmp_eq_u64_e32 vcc, 0, v[6:7]
	scratch_store_dwordx2 off, v[4:5], s33 offset:320 ; 8-byte Folded Spill
	v_or_b32_e32 v4, 0x100, v106
	v_cndmask_b32_e32 v106, v4, v106, vcc
	v_and_b32_e32 v4, 16, v106
	v_cmp_ne_u32_e32 vcc, 0, v4
	s_and_saveexec_b64 s[2:3], vcc
	s_cbranch_execz .LBB18_36
; %bb.35:
	scratch_load_dwordx2 v[4:5], off, s33 offset:320 ; 8-byte Folded Reload
	s_waitcnt vmcnt(0)
	flat_load_dwordx2 v[64:65], v[4:5] offset:48
	flat_load_dwordx2 v[68:69], v[4:5] offset:120
	;; [unrolled: 1-line block ×3, first 2 shown]
.LBB18_36:
	s_or_b64 exec, exec, s[2:3]
	v_lshl_add_u64 v[56:57], v[8:9], 0, 3
	v_and_b32_e32 v4, 8, v106
	v_and_b32_e32 v56, -4, v56
	v_cmp_ne_u32_e32 vcc, 0, v4
	s_and_saveexec_b64 s[2:3], vcc
	s_cbranch_execz .LBB18_40
; %bb.37:
	v_and_b32_e32 v4, 0x800, v106
	v_cmp_eq_u32_e32 vcc, 0, v4
	s_and_saveexec_b64 s[4:5], vcc
	s_cbranch_execz .LBB18_39
; %bb.38:
	s_trap 2
	scratch_load_dwordx2 v[4:5], off, s33 offset:320 ; 8-byte Folded Reload
	s_waitcnt vmcnt(0)
	ds_write_b64 v0, v[4:5]
.LBB18_39:
	s_or_b64 exec, exec, s[4:5]
	scratch_load_dwordx2 v[8:9], off, s33 offset:320 ; 8-byte Folded Reload
	s_waitcnt vmcnt(0) lgkmcnt(0)
	flat_load_dwordx2 v[64:65], v[8:9] offset:56
	s_waitcnt vmcnt(0) lgkmcnt(0)
	flat_load_dwordx2 v[80:81], v[64:65] sc0 sc1
	flat_load_dword v4, v[8:9] offset:72
	flat_load_dwordx2 v[66:67], v[8:9] offset:16
	s_waitcnt vmcnt(0) lgkmcnt(0)
	v_ashrrev_i32_e32 v30, 1, v4
.LBB18_40:
	s_or_b64 exec, exec, s[2:3]
.LBB18_41:
	s_or_b64 exec, exec, s[0:1]
	v_cmp_eq_u32_e64 s[0:1], 0, v0
	s_and_saveexec_b64 s[2:3], s[0:1]
	s_cbranch_execz .LBB18_43
; %bb.42:
	flat_load_dwordx2 v[4:5], v[2:3] offset:32
	v_mov_b32_e32 v8, v12
	v_mov_b32_e32 v9, v13
	ds_write2_b64 v0, v[8:9], v[10:11] offset1:1
	s_trap 2
	s_waitcnt vmcnt(0) lgkmcnt(0)
	ds_write_b64 v0, v[4:5]
	ds_write_b64 v0, v[16:17]
.LBB18_43:
	s_or_b64 exec, exec, s[2:3]
	v_mov_b64_e32 v[70:71], 0
	v_cmp_lt_i64_e32 vcc, 0, v[22:23]
	s_mov_b64 s[2:3], exec
	v_writelane_b32 v126, s2, 2
	s_nop 1
	v_writelane_b32 v126, s3, 3
	s_and_b64 s[2:3], s[2:3], vcc
	s_mov_b64 exec, s[2:3]
	s_cbranch_execz .LBB18_2643
; %bb.44:
	flat_load_dword v4, v[2:3] offset:4
	v_and_b32_e32 v2, 0x1fffff00, v14
	s_ashr_i32 s12, s20, 31
	v_mad_i64_i32 v[18:19], s[8:9], v2, s64, 0
	s_lshr_b32 s8, s12, 29
	s_add_i32 s20, s20, s8
	s_ashr_i32 s65, s64, 31
	s_ashr_i32 s21, s20, 4
	s_add_u32 s8, s64, -1
	s_addc_u32 s9, s65, -1
	s_add_i32 s66, s64, s64
	s_not_b32 s22, s64
	s_cmp_gt_i32 s64, 0
	s_cselect_b32 s22, s22, -1
	s_ashr_i32 s20, s20, 31
	s_lshr_b32 s20, s20, 28
	s_add_i32 s67, s22, s66
	s_add_i32 s21, s21, s20
	s_ashr_i32 s68, s67, 31
	s_ashr_i32 s69, s21, 4
	s_cmp_gt_i32 s64, 2
	v_lshrrev_b32_e32 v84, 6, v1
	s_cselect_b64 s[76:77], -1, 0
	s_add_i32 s70, s33, 0xf0
	s_add_i32 s71, s33, 0xd0
	;; [unrolled: 1-line block ×7, first 2 shown]
	v_mov_b32_e32 v8, 0xfffff000
	v_mov_b32_e32 v9, 0xfffff800
	v_lshlrev_b32_e32 v109, 10, v84
	v_lshlrev_b32_e32 v110, 7, v84
	v_and_b32_e32 v5, 63, v31
	v_and_b32_e32 v107, 63, v0
	v_lshl_add_u32 v100, v84, 12, v8
	v_lshl_add_u32 v112, v84, 11, v9
	v_add_u32_e32 v114, 0xfffffc00, v109
	v_add_u32_e32 v116, 0xffffff80, v110
	v_writelane_b32 v126, s24, 4
	v_mov_b32_e32 v3, 0
	v_cmp_ge_u32_e32 vcc, v0, v1
	v_lshrrev_b32_e32 v108, 6, v0
	s_mov_b64 s[56:57], 0x1000
	s_mov_b64 s[58:59], 0x400
	;; [unrolled: 1-line block ×4, first 2 shown]
	v_cmp_eq_u32_e64 s[12:13], 0, v5
	v_lshlrev_b32_e32 v5, 4, v107
	v_ashrrev_i32_e32 v101, 31, v100
	v_ashrrev_i32_e32 v113, 31, v112
	;; [unrolled: 1-line block ×4, first 2 shown]
	v_writelane_b32 v126, s25, 5
	v_ashrrev_i32_e32 v83, 31, v30
	v_cmp_eq_u32_e64 s[2:3], 64, v1
	v_cmp_ne_u32_e64 s[4:5], 64, v1
	v_cmp_ne_u32_sdwa s[46:47], v1, v21 src0_sel:DWORD src1_sel:WORD_0
	s_mov_b64 s[62:63], 0
	s_waitcnt vmcnt(0) lgkmcnt(0)
	v_cmp_eq_u64_e64 s[6:7], 0, v[68:69]
	v_cmp_ne_u64_e64 s[10:11], 0, v[68:69]
	v_mov_b64_e32 v[16:17], 0
	v_mov_b32_e32 v85, v3
	v_cmp_eq_u32_e64 s[14:15], 0, v107
	v_cmp_lt_u32_e64 s[16:17], v107, v15
	v_mov_b32_e32 v105, v3
	v_cmp_le_u32_e64 s[18:19], v107, v15
	v_mov_b32_e32 v103, v3
	v_lshl_or_b32 v104, v108, 12, v5
	v_lshl_or_b32 v102, v108, 11, v5
	v_lshl_add_u64 v[118:119], v[100:101], 0, s[56:57]
	v_lshl_add_u64 v[40:41], v[112:113], 0, s[72:73]
	;; [unrolled: 1-line block ×4, first 2 shown]
	v_mov_b64_e32 v[70:71], 0
	v_mov_b32_e32 v111, 1
	s_movk_i32 s87, 0x108
	s_mov_b32 s96, 0x7f800000
	v_and_b32_e32 v4, 1, v4
	v_cmp_eq_u32_e64 s[20:21], 1, v4
	s_xor_b64 s[78:79], s[20:21], -1
	s_cmp_ge_i32 s22, s64
	s_cselect_b32 s23, s64, 0
	s_sub_i32 s85, s22, s23
	s_add_i32 s84, s64, -2
	s_ashr_i32 s86, s85, 31
	s_xor_b64 s[88:89], vcc, -1
	s_movk_i32 s97, 0x7fff
	s_mov_b32 s44, 0xffff0000
	v_mov_b32_e32 v98, v3
	v_mov_b32_e32 v99, v3
	;; [unrolled: 1-line block ×9, first 2 shown]
	v_mov_b64_e32 v[46:47], v[2:3]
	s_trap 2
	scratch_store_dword off, v21, s33 offset:328 ; 4-byte Folded Spill
	scratch_store_dwordx2 off, v[104:105], s33 offset:280 ; 8-byte Folded Spill
	scratch_store_dwordx4 off, v[22:25], s33 offset:296 ; 16-byte Folded Spill
	scratch_store_dwordx2 off, v[18:19], s33 offset:312 ; 8-byte Folded Spill
	s_branch .LBB18_47
.LBB18_45:                              ;   in Loop: Header=BB18_47 Depth=1
	s_or_b64 exec, exec, s[26:27]
.LBB18_46:                              ;   in Loop: Header=BB18_47 Depth=1
	s_or_b64 exec, exec, s[24:25]
	scratch_load_dwordx4 v[22:25], off, s33 offset:296 ; 16-byte Folded Reload
	s_waitcnt vmcnt(0)
	v_lshl_add_u64 v[16:17], v[16:17], 0, v[18:19]
	v_cmp_ge_i64_e32 vcc, v[16:17], v[22:23]
	s_or_b64 s[62:63], vcc, s[62:63]
	s_andn2_b64 exec, exec, s[62:63]
	s_cbranch_execz .LBB18_2642
.LBB18_47:                              ; =>This Loop Header: Depth=1
                                        ;     Child Loop BB18_57 Depth 2
                                        ;       Child Loop BB18_65 Depth 3
                                        ;       Child Loop BB18_89 Depth 3
	;; [unrolled: 1-line block ×9, first 2 shown]
                                        ;     Child Loop BB18_228 Depth 2
                                        ;       Child Loop BB18_234 Depth 3
                                        ;       Child Loop BB18_258 Depth 3
	;; [unrolled: 1-line block ×3, first 2 shown]
                                        ;     Child Loop BB18_300 Depth 2
                                        ;       Child Loop BB18_303 Depth 3
                                        ;         Child Loop BB18_311 Depth 4
                                        ;         Child Loop BB18_339 Depth 4
	;; [unrolled: 1-line block ×5, first 2 shown]
                                        ;           Child Loop BB18_592 Depth 5
                                        ;           Child Loop BB18_629 Depth 5
                                        ;         Child Loop BB18_706 Depth 4
                                        ;         Child Loop BB18_813 Depth 4
                                        ;           Child Loop BB18_814 Depth 5
                                        ;           Child Loop BB18_823 Depth 5
                                        ;         Child Loop BB18_842 Depth 4
                                        ;         Child Loop BB18_861 Depth 4
                                        ;       Child Loop BB18_880 Depth 3
                                        ;         Child Loop BB18_886 Depth 4
                                        ;         Child Loop BB18_914 Depth 4
	;; [unrolled: 1-line block ×3, first 2 shown]
                                        ;     Child Loop BB18_955 Depth 2
                                        ;       Child Loop BB18_963 Depth 3
                                        ;       Child Loop BB18_991 Depth 3
                                        ;       Child Loop BB18_1010 Depth 3
                                        ;       Child Loop BB18_1033 Depth 3
                                        ;       Child Loop BB18_1241 Depth 3
                                        ;         Child Loop BB18_1242 Depth 4
                                        ;         Child Loop BB18_1277 Depth 4
	;; [unrolled: 1-line block ×4, first 2 shown]
                                        ;       Child Loop BB18_1353 Depth 3
                                        ;       Child Loop BB18_1361 Depth 3
	;; [unrolled: 1-line block ×3, first 2 shown]
                                        ;         Child Loop BB18_1471 Depth 4
                                        ;         Child Loop BB18_1478 Depth 4
	;; [unrolled: 1-line block ×4, first 2 shown]
                                        ;       Child Loop BB18_1497 Depth 3
                                        ;       Child Loop BB18_1509 Depth 3
	;; [unrolled: 1-line block ×3, first 2 shown]
                                        ;         Child Loop BB18_1716 Depth 4
                                        ;         Child Loop BB18_1753 Depth 4
                                        ;       Child Loop BB18_1830 Depth 3
                                        ;       Child Loop BB18_1937 Depth 3
                                        ;         Child Loop BB18_1938 Depth 4
                                        ;         Child Loop BB18_1947 Depth 4
                                        ;       Child Loop BB18_1966 Depth 3
                                        ;       Child Loop BB18_1989 Depth 3
                                        ;     Child Loop BB18_2007 Depth 2
                                        ;       Child Loop BB18_2013 Depth 3
                                        ;       Child Loop BB18_2041 Depth 3
	;; [unrolled: 1-line block ×3, first 2 shown]
                                        ;     Child Loop BB18_2083 Depth 2
                                        ;       Child Loop BB18_2086 Depth 3
                                        ;         Child Loop BB18_2094 Depth 4
                                        ;         Child Loop BB18_2122 Depth 4
	;; [unrolled: 1-line block ×5, first 2 shown]
                                        ;           Child Loop BB18_2184 Depth 5
                                        ;           Child Loop BB18_2189 Depth 5
                                        ;         Child Loop BB18_2195 Depth 4
                                        ;         Child Loop BB18_2203 Depth 4
	;; [unrolled: 1-line block ×3, first 2 shown]
                                        ;           Child Loop BB18_2215 Depth 5
                                        ;           Child Loop BB18_2220 Depth 5
                                        ;         Child Loop BB18_2224 Depth 4
                                        ;         Child Loop BB18_2236 Depth 4
	;; [unrolled: 1-line block ×7, first 2 shown]
                                        ;       Child Loop BB18_2328 Depth 3
                                        ;         Child Loop BB18_2334 Depth 4
                                        ;         Child Loop BB18_2362 Depth 4
	;; [unrolled: 1-line block ×3, first 2 shown]
                                        ;     Child Loop BB18_2407 Depth 2
                                        ;       Child Loop BB18_2415 Depth 3
                                        ;       Child Loop BB18_2439 Depth 3
	;; [unrolled: 1-line block ×9, first 2 shown]
                                        ;     Child Loop BB18_2576 Depth 2
                                        ;       Child Loop BB18_2582 Depth 3
                                        ;       Child Loop BB18_2606 Depth 3
	;; [unrolled: 1-line block ×3, first 2 shown]
	v_sub_co_u32_e32 v4, vcc, v22, v16
	s_nop 1
	v_subb_co_u32_e32 v5, vcc, v23, v17, vcc
	v_cmp_lt_i64_e32 vcc, v[4:5], v[18:19]
	scratch_store_dwordx2 off, v[4:5], s33 offset:256 ; 8-byte Folded Spill
	s_and_saveexec_b64 s[24:25], vcc
	s_cbranch_execz .LBB18_53
; %bb.48:                               ;   in Loop: Header=BB18_47 Depth=1
	scratch_load_dwordx2 v[4:5], off, s33 offset:256 ; 8-byte Folded Reload
                                        ; implicit-def: $vgpr10_vgpr11
	s_waitcnt vmcnt(0)
	v_lshl_add_u64 v[8:9], s[8:9], 0, v[4:5]
	v_or_b32_e32 v5, s65, v9
	v_mov_b32_e32 v4, v3
	v_cmp_ne_u64_e32 vcc, 0, v[4:5]
	s_and_saveexec_b64 s[22:23], vcc
	s_xor_b64 s[26:27], exec, s[22:23]
	s_cbranch_execz .LBB18_50
; %bb.49:                               ;   in Loop: Header=BB18_47 Depth=1
	s_ashr_i32 s28, s65, 31
	s_add_u32 s22, s64, s28
	s_mov_b32 s29, s28
	s_addc_u32 s23, s65, s28
	s_xor_b64 s[40:41], s[22:23], s[28:29]
	v_cvt_f32_u32_e32 v2, s40
	v_cvt_f32_u32_e32 v4, s41
	s_sub_u32 s29, 0, s40
	s_subb_u32 s42, 0, s41
	v_fmac_f32_e32 v2, 0x4f800000, v4
	v_rcp_f32_e32 v2, v2
	s_nop 0
	v_mul_f32_e32 v2, 0x5f7ffffc, v2
	v_mul_f32_e32 v4, 0x2f800000, v2
	v_trunc_f32_e32 v4, v4
	v_fmac_f32_e32 v2, 0xcf800000, v4
	v_cvt_u32_f32_e32 v4, v4
	v_cvt_u32_f32_e32 v2, v2
	v_readfirstlane_b32 s43, v4
	v_readfirstlane_b32 s22, v2
	s_mul_i32 s23, s29, s43
	s_mul_hi_u32 s75, s29, s22
	s_mul_i32 s45, s42, s22
	s_add_i32 s23, s75, s23
	s_add_i32 s23, s23, s45
	s_mul_i32 s90, s29, s22
	s_mul_i32 s75, s22, s23
	s_mul_hi_u32 s91, s22, s90
	s_mul_hi_u32 s45, s22, s23
	s_add_u32 s75, s91, s75
	s_addc_u32 s45, 0, s45
	s_mul_hi_u32 s92, s43, s90
	s_mul_i32 s90, s43, s90
	s_add_u32 s75, s75, s90
	s_mul_hi_u32 s91, s43, s23
	s_addc_u32 s45, s45, s92
	s_addc_u32 s75, s91, 0
	s_mul_i32 s23, s43, s23
	s_add_u32 s23, s45, s23
	s_addc_u32 s45, 0, s75
	s_add_u32 s75, s22, s23
	s_cselect_b64 s[22:23], -1, 0
	s_cmp_lg_u64 s[22:23], 0
	s_addc_u32 s43, s43, s45
	s_mul_i32 s22, s29, s43
	s_mul_hi_u32 s23, s29, s75
	s_add_i32 s22, s23, s22
	s_mul_i32 s42, s42, s75
	s_add_i32 s22, s22, s42
	s_mul_i32 s29, s29, s75
	s_mul_hi_u32 s42, s43, s29
	s_mul_i32 s45, s43, s29
	s_mul_i32 s91, s75, s22
	s_mul_hi_u32 s29, s75, s29
	s_mul_hi_u32 s90, s75, s22
	s_add_u32 s29, s29, s91
	s_addc_u32 s90, 0, s90
	s_add_u32 s29, s29, s45
	s_mul_hi_u32 s23, s43, s22
	s_addc_u32 s29, s90, s42
	s_addc_u32 s23, s23, 0
	s_mul_i32 s22, s43, s22
	s_add_u32 s22, s29, s22
	s_addc_u32 s29, 0, s23
	s_add_u32 s42, s75, s22
	v_ashrrev_i32_e32 v4, 31, v9
	s_cselect_b64 s[22:23], -1, 0
	v_mov_b32_e32 v5, v4
	s_cmp_lg_u64 s[22:23], 0
	v_lshl_add_u64 v[8:9], v[8:9], 0, v[4:5]
	s_addc_u32 s29, s43, s29
	v_xor_b32_e32 v14, v8, v4
	v_xor_b32_e32 v5, v9, v4
	v_mad_u64_u32 v[8:9], s[22:23], v14, s29, 0
	v_mul_hi_u32 v2, v14, s42
	v_lshl_add_u64 v[8:9], v[2:3], 0, v[8:9]
	v_mad_u64_u32 v[12:13], s[22:23], v5, s42, 0
	v_add_co_u32_e32 v2, vcc, v8, v12
	v_mad_u64_u32 v[10:11], s[22:23], v5, s29, 0
	s_nop 0
	v_addc_co_u32_e32 v2, vcc, v9, v13, vcc
	v_xor_b32_e32 v4, s28, v4
	s_nop 0
	v_addc_co_u32_e32 v11, vcc, 0, v11, vcc
	v_lshl_add_u64 v[8:9], v[2:3], 0, v[10:11]
	v_mul_lo_u32 v2, s41, v8
	v_mul_lo_u32 v12, s40, v9
	v_mad_u64_u32 v[10:11], s[22:23], s40, v8, 0
	v_add3_u32 v2, v11, v12, v2
	v_sub_u32_e32 v11, v5, v2
	v_mov_b32_e32 v12, s41
	v_sub_co_u32_e32 v14, vcc, v14, v10
	s_nop 1
	v_subb_co_u32_e64 v10, s[22:23], v11, v12, vcc
	v_subrev_co_u32_e64 v11, s[22:23], s40, v14
	v_subb_co_u32_e32 v2, vcc, v5, v2, vcc
	s_nop 0
	v_subbrev_co_u32_e64 v10, s[22:23], 0, v10, s[22:23]
	v_cmp_le_u32_e64 s[22:23], s41, v10
	v_cmp_le_u32_e32 vcc, s41, v2
	s_nop 0
	v_cndmask_b32_e64 v12, 0, -1, s[22:23]
	v_cmp_le_u32_e64 s[22:23], s40, v11
	v_cndmask_b32_e64 v5, 0, -1, vcc
	v_cmp_le_u32_e32 vcc, s40, v14
	v_cndmask_b32_e64 v11, 0, -1, s[22:23]
	v_cmp_eq_u32_e64 s[22:23], s41, v10
	s_nop 1
	v_cndmask_b32_e64 v15, v12, v11, s[22:23]
	v_lshl_add_u64 v[10:11], v[8:9], 0, 2
	v_lshl_add_u64 v[12:13], v[8:9], 0, 1
	v_cmp_ne_u32_e64 s[22:23], 0, v15
	s_nop 1
	v_cndmask_b32_e64 v11, v13, v11, s[22:23]
	v_cndmask_b32_e64 v13, 0, -1, vcc
	v_cmp_eq_u32_e32 vcc, s41, v2
	s_nop 1
	v_cndmask_b32_e32 v2, v5, v13, vcc
	v_cmp_ne_u32_e32 vcc, 0, v2
	v_cndmask_b32_e64 v5, v12, v10, s[22:23]
	s_nop 0
	v_cndmask_b32_e32 v5, v8, v5, vcc
	v_cndmask_b32_e32 v2, v9, v11, vcc
	v_xor_b32_e32 v5, v5, v4
	v_xor_b32_e32 v2, v2, v4
	v_sub_co_u32_e32 v10, vcc, v5, v4
                                        ; implicit-def: $vgpr8_vgpr9
	s_nop 1
	v_subb_co_u32_e32 v11, vcc, v2, v4, vcc
.LBB18_50:                              ;   in Loop: Header=BB18_47 Depth=1
	s_andn2_saveexec_b64 s[22:23], s[26:27]
	s_cbranch_execz .LBB18_52
; %bb.51:                               ;   in Loop: Header=BB18_47 Depth=1
	v_cvt_f32_u32_e32 v2, s64
	s_sub_i32 s26, 0, s64
	v_rcp_iflag_f32_e32 v2, v2
	s_nop 0
	v_mul_f32_e32 v2, 0x4f7ffffe, v2
	v_cvt_u32_f32_e32 v2, v2
	v_mul_lo_u32 v4, s26, v2
	v_mul_hi_u32 v4, v2, v4
	v_add_u32_e32 v2, v2, v4
	v_mul_hi_u32 v2, v8, v2
	v_mul_lo_u32 v4, v2, s64
	v_sub_u32_e32 v4, v8, v4
	v_add_u32_e32 v5, 1, v2
	v_subrev_u32_e32 v8, s64, v4
	v_cmp_le_u32_e32 vcc, s64, v4
	s_nop 1
	v_cndmask_b32_e32 v4, v4, v8, vcc
	v_cndmask_b32_e32 v2, v2, v5, vcc
	v_add_u32_e32 v5, 1, v2
	v_cmp_le_u32_e32 vcc, s64, v4
	s_nop 1
	v_cndmask_b32_e32 v2, v2, v5, vcc
	v_mov_b64_e32 v[10:11], v[2:3]
.LBB18_52:                              ;   in Loop: Header=BB18_47 Depth=1
	s_or_b64 exec, exec, s[22:23]
	v_lshl_add_u64 v[46:47], v[10:11], 0, 7
	v_and_b32_e32 v46, -8, v46
.LBB18_53:                              ;   in Loop: Header=BB18_47 Depth=1
	s_or_b64 exec, exec, s[24:25]
	v_mul_lo_u32 v2, v47, s67
	v_mul_lo_u32 v4, v46, s68
	v_mad_u64_u32 v[74:75], s[22:23], v46, s67, 0
	v_add3_u32 v75, v75, v4, v2
	scratch_load_dwordx2 v[4:5], off, s33 offset:288 ; 8-byte Folded Reload
	v_mov_b32_e32 v2, 0
	v_mov_b32_e32 v72, 0
	scratch_store_dwordx2 off, v[16:17], s33 offset:272 ; 8-byte Folded Spill
	s_waitcnt vmcnt(0)
	v_lshl_add_u64 v[60:61], v[16:17], 0, v[4:5]
	scratch_load_dwordx2 v[4:5], off, s33 offset:256 ; 8-byte Folded Reload
	s_waitcnt vmcnt(0)
	v_sub_co_u32_e32 v4, vcc, v4, v74
	s_nop 1
	v_subb_co_u32_e32 v5, vcc, v5, v75, vcc
	v_cmp_lt_i64_e32 vcc, v[46:47], v[4:5]
	s_nop 1
	v_cndmask_b32_e32 v4, v4, v46, vcc
	v_max_i32_e32 v53, 0, v4
	v_add_u32_e32 v5, 31, v53
	v_ashrrev_i32_e32 v8, 31, v5
	v_lshrrev_b32_e32 v8, 27, v8
	v_add_u32_e32 v5, v5, v8
	v_ashrrev_i32_e32 v5, 5, v5
	v_lshlrev_b32_e32 v5, 4, v5
	v_cmp_lt_i32_e32 vcc, 0, v4
	v_max_i32_e32 v62, s69, v5
	s_and_b64 s[22:23], s[88:89], vcc
	s_and_saveexec_b64 s[24:25], s[22:23]
	s_cbranch_execz .LBB18_224
; %bb.54:                               ;   in Loop: Header=BB18_47 Depth=1
	s_mov_b32 s42, 1
	s_mov_b64 s[28:29], -1
	v_mov_b32_e32 v72, 0
	s_mov_b64 s[26:27], 0
	s_branch .LBB18_57
.LBB18_55:                              ;   in Loop: Header=BB18_57 Depth=2
	s_or_b64 exec, exec, s[40:41]
	v_lshl_add_u64 v[56:57], v[56:57], 0, 2
	flat_store_dwordx2 v[64:65], v[56:57] sc0 sc1
.LBB18_56:                              ;   in Loop: Header=BB18_57 Depth=2
	s_or_b64 exec, exec, s[22:23]
	v_add_u32_e32 v72, v62, v72
	v_cmp_ge_i32_e32 vcc, v72, v53
	s_xor_b64 s[22:23], s[28:29], -1
	s_or_b64 s[22:23], s[22:23], vcc
	s_and_b64 s[22:23], exec, s[22:23]
	s_or_b64 s[26:27], s[22:23], s[26:27]
	s_mov_b64 s[28:29], 0
	v_mov_b32_e32 v2, s42
	s_mov_b32 s42, 2
	s_andn2_b64 exec, exec, s[26:27]
	s_cbranch_execz .LBB18_223
.LBB18_57:                              ;   Parent Loop BB18_47 Depth=1
                                        ; =>  This Loop Header: Depth=2
                                        ;       Child Loop BB18_65 Depth 3
                                        ;       Child Loop BB18_89 Depth 3
	;; [unrolled: 1-line block ×9, first 2 shown]
	s_and_saveexec_b64 s[22:23], s[0:1]
	s_cbranch_execz .LBB18_59
; %bb.58:                               ;   in Loop: Header=BB18_57 Depth=2
	s_trap 2
	ds_read_b64 v[4:5], v0
	v_ashrrev_i32_e32 v73, 31, v72
	s_waitcnt lgkmcnt(0)
	v_lshl_add_u64 v[4:5], v[60:61], 1, v[4:5]
	v_lshl_add_u64 v[4:5], v[74:75], 1, v[4:5]
	;; [unrolled: 1-line block ×3, first 2 shown]
	ds_write_b64 v0, v[4:5]
	ds_write_b64 v0, v[98:99]
.LBB18_59:                              ;   in Loop: Header=BB18_57 Depth=2
	s_or_b64 exec, exec, s[22:23]
	v_sub_u32_e32 v2, v53, v72
	v_min_i32_e32 v62, v62, v2
	v_and_b32_e32 v2, 8, v106
	v_cmp_ne_u32_e32 vcc, 0, v2
	s_and_saveexec_b64 s[40:41], vcc
	s_cbranch_execz .LBB18_81
; %bb.60:                               ;   in Loop: Header=BB18_57 Depth=2
	s_waitcnt vmcnt(0) lgkmcnt(0)
	v_lshl_add_u64 v[4:5], v[80:81], 0, 8
	v_lshl_add_u64 v[8:9], v[56:57], 0, 2
	v_cmp_lt_u64_e32 vcc, v[4:5], v[8:9]
	s_and_saveexec_b64 s[90:91], vcc
	s_cbranch_execz .LBB18_72
; %bb.61:                               ;   in Loop: Header=BB18_57 Depth=2
	v_and_b32_e32 v2, 64, v106
	s_mov_b32 s43, 0
	v_cmp_eq_u32_e32 vcc, 0, v2
	s_mov_b64 s[92:93], 0
                                        ; implicit-def: $sgpr94_sgpr95
                                        ; implicit-def: $sgpr30_sgpr31
                                        ; implicit-def: $sgpr34_sgpr35
	s_branch .LBB18_65
.LBB18_62:                              ;   in Loop: Header=BB18_65 Depth=3
	s_waitcnt vmcnt(0) lgkmcnt(0)
	v_lshl_add_u64 v[4:5], v[80:81], 0, 8
	v_cmp_ge_u64_e64 s[22:23], v[4:5], v[8:9]
	s_or_b64 s[48:49], s[48:49], exec
	s_orn2_b64 s[38:39], s[22:23], exec
.LBB18_63:                              ;   in Loop: Header=BB18_65 Depth=3
	s_or_b64 exec, exec, s[52:53]
	s_andn2_b64 s[22:23], s[34:35], exec
	s_and_b64 s[34:35], s[48:49], exec
	s_or_b64 s[34:35], s[22:23], s[34:35]
	s_andn2_b64 s[22:23], s[30:31], exec
	s_and_b64 s[30:31], s[38:39], exec
	s_or_b64 s[30:31], s[22:23], s[30:31]
.LBB18_64:                              ;   in Loop: Header=BB18_65 Depth=3
	s_or_b64 exec, exec, s[36:37]
	s_and_b64 s[22:23], exec, s[30:31]
	s_or_b64 s[92:93], s[22:23], s[92:93]
	s_andn2_b64 s[22:23], s[94:95], exec
	s_and_b64 s[94:95], s[34:35], exec
	s_or_b64 s[94:95], s[22:23], s[94:95]
	s_andn2_b64 exec, exec, s[92:93]
	s_cbranch_execz .LBB18_69
.LBB18_65:                              ;   Parent Loop BB18_47 Depth=1
                                        ;     Parent Loop BB18_57 Depth=2
                                        ; =>    This Inner Loop Header: Depth=3
	s_sleep 1
	s_waitcnt vmcnt(0) lgkmcnt(0)
	flat_load_dwordx2 v[80:81], v[64:65] sc0 sc1
	s_or_b64 s[34:35], s[34:35], exec
	s_or_b64 s[30:31], s[30:31], exec
                                        ; implicit-def: $vgpr2
	s_and_saveexec_b64 s[36:37], vcc
	s_cbranch_execz .LBB18_64
; %bb.66:                               ;   in Loop: Header=BB18_65 Depth=3
	s_cmpk_lt_i32 s43, 0x270f
	s_cselect_b64 s[50:51], -1, 0
	s_cmpk_gt_i32 s43, 0x270e
	s_mov_b64 s[38:39], -1
	s_cbranch_scc0 .LBB18_68
; %bb.67:                               ;   in Loop: Header=BB18_65 Depth=3
	s_trap 2
	ds_read_b64 v[4:5], v0
	s_andn2_b64 s[50:51], s[50:51], exec
	s_mov_b32 s43, 0
	s_mov_b64 s[48:49], 0
	s_waitcnt vmcnt(0) lgkmcnt(0)
	flat_load_dword v2, v[4:5] sc0 sc1
	s_waitcnt vmcnt(0) lgkmcnt(0)
	buffer_inv sc0 sc1
	v_cmp_eq_u32_e64 s[22:23], 0, v2
	s_and_b64 s[22:23], s[22:23], exec
	s_or_b64 s[50:51], s[50:51], s[22:23]
	s_and_saveexec_b64 s[52:53], s[50:51]
	s_cbranch_execz .LBB18_63
	s_branch .LBB18_62
.LBB18_68:                              ;   in Loop: Header=BB18_65 Depth=3
	s_add_i32 s43, s43, 1
	s_mov_b64 s[48:49], -1
                                        ; implicit-def: $vgpr2
	s_and_saveexec_b64 s[52:53], s[50:51]
	s_cbranch_execz .LBB18_63
	s_branch .LBB18_62
.LBB18_69:                              ;   in Loop: Header=BB18_57 Depth=2
	s_or_b64 exec, exec, s[92:93]
	s_xor_b64 s[22:23], s[94:95], -1
	s_and_saveexec_b64 s[92:93], s[22:23]
	s_xor_b64 s[22:23], exec, s[92:93]
	s_cbranch_execz .LBB18_71
; %bb.70:                               ;   in Loop: Header=BB18_57 Depth=2
	v_or_b32_e32 v106, 64, v106
	s_waitcnt lgkmcnt(0)
	ds_write_b32 v0, v2
	s_trap 2
.LBB18_71:                              ;   in Loop: Header=BB18_57 Depth=2
	s_or_b64 exec, exec, s[22:23]
.LBB18_72:                              ;   in Loop: Header=BB18_57 Depth=2
	s_or_b64 exec, exec, s[90:91]
	v_and_b32_e32 v2, 0x100, v106
	v_cmp_ne_u32_e32 vcc, 0, v2
	v_and_b32_e32 v2, 7, v56
	s_mov_b64 s[22:23], -1
	;;#ASMSTART
	s_wakeup
	;;#ASMEND
                                        ; implicit-def: $vgpr10_vgpr11
	s_and_saveexec_b64 s[90:91], vcc
	s_cbranch_execz .LBB18_76
; %bb.73:                               ;   in Loop: Header=BB18_57 Depth=2
	v_mad_u64_u32 v[12:13], s[22:23], v2, 24, v[6:7]
	flat_load_dword v10, v[12:13]
	v_ashrrev_i32_e32 v63, 31, v62
	v_lshlrev_b64 v[4:5], 1, v[62:63]
	flat_store_dwordx2 v[12:13], v[4:5] offset:8
	s_waitcnt vmcnt(0) lgkmcnt(0)
	v_cmp_ne_u32_e32 vcc, 1, v10
	v_cmp_eq_u32_e64 s[22:23], 1, v10
                                        ; implicit-def: $vgpr10_vgpr11
	s_and_saveexec_b64 s[92:93], s[22:23]
	s_cbranch_execz .LBB18_75
; %bb.74:                               ;   in Loop: Header=BB18_57 Depth=2
	flat_load_dword v4, v[12:13] offset:4 sc0 sc1
	s_waitcnt vmcnt(0) lgkmcnt(0)
	v_ashrrev_i32_e32 v5, 31, v4
	v_lshrrev_b64 v[10:11], 1, v[4:5]
.LBB18_75:                              ;   in Loop: Header=BB18_57 Depth=2
	s_or_b64 exec, exec, s[92:93]
	s_orn2_b64 s[22:23], vcc, exec
.LBB18_76:                              ;   in Loop: Header=BB18_57 Depth=2
	s_or_b64 exec, exec, s[90:91]
	s_and_saveexec_b64 s[90:91], s[22:23]
; %bb.77:                               ;   in Loop: Header=BB18_57 Depth=2
	v_mad_i64_i32 v[10:11], s[22:23], v2, v30, 0
; %bb.78:                               ;   in Loop: Header=BB18_57 Depth=2
	s_or_b64 exec, exec, s[90:91]
	v_and_b32_e32 v2, 0x2000, v106
	v_lshl_add_u64 v[4:5], v[10:11], 1, v[66:67]
	v_cmp_ne_u32_e32 vcc, 0, v2
	ds_write_b64 v0, v[4:5] offset:784
	s_and_saveexec_b64 s[22:23], vcc
	s_cbranch_execz .LBB18_80
; %bb.79:                               ;   in Loop: Header=BB18_57 Depth=2
	ds_read_b64 v[4:5], v0 offset:872
	s_waitcnt lgkmcnt(0)
	v_lshl_add_u64 v[4:5], v[4:5], 0, 1
	ds_write_b64 v0, v[4:5] offset:872
.LBB18_80:                              ;   in Loop: Header=BB18_57 Depth=2
	s_or_b64 exec, exec, s[22:23]
	v_mov_b64_e32 v[56:57], v[8:9]
.LBB18_81:                              ;   in Loop: Header=BB18_57 Depth=2
	s_or_b64 exec, exec, s[40:41]
	s_and_saveexec_b64 s[22:23], s[4:5]
	s_cbranch_execz .LBB18_100
; %bb.82:                               ;   in Loop: Header=BB18_57 Depth=2
	s_and_saveexec_b64 s[40:41], s[46:47]
	s_xor_b64 s[40:41], exec, s[40:41]
	s_cbranch_execz .LBB18_97
; %bb.83:                               ;   in Loop: Header=BB18_57 Depth=2
	s_and_saveexec_b64 s[90:91], s[12:13]
	s_cbranch_execz .LBB18_96
; %bb.84:                               ;   in Loop: Header=BB18_57 Depth=2
	s_mov_b64 s[94:95], exec
	v_mbcnt_lo_u32_b32 v2, s94, 0
	v_mbcnt_hi_u32_b32 v2, s95, v2
	v_cmp_eq_u32_e32 vcc, 0, v2
	s_waitcnt lgkmcnt(0)
	s_and_saveexec_b64 s[92:93], vcc
	s_cbranch_execz .LBB18_86
; %bb.85:                               ;   in Loop: Header=BB18_57 Depth=2
	s_bcnt1_i32_b64 s43, s[94:95]
	v_mov_b32_e32 v2, s43
	ds_add_u64 v0, v[2:3]
	s_trap 2
.LBB18_86:                              ;   in Loop: Header=BB18_57 Depth=2
	s_or_b64 exec, exec, s[92:93]
	s_trap 2
	ds_read_b64 v[4:5], v0
	s_waitcnt lgkmcnt(0)
	v_lshl_add_u64 v[70:71], v[70:71], 0, v[84:85]
	v_cmp_lt_u64_e32 vcc, v[4:5], v[70:71]
	s_and_saveexec_b64 s[92:93], vcc
	s_cbranch_execz .LBB18_95
; %bb.87:                               ;   in Loop: Header=BB18_57 Depth=2
	s_mov_b32 s43, 0
	s_mov_b64 s[94:95], 0
                                        ; implicit-def: $sgpr30_sgpr31
                                        ; implicit-def: $sgpr34_sgpr35
	s_branch .LBB18_89
.LBB18_88:                              ;   in Loop: Header=BB18_89 Depth=3
	s_or_b64 exec, exec, s[38:39]
	s_and_b64 vcc, exec, vcc
	s_or_b64 s[94:95], vcc, s[94:95]
	s_andn2_b64 vcc, s[30:31], exec
	s_and_b64 s[30:31], s[34:35], exec
	s_or_b64 s[30:31], vcc, s[30:31]
	s_andn2_b64 exec, exec, s[94:95]
	s_cbranch_execz .LBB18_93
.LBB18_89:                              ;   Parent Loop BB18_47 Depth=1
                                        ;     Parent Loop BB18_57 Depth=2
                                        ; =>    This Inner Loop Header: Depth=3
	s_add_i32 s43, s43, 1
	s_cmpk_lg_i32 s43, 0x2710
	s_cselect_b64 s[36:37], -1, 0
	s_and_b64 vcc, exec, s[36:37]
	s_cbranch_vccz .LBB18_91
; %bb.90:                               ;   in Loop: Header=BB18_89 Depth=3
	s_mov_b64 vcc, -1
	s_or_b64 s[34:35], s[34:35], exec
	s_and_saveexec_b64 s[38:39], s[36:37]
	s_cbranch_execz .LBB18_88
	s_branch .LBB18_92
.LBB18_91:                              ;   in Loop: Header=BB18_89 Depth=3
	s_trap 2
	ds_read_b64 v[4:5], v0
	s_andn2_b64 s[36:37], s[36:37], exec
	s_mov_b32 s43, 0
	s_waitcnt vmcnt(0) lgkmcnt(0)
	flat_load_dword v2, v[4:5] sc0 sc1
	s_waitcnt vmcnt(0) lgkmcnt(0)
	buffer_inv sc0 sc1
	v_cmp_eq_u32_e32 vcc, 0, v2
	s_and_b64 vcc, vcc, exec
	s_or_b64 s[36:37], s[36:37], vcc
	s_mov_b64 vcc, -1
	s_or_b64 s[34:35], s[34:35], exec
	s_and_saveexec_b64 s[38:39], s[36:37]
	s_cbranch_execz .LBB18_88
.LBB18_92:                              ;   in Loop: Header=BB18_89 Depth=3
	s_sleep 1
	s_trap 2
	ds_read_b64 v[4:5], v0
	s_waitcnt lgkmcnt(0)
	s_andn2_b64 s[34:35], s[34:35], exec
	v_cmp_ge_u64_e32 vcc, v[4:5], v[70:71]
	s_orn2_b64 vcc, vcc, exec
	s_branch .LBB18_88
.LBB18_93:                              ;   in Loop: Header=BB18_57 Depth=2
	s_or_b64 exec, exec, s[94:95]
	s_and_saveexec_b64 s[94:95], s[30:31]
	s_xor_b64 s[94:95], exec, s[94:95]
	s_cbranch_execz .LBB18_95
; %bb.94:                               ;   in Loop: Header=BB18_57 Depth=2
	ds_write_b32 v0, v111
	s_trap 2
.LBB18_95:                              ;   in Loop: Header=BB18_57 Depth=2
	s_or_b64 exec, exec, s[92:93]
	;;#ASMSTART
	s_wakeup
	;;#ASMEND
.LBB18_96:                              ;   in Loop: Header=BB18_57 Depth=2
	s_or_b64 exec, exec, s[90:91]
.LBB18_97:                              ;   in Loop: Header=BB18_57 Depth=2
	s_andn2_saveexec_b64 s[40:41], s[40:41]
	s_cbranch_execz .LBB18_99
; %bb.98:                               ;   in Loop: Header=BB18_57 Depth=2
	s_waitcnt lgkmcnt(0)
	s_barrier
.LBB18_99:                              ;   in Loop: Header=BB18_57 Depth=2
	s_or_b64 exec, exec, s[40:41]
.LBB18_100:                             ;   in Loop: Header=BB18_57 Depth=2
	s_or_b64 exec, exec, s[22:23]
	s_trap 2
	ds_read_b32 v8, v0
	v_and_b32_e32 v2, 0x4000, v106
	v_cmp_ne_u32_e32 vcc, 0, v2
	s_xor_b64 s[22:23], s[2:3], -1
	s_and_b64 s[40:41], s[22:23], vcc
	s_and_saveexec_b64 s[22:23], s[40:41]
	s_cbranch_execz .LBB18_119
; %bb.101:                              ;   in Loop: Header=BB18_57 Depth=2
	s_and_saveexec_b64 s[40:41], s[46:47]
	s_xor_b64 s[40:41], exec, s[40:41]
	s_cbranch_execz .LBB18_116
; %bb.102:                              ;   in Loop: Header=BB18_57 Depth=2
	s_and_saveexec_b64 s[90:91], s[12:13]
	s_cbranch_execz .LBB18_115
; %bb.103:                              ;   in Loop: Header=BB18_57 Depth=2
	s_mov_b64 s[94:95], exec
	v_mbcnt_lo_u32_b32 v2, s94, 0
	v_mbcnt_hi_u32_b32 v2, s95, v2
	v_cmp_eq_u32_e32 vcc, 0, v2
	s_waitcnt lgkmcnt(0)
	s_and_saveexec_b64 s[92:93], vcc
	s_cbranch_execz .LBB18_105
; %bb.104:                              ;   in Loop: Header=BB18_57 Depth=2
	s_bcnt1_i32_b64 s43, s[94:95]
	v_mov_b32_e32 v2, s43
	ds_add_u64 v0, v[2:3]
	s_trap 2
.LBB18_105:                             ;   in Loop: Header=BB18_57 Depth=2
	s_or_b64 exec, exec, s[92:93]
	s_trap 2
	ds_read_b64 v[4:5], v0
	s_waitcnt lgkmcnt(0)
	v_lshl_add_u64 v[70:71], v[70:71], 0, v[84:85]
	v_cmp_lt_u64_e32 vcc, v[4:5], v[70:71]
	s_and_saveexec_b64 s[92:93], vcc
	s_cbranch_execz .LBB18_114
; %bb.106:                              ;   in Loop: Header=BB18_57 Depth=2
	s_mov_b32 s43, 0
	s_mov_b64 s[94:95], 0
                                        ; implicit-def: $sgpr30_sgpr31
                                        ; implicit-def: $sgpr34_sgpr35
	s_branch .LBB18_108
.LBB18_107:                             ;   in Loop: Header=BB18_108 Depth=3
	s_or_b64 exec, exec, s[38:39]
	s_and_b64 vcc, exec, vcc
	s_or_b64 s[94:95], vcc, s[94:95]
	s_andn2_b64 vcc, s[30:31], exec
	s_and_b64 s[30:31], s[34:35], exec
	s_or_b64 s[30:31], vcc, s[30:31]
	s_andn2_b64 exec, exec, s[94:95]
	s_cbranch_execz .LBB18_112
.LBB18_108:                             ;   Parent Loop BB18_47 Depth=1
                                        ;     Parent Loop BB18_57 Depth=2
                                        ; =>    This Inner Loop Header: Depth=3
	s_add_i32 s43, s43, 1
	s_cmpk_lg_i32 s43, 0x2710
	s_cselect_b64 s[36:37], -1, 0
	s_and_b64 vcc, exec, s[36:37]
	s_cbranch_vccz .LBB18_110
; %bb.109:                              ;   in Loop: Header=BB18_108 Depth=3
	s_mov_b64 vcc, -1
	s_or_b64 s[34:35], s[34:35], exec
	s_and_saveexec_b64 s[38:39], s[36:37]
	s_cbranch_execz .LBB18_107
	s_branch .LBB18_111
.LBB18_110:                             ;   in Loop: Header=BB18_108 Depth=3
	s_trap 2
	ds_read_b64 v[4:5], v0
	s_andn2_b64 s[36:37], s[36:37], exec
	s_mov_b32 s43, 0
	s_waitcnt vmcnt(0) lgkmcnt(0)
	flat_load_dword v2, v[4:5] sc0 sc1
	s_waitcnt vmcnt(0) lgkmcnt(0)
	buffer_inv sc0 sc1
	v_cmp_eq_u32_e32 vcc, 0, v2
	s_and_b64 vcc, vcc, exec
	s_or_b64 s[36:37], s[36:37], vcc
	s_mov_b64 vcc, -1
	s_or_b64 s[34:35], s[34:35], exec
	s_and_saveexec_b64 s[38:39], s[36:37]
	s_cbranch_execz .LBB18_107
.LBB18_111:                             ;   in Loop: Header=BB18_108 Depth=3
	s_sleep 1
	s_trap 2
	ds_read_b64 v[4:5], v0
	s_waitcnt lgkmcnt(0)
	s_andn2_b64 s[34:35], s[34:35], exec
	v_cmp_ge_u64_e32 vcc, v[4:5], v[70:71]
	s_orn2_b64 vcc, vcc, exec
	s_branch .LBB18_107
.LBB18_112:                             ;   in Loop: Header=BB18_57 Depth=2
	s_or_b64 exec, exec, s[94:95]
	s_and_saveexec_b64 s[94:95], s[30:31]
	s_xor_b64 s[94:95], exec, s[94:95]
	s_cbranch_execz .LBB18_114
; %bb.113:                              ;   in Loop: Header=BB18_57 Depth=2
	ds_write_b32 v0, v111
	s_trap 2
.LBB18_114:                             ;   in Loop: Header=BB18_57 Depth=2
	s_or_b64 exec, exec, s[92:93]
	;;#ASMSTART
	s_wakeup
	;;#ASMEND
.LBB18_115:                             ;   in Loop: Header=BB18_57 Depth=2
	s_or_b64 exec, exec, s[90:91]
.LBB18_116:                             ;   in Loop: Header=BB18_57 Depth=2
	s_andn2_saveexec_b64 s[40:41], s[40:41]
	s_cbranch_execz .LBB18_118
; %bb.117:                              ;   in Loop: Header=BB18_57 Depth=2
	s_waitcnt lgkmcnt(0)
	s_barrier
.LBB18_118:                             ;   in Loop: Header=BB18_57 Depth=2
	s_or_b64 exec, exec, s[40:41]
.LBB18_119:                             ;   in Loop: Header=BB18_57 Depth=2
	s_or_b64 exec, exec, s[22:23]
	s_trap 2
	ds_read_b64 v[76:77], v0
	s_waitcnt lgkmcnt(0)
	v_cmp_eq_u64_e32 vcc, 0, v[76:77]
	s_cbranch_vccnz .LBB18_127
; %bb.120:                              ;   in Loop: Header=BB18_57 Depth=2
	s_trap 2
	ds_read_b64 v[78:79], v0
	s_waitcnt lgkmcnt(0)
	v_cmp_eq_u64_e32 vcc, 0, v[78:79]
	s_cbranch_vccnz .LBB18_127
; %bb.121:                              ;   in Loop: Header=BB18_57 Depth=2
	s_mov_b64 s[40:41], -1
	s_and_saveexec_b64 s[22:23], s[14:15]
	s_cbranch_execz .LBB18_123
; %bb.122:                              ;   in Loop: Header=BB18_57 Depth=2
	ds_read_b32 v2, v0 offset:720
	s_waitcnt lgkmcnt(0)
	v_and_b32_e32 v2, 15, v2
	v_cmp_eq_u32_e32 vcc, 0, v2
	s_orn2_b64 s[40:41], vcc, exec
.LBB18_123:                             ;   in Loop: Header=BB18_57 Depth=2
	s_or_b64 exec, exec, s[22:23]
	s_and_saveexec_b64 s[22:23], s[16:17]
	s_cbranch_execz .LBB18_125
; %bb.124:                              ;   in Loop: Header=BB18_57 Depth=2
	ds_read_b32 v2, v0 offset:784
	s_waitcnt lgkmcnt(0)
	v_and_b32_e32 v2, 15, v2
	v_cmp_eq_u32_e32 vcc, 0, v2
	s_and_b64 s[90:91], s[40:41], vcc
	s_andn2_b64 s[40:41], s[40:41], exec
	s_and_b64 s[90:91], s[90:91], exec
	s_or_b64 s[40:41], s[40:41], s[90:91]
.LBB18_125:                             ;   in Loop: Header=BB18_57 Depth=2
	s_or_b64 exec, exec, s[22:23]
	s_xor_b64 s[40:41], s[40:41], -1
	v_cndmask_b32_e64 v2, 0, 1, s[40:41]
	v_cmp_eq_u32_e64 s[22:23], 0, v8
	s_mov_b64 s[90:91], -1
	v_cmp_ne_u32_e32 vcc, 0, v2
	s_cbranch_vccz .LBB18_128
; %bb.126:                              ;   in Loop: Header=BB18_57 Depth=2
	s_mov_b64 s[90:91], 0
	s_mov_b64 s[40:41], -1
	s_branch .LBB18_129
.LBB18_127:                             ;   in Loop: Header=BB18_57 Depth=2
	s_mov_b64 s[22:23], 0
	s_and_saveexec_b64 s[40:41], s[4:5]
	s_cbranch_execnz .LBB18_179
	s_branch .LBB18_197
.LBB18_128:                             ;   in Loop: Header=BB18_57 Depth=2
	s_mov_b64 s[40:41], 0
.LBB18_129:                             ;   in Loop: Header=BB18_57 Depth=2
	v_cndmask_b32_e64 v2, 0, v62, s[22:23]
	v_lshlrev_b32_e32 v82, 1, v2
	s_andn2_b64 vcc, exec, s[90:91]
	v_mov_b32_e32 v14, 0
	s_cbranch_vccnz .LBB18_137
; %bb.130:                              ;   in Loop: Header=BB18_57 Depth=2
	v_ashrrev_i32_e32 v4, 31, v82
	v_lshrrev_b32_e32 v4, 20, v4
	v_add_u32_e32 v4, v82, v4
	v_ashrrev_i32_e32 v28, 12, v4
	v_sub_u32_e32 v29, v28, v108
	v_lshl_add_u64 v[88:89], v[78:79], 0, v[104:105]
	v_cmp_lt_i32_e32 vcc, 0, v29
	s_mov_b64 s[90:91], 0
                                        ; implicit-def: $vgpr8_vgpr9
                                        ; implicit-def: $vgpr12_vgpr13
                                        ; implicit-def: $vgpr16_vgpr17
                                        ; implicit-def: $vgpr20_vgpr21
	s_and_saveexec_b64 s[22:23], vcc
	s_cbranch_execz .LBB18_139
; %bb.131:                              ;   in Loop: Header=BB18_57 Depth=2
	v_lshl_add_u64 v[90:91], v[76:77], 0, v[104:105]
	s_mov_b64 s[94:95], 0
                                        ; implicit-def: $sgpr92_sgpr93
                                        ; implicit-def: $vgpr8_vgpr9
                                        ; implicit-def: $vgpr12_vgpr13
                                        ; implicit-def: $vgpr16_vgpr17
                                        ; implicit-def: $vgpr20_vgpr21
	s_branch .LBB18_133
.LBB18_132:                             ;   in Loop: Header=BB18_133 Depth=3
	s_or_b64 exec, exec, vcc
	v_sub_u32_e32 v29, v4, v5
	v_cmp_gt_i32_e32 vcc, 1, v29
	s_or_b64 s[90:91], vcc, s[90:91]
	s_waitcnt vmcnt(0)
	global_store_dwordx4 v[88:89], v[24:27], off
	global_store_dwordx4 v[88:89], v[32:35], off offset:1024
	global_store_dwordx4 v[88:89], v[36:39], off offset:2048
	;; [unrolled: 1-line block ×3, first 2 shown]
	v_lshl_add_u64 v[24:25], v[88:89], 0, v[92:93]
	s_andn2_b64 s[92:93], s[92:93], exec
	s_and_b64 vcc, s[94:95], exec
	v_lshl_add_u64 v[88:89], v[24:25], 0, s[56:57]
	v_lshl_add_u64 v[90:91], v[90:91], 0, v[92:93]
	s_or_b64 s[92:93], s[92:93], vcc
	s_andn2_b64 exec, exec, s[90:91]
	s_cbranch_execz .LBB18_138
.LBB18_133:                             ;   Parent Loop BB18_47 Depth=1
                                        ;     Parent Loop BB18_57 Depth=2
                                        ; =>    This Inner Loop Header: Depth=3
	global_load_dwordx4 v[24:27], v[90:91], off nt
	global_load_dwordx4 v[32:35], v[90:91], off offset:1024 nt
	global_load_dwordx4 v[36:39], v[90:91], off offset:2048 nt
	;; [unrolled: 1-line block ×3, first 2 shown]
	s_and_saveexec_b64 vcc, s[94:95]
	s_cbranch_execz .LBB18_135
; %bb.134:                              ;   in Loop: Header=BB18_133 Depth=3
	global_store_dwordx4 v[88:89], v[8:11], off
	global_store_dwordx4 v[88:89], v[12:15], off offset:1024
	global_store_dwordx4 v[88:89], v[16:19], off offset:2048
	;; [unrolled: 1-line block ×3, first 2 shown]
	v_lshl_add_u64 v[88:89], v[88:89], 0, v[118:119]
.LBB18_135:                             ;   in Loop: Header=BB18_133 Depth=3
	s_or_b64 exec, exec, vcc
	v_sub_u32_e32 v4, v29, v84
	v_lshl_add_u64 v[90:91], v[90:91], 0, v[118:119]
	v_mov_b32_e32 v5, 0
	v_cmp_lt_i32_e64 s[94:95], 0, v4
	v_mov_b64_e32 v[92:93], 0
	s_and_saveexec_b64 vcc, s[94:95]
	s_cbranch_execz .LBB18_132
; %bb.136:                              ;   in Loop: Header=BB18_133 Depth=3
	global_load_dwordx4 v[8:11], v[90:91], off nt
	global_load_dwordx4 v[12:15], v[90:91], off offset:1024 nt
	global_load_dwordx4 v[16:19], v[90:91], off offset:2048 nt
	;; [unrolled: 1-line block ×3, first 2 shown]
	v_lshl_add_u64 v[90:91], v[90:91], 0, s[56:57]
	v_mov_b32_e32 v5, v84
	v_mov_b64_e32 v[92:93], v[100:101]
	s_branch .LBB18_132
.LBB18_137:                             ;   in Loop: Header=BB18_57 Depth=2
	v_mov_b32_e32 v4, v0
	v_mov_b32_e32 v15, v107
	s_and_saveexec_b64 s[22:23], s[40:41]
	s_cbranch_execnz .LBB18_158
	s_branch .LBB18_178
.LBB18_138:                             ;   in Loop: Header=BB18_57 Depth=2
	s_or_b64 exec, exec, s[90:91]
	s_and_b64 s[90:91], s[92:93], exec
.LBB18_139:                             ;   in Loop: Header=BB18_57 Depth=2
	s_or_b64 exec, exec, s[22:23]
	s_and_saveexec_b64 s[22:23], s[90:91]
	s_cbranch_execz .LBB18_141
; %bb.140:                              ;   in Loop: Header=BB18_57 Depth=2
	global_store_dwordx4 v[88:89], v[8:11], off
	global_store_dwordx4 v[88:89], v[12:15], off offset:1024
	global_store_dwordx4 v[88:89], v[16:19], off offset:2048
	;; [unrolled: 1-line block ×3, first 2 shown]
.LBB18_141:                             ;   in Loop: Header=BB18_57 Depth=2
	s_or_b64 exec, exec, s[22:23]
	s_nop 0
	v_lshlrev_b32_e32 v20, 12, v28
	v_cmp_ne_u32_e32 vcc, v82, v20
                                        ; implicit-def: $vgpr14
                                        ; implicit-def: $vgpr4
                                        ; implicit-def: $vgpr15
	s_and_saveexec_b64 s[90:91], vcc
	s_cbranch_execz .LBB18_157
; %bb.142:                              ;   in Loop: Header=BB18_57 Depth=2
	v_lshlrev_b32_e32 v4, 6, v29
	v_sub_u32_e32 v4, v107, v4
	v_ashrrev_i32_e32 v8, 31, v4
	v_lshrrev_b32_e32 v8, 26, v8
	v_add_u32_e32 v8, v4, v8
	v_sub_u32_e32 v5, v82, v20
	v_ashrrev_i32_e32 v9, 6, v8
	v_and_b32_e32 v8, 0xffffffc0, v8
	v_sub_u32_e32 v21, v4, v8
	v_ashrrev_i32_e32 v8, 31, v5
	v_lshrrev_b32_e32 v8, 22, v8
	v_add_u32_e32 v8, v5, v8
	v_lshlrev_b32_e32 v4, 4, v21
	v_and_b32_e32 v22, 0xfffffc00, v8
	v_lshl_add_u32 v4, v9, 10, v4
	v_sub_u32_e32 v24, v5, v22
	v_add_u32_e32 v10, v4, v20
	v_ashrrev_i32_e32 v11, 10, v8
	v_cmp_lt_i32_e32 vcc, 15, v24
	v_sub_u32_e32 v4, v5, v4
	s_mov_b64 s[94:95], 0
	v_addc_co_u32_e64 v5, s[22:23], 0, v11, vcc
	v_ashrrev_i32_e32 v11, 31, v10
	v_sub_u32_e32 v23, v5, v9
	v_lshl_add_u64 v[16:17], v[10:11], 0, v[78:79]
	v_cmp_lt_i32_e64 s[22:23], 15, v4
                                        ; implicit-def: $vgpr8_vgpr9
	s_and_saveexec_b64 s[92:93], s[22:23]
	s_cbranch_execz .LBB18_152
; %bb.143:                              ;   in Loop: Header=BB18_57 Depth=2
	v_lshl_add_u64 v[18:19], v[10:11], 0, v[76:77]
	s_mov_b64 s[34:35], 0
                                        ; implicit-def: $sgpr30_sgpr31
                                        ; implicit-def: $vgpr8_vgpr9
	s_branch .LBB18_145
.LBB18_144:                             ;   in Loop: Header=BB18_145 Depth=3
	s_or_b64 exec, exec, s[22:23]
	v_cmp_gt_i32_e64 s[22:23], 16, v4
	s_or_b64 s[94:95], s[22:23], s[94:95]
	s_andn2_b64 s[22:23], s[30:31], exec
	s_and_b64 s[30:31], s[34:35], exec
	s_or_b64 s[30:31], s[22:23], s[30:31]
	s_andn2_b64 exec, exec, s[94:95]
	s_cbranch_execz .LBB18_151
.LBB18_145:                             ;   Parent Loop BB18_47 Depth=1
                                        ;     Parent Loop BB18_57 Depth=2
                                        ; =>    This Inner Loop Header: Depth=3
	global_load_dwordx4 v[12:15], v[18:19], off nt
	s_and_saveexec_b64 s[22:23], s[34:35]
	s_cbranch_execz .LBB18_147
; %bb.146:                              ;   in Loop: Header=BB18_145 Depth=3
	v_lshl_add_u64 v[26:27], v[16:17], 0, v[42:43]
	global_store_dwordx4 v[16:17], v[8:11], off
	v_mov_b64_e32 v[16:17], v[26:27]
.LBB18_147:                             ;   in Loop: Header=BB18_145 Depth=3
	s_or_b64 exec, exec, s[22:23]
	v_sub_u32_e32 v4, v4, v109
	v_lshl_add_u64 v[18:19], v[18:19], 0, v[42:43]
	v_cmp_lt_i32_e64 s[34:35], 15, v4
	s_and_saveexec_b64 s[22:23], s[34:35]
	s_cbranch_execz .LBB18_149
; %bb.148:                              ;   in Loop: Header=BB18_145 Depth=3
	global_load_dwordx4 v[8:11], v[18:19], off nt
	v_lshl_add_u64 v[18:19], v[18:19], 0, s[58:59]
.LBB18_149:                             ;   in Loop: Header=BB18_145 Depth=3
	s_or_b64 exec, exec, s[22:23]
	v_sub_u32_e32 v23, v23, v84
	s_waitcnt vmcnt(0)
	global_store_dwordx4 v[16:17], v[12:15], off
	v_lshl_add_u64 v[16:17], v[16:17], 0, s[58:59]
	s_and_saveexec_b64 s[22:23], s[34:35]
	s_cbranch_execz .LBB18_144
; %bb.150:                              ;   in Loop: Header=BB18_145 Depth=3
	v_sub_u32_e32 v23, v23, v84
	v_sub_u32_e32 v4, v4, v109
	v_lshl_add_u64 v[18:19], v[18:19], 0, v[114:115]
	v_lshl_add_u64 v[16:17], v[16:17], 0, v[114:115]
	s_branch .LBB18_144
.LBB18_151:                             ;   in Loop: Header=BB18_57 Depth=2
	s_or_b64 exec, exec, s[94:95]
	s_and_b64 s[94:95], s[30:31], exec
.LBB18_152:                             ;   in Loop: Header=BB18_57 Depth=2
	s_or_b64 exec, exec, s[92:93]
	s_and_saveexec_b64 s[22:23], s[94:95]
	s_cbranch_execz .LBB18_154
; %bb.153:                              ;   in Loop: Header=BB18_57 Depth=2
	global_store_dwordx4 v[16:17], v[8:11], off
.LBB18_154:                             ;   in Loop: Header=BB18_57 Depth=2
	s_or_b64 exec, exec, s[22:23]
	v_and_b32_e32 v5, 14, v82
	v_cndmask_b32_e32 v82, v24, v5, vcc
	v_cmp_ne_u32_e64 s[22:23], 0, v82
	s_mov_b64 s[94:95], s[40:41]
                                        ; implicit-def: $vgpr14
                                        ; implicit-def: $vgpr4
                                        ; implicit-def: $vgpr15
	s_and_saveexec_b64 s[92:93], s[22:23]
	s_cbranch_execz .LBB18_156
; %bb.155:                              ;   in Loop: Header=BB18_57 Depth=2
	v_sub_u32_e32 v4, v24, v5
	v_cndmask_b32_e32 v4, 0, v4, vcc
	v_cmp_lt_i32_e32 vcc, 0, v23
	v_add3_u32 v14, v22, v20, v4
	s_or_b64 s[94:95], s[40:41], exec
	v_cndmask_b32_e32 v4, 0, v84, vcc
	v_sub_u32_e32 v4, v4, v23
	v_lshl_add_u32 v4, v4, 6, v21
	v_ashrrev_i32_e32 v5, 31, v4
	v_lshrrev_b32_e32 v5, 26, v5
	v_add_u32_e32 v5, v4, v5
	v_and_b32_e32 v5, 0xffffffc0, v5
	v_sub_u32_e32 v15, v4, v5
.LBB18_156:                             ;   in Loop: Header=BB18_57 Depth=2
	s_or_b64 exec, exec, s[92:93]
	s_andn2_b64 s[22:23], s[40:41], exec
	s_and_b64 s[40:41], s[94:95], exec
	s_or_b64 s[40:41], s[22:23], s[40:41]
.LBB18_157:                             ;   in Loop: Header=BB18_57 Depth=2
	s_or_b64 exec, exec, s[90:91]
	s_and_saveexec_b64 s[22:23], s[40:41]
	s_cbranch_execz .LBB18_178
.LBB18_158:                             ;   in Loop: Header=BB18_57 Depth=2
	v_ashrrev_i32_e32 v5, 31, v4
	v_lshrrev_b32_e32 v5, 26, v5
	v_add_u32_e32 v4, v4, v5
	v_ashrrev_i32_e32 v4, 6, v4
	v_lshlrev_b32_e32 v5, 10, v4
	v_lshlrev_b32_e32 v8, 1, v15
	v_add3_u32 v10, v14, v8, v5
	v_ashrrev_i32_e32 v5, 31, v82
	v_lshrrev_b32_e32 v5, 22, v5
	v_add_u32_e32 v5, v82, v5
	v_ashrrev_i32_e32 v16, 10, v5
	v_sub_u32_e32 v4, v16, v4
	v_ashrrev_i32_e32 v11, 31, v10
	v_lshl_add_u64 v[8:9], v[78:79], 0, v[10:11]
	v_cmp_lt_i32_e32 vcc, 0, v4
	s_mov_b64 s[90:91], 0
                                        ; implicit-def: $vgpr17
                                        ; implicit-def: $vgpr18
                                        ; implicit-def: $vgpr19
                                        ; implicit-def: $vgpr20
                                        ; implicit-def: $vgpr21
                                        ; implicit-def: $vgpr22
                                        ; implicit-def: $vgpr23
                                        ; implicit-def: $vgpr24
	s_and_saveexec_b64 s[40:41], vcc
	s_cbranch_execz .LBB18_166
; %bb.159:                              ;   in Loop: Header=BB18_57 Depth=2
	v_lshl_add_u64 v[10:11], v[10:11], 0, v[76:77]
	s_mov_b64 s[94:95], 0
                                        ; implicit-def: $sgpr92_sgpr93
                                        ; implicit-def: $vgpr17
                                        ; implicit-def: $vgpr18
                                        ; implicit-def: $vgpr19
                                        ; implicit-def: $vgpr20
                                        ; implicit-def: $vgpr21
                                        ; implicit-def: $vgpr22
                                        ; implicit-def: $vgpr23
                                        ; implicit-def: $vgpr24
	s_branch .LBB18_161
.LBB18_160:                             ;   in Loop: Header=BB18_161 Depth=3
	s_or_b64 exec, exec, vcc
	v_sub_u32_e32 v4, v4, v34
	v_cmp_gt_i32_e32 vcc, 1, v4
	s_or_b64 s[90:91], vcc, s[90:91]
	s_waitcnt vmcnt(0) lgkmcnt(0)
	flat_store_short v[8:9], v5 nt
	flat_store_short v[8:9], v25 offset:128 nt
	flat_store_short v[8:9], v26 offset:256 nt
	;; [unrolled: 1-line block ×7, first 2 shown]
	v_lshl_add_u64 v[8:9], v[8:9], 0, v[12:13]
	s_andn2_b64 s[92:93], s[92:93], exec
	s_and_b64 vcc, s[94:95], exec
	v_lshl_add_u64 v[8:9], v[8:9], 0, s[58:59]
	v_lshl_add_u64 v[10:11], v[10:11], 0, v[12:13]
	s_or_b64 s[92:93], s[92:93], vcc
	s_andn2_b64 exec, exec, s[90:91]
	s_cbranch_execz .LBB18_165
.LBB18_161:                             ;   Parent Loop BB18_47 Depth=1
                                        ;     Parent Loop BB18_57 Depth=2
                                        ; =>    This Inner Loop Header: Depth=3
	flat_load_ushort v5, v[10:11] nt
	flat_load_ushort v25, v[10:11] offset:128 nt
	flat_load_ushort v26, v[10:11] offset:256 nt
	;; [unrolled: 1-line block ×7, first 2 shown]
	s_and_saveexec_b64 vcc, s[94:95]
	s_cbranch_execz .LBB18_163
; %bb.162:                              ;   in Loop: Header=BB18_161 Depth=3
	flat_store_short v[8:9], v17 nt
	flat_store_short v[8:9], v18 offset:128 nt
	flat_store_short v[8:9], v19 offset:256 nt
	;; [unrolled: 1-line block ×7, first 2 shown]
	v_lshl_add_u64 v[8:9], v[8:9], 0, v[42:43]
.LBB18_163:                             ;   in Loop: Header=BB18_161 Depth=3
	s_or_b64 exec, exec, vcc
	v_sub_u32_e32 v4, v4, v84
	v_lshl_add_u64 v[10:11], v[10:11], 0, v[42:43]
	v_mov_b32_e32 v34, 0
	v_cmp_lt_i32_e64 s[94:95], 0, v4
	v_mov_b64_e32 v[12:13], 0
	s_and_saveexec_b64 vcc, s[94:95]
	s_cbranch_execz .LBB18_160
; %bb.164:                              ;   in Loop: Header=BB18_161 Depth=3
	flat_load_ushort v17, v[10:11] nt
	flat_load_ushort v18, v[10:11] offset:128 nt
	flat_load_ushort v19, v[10:11] offset:256 nt
	;; [unrolled: 1-line block ×7, first 2 shown]
	v_lshl_add_u64 v[10:11], v[10:11], 0, s[58:59]
	v_mov_b32_e32 v34, v84
	v_mov_b64_e32 v[12:13], v[114:115]
	s_branch .LBB18_160
.LBB18_165:                             ;   in Loop: Header=BB18_57 Depth=2
	s_or_b64 exec, exec, s[90:91]
	s_and_b64 s[90:91], s[92:93], exec
.LBB18_166:                             ;   in Loop: Header=BB18_57 Depth=2
	s_or_b64 exec, exec, s[40:41]
	s_and_saveexec_b64 s[40:41], s[90:91]
	s_cbranch_execz .LBB18_168
; %bb.167:                              ;   in Loop: Header=BB18_57 Depth=2
	flat_store_short v[8:9], v17 nt
	flat_store_short v[8:9], v18 offset:128 nt
	flat_store_short v[8:9], v19 offset:256 nt
	;; [unrolled: 1-line block ×7, first 2 shown]
.LBB18_168:                             ;   in Loop: Header=BB18_57 Depth=2
	s_or_b64 exec, exec, s[40:41]
	v_lshlrev_b32_e32 v5, 10, v16
	v_cmp_ne_u32_e32 vcc, v82, v5
	s_and_b64 exec, exec, vcc
	s_cbranch_execz .LBB18_178
; %bb.169:                              ;   in Loop: Header=BB18_57 Depth=2
	v_lshlrev_b32_e32 v4, 6, v4
	v_sub_u32_e32 v4, v15, v4
	v_ashrrev_i32_e32 v8, 31, v4
	v_lshrrev_b32_e32 v8, 26, v8
	v_add_u32_e32 v8, v4, v8
	v_and_b32_e32 v9, 0x7fffffc0, v8
	v_sub_u32_e32 v4, v4, v9
	v_lshlrev_b32_e32 v8, 1, v8
	v_and_b32_e32 v8, 0xffffff80, v8
	v_lshlrev_b32_e32 v4, 1, v4
	v_add3_u32 v4, v8, v4, v5
	v_sub_u32_e32 v5, v82, v4
	v_cmp_lt_i32_e32 vcc, 1, v5
	s_and_b64 exec, exec, vcc
	s_cbranch_execz .LBB18_178
; %bb.170:                              ;   in Loop: Header=BB18_57 Depth=2
	v_add_u32_e32 v10, v4, v14
	v_ashrrev_i32_e32 v11, 31, v10
	v_lshl_add_u64 v[8:9], v[78:79], 0, v[10:11]
	v_lshl_add_u64 v[10:11], v[10:11], 0, v[76:77]
	s_mov_b64 s[92:93], 0
	s_mov_b64 s[40:41], 0
                                        ; implicit-def: $sgpr90_sgpr91
                                        ; implicit-def: $vgpr4
	s_branch .LBB18_172
.LBB18_171:                             ;   in Loop: Header=BB18_172 Depth=3
	s_or_b64 exec, exec, s[94:95]
	v_sub_u32_e32 v5, v5, v15
	v_cmp_gt_i32_e32 vcc, 2, v5
	s_or_b64 s[40:41], vcc, s[40:41]
	s_waitcnt vmcnt(0) lgkmcnt(0)
	flat_store_short v[8:9], v14 nt
	v_lshl_add_u64 v[8:9], v[8:9], 0, v[12:13]
	s_andn2_b64 s[90:91], s[90:91], exec
	s_and_b64 s[94:95], s[92:93], exec
	v_lshl_add_u64 v[10:11], v[10:11], 0, v[12:13]
	v_lshl_add_u64 v[8:9], v[8:9], 0, s[60:61]
	s_or_b64 s[90:91], s[90:91], s[94:95]
	s_andn2_b64 exec, exec, s[40:41]
	s_cbranch_execz .LBB18_176
.LBB18_172:                             ;   Parent Loop BB18_47 Depth=1
                                        ;     Parent Loop BB18_57 Depth=2
                                        ; =>    This Inner Loop Header: Depth=3
	flat_load_ushort v14, v[10:11] nt
	s_and_saveexec_b64 s[94:95], s[92:93]
	s_cbranch_execz .LBB18_174
; %bb.173:                              ;   in Loop: Header=BB18_172 Depth=3
	v_lshl_add_u64 v[12:13], v[8:9], 0, v[44:45]
	flat_store_short v[8:9], v4 nt
	v_mov_b64_e32 v[8:9], v[12:13]
.LBB18_174:                             ;   in Loop: Header=BB18_172 Depth=3
	s_or_b64 exec, exec, s[94:95]
	v_sub_u32_e32 v5, v5, v110
	v_lshl_add_u64 v[10:11], v[10:11], 0, v[44:45]
	v_cmp_lt_i32_e64 s[92:93], 1, v5
	v_mov_b64_e32 v[12:13], 0
	v_mov_b32_e32 v15, 0
	s_and_saveexec_b64 s[94:95], s[92:93]
	s_cbranch_execz .LBB18_171
; %bb.175:                              ;   in Loop: Header=BB18_172 Depth=3
	flat_load_ushort v4, v[10:11] nt
	v_lshl_add_u64 v[10:11], v[10:11], 0, s[60:61]
	v_mov_b32_e32 v15, v110
	v_mov_b64_e32 v[12:13], v[116:117]
	s_branch .LBB18_171
.LBB18_176:                             ;   in Loop: Header=BB18_57 Depth=2
	s_or_b64 exec, exec, s[40:41]
	s_and_b64 exec, exec, s[90:91]
	s_cbranch_execz .LBB18_178
; %bb.177:                              ;   in Loop: Header=BB18_57 Depth=2
	flat_store_short v[8:9], v4 nt
.LBB18_178:                             ;   in Loop: Header=BB18_57 Depth=2
	s_or_b64 exec, exec, s[22:23]
	v_cmp_lt_i32_e64 s[22:23], 0, v2
	s_and_saveexec_b64 s[40:41], s[4:5]
	s_cbranch_execz .LBB18_197
.LBB18_179:                             ;   in Loop: Header=BB18_57 Depth=2
	s_and_saveexec_b64 s[90:91], s[46:47]
	s_xor_b64 s[90:91], exec, s[90:91]
	s_cbranch_execz .LBB18_194
; %bb.180:                              ;   in Loop: Header=BB18_57 Depth=2
	s_and_saveexec_b64 s[92:93], s[12:13]
	s_cbranch_execz .LBB18_193
; %bb.181:                              ;   in Loop: Header=BB18_57 Depth=2
	s_mov_b64 s[30:31], exec
	v_mbcnt_lo_u32_b32 v2, s30, 0
	v_mbcnt_hi_u32_b32 v2, s31, v2
	v_cmp_eq_u32_e32 vcc, 0, v2
	s_waitcnt lgkmcnt(0)
	s_and_saveexec_b64 s[94:95], vcc
	s_cbranch_execz .LBB18_183
; %bb.182:                              ;   in Loop: Header=BB18_57 Depth=2
	s_bcnt1_i32_b64 s43, s[30:31]
	v_mov_b32_e32 v2, s43
	ds_add_u64 v0, v[2:3]
	s_trap 2
.LBB18_183:                             ;   in Loop: Header=BB18_57 Depth=2
	s_or_b64 exec, exec, s[94:95]
	s_trap 2
	ds_read_b64 v[4:5], v0
	s_waitcnt lgkmcnt(0)
	v_lshl_add_u64 v[70:71], v[70:71], 0, v[84:85]
	v_cmp_lt_u64_e32 vcc, v[4:5], v[70:71]
	s_and_saveexec_b64 s[94:95], vcc
	s_cbranch_execz .LBB18_192
; %bb.184:                              ;   in Loop: Header=BB18_57 Depth=2
	s_mov_b32 s43, 0
	s_mov_b64 s[30:31], 0
                                        ; implicit-def: $sgpr34_sgpr35
                                        ; implicit-def: $sgpr36_sgpr37
	s_branch .LBB18_186
.LBB18_185:                             ;   in Loop: Header=BB18_186 Depth=3
	s_or_b64 exec, exec, s[48:49]
	s_and_b64 vcc, exec, vcc
	s_or_b64 s[30:31], vcc, s[30:31]
	s_andn2_b64 vcc, s[34:35], exec
	s_and_b64 s[34:35], s[36:37], exec
	s_or_b64 s[34:35], vcc, s[34:35]
	s_andn2_b64 exec, exec, s[30:31]
	s_cbranch_execz .LBB18_190
.LBB18_186:                             ;   Parent Loop BB18_47 Depth=1
                                        ;     Parent Loop BB18_57 Depth=2
                                        ; =>    This Inner Loop Header: Depth=3
	s_add_i32 s43, s43, 1
	s_cmpk_lg_i32 s43, 0x2710
	s_cselect_b64 s[38:39], -1, 0
	s_and_b64 vcc, exec, s[38:39]
	s_cbranch_vccz .LBB18_188
; %bb.187:                              ;   in Loop: Header=BB18_186 Depth=3
	s_mov_b64 vcc, -1
	s_or_b64 s[36:37], s[36:37], exec
	s_and_saveexec_b64 s[48:49], s[38:39]
	s_cbranch_execz .LBB18_185
	s_branch .LBB18_189
.LBB18_188:                             ;   in Loop: Header=BB18_186 Depth=3
	s_trap 2
	ds_read_b64 v[4:5], v0
	s_andn2_b64 s[38:39], s[38:39], exec
	s_mov_b32 s43, 0
	s_waitcnt vmcnt(0) lgkmcnt(0)
	flat_load_dword v2, v[4:5] sc0 sc1
	s_waitcnt vmcnt(0) lgkmcnt(0)
	buffer_inv sc0 sc1
	v_cmp_eq_u32_e32 vcc, 0, v2
	s_and_b64 vcc, vcc, exec
	s_or_b64 s[38:39], s[38:39], vcc
	s_mov_b64 vcc, -1
	s_or_b64 s[36:37], s[36:37], exec
	s_and_saveexec_b64 s[48:49], s[38:39]
	s_cbranch_execz .LBB18_185
.LBB18_189:                             ;   in Loop: Header=BB18_186 Depth=3
	s_sleep 1
	s_trap 2
	ds_read_b64 v[4:5], v0
	s_waitcnt lgkmcnt(0)
	s_andn2_b64 s[36:37], s[36:37], exec
	v_cmp_ge_u64_e32 vcc, v[4:5], v[70:71]
	s_orn2_b64 vcc, vcc, exec
	s_branch .LBB18_185
.LBB18_190:                             ;   in Loop: Header=BB18_57 Depth=2
	s_or_b64 exec, exec, s[30:31]
	s_and_saveexec_b64 vcc, s[34:35]
	s_xor_b64 vcc, exec, vcc
	s_cbranch_execz .LBB18_192
; %bb.191:                              ;   in Loop: Header=BB18_57 Depth=2
	ds_write_b32 v0, v111
	s_trap 2
.LBB18_192:                             ;   in Loop: Header=BB18_57 Depth=2
	s_or_b64 exec, exec, s[94:95]
	;;#ASMSTART
	s_wakeup
	;;#ASMEND
.LBB18_193:                             ;   in Loop: Header=BB18_57 Depth=2
	s_or_b64 exec, exec, s[92:93]
.LBB18_194:                             ;   in Loop: Header=BB18_57 Depth=2
	s_andn2_saveexec_b64 s[90:91], s[90:91]
	s_cbranch_execz .LBB18_196
; %bb.195:                              ;   in Loop: Header=BB18_57 Depth=2
	s_waitcnt lgkmcnt(0)
	s_barrier
.LBB18_196:                             ;   in Loop: Header=BB18_57 Depth=2
	s_or_b64 exec, exec, s[90:91]
.LBB18_197:                             ;   in Loop: Header=BB18_57 Depth=2
	s_or_b64 exec, exec, s[40:41]
	v_and_b32_e32 v8, 16, v106
	s_and_saveexec_b64 s[40:41], s[20:21]
	s_xor_b64 s[40:41], exec, s[40:41]
	s_cbranch_execz .LBB18_202
; %bb.198:                              ;   in Loop: Header=BB18_57 Depth=2
	v_and_b32_e32 v2, 16, v106
	v_cmp_ne_u32_e32 vcc, 0, v2
	v_and_b32_e32 v8, 16, v106
	s_and_b64 s[90:91], vcc, s[22:23]
	s_and_saveexec_b64 s[22:23], s[90:91]
	s_cbranch_execz .LBB18_200
; %bb.199:                              ;   in Loop: Header=BB18_57 Depth=2
	v_mov_b32_e32 v8, 1
	buffer_wbl2 sc1
	s_waitcnt vmcnt(0) lgkmcnt(0)
	buffer_inv sc1
.LBB18_200:                             ;   in Loop: Header=BB18_57 Depth=2
	s_or_b64 exec, exec, s[22:23]
	s_andn2_saveexec_b64 s[22:23], s[40:41]
	s_cbranch_execnz .LBB18_203
.LBB18_201:                             ;   in Loop: Header=BB18_57 Depth=2
	s_or_b64 exec, exec, s[22:23]
	v_cmp_ne_u32_e32 vcc, 0, v8
	s_and_saveexec_b64 s[22:23], vcc
	s_cbranch_execz .LBB18_56
	s_branch .LBB18_221
.LBB18_202:                             ;   in Loop: Header=BB18_57 Depth=2
	s_andn2_saveexec_b64 s[22:23], s[40:41]
	s_cbranch_execz .LBB18_201
.LBB18_203:                             ;   in Loop: Header=BB18_57 Depth=2
	s_and_saveexec_b64 s[40:41], s[46:47]
	s_xor_b64 s[40:41], exec, s[40:41]
	s_cbranch_execz .LBB18_218
; %bb.204:                              ;   in Loop: Header=BB18_57 Depth=2
	s_and_saveexec_b64 s[90:91], s[12:13]
	s_cbranch_execz .LBB18_217
; %bb.205:                              ;   in Loop: Header=BB18_57 Depth=2
	s_mov_b64 s[94:95], exec
	v_mbcnt_lo_u32_b32 v2, s94, 0
	v_mbcnt_hi_u32_b32 v2, s95, v2
	v_cmp_eq_u32_e32 vcc, 0, v2
	;;#ASMSTART
	s_waitcnt lgkmcnt(0) vmcnt(0)
	;;#ASMEND
	s_and_saveexec_b64 s[92:93], vcc
	s_cbranch_execz .LBB18_207
; %bb.206:                              ;   in Loop: Header=BB18_57 Depth=2
	s_bcnt1_i32_b64 s43, s[94:95]
	v_mov_b32_e32 v2, s43
	s_waitcnt lgkmcnt(0)
	ds_add_u64 v0, v[2:3]
	s_trap 2
.LBB18_207:                             ;   in Loop: Header=BB18_57 Depth=2
	s_or_b64 exec, exec, s[92:93]
	s_trap 2
	ds_read_b64 v[4:5], v0
	s_waitcnt lgkmcnt(0)
	v_lshl_add_u64 v[70:71], v[70:71], 0, v[84:85]
	v_cmp_lt_u64_e32 vcc, v[4:5], v[70:71]
	s_and_saveexec_b64 s[92:93], vcc
	s_cbranch_execz .LBB18_216
; %bb.208:                              ;   in Loop: Header=BB18_57 Depth=2
	s_mov_b32 s43, 0
	s_mov_b64 s[94:95], 0
                                        ; implicit-def: $sgpr30_sgpr31
                                        ; implicit-def: $sgpr34_sgpr35
	s_branch .LBB18_210
.LBB18_209:                             ;   in Loop: Header=BB18_210 Depth=3
	s_or_b64 exec, exec, s[38:39]
	s_and_b64 vcc, exec, vcc
	s_or_b64 s[94:95], vcc, s[94:95]
	s_andn2_b64 vcc, s[30:31], exec
	s_and_b64 s[30:31], s[34:35], exec
	s_or_b64 s[30:31], vcc, s[30:31]
	s_andn2_b64 exec, exec, s[94:95]
	s_cbranch_execz .LBB18_214
.LBB18_210:                             ;   Parent Loop BB18_47 Depth=1
                                        ;     Parent Loop BB18_57 Depth=2
                                        ; =>    This Inner Loop Header: Depth=3
	s_add_i32 s43, s43, 1
	s_cmpk_lg_i32 s43, 0x2710
	s_cselect_b64 s[36:37], -1, 0
	s_and_b64 vcc, exec, s[36:37]
	s_cbranch_vccz .LBB18_212
; %bb.211:                              ;   in Loop: Header=BB18_210 Depth=3
	s_mov_b64 vcc, -1
	s_or_b64 s[34:35], s[34:35], exec
	s_and_saveexec_b64 s[38:39], s[36:37]
	s_cbranch_execz .LBB18_209
	s_branch .LBB18_213
.LBB18_212:                             ;   in Loop: Header=BB18_210 Depth=3
	s_trap 2
	ds_read_b64 v[4:5], v0
	s_andn2_b64 s[36:37], s[36:37], exec
	s_mov_b32 s43, 0
	s_waitcnt vmcnt(0) lgkmcnt(0)
	flat_load_dword v2, v[4:5] sc0 sc1
	s_waitcnt vmcnt(0) lgkmcnt(0)
	buffer_inv sc0 sc1
	v_cmp_eq_u32_e32 vcc, 0, v2
	s_and_b64 vcc, vcc, exec
	s_or_b64 s[36:37], s[36:37], vcc
	s_mov_b64 vcc, -1
	s_or_b64 s[34:35], s[34:35], exec
	s_and_saveexec_b64 s[38:39], s[36:37]
	s_cbranch_execz .LBB18_209
.LBB18_213:                             ;   in Loop: Header=BB18_210 Depth=3
	s_sleep 1
	s_trap 2
	ds_read_b64 v[4:5], v0
	s_waitcnt lgkmcnt(0)
	s_andn2_b64 s[34:35], s[34:35], exec
	v_cmp_ge_u64_e32 vcc, v[4:5], v[70:71]
	s_orn2_b64 vcc, vcc, exec
	s_branch .LBB18_209
.LBB18_214:                             ;   in Loop: Header=BB18_57 Depth=2
	s_or_b64 exec, exec, s[94:95]
	s_and_saveexec_b64 s[94:95], s[30:31]
	s_xor_b64 s[94:95], exec, s[94:95]
	s_cbranch_execz .LBB18_216
; %bb.215:                              ;   in Loop: Header=BB18_57 Depth=2
	ds_write_b32 v0, v111
	s_trap 2
.LBB18_216:                             ;   in Loop: Header=BB18_57 Depth=2
	s_or_b64 exec, exec, s[92:93]
	;;#ASMSTART
	s_wakeup
	;;#ASMEND
.LBB18_217:                             ;   in Loop: Header=BB18_57 Depth=2
	s_or_b64 exec, exec, s[90:91]
.LBB18_218:                             ;   in Loop: Header=BB18_57 Depth=2
	s_andn2_saveexec_b64 s[40:41], s[40:41]
	s_cbranch_execz .LBB18_220
; %bb.219:                              ;   in Loop: Header=BB18_57 Depth=2
	;;#ASMSTART
	s_waitcnt lgkmcnt(0) vmcnt(0)
	;;#ASMEND
	s_barrier
.LBB18_220:                             ;   in Loop: Header=BB18_57 Depth=2
	s_or_b64 exec, exec, s[40:41]
	s_or_b64 exec, exec, s[22:23]
	v_cmp_ne_u32_e32 vcc, 0, v8
	s_and_saveexec_b64 s[22:23], vcc
	s_cbranch_execz .LBB18_56
.LBB18_221:                             ;   in Loop: Header=BB18_57 Depth=2
	s_and_saveexec_b64 s[40:41], s[10:11]
	s_cbranch_execz .LBB18_55
; %bb.222:                              ;   in Loop: Header=BB18_57 Depth=2
	flat_store_dword v[68:69], v111 sc0 sc1
	s_branch .LBB18_55
.LBB18_223:                             ;   in Loop: Header=BB18_47 Depth=1
	s_or_b64 exec, exec, s[26:27]
.LBB18_224:                             ;   in Loop: Header=BB18_47 Depth=1
	s_or_b64 exec, exec, s[24:25]
	v_cmp_gt_i32_e32 vcc, 2, v2
	s_and_saveexec_b64 s[24:25], vcc
	s_cbranch_execz .LBB18_296
; %bb.225:                              ;   in Loop: Header=BB18_47 Depth=1
	v_cmp_eq_u32_e64 s[28:29], 0, v2
	s_mov_b64 s[26:27], 0
	s_branch .LBB18_228
.LBB18_226:                             ;   in Loop: Header=BB18_228 Depth=2
	s_or_b64 exec, exec, s[28:29]
	v_lshl_add_u64 v[56:57], v[56:57], 0, 2
	flat_store_dwordx2 v[64:65], v[56:57] sc0 sc1
.LBB18_227:                             ;   in Loop: Header=BB18_228 Depth=2
	s_or_b64 exec, exec, s[22:23]
	v_add_u32_e32 v72, v62, v72
	s_mov_b64 s[28:29], 0
	s_andn2_b64 exec, exec, s[26:27]
	s_cbranch_execz .LBB18_295
.LBB18_228:                             ;   Parent Loop BB18_47 Depth=1
                                        ; =>  This Loop Header: Depth=2
                                        ;       Child Loop BB18_234 Depth 3
                                        ;       Child Loop BB18_258 Depth 3
	;; [unrolled: 1-line block ×3, first 2 shown]
	v_sub_u32_e32 v2, v53, v72
	v_min_i32_e32 v62, v62, v2
	v_and_b32_e32 v2, 8, v106
	v_cmp_ne_u32_e32 vcc, 0, v2
	s_and_saveexec_b64 s[40:41], vcc
	s_cbranch_execz .LBB18_250
; %bb.229:                              ;   in Loop: Header=BB18_228 Depth=2
	s_waitcnt vmcnt(0) lgkmcnt(0)
	v_lshl_add_u64 v[4:5], v[80:81], 0, 8
	v_lshl_add_u64 v[8:9], v[56:57], 0, 2
	v_cmp_lt_u64_e32 vcc, v[4:5], v[8:9]
	s_and_saveexec_b64 s[90:91], vcc
	s_cbranch_execz .LBB18_241
; %bb.230:                              ;   in Loop: Header=BB18_228 Depth=2
	v_and_b32_e32 v2, 64, v106
	s_mov_b32 s42, 0
	v_cmp_eq_u32_e32 vcc, 0, v2
	s_mov_b64 s[92:93], 0
                                        ; implicit-def: $sgpr94_sgpr95
                                        ; implicit-def: $sgpr30_sgpr31
                                        ; implicit-def: $sgpr34_sgpr35
	s_branch .LBB18_234
.LBB18_231:                             ;   in Loop: Header=BB18_234 Depth=3
	s_waitcnt vmcnt(0) lgkmcnt(0)
	v_lshl_add_u64 v[4:5], v[80:81], 0, 8
	v_cmp_ge_u64_e64 s[22:23], v[4:5], v[8:9]
	s_or_b64 s[48:49], s[48:49], exec
	s_orn2_b64 s[38:39], s[22:23], exec
.LBB18_232:                             ;   in Loop: Header=BB18_234 Depth=3
	s_or_b64 exec, exec, s[52:53]
	s_andn2_b64 s[22:23], s[34:35], exec
	s_and_b64 s[34:35], s[48:49], exec
	s_or_b64 s[34:35], s[22:23], s[34:35]
	s_andn2_b64 s[22:23], s[30:31], exec
	s_and_b64 s[30:31], s[38:39], exec
	s_or_b64 s[30:31], s[22:23], s[30:31]
.LBB18_233:                             ;   in Loop: Header=BB18_234 Depth=3
	s_or_b64 exec, exec, s[36:37]
	s_and_b64 s[22:23], exec, s[30:31]
	s_or_b64 s[92:93], s[22:23], s[92:93]
	s_andn2_b64 s[22:23], s[94:95], exec
	s_and_b64 s[94:95], s[34:35], exec
	s_or_b64 s[94:95], s[22:23], s[94:95]
	s_andn2_b64 exec, exec, s[92:93]
	s_cbranch_execz .LBB18_238
.LBB18_234:                             ;   Parent Loop BB18_47 Depth=1
                                        ;     Parent Loop BB18_228 Depth=2
                                        ; =>    This Inner Loop Header: Depth=3
	s_sleep 1
	s_waitcnt vmcnt(0) lgkmcnt(0)
	flat_load_dwordx2 v[80:81], v[64:65] sc0 sc1
	s_or_b64 s[34:35], s[34:35], exec
	s_or_b64 s[30:31], s[30:31], exec
                                        ; implicit-def: $vgpr2
	s_and_saveexec_b64 s[36:37], vcc
	s_cbranch_execz .LBB18_233
; %bb.235:                              ;   in Loop: Header=BB18_234 Depth=3
	s_cmpk_lt_i32 s42, 0x270f
	s_cselect_b64 s[50:51], -1, 0
	s_cmpk_gt_i32 s42, 0x270e
	s_mov_b64 s[38:39], -1
	s_cbranch_scc0 .LBB18_237
; %bb.236:                              ;   in Loop: Header=BB18_234 Depth=3
	s_trap 2
	ds_read_b64 v[4:5], v0
	s_andn2_b64 s[50:51], s[50:51], exec
	s_mov_b32 s42, 0
	s_mov_b64 s[48:49], 0
	s_waitcnt vmcnt(0) lgkmcnt(0)
	flat_load_dword v2, v[4:5] sc0 sc1
	s_waitcnt vmcnt(0) lgkmcnt(0)
	buffer_inv sc0 sc1
	v_cmp_eq_u32_e64 s[22:23], 0, v2
	s_and_b64 s[22:23], s[22:23], exec
	s_or_b64 s[50:51], s[50:51], s[22:23]
	s_and_saveexec_b64 s[52:53], s[50:51]
	s_cbranch_execz .LBB18_232
	s_branch .LBB18_231
.LBB18_237:                             ;   in Loop: Header=BB18_234 Depth=3
	s_add_i32 s42, s42, 1
	s_mov_b64 s[48:49], -1
                                        ; implicit-def: $vgpr2
	s_and_saveexec_b64 s[52:53], s[50:51]
	s_cbranch_execz .LBB18_232
	s_branch .LBB18_231
.LBB18_238:                             ;   in Loop: Header=BB18_228 Depth=2
	s_or_b64 exec, exec, s[92:93]
	s_xor_b64 s[22:23], s[94:95], -1
	s_and_saveexec_b64 s[42:43], s[22:23]
	s_xor_b64 s[22:23], exec, s[42:43]
	s_cbranch_execz .LBB18_240
; %bb.239:                              ;   in Loop: Header=BB18_228 Depth=2
	v_or_b32_e32 v106, 64, v106
	s_waitcnt lgkmcnt(0)
	ds_write_b32 v0, v2
	s_trap 2
.LBB18_240:                             ;   in Loop: Header=BB18_228 Depth=2
	s_or_b64 exec, exec, s[22:23]
.LBB18_241:                             ;   in Loop: Header=BB18_228 Depth=2
	s_or_b64 exec, exec, s[90:91]
	v_and_b32_e32 v2, 0x100, v106
	v_cmp_ne_u32_e32 vcc, 0, v2
	v_and_b32_e32 v2, 7, v56
	s_mov_b64 s[22:23], -1
	;;#ASMSTART
	s_wakeup
	;;#ASMEND
                                        ; implicit-def: $vgpr10_vgpr11
	s_and_saveexec_b64 s[90:91], vcc
	s_cbranch_execz .LBB18_245
; %bb.242:                              ;   in Loop: Header=BB18_228 Depth=2
	v_mad_u64_u32 v[12:13], s[22:23], v2, 24, v[6:7]
	flat_load_dword v10, v[12:13]
	v_ashrrev_i32_e32 v63, 31, v62
	v_lshlrev_b64 v[4:5], 1, v[62:63]
	flat_store_dwordx2 v[12:13], v[4:5] offset:8
	s_waitcnt vmcnt(0) lgkmcnt(0)
	v_cmp_ne_u32_e32 vcc, 1, v10
	v_cmp_eq_u32_e64 s[22:23], 1, v10
                                        ; implicit-def: $vgpr10_vgpr11
	s_and_saveexec_b64 s[92:93], s[22:23]
	s_cbranch_execz .LBB18_244
; %bb.243:                              ;   in Loop: Header=BB18_228 Depth=2
	flat_load_dword v4, v[12:13] offset:4 sc0 sc1
	s_waitcnt vmcnt(0) lgkmcnt(0)
	v_ashrrev_i32_e32 v5, 31, v4
	v_lshrrev_b64 v[10:11], 1, v[4:5]
.LBB18_244:                             ;   in Loop: Header=BB18_228 Depth=2
	s_or_b64 exec, exec, s[92:93]
	s_orn2_b64 s[22:23], vcc, exec
.LBB18_245:                             ;   in Loop: Header=BB18_228 Depth=2
	s_or_b64 exec, exec, s[90:91]
	s_and_saveexec_b64 s[90:91], s[22:23]
; %bb.246:                              ;   in Loop: Header=BB18_228 Depth=2
	v_mad_i64_i32 v[10:11], s[22:23], v2, v30, 0
; %bb.247:                              ;   in Loop: Header=BB18_228 Depth=2
	s_or_b64 exec, exec, s[90:91]
	v_and_b32_e32 v2, 0x2000, v106
	v_lshl_add_u64 v[4:5], v[10:11], 1, v[66:67]
	v_cmp_ne_u32_e32 vcc, 0, v2
	ds_write_b64 v0, v[4:5] offset:784
	s_and_saveexec_b64 s[22:23], vcc
	s_cbranch_execz .LBB18_249
; %bb.248:                              ;   in Loop: Header=BB18_228 Depth=2
	ds_read_b64 v[4:5], v0 offset:872
	s_waitcnt lgkmcnt(0)
	v_lshl_add_u64 v[4:5], v[4:5], 0, 1
	ds_write_b64 v0, v[4:5] offset:872
.LBB18_249:                             ;   in Loop: Header=BB18_228 Depth=2
	s_or_b64 exec, exec, s[22:23]
	v_mov_b64_e32 v[56:57], v[8:9]
.LBB18_250:                             ;   in Loop: Header=BB18_228 Depth=2
	s_or_b64 exec, exec, s[40:41]
	s_xor_b64 s[22:23], s[28:29], -1
	s_and_b64 s[22:23], exec, s[22:23]
	s_or_b64 s[26:27], s[22:23], s[26:27]
	s_and_saveexec_b64 s[22:23], s[4:5]
	s_cbranch_execz .LBB18_269
; %bb.251:                              ;   in Loop: Header=BB18_228 Depth=2
	s_and_saveexec_b64 s[28:29], s[46:47]
	s_xor_b64 s[28:29], exec, s[28:29]
	s_cbranch_execz .LBB18_266
; %bb.252:                              ;   in Loop: Header=BB18_228 Depth=2
	s_and_saveexec_b64 s[40:41], s[12:13]
	s_cbranch_execz .LBB18_265
; %bb.253:                              ;   in Loop: Header=BB18_228 Depth=2
	s_mov_b64 s[92:93], exec
	v_mbcnt_lo_u32_b32 v2, s92, 0
	v_mbcnt_hi_u32_b32 v2, s93, v2
	v_cmp_eq_u32_e32 vcc, 0, v2
	s_waitcnt lgkmcnt(0)
	s_and_saveexec_b64 s[90:91], vcc
	s_cbranch_execz .LBB18_255
; %bb.254:                              ;   in Loop: Header=BB18_228 Depth=2
	s_bcnt1_i32_b64 s42, s[92:93]
	v_mov_b32_e32 v2, s42
	ds_add_u64 v0, v[2:3]
	s_trap 2
.LBB18_255:                             ;   in Loop: Header=BB18_228 Depth=2
	s_or_b64 exec, exec, s[90:91]
	s_trap 2
	ds_read_b64 v[4:5], v0
	s_waitcnt lgkmcnt(0)
	v_lshl_add_u64 v[70:71], v[70:71], 0, v[84:85]
	v_cmp_lt_u64_e32 vcc, v[4:5], v[70:71]
	s_and_saveexec_b64 s[90:91], vcc
	s_cbranch_execz .LBB18_264
; %bb.256:                              ;   in Loop: Header=BB18_228 Depth=2
	s_mov_b32 s42, 0
	s_mov_b64 s[92:93], 0
                                        ; implicit-def: $sgpr94_sgpr95
                                        ; implicit-def: $sgpr30_sgpr31
	s_branch .LBB18_258
.LBB18_257:                             ;   in Loop: Header=BB18_258 Depth=3
	s_or_b64 exec, exec, s[36:37]
	s_and_b64 vcc, exec, vcc
	s_or_b64 s[92:93], vcc, s[92:93]
	s_andn2_b64 s[94:95], s[94:95], exec
	s_and_b64 vcc, s[30:31], exec
	s_or_b64 s[94:95], s[94:95], vcc
	s_andn2_b64 exec, exec, s[92:93]
	s_cbranch_execz .LBB18_262
.LBB18_258:                             ;   Parent Loop BB18_47 Depth=1
                                        ;     Parent Loop BB18_228 Depth=2
                                        ; =>    This Inner Loop Header: Depth=3
	s_add_i32 s42, s42, 1
	s_cmpk_lg_i32 s42, 0x2710
	s_cselect_b64 s[34:35], -1, 0
	s_and_b64 vcc, exec, s[34:35]
	s_cbranch_vccz .LBB18_260
; %bb.259:                              ;   in Loop: Header=BB18_258 Depth=3
	s_mov_b64 vcc, -1
	s_or_b64 s[30:31], s[30:31], exec
	s_and_saveexec_b64 s[36:37], s[34:35]
	s_cbranch_execz .LBB18_257
	s_branch .LBB18_261
.LBB18_260:                             ;   in Loop: Header=BB18_258 Depth=3
	s_trap 2
	ds_read_b64 v[4:5], v0
	s_andn2_b64 s[34:35], s[34:35], exec
	s_mov_b32 s42, 0
	s_waitcnt vmcnt(0) lgkmcnt(0)
	flat_load_dword v2, v[4:5] sc0 sc1
	s_waitcnt vmcnt(0) lgkmcnt(0)
	buffer_inv sc0 sc1
	v_cmp_eq_u32_e32 vcc, 0, v2
	s_and_b64 vcc, vcc, exec
	s_or_b64 s[34:35], s[34:35], vcc
	s_mov_b64 vcc, -1
	s_or_b64 s[30:31], s[30:31], exec
	s_and_saveexec_b64 s[36:37], s[34:35]
	s_cbranch_execz .LBB18_257
.LBB18_261:                             ;   in Loop: Header=BB18_258 Depth=3
	s_sleep 1
	s_trap 2
	ds_read_b64 v[4:5], v0
	s_waitcnt lgkmcnt(0)
	s_andn2_b64 s[30:31], s[30:31], exec
	v_cmp_ge_u64_e32 vcc, v[4:5], v[70:71]
	s_orn2_b64 vcc, vcc, exec
	s_branch .LBB18_257
.LBB18_262:                             ;   in Loop: Header=BB18_228 Depth=2
	s_or_b64 exec, exec, s[92:93]
	s_and_saveexec_b64 s[42:43], s[94:95]
	s_xor_b64 s[42:43], exec, s[42:43]
	s_cbranch_execz .LBB18_264
; %bb.263:                              ;   in Loop: Header=BB18_228 Depth=2
	ds_write_b32 v0, v111
	s_trap 2
.LBB18_264:                             ;   in Loop: Header=BB18_228 Depth=2
	s_or_b64 exec, exec, s[90:91]
	;;#ASMSTART
	s_wakeup
	;;#ASMEND
.LBB18_265:                             ;   in Loop: Header=BB18_228 Depth=2
	s_or_b64 exec, exec, s[40:41]
.LBB18_266:                             ;   in Loop: Header=BB18_228 Depth=2
	s_andn2_saveexec_b64 s[28:29], s[28:29]
	s_cbranch_execz .LBB18_268
; %bb.267:                              ;   in Loop: Header=BB18_228 Depth=2
	s_waitcnt lgkmcnt(0)
	s_barrier
.LBB18_268:                             ;   in Loop: Header=BB18_228 Depth=2
	s_or_b64 exec, exec, s[28:29]
.LBB18_269:                             ;   in Loop: Header=BB18_228 Depth=2
	s_or_b64 exec, exec, s[22:23]
	v_and_b32_e32 v8, 16, v106
	s_and_saveexec_b64 s[22:23], s[20:21]
	s_xor_b64 s[22:23], exec, s[22:23]
	s_cbranch_execz .LBB18_274
; %bb.270:                              ;   in Loop: Header=BB18_228 Depth=2
	s_trap 2
	ds_read_b32 v2, v0
	v_cmp_lt_i32_e32 vcc, 0, v62
	v_and_b32_e32 v4, 16, v106
	v_and_b32_e32 v8, 16, v106
	s_waitcnt lgkmcnt(0)
	v_readfirstlane_b32 s28, v2
	s_cmp_eq_u32 s28, 0
	s_cselect_b64 s[28:29], -1, 0
	s_and_b64 s[28:29], vcc, s[28:29]
	v_cmp_ne_u32_e32 vcc, 0, v4
	s_and_b64 s[40:41], vcc, s[28:29]
	s_and_saveexec_b64 s[28:29], s[40:41]
	s_cbranch_execz .LBB18_272
; %bb.271:                              ;   in Loop: Header=BB18_228 Depth=2
	v_mov_b32_e32 v8, 1
	buffer_wbl2 sc1
	s_waitcnt vmcnt(0)
	buffer_inv sc1
.LBB18_272:                             ;   in Loop: Header=BB18_228 Depth=2
	s_or_b64 exec, exec, s[28:29]
	s_andn2_saveexec_b64 s[22:23], s[22:23]
	s_cbranch_execnz .LBB18_275
.LBB18_273:                             ;   in Loop: Header=BB18_228 Depth=2
	s_or_b64 exec, exec, s[22:23]
	v_cmp_ne_u32_e32 vcc, 0, v8
	s_and_saveexec_b64 s[22:23], vcc
	s_cbranch_execz .LBB18_227
	s_branch .LBB18_293
.LBB18_274:                             ;   in Loop: Header=BB18_228 Depth=2
	s_andn2_saveexec_b64 s[22:23], s[22:23]
	s_cbranch_execz .LBB18_273
.LBB18_275:                             ;   in Loop: Header=BB18_228 Depth=2
	s_and_saveexec_b64 s[28:29], s[46:47]
	s_xor_b64 s[28:29], exec, s[28:29]
	s_cbranch_execz .LBB18_290
; %bb.276:                              ;   in Loop: Header=BB18_228 Depth=2
	s_and_saveexec_b64 s[40:41], s[12:13]
	s_cbranch_execz .LBB18_289
; %bb.277:                              ;   in Loop: Header=BB18_228 Depth=2
	s_mov_b64 s[92:93], exec
	v_mbcnt_lo_u32_b32 v2, s92, 0
	v_mbcnt_hi_u32_b32 v2, s93, v2
	v_cmp_eq_u32_e32 vcc, 0, v2
	;;#ASMSTART
	s_waitcnt lgkmcnt(0) vmcnt(0)
	;;#ASMEND
	s_and_saveexec_b64 s[90:91], vcc
	s_cbranch_execz .LBB18_279
; %bb.278:                              ;   in Loop: Header=BB18_228 Depth=2
	s_bcnt1_i32_b64 s42, s[92:93]
	v_mov_b32_e32 v2, s42
	s_waitcnt lgkmcnt(0)
	ds_add_u64 v0, v[2:3]
	s_trap 2
.LBB18_279:                             ;   in Loop: Header=BB18_228 Depth=2
	s_or_b64 exec, exec, s[90:91]
	s_trap 2
	ds_read_b64 v[4:5], v0
	s_waitcnt lgkmcnt(0)
	v_lshl_add_u64 v[70:71], v[70:71], 0, v[84:85]
	v_cmp_lt_u64_e32 vcc, v[4:5], v[70:71]
	s_and_saveexec_b64 s[90:91], vcc
	s_cbranch_execz .LBB18_288
; %bb.280:                              ;   in Loop: Header=BB18_228 Depth=2
	s_mov_b32 s42, 0
	s_mov_b64 s[92:93], 0
                                        ; implicit-def: $sgpr94_sgpr95
                                        ; implicit-def: $sgpr30_sgpr31
	s_branch .LBB18_282
.LBB18_281:                             ;   in Loop: Header=BB18_282 Depth=3
	s_or_b64 exec, exec, s[36:37]
	s_and_b64 vcc, exec, vcc
	s_or_b64 s[92:93], vcc, s[92:93]
	s_andn2_b64 s[94:95], s[94:95], exec
	s_and_b64 vcc, s[30:31], exec
	s_or_b64 s[94:95], s[94:95], vcc
	s_andn2_b64 exec, exec, s[92:93]
	s_cbranch_execz .LBB18_286
.LBB18_282:                             ;   Parent Loop BB18_47 Depth=1
                                        ;     Parent Loop BB18_228 Depth=2
                                        ; =>    This Inner Loop Header: Depth=3
	s_add_i32 s42, s42, 1
	s_cmpk_lg_i32 s42, 0x2710
	s_cselect_b64 s[34:35], -1, 0
	s_and_b64 vcc, exec, s[34:35]
	s_cbranch_vccz .LBB18_284
; %bb.283:                              ;   in Loop: Header=BB18_282 Depth=3
	s_mov_b64 vcc, -1
	s_or_b64 s[30:31], s[30:31], exec
	s_and_saveexec_b64 s[36:37], s[34:35]
	s_cbranch_execz .LBB18_281
	s_branch .LBB18_285
.LBB18_284:                             ;   in Loop: Header=BB18_282 Depth=3
	s_trap 2
	ds_read_b64 v[4:5], v0
	s_andn2_b64 s[34:35], s[34:35], exec
	s_mov_b32 s42, 0
	s_waitcnt vmcnt(0) lgkmcnt(0)
	flat_load_dword v2, v[4:5] sc0 sc1
	s_waitcnt vmcnt(0) lgkmcnt(0)
	buffer_inv sc0 sc1
	v_cmp_eq_u32_e32 vcc, 0, v2
	s_and_b64 vcc, vcc, exec
	s_or_b64 s[34:35], s[34:35], vcc
	s_mov_b64 vcc, -1
	s_or_b64 s[30:31], s[30:31], exec
	s_and_saveexec_b64 s[36:37], s[34:35]
	s_cbranch_execz .LBB18_281
.LBB18_285:                             ;   in Loop: Header=BB18_282 Depth=3
	s_sleep 1
	s_trap 2
	ds_read_b64 v[4:5], v0
	s_waitcnt lgkmcnt(0)
	s_andn2_b64 s[30:31], s[30:31], exec
	v_cmp_ge_u64_e32 vcc, v[4:5], v[70:71]
	s_orn2_b64 vcc, vcc, exec
	s_branch .LBB18_281
.LBB18_286:                             ;   in Loop: Header=BB18_228 Depth=2
	s_or_b64 exec, exec, s[92:93]
	s_and_saveexec_b64 s[42:43], s[94:95]
	s_xor_b64 s[42:43], exec, s[42:43]
	s_cbranch_execz .LBB18_288
; %bb.287:                              ;   in Loop: Header=BB18_228 Depth=2
	ds_write_b32 v0, v111
	s_trap 2
.LBB18_288:                             ;   in Loop: Header=BB18_228 Depth=2
	s_or_b64 exec, exec, s[90:91]
	;;#ASMSTART
	s_wakeup
	;;#ASMEND
.LBB18_289:                             ;   in Loop: Header=BB18_228 Depth=2
	s_or_b64 exec, exec, s[40:41]
.LBB18_290:                             ;   in Loop: Header=BB18_228 Depth=2
	s_andn2_saveexec_b64 s[28:29], s[28:29]
	s_cbranch_execz .LBB18_292
; %bb.291:                              ;   in Loop: Header=BB18_228 Depth=2
	;;#ASMSTART
	s_waitcnt lgkmcnt(0) vmcnt(0)
	;;#ASMEND
	s_barrier
.LBB18_292:                             ;   in Loop: Header=BB18_228 Depth=2
	s_or_b64 exec, exec, s[28:29]
	s_or_b64 exec, exec, s[22:23]
	v_cmp_ne_u32_e32 vcc, 0, v8
	s_and_saveexec_b64 s[22:23], vcc
	s_cbranch_execz .LBB18_227
.LBB18_293:                             ;   in Loop: Header=BB18_228 Depth=2
	s_and_saveexec_b64 s[28:29], s[10:11]
	s_cbranch_execz .LBB18_226
; %bb.294:                              ;   in Loop: Header=BB18_228 Depth=2
	flat_store_dword v[68:69], v111 sc0 sc1
	s_branch .LBB18_226
.LBB18_295:                             ;   in Loop: Header=BB18_47 Depth=1
	s_or_b64 exec, exec, s[26:27]
.LBB18_296:                             ;   in Loop: Header=BB18_47 Depth=1
	s_or_b64 exec, exec, s[24:25]
	v_cndmask_b32_e64 v2, 0, 1, s[76:77]
	v_cmp_ne_u32_e64 s[22:23], 1, v2
	s_andn2_b64 vcc, exec, s[76:77]
	s_cbranch_vccnz .LBB18_952
; %bb.297:                              ;   in Loop: Header=BB18_47 Depth=1
	s_mov_b32 s45, 2
	s_branch .LBB18_300
.LBB18_298:                             ;   in Loop: Header=BB18_300 Depth=2
	s_or_b64 exec, exec, s[28:29]
.LBB18_299:                             ;   in Loop: Header=BB18_300 Depth=2
	s_or_b64 exec, exec, s[26:27]
	s_add_i32 s45, s45, 1
	s_cmp_eq_u32 s45, s64
	s_cbranch_scc1 .LBB18_952
.LBB18_300:                             ;   Parent Loop BB18_47 Depth=1
                                        ; =>  This Loop Header: Depth=2
                                        ;       Child Loop BB18_303 Depth 3
                                        ;         Child Loop BB18_311 Depth 4
                                        ;         Child Loop BB18_339 Depth 4
                                        ;         Child Loop BB18_358 Depth 4
                                        ;         Child Loop BB18_387 Depth 4
                                        ;         Child Loop BB18_591 Depth 4
                                        ;           Child Loop BB18_592 Depth 5
                                        ;           Child Loop BB18_629 Depth 5
                                        ;         Child Loop BB18_706 Depth 4
                                        ;         Child Loop BB18_813 Depth 4
                                        ;           Child Loop BB18_814 Depth 5
                                        ;           Child Loop BB18_823 Depth 5
                                        ;         Child Loop BB18_842 Depth 4
                                        ;         Child Loop BB18_861 Depth 4
                                        ;       Child Loop BB18_880 Depth 3
                                        ;         Child Loop BB18_886 Depth 4
                                        ;         Child Loop BB18_914 Depth 4
	;; [unrolled: 1-line block ×3, first 2 shown]
	s_sub_i32 s24, s66, s45
	s_cmp_ge_i32 s24, s64
	s_cselect_b32 s25, s64, 0
	s_sub_i32 s24, s24, s25
	s_ashr_i32 s25, s24, 31
	v_mul_lo_u32 v2, v46, s25
	v_mul_lo_u32 v4, v47, s24
	v_mad_u64_u32 v[74:75], s[24:25], v46, s24, 0
	v_add3_u32 v75, v75, v2, v4
	scratch_load_dwordx2 v[4:5], off, s33 offset:256 ; 8-byte Folded Reload
	v_mov_b32_e32 v72, 0
	s_waitcnt vmcnt(0)
	v_sub_co_u32_e32 v4, vcc, v4, v74
	s_nop 1
	v_subb_co_u32_e32 v5, vcc, v5, v75, vcc
	v_cmp_lt_i64_e32 vcc, v[46:47], v[4:5]
	s_nop 1
	v_cndmask_b32_e32 v2, v4, v46, vcc
	v_max_i32_e32 v53, 0, v2
	v_add_u32_e32 v4, 31, v53
	v_ashrrev_i32_e32 v5, 31, v4
	v_lshrrev_b32_e32 v5, 27, v5
	v_add_u32_e32 v4, v4, v5
	v_ashrrev_i32_e32 v4, 5, v4
	v_lshlrev_b32_e32 v4, 4, v4
	v_cmp_lt_i32_e32 vcc, 0, v2
	v_max_i32_e32 v62, s69, v4
	s_and_b64 s[24:25], s[88:89], vcc
	v_mov_b32_e32 v2, 0
	s_and_saveexec_b64 s[90:91], s[24:25]
	s_cbranch_execz .LBB18_877
; %bb.301:                              ;   in Loop: Header=BB18_300 Depth=2
	s_mov_b32 s42, 1
	s_mov_b64 s[94:95], -1
	v_mov_b32_e32 v72, 0
	s_mov_b64 s[92:93], 0
	s_branch .LBB18_303
.LBB18_302:                             ;   in Loop: Header=BB18_303 Depth=3
	s_or_b64 exec, exec, s[24:25]
	v_add_u32_e32 v72, v62, v72
	v_cmp_ge_i32_e32 vcc, v72, v53
	s_xor_b64 s[24:25], s[94:95], -1
	s_or_b64 s[24:25], s[24:25], vcc
	s_and_b64 s[24:25], exec, s[24:25]
	s_or_b64 s[92:93], s[24:25], s[92:93]
	s_mov_b64 s[94:95], 0
	v_mov_b32_e32 v2, s42
	s_mov_b32 s42, 2
	s_andn2_b64 exec, exec, s[92:93]
	s_cbranch_execz .LBB18_876
.LBB18_303:                             ;   Parent Loop BB18_47 Depth=1
                                        ;     Parent Loop BB18_300 Depth=2
                                        ; =>    This Loop Header: Depth=3
                                        ;         Child Loop BB18_311 Depth 4
                                        ;         Child Loop BB18_339 Depth 4
	;; [unrolled: 1-line block ×5, first 2 shown]
                                        ;           Child Loop BB18_592 Depth 5
                                        ;           Child Loop BB18_629 Depth 5
                                        ;         Child Loop BB18_706 Depth 4
                                        ;         Child Loop BB18_813 Depth 4
                                        ;           Child Loop BB18_814 Depth 5
                                        ;           Child Loop BB18_823 Depth 5
                                        ;         Child Loop BB18_842 Depth 4
                                        ;         Child Loop BB18_861 Depth 4
	s_and_saveexec_b64 s[24:25], s[0:1]
	s_cbranch_execz .LBB18_305
; %bb.304:                              ;   in Loop: Header=BB18_303 Depth=3
	s_trap 2
	ds_read_b64 v[4:5], v0
	v_ashrrev_i32_e32 v73, 31, v72
	s_waitcnt lgkmcnt(0)
	v_lshl_add_u64 v[4:5], v[60:61], 1, v[4:5]
	v_lshl_add_u64 v[4:5], v[74:75], 1, v[4:5]
	;; [unrolled: 1-line block ×3, first 2 shown]
	ds_write_b64 v0, v[4:5]
	ds_write_b64 v0, v[98:99]
.LBB18_305:                             ;   in Loop: Header=BB18_303 Depth=3
	s_or_b64 exec, exec, s[24:25]
	v_sub_u32_e32 v2, v53, v72
	v_min_i32_e32 v62, v62, v2
	v_and_b32_e32 v2, 12, v106
	v_cmp_ne_u32_e32 vcc, 0, v2
	s_and_saveexec_b64 s[26:27], vcc
	s_cbranch_execz .LBB18_331
; %bb.306:                              ;   in Loop: Header=BB18_303 Depth=3
	v_and_b32_e32 v2, 8, v106
	s_waitcnt vmcnt(0) lgkmcnt(0)
	v_lshl_add_u64 v[4:5], v[80:81], 0, v[2:3]
	v_lshl_add_u64 v[8:9], v[56:57], 0, 2
	v_cmp_lt_u64_e32 vcc, v[4:5], v[8:9]
	s_and_saveexec_b64 s[28:29], vcc
	s_cbranch_execz .LBB18_318
; %bb.307:                              ;   in Loop: Header=BB18_303 Depth=3
	v_and_b32_e32 v4, 64, v106
	s_mov_b32 s43, 0
	v_cmp_eq_u32_e32 vcc, 0, v4
	s_mov_b64 s[40:41], 0
                                        ; implicit-def: $sgpr30_sgpr31
                                        ; implicit-def: $sgpr34_sgpr35
                                        ; implicit-def: $sgpr36_sgpr37
	s_branch .LBB18_311
.LBB18_308:                             ;   in Loop: Header=BB18_311 Depth=4
	s_waitcnt vmcnt(0) lgkmcnt(0)
	v_lshl_add_u64 v[10:11], v[80:81], 0, v[2:3]
	v_cmp_ge_u64_e64 s[24:25], v[10:11], v[8:9]
	s_or_b64 s[50:51], s[50:51], exec
	s_orn2_b64 s[48:49], s[24:25], exec
.LBB18_309:                             ;   in Loop: Header=BB18_311 Depth=4
	s_or_b64 exec, exec, s[54:55]
	s_andn2_b64 s[24:25], s[36:37], exec
	s_and_b64 s[36:37], s[50:51], exec
	s_or_b64 s[36:37], s[24:25], s[36:37]
	s_andn2_b64 s[24:25], s[34:35], exec
	s_and_b64 s[34:35], s[48:49], exec
	s_or_b64 s[34:35], s[24:25], s[34:35]
.LBB18_310:                             ;   in Loop: Header=BB18_311 Depth=4
	s_or_b64 exec, exec, s[38:39]
	s_and_b64 s[24:25], exec, s[34:35]
	s_or_b64 s[40:41], s[24:25], s[40:41]
	s_andn2_b64 s[24:25], s[30:31], exec
	s_and_b64 s[30:31], s[36:37], exec
	s_or_b64 s[30:31], s[24:25], s[30:31]
	s_andn2_b64 exec, exec, s[40:41]
	s_cbranch_execz .LBB18_315
.LBB18_311:                             ;   Parent Loop BB18_47 Depth=1
                                        ;     Parent Loop BB18_300 Depth=2
                                        ;       Parent Loop BB18_303 Depth=3
                                        ; =>      This Inner Loop Header: Depth=4
	s_sleep 1
	s_waitcnt vmcnt(0) lgkmcnt(0)
	flat_load_dwordx2 v[80:81], v[64:65] sc0 sc1
	s_or_b64 s[36:37], s[36:37], exec
	s_or_b64 s[34:35], s[34:35], exec
                                        ; implicit-def: $vgpr4
	s_and_saveexec_b64 s[38:39], vcc
	s_cbranch_execz .LBB18_310
; %bb.312:                              ;   in Loop: Header=BB18_311 Depth=4
	s_cmpk_lt_i32 s43, 0x270f
	s_cselect_b64 s[52:53], -1, 0
	s_cmpk_gt_i32 s43, 0x270e
	s_mov_b64 s[48:49], -1
	s_cbranch_scc0 .LBB18_314
; %bb.313:                              ;   in Loop: Header=BB18_311 Depth=4
	s_trap 2
	ds_read_b64 v[4:5], v0
	s_andn2_b64 s[52:53], s[52:53], exec
	s_mov_b32 s43, 0
	s_mov_b64 s[50:51], 0
	s_waitcnt vmcnt(0) lgkmcnt(0)
	flat_load_dword v4, v[4:5] sc0 sc1
	s_waitcnt vmcnt(0) lgkmcnt(0)
	buffer_inv sc0 sc1
	v_cmp_eq_u32_e64 s[24:25], 0, v4
	s_and_b64 s[24:25], s[24:25], exec
	s_or_b64 s[52:53], s[52:53], s[24:25]
	s_and_saveexec_b64 s[54:55], s[52:53]
	s_cbranch_execz .LBB18_309
	s_branch .LBB18_308
.LBB18_314:                             ;   in Loop: Header=BB18_311 Depth=4
	s_add_i32 s43, s43, 1
	s_mov_b64 s[50:51], -1
                                        ; implicit-def: $vgpr4
	s_and_saveexec_b64 s[54:55], s[52:53]
	s_cbranch_execz .LBB18_309
	s_branch .LBB18_308
.LBB18_315:                             ;   in Loop: Header=BB18_303 Depth=3
	s_or_b64 exec, exec, s[40:41]
	s_xor_b64 s[24:25], s[30:31], -1
	s_and_saveexec_b64 s[40:41], s[24:25]
	s_xor_b64 s[24:25], exec, s[40:41]
	s_cbranch_execz .LBB18_317
; %bb.316:                              ;   in Loop: Header=BB18_303 Depth=3
	v_or_b32_e32 v106, 64, v106
	s_waitcnt lgkmcnt(0)
	ds_write_b32 v0, v4
	s_trap 2
.LBB18_317:                             ;   in Loop: Header=BB18_303 Depth=3
	s_or_b64 exec, exec, s[24:25]
.LBB18_318:                             ;   in Loop: Header=BB18_303 Depth=3
	s_or_b64 exec, exec, s[28:29]
	v_and_b32_e32 v4, 0x108, v106
	v_cmp_ne_u32_e32 vcc, s87, v4
	;;#ASMSTART
	s_wakeup
	;;#ASMEND
                                        ; implicit-def: $vgpr10_vgpr11
	s_and_saveexec_b64 s[24:25], vcc
	s_xor_b64 s[24:25], exec, s[24:25]
; %bb.319:                              ;   in Loop: Header=BB18_303 Depth=3
	v_and_b32_e32 v10, 7, v56
	v_mov_b32_e32 v11, v3
                                        ; implicit-def: $vgpr56_vgpr57
; %bb.320:                              ;   in Loop: Header=BB18_303 Depth=3
	s_andn2_saveexec_b64 s[24:25], s[24:25]
	s_cbranch_execz .LBB18_322
; %bb.321:                              ;   in Loop: Header=BB18_303 Depth=3
	v_and_b32_e32 v10, 7, v56
	v_ashrrev_i32_e32 v63, 31, v62
	v_mov_b32_e32 v11, v3
	v_mad_u64_u32 v[4:5], s[28:29], v10, 24, v[6:7]
	v_lshlrev_b64 v[12:13], 1, v[62:63]
	flat_store_dwordx2 v[4:5], v[12:13] offset:8
.LBB18_322:                             ;   in Loop: Header=BB18_303 Depth=3
	s_or_b64 exec, exec, s[24:25]
	v_and_b32_e32 v4, 0x100, v106
	v_cmp_ne_u32_e32 vcc, 0, v4
	s_mov_b64 s[24:25], -1
                                        ; implicit-def: $vgpr12_vgpr13
	s_and_saveexec_b64 s[28:29], vcc
	s_cbranch_execz .LBB18_326
; %bb.323:                              ;   in Loop: Header=BB18_303 Depth=3
	v_mad_u64_u32 v[14:15], s[24:25], v10, 24, v[6:7]
	v_mov_b32_e32 v4, v15
	v_mad_u64_u32 v[4:5], s[24:25], v11, 24, v[4:5]
	v_mov_b32_e32 v15, v4
	flat_load_dword v4, v[14:15]
                                        ; implicit-def: $vgpr12_vgpr13
	s_waitcnt vmcnt(0) lgkmcnt(0)
	v_cmp_ne_u32_e32 vcc, 1, v4
	v_cmp_eq_u32_e64 s[24:25], 1, v4
	s_and_saveexec_b64 s[40:41], s[24:25]
	s_cbranch_execz .LBB18_325
; %bb.324:                              ;   in Loop: Header=BB18_303 Depth=3
	flat_load_dword v4, v[14:15] offset:4 sc0 sc1
	s_waitcnt vmcnt(0) lgkmcnt(0)
	v_ashrrev_i32_e32 v5, 31, v4
	v_lshrrev_b64 v[12:13], 1, v[4:5]
.LBB18_325:                             ;   in Loop: Header=BB18_303 Depth=3
	s_or_b64 exec, exec, s[40:41]
	s_orn2_b64 s[24:25], vcc, exec
.LBB18_326:                             ;   in Loop: Header=BB18_303 Depth=3
	s_or_b64 exec, exec, s[28:29]
	s_and_saveexec_b64 s[28:29], s[24:25]
; %bb.327:                              ;   in Loop: Header=BB18_303 Depth=3
	v_mul_lo_u32 v4, v11, v30
	v_mul_lo_u32 v5, v10, v83
	v_mad_u64_u32 v[12:13], s[24:25], v10, v30, 0
	v_add3_u32 v13, v13, v5, v4
; %bb.328:                              ;   in Loop: Header=BB18_303 Depth=3
	s_or_b64 exec, exec, s[28:29]
	v_cmp_eq_u32_e32 vcc, 0, v2
	v_lshl_add_u64 v[4:5], v[12:13], 1, v[66:67]
	s_nop 0
	v_cndmask_b32_e32 v2, v120, v121, vcc
	v_add_u32_e32 v2, v0, v2
	ds_write_b64 v2, v[4:5] offset:584
	v_and_b32_e32 v2, 0x2000, v106
	v_cmp_ne_u32_e32 vcc, 0, v2
	s_and_saveexec_b64 s[24:25], vcc
	s_cbranch_execz .LBB18_330
; %bb.329:                              ;   in Loop: Header=BB18_303 Depth=3
	ds_read_b64 v[4:5], v0 offset:872
	s_waitcnt lgkmcnt(0)
	v_lshl_add_u64 v[4:5], v[4:5], 0, 1
	ds_write_b64 v0, v[4:5] offset:872
.LBB18_330:                             ;   in Loop: Header=BB18_303 Depth=3
	s_or_b64 exec, exec, s[24:25]
	v_mov_b64_e32 v[56:57], v[8:9]
.LBB18_331:                             ;   in Loop: Header=BB18_303 Depth=3
	s_or_b64 exec, exec, s[26:27]
	s_and_saveexec_b64 s[24:25], s[4:5]
	s_cbranch_execz .LBB18_350
; %bb.332:                              ;   in Loop: Header=BB18_303 Depth=3
	s_and_saveexec_b64 s[26:27], s[46:47]
	s_xor_b64 s[26:27], exec, s[26:27]
	s_cbranch_execz .LBB18_347
; %bb.333:                              ;   in Loop: Header=BB18_303 Depth=3
	s_and_saveexec_b64 s[28:29], s[12:13]
	s_cbranch_execz .LBB18_346
; %bb.334:                              ;   in Loop: Header=BB18_303 Depth=3
	s_mov_b64 s[30:31], exec
	v_mbcnt_lo_u32_b32 v2, s30, 0
	v_mbcnt_hi_u32_b32 v2, s31, v2
	v_cmp_eq_u32_e32 vcc, 0, v2
	s_waitcnt lgkmcnt(0)
	s_and_saveexec_b64 s[40:41], vcc
	s_cbranch_execz .LBB18_336
; %bb.335:                              ;   in Loop: Header=BB18_303 Depth=3
	s_bcnt1_i32_b64 s43, s[30:31]
	v_mov_b32_e32 v2, s43
	ds_add_u64 v0, v[2:3]
	s_trap 2
.LBB18_336:                             ;   in Loop: Header=BB18_303 Depth=3
	s_or_b64 exec, exec, s[40:41]
	s_trap 2
	ds_read_b64 v[4:5], v0
	s_waitcnt lgkmcnt(0)
	v_lshl_add_u64 v[70:71], v[70:71], 0, v[84:85]
	v_cmp_lt_u64_e32 vcc, v[4:5], v[70:71]
	s_and_saveexec_b64 s[40:41], vcc
	s_cbranch_execz .LBB18_345
; %bb.337:                              ;   in Loop: Header=BB18_303 Depth=3
	s_mov_b32 s43, 0
	s_mov_b64 s[30:31], 0
                                        ; implicit-def: $sgpr34_sgpr35
                                        ; implicit-def: $sgpr36_sgpr37
	s_branch .LBB18_339
.LBB18_338:                             ;   in Loop: Header=BB18_339 Depth=4
	s_or_b64 exec, exec, s[48:49]
	s_and_b64 vcc, exec, vcc
	s_or_b64 s[30:31], vcc, s[30:31]
	s_andn2_b64 vcc, s[34:35], exec
	s_and_b64 s[34:35], s[36:37], exec
	s_or_b64 s[34:35], vcc, s[34:35]
	s_andn2_b64 exec, exec, s[30:31]
	s_cbranch_execz .LBB18_343
.LBB18_339:                             ;   Parent Loop BB18_47 Depth=1
                                        ;     Parent Loop BB18_300 Depth=2
                                        ;       Parent Loop BB18_303 Depth=3
                                        ; =>      This Inner Loop Header: Depth=4
	s_add_i32 s43, s43, 1
	s_cmpk_lg_i32 s43, 0x2710
	s_cselect_b64 s[38:39], -1, 0
	s_and_b64 vcc, exec, s[38:39]
	s_cbranch_vccz .LBB18_341
; %bb.340:                              ;   in Loop: Header=BB18_339 Depth=4
	s_mov_b64 vcc, -1
	s_or_b64 s[36:37], s[36:37], exec
	s_and_saveexec_b64 s[48:49], s[38:39]
	s_cbranch_execz .LBB18_338
	s_branch .LBB18_342
.LBB18_341:                             ;   in Loop: Header=BB18_339 Depth=4
	s_trap 2
	ds_read_b64 v[4:5], v0
	s_andn2_b64 s[38:39], s[38:39], exec
	s_mov_b32 s43, 0
	s_waitcnt vmcnt(0) lgkmcnt(0)
	flat_load_dword v2, v[4:5] sc0 sc1
	s_waitcnt vmcnt(0) lgkmcnt(0)
	buffer_inv sc0 sc1
	v_cmp_eq_u32_e32 vcc, 0, v2
	s_and_b64 vcc, vcc, exec
	s_or_b64 s[38:39], s[38:39], vcc
	s_mov_b64 vcc, -1
	s_or_b64 s[36:37], s[36:37], exec
	s_and_saveexec_b64 s[48:49], s[38:39]
	s_cbranch_execz .LBB18_338
.LBB18_342:                             ;   in Loop: Header=BB18_339 Depth=4
	s_sleep 1
	s_trap 2
	ds_read_b64 v[4:5], v0
	s_waitcnt lgkmcnt(0)
	s_andn2_b64 s[36:37], s[36:37], exec
	v_cmp_ge_u64_e32 vcc, v[4:5], v[70:71]
	s_orn2_b64 vcc, vcc, exec
	s_branch .LBB18_338
.LBB18_343:                             ;   in Loop: Header=BB18_303 Depth=3
	s_or_b64 exec, exec, s[30:31]
	s_and_saveexec_b64 vcc, s[34:35]
	s_xor_b64 vcc, exec, vcc
	s_cbranch_execz .LBB18_345
; %bb.344:                              ;   in Loop: Header=BB18_303 Depth=3
	ds_write_b32 v0, v111
	s_trap 2
.LBB18_345:                             ;   in Loop: Header=BB18_303 Depth=3
	s_or_b64 exec, exec, s[40:41]
	;;#ASMSTART
	s_wakeup
	;;#ASMEND
.LBB18_346:                             ;   in Loop: Header=BB18_303 Depth=3
	s_or_b64 exec, exec, s[28:29]
.LBB18_347:                             ;   in Loop: Header=BB18_303 Depth=3
	s_andn2_saveexec_b64 s[26:27], s[26:27]
	s_cbranch_execz .LBB18_349
; %bb.348:                              ;   in Loop: Header=BB18_303 Depth=3
	s_waitcnt lgkmcnt(0)
	s_barrier
.LBB18_349:                             ;   in Loop: Header=BB18_303 Depth=3
	s_or_b64 exec, exec, s[26:27]
.LBB18_350:                             ;   in Loop: Header=BB18_303 Depth=3
	s_or_b64 exec, exec, s[24:25]
	s_trap 2
	ds_read_b32 v8, v0
	v_and_b32_e32 v2, 0x4000, v106
	v_cmp_ne_u32_e32 vcc, 0, v2
	s_xor_b64 s[24:25], s[2:3], -1
	s_and_b64 s[26:27], s[24:25], vcc
	s_and_saveexec_b64 s[24:25], s[26:27]
	s_cbranch_execz .LBB18_369
; %bb.351:                              ;   in Loop: Header=BB18_303 Depth=3
	s_and_saveexec_b64 s[26:27], s[46:47]
	s_xor_b64 s[26:27], exec, s[26:27]
	s_cbranch_execz .LBB18_366
; %bb.352:                              ;   in Loop: Header=BB18_303 Depth=3
	s_and_saveexec_b64 s[28:29], s[12:13]
	s_cbranch_execz .LBB18_365
; %bb.353:                              ;   in Loop: Header=BB18_303 Depth=3
	s_mov_b64 s[30:31], exec
	v_mbcnt_lo_u32_b32 v2, s30, 0
	v_mbcnt_hi_u32_b32 v2, s31, v2
	v_cmp_eq_u32_e32 vcc, 0, v2
	s_waitcnt lgkmcnt(0)
	s_and_saveexec_b64 s[40:41], vcc
	s_cbranch_execz .LBB18_355
; %bb.354:                              ;   in Loop: Header=BB18_303 Depth=3
	s_bcnt1_i32_b64 s43, s[30:31]
	v_mov_b32_e32 v2, s43
	ds_add_u64 v0, v[2:3]
	s_trap 2
.LBB18_355:                             ;   in Loop: Header=BB18_303 Depth=3
	s_or_b64 exec, exec, s[40:41]
	s_trap 2
	ds_read_b64 v[4:5], v0
	s_waitcnt lgkmcnt(0)
	v_lshl_add_u64 v[70:71], v[70:71], 0, v[84:85]
	v_cmp_lt_u64_e32 vcc, v[4:5], v[70:71]
	s_and_saveexec_b64 s[40:41], vcc
	s_cbranch_execz .LBB18_364
; %bb.356:                              ;   in Loop: Header=BB18_303 Depth=3
	s_mov_b32 s43, 0
	s_mov_b64 s[30:31], 0
                                        ; implicit-def: $sgpr34_sgpr35
                                        ; implicit-def: $sgpr36_sgpr37
	s_branch .LBB18_358
.LBB18_357:                             ;   in Loop: Header=BB18_358 Depth=4
	s_or_b64 exec, exec, s[48:49]
	s_and_b64 vcc, exec, vcc
	s_or_b64 s[30:31], vcc, s[30:31]
	s_andn2_b64 vcc, s[34:35], exec
	s_and_b64 s[34:35], s[36:37], exec
	s_or_b64 s[34:35], vcc, s[34:35]
	s_andn2_b64 exec, exec, s[30:31]
	s_cbranch_execz .LBB18_362
.LBB18_358:                             ;   Parent Loop BB18_47 Depth=1
                                        ;     Parent Loop BB18_300 Depth=2
                                        ;       Parent Loop BB18_303 Depth=3
                                        ; =>      This Inner Loop Header: Depth=4
	s_add_i32 s43, s43, 1
	s_cmpk_lg_i32 s43, 0x2710
	s_cselect_b64 s[38:39], -1, 0
	s_and_b64 vcc, exec, s[38:39]
	s_cbranch_vccz .LBB18_360
; %bb.359:                              ;   in Loop: Header=BB18_358 Depth=4
	s_mov_b64 vcc, -1
	s_or_b64 s[36:37], s[36:37], exec
	s_and_saveexec_b64 s[48:49], s[38:39]
	s_cbranch_execz .LBB18_357
	s_branch .LBB18_361
.LBB18_360:                             ;   in Loop: Header=BB18_358 Depth=4
	s_trap 2
	ds_read_b64 v[4:5], v0
	s_andn2_b64 s[38:39], s[38:39], exec
	s_mov_b32 s43, 0
	s_waitcnt vmcnt(0) lgkmcnt(0)
	flat_load_dword v2, v[4:5] sc0 sc1
	s_waitcnt vmcnt(0) lgkmcnt(0)
	buffer_inv sc0 sc1
	v_cmp_eq_u32_e32 vcc, 0, v2
	s_and_b64 vcc, vcc, exec
	s_or_b64 s[38:39], s[38:39], vcc
	s_mov_b64 vcc, -1
	s_or_b64 s[36:37], s[36:37], exec
	s_and_saveexec_b64 s[48:49], s[38:39]
	s_cbranch_execz .LBB18_357
.LBB18_361:                             ;   in Loop: Header=BB18_358 Depth=4
	s_sleep 1
	s_trap 2
	ds_read_b64 v[4:5], v0
	s_waitcnt lgkmcnt(0)
	s_andn2_b64 s[36:37], s[36:37], exec
	v_cmp_ge_u64_e32 vcc, v[4:5], v[70:71]
	s_orn2_b64 vcc, vcc, exec
	s_branch .LBB18_357
.LBB18_362:                             ;   in Loop: Header=BB18_303 Depth=3
	s_or_b64 exec, exec, s[30:31]
	s_and_saveexec_b64 vcc, s[34:35]
	s_xor_b64 vcc, exec, vcc
	s_cbranch_execz .LBB18_364
; %bb.363:                              ;   in Loop: Header=BB18_303 Depth=3
	ds_write_b32 v0, v111
	s_trap 2
.LBB18_364:                             ;   in Loop: Header=BB18_303 Depth=3
	s_or_b64 exec, exec, s[40:41]
	;;#ASMSTART
	s_wakeup
	;;#ASMEND
.LBB18_365:                             ;   in Loop: Header=BB18_303 Depth=3
	s_or_b64 exec, exec, s[28:29]
.LBB18_366:                             ;   in Loop: Header=BB18_303 Depth=3
	s_andn2_saveexec_b64 s[26:27], s[26:27]
	s_cbranch_execz .LBB18_368
; %bb.367:                              ;   in Loop: Header=BB18_303 Depth=3
	s_waitcnt lgkmcnt(0)
	s_barrier
.LBB18_368:                             ;   in Loop: Header=BB18_303 Depth=3
	s_or_b64 exec, exec, s[26:27]
.LBB18_369:                             ;   in Loop: Header=BB18_303 Depth=3
	s_or_b64 exec, exec, s[24:25]
	s_trap 2
	ds_read_b64 v[76:77], v0
	s_waitcnt lgkmcnt(0)
	v_cmp_eq_u64_e32 vcc, 0, v[76:77]
	s_cbranch_vccnz .LBB18_377
; %bb.370:                              ;   in Loop: Header=BB18_303 Depth=3
	s_trap 2
	ds_read_b64 v[78:79], v0
	s_waitcnt lgkmcnt(0)
	v_cmp_eq_u64_e32 vcc, 0, v[78:79]
	s_cbranch_vccnz .LBB18_377
; %bb.371:                              ;   in Loop: Header=BB18_303 Depth=3
	s_trap 2
	ds_read_b64 v[4:5], v0
	s_mov_b64 s[26:27], -1
	s_waitcnt lgkmcnt(0)
	v_readfirstlane_b32 s40, v4
	s_and_saveexec_b64 s[24:25], s[18:19]
	s_cbranch_execz .LBB18_373
; %bb.372:                              ;   in Loop: Header=BB18_303 Depth=3
	ds_read_b32 v2, v0 offset:720
	s_waitcnt lgkmcnt(0)
	v_and_b32_e32 v2, 15, v2
	v_cmp_eq_u32_e32 vcc, 0, v2
	s_orn2_b64 s[26:27], vcc, exec
.LBB18_373:                             ;   in Loop: Header=BB18_303 Depth=3
	s_or_b64 exec, exec, s[24:25]
	s_and_saveexec_b64 s[24:25], s[16:17]
	s_cbranch_execz .LBB18_375
; %bb.374:                              ;   in Loop: Header=BB18_303 Depth=3
	ds_read_b32 v2, v0 offset:784
	s_waitcnt lgkmcnt(0)
	v_and_b32_e32 v2, 15, v2
	v_cmp_eq_u32_e32 vcc, 0, v2
	s_and_b64 s[28:29], s[26:27], vcc
	s_andn2_b64 s[26:27], s[26:27], exec
	s_and_b64 s[28:29], s[28:29], exec
	s_or_b64 s[26:27], s[26:27], s[28:29]
.LBB18_375:                             ;   in Loop: Header=BB18_303 Depth=3
	s_or_b64 exec, exec, s[24:25]
	s_xor_b64 s[26:27], s[26:27], -1
	v_cndmask_b32_e64 v2, 0, 1, s[26:27]
	v_cmp_eq_u32_e64 s[24:25], 0, v8
	s_mov_b64 s[28:29], -1
	v_cmp_ne_u32_e32 vcc, 0, v2
	s_cbranch_vccz .LBB18_382
; %bb.376:                              ;   in Loop: Header=BB18_303 Depth=3
	s_and_b32 s43, s40, 1
	s_mov_b64 s[28:29], 0
	s_mov_b64 s[30:31], -1
	s_branch .LBB18_383
.LBB18_377:                             ;   in Loop: Header=BB18_303 Depth=3
	s_mov_b64 s[24:25], 0
	s_and_saveexec_b64 s[26:27], s[4:5]
	s_cbranch_execnz .LBB18_835
.LBB18_378:                             ;   in Loop: Header=BB18_303 Depth=3
	s_or_b64 exec, exec, s[26:27]
                                        ; implicit-def: $vgpr2
	s_and_saveexec_b64 s[26:27], s[20:21]
	s_xor_b64 s[26:27], exec, s[26:27]
	s_cbranch_execz .LBB18_853
.LBB18_379:                             ;   in Loop: Header=BB18_303 Depth=3
	v_and_b32_e32 v4, 16, v106
	v_cmp_ne_u32_e32 vcc, 0, v4
	v_and_b32_e32 v2, 16, v106
	s_and_b64 s[28:29], vcc, s[24:25]
	s_and_saveexec_b64 s[24:25], s[28:29]
	s_cbranch_execz .LBB18_381
; %bb.380:                              ;   in Loop: Header=BB18_303 Depth=3
	v_mov_b32_e32 v2, 1
	buffer_wbl2 sc1
	s_waitcnt vmcnt(0) lgkmcnt(0)
	buffer_inv sc1
.LBB18_381:                             ;   in Loop: Header=BB18_303 Depth=3
	s_or_b64 exec, exec, s[24:25]
	s_andn2_saveexec_b64 s[24:25], s[26:27]
	s_cbranch_execz .LBB18_872
	s_branch .LBB18_854
.LBB18_382:                             ;   in Loop: Header=BB18_303 Depth=3
	s_mov_b64 s[30:31], 0
                                        ; implicit-def: $sgpr43
.LBB18_383:                             ;   in Loop: Header=BB18_303 Depth=3
	v_cndmask_b32_e64 v2, 0, v62, s[24:25]
	v_lshlrev_b32_e32 v63, 1, v2
	s_andn2_b64 vcc, exec, s[28:29]
	v_mov_b32_e32 v14, 0
	s_cbranch_vccnz .LBB18_519
; %bb.384:                              ;   in Loop: Header=BB18_303 Depth=3
	v_ashrrev_i32_e32 v4, 31, v63
	v_lshrrev_b32_e32 v4, 21, v4
	v_add_u32_e32 v4, v63, v4
	v_ashrrev_i32_e32 v82, 11, v4
	v_sub_u32_e32 v73, v82, v108
	s_and_b32 s43, s40, 1
	v_lshl_add_u64 v[88:89], v[78:79], 0, v[102:103]
	v_cmp_lt_i32_e32 vcc, 0, v73
	s_mov_b64 s[24:25], 0
                                        ; implicit-def: $vgpr20_vgpr21
                                        ; implicit-def: $vgpr12_vgpr13
                                        ; implicit-def: $vgpr16_vgpr17
                                        ; implicit-def: $vgpr8_vgpr9
	s_and_saveexec_b64 s[26:27], vcc
	s_cbranch_execz .LBB18_521
; %bb.385:                              ;   in Loop: Header=BB18_303 Depth=3
	s_trap 2
	ds_read_b64 v[4:5], v0
	s_and_b32 s24, 0xffff, s43
	s_cmp_eq_u32 s24, 0
	v_lshl_add_u64 v[90:91], v[76:77], 0, v[102:103]
	s_mov_b64 s[34:35], 0
	s_waitcnt lgkmcnt(0)
	v_lshl_add_u64 v[92:93], v[4:5], 0, v[102:103]
	s_mov_b64 s[28:29], 0
	s_cselect_b64 vcc, -1, 0
                                        ; implicit-def: $sgpr40_sgpr41
                                        ; implicit-def: $vgpr20_vgpr21
                                        ; implicit-def: $vgpr12_vgpr13
                                        ; implicit-def: $vgpr16_vgpr17
                                        ; implicit-def: $vgpr8_vgpr9
	s_branch .LBB18_387
.LBB18_386:                             ;   in Loop: Header=BB18_387 Depth=4
	s_or_b64 exec, exec, s[36:37]
	v_lshrrev_b32_e32 v4, 16, v4
	v_and_or_b32 v96, v5, s44, v4
	v_lshrrev_b32_e32 v4, 16, v26
	v_lshrrev_b32_e32 v33, 16, v48
	v_and_or_b32 v97, v27, s44, v4
	v_lshl_add_u64 v[4:5], v[90:91], 0, v[112:113]
	v_and_or_b32 v35, v37, s44, v33
	v_lshrrev_b32_e32 v33, 16, v54
	v_lshrrev_b32_e32 v28, 16, v28
	v_cndmask_b32_e64 v90, v90, v4, s[34:35]
	v_cndmask_b32_e64 v4, 0, v84, s[34:35]
	v_and_or_b32 v34, v36, s44, v33
	v_and_or_b32 v36, v29, s44, v28
	v_lshrrev_b32_e32 v28, 16, v38
	v_sub_u32_e32 v73, v73, v4
	v_and_or_b32 v37, v39, s44, v28
	v_lshrrev_b32_e32 v28, 16, v32
	v_cmp_gt_i32_e64 s[24:25], 1, v73
	v_and_or_b32 v95, v25, s44, v28
	v_lshrrev_b32_e32 v25, 16, v49
	s_or_b64 s[28:29], s[24:25], s[28:29]
	v_and_or_b32 v94, v24, s44, v25
	v_lshl_add_u64 v[24:25], v[92:93], 0, v[112:113]
	v_cndmask_b32_e64 v27, 0, v41, s[34:35]
	v_cndmask_b32_e64 v26, v122, v40, s[34:35]
	s_andn2_b64 s[24:25], s[40:41], exec
	s_and_b64 s[40:41], s[34:35], exec
	global_store_dwordx4 v[88:89], v[34:37], off
	global_store_dwordx4 v[88:89], v[94:97], off offset:1024
	v_lshl_add_u64 v[88:89], v[88:89], 0, v[26:27]
	v_cndmask_b32_e64 v91, v91, v5, s[34:35]
	v_cndmask_b32_e64 v93, v93, v25, s[34:35]
	;; [unrolled: 1-line block ×3, first 2 shown]
	s_or_b64 s[40:41], s[24:25], s[40:41]
	s_andn2_b64 exec, exec, s[28:29]
	s_cbranch_execz .LBB18_520
.LBB18_387:                             ;   Parent Loop BB18_47 Depth=1
                                        ;     Parent Loop BB18_300 Depth=2
                                        ;       Parent Loop BB18_303 Depth=3
                                        ; =>      This Inner Loop Header: Depth=4
	global_load_dwordx4 v[36:39], v[90:91], off nt
	global_load_dwordx4 v[24:27], v[90:91], off offset:1024 nt
	global_load_dwordx4 v[48:51], v[92:93], off nt
	global_load_dwordx4 v[32:35], v[92:93], off offset:1024 nt
	s_and_saveexec_b64 s[36:37], s[34:35]
	s_cbranch_execz .LBB18_453
; %bb.388:                              ;   in Loop: Header=BB18_387 Depth=4
	v_lshlrev_b32_e32 v4, 16, v20
	v_lshlrev_b32_e32 v5, 16, v16
	v_max_f32_e32 v5, v5, v5
	v_max_f32_e32 v4, v4, v4
	v_min_f32_e32 v28, v4, v5
	v_max_f32_e32 v4, v4, v5
	v_cndmask_b32_e32 v4, v4, v28, vcc
	v_and_b32_e32 v5, 0x7f800000, v4
	v_cmp_ne_u32_e64 s[24:25], s96, v5
                                        ; implicit-def: $vgpr54
	s_and_saveexec_b64 s[34:35], s[24:25]
	s_xor_b64 s[24:25], exec, s[34:35]
; %bb.389:                              ;   in Loop: Header=BB18_387 Depth=4
	v_bfe_u32 v5, v4, 16, 1
	v_add3_u32 v54, v4, v5, s97
                                        ; implicit-def: $vgpr4
; %bb.390:                              ;   in Loop: Header=BB18_387 Depth=4
	s_andn2_saveexec_b64 s[34:35], s[24:25]
; %bb.391:                              ;   in Loop: Header=BB18_387 Depth=4
	v_or_b32_e32 v5, 0x10000, v4
	v_cmp_eq_u32_sdwa s[24:25], v4, v3 src0_sel:WORD_0 src1_sel:DWORD
	s_nop 1
	v_cndmask_b32_e64 v54, v5, v4, s[24:25]
; %bb.392:                              ;   in Loop: Header=BB18_387 Depth=4
	s_or_b64 exec, exec, s[34:35]
	v_and_b32_e32 v4, 0xffff0000, v20
	v_and_b32_e32 v5, 0xffff0000, v16
	v_max_f32_e32 v5, v5, v5
	v_max_f32_e32 v4, v4, v4
	v_min_f32_e32 v20, v4, v5
	v_max_f32_e32 v4, v4, v5
	v_cndmask_b32_e32 v4, v4, v20, vcc
	v_and_b32_e32 v5, 0x7f800000, v4
	v_cmp_ne_u32_e64 s[24:25], s96, v5
                                        ; implicit-def: $vgpr20
	s_and_saveexec_b64 s[34:35], s[24:25]
	s_xor_b64 s[24:25], exec, s[34:35]
; %bb.393:                              ;   in Loop: Header=BB18_387 Depth=4
	v_bfe_u32 v5, v4, 16, 1
	v_add3_u32 v20, v4, v5, s97
                                        ; implicit-def: $vgpr4
; %bb.394:                              ;   in Loop: Header=BB18_387 Depth=4
	s_andn2_saveexec_b64 s[34:35], s[24:25]
; %bb.395:                              ;   in Loop: Header=BB18_387 Depth=4
	v_or_b32_e32 v5, 0x10000, v4
	v_cmp_eq_u32_sdwa s[24:25], v4, v3 src0_sel:WORD_0 src1_sel:DWORD
	s_nop 1
	v_cndmask_b32_e64 v20, v5, v4, s[24:25]
; %bb.396:                              ;   in Loop: Header=BB18_387 Depth=4
	s_or_b64 exec, exec, s[34:35]
	v_lshlrev_b32_e32 v4, 16, v21
	v_lshlrev_b32_e32 v5, 16, v17
	v_max_f32_e32 v5, v5, v5
	v_max_f32_e32 v4, v4, v4
	v_min_f32_e32 v28, v4, v5
	v_max_f32_e32 v4, v4, v5
	v_cndmask_b32_e32 v4, v4, v28, vcc
	v_and_b32_e32 v5, 0x7f800000, v4
	v_cmp_ne_u32_e64 s[24:25], s96, v5
                                        ; implicit-def: $vgpr55
	s_and_saveexec_b64 s[34:35], s[24:25]
	s_xor_b64 s[24:25], exec, s[34:35]
; %bb.397:                              ;   in Loop: Header=BB18_387 Depth=4
	v_bfe_u32 v5, v4, 16, 1
	v_add3_u32 v55, v4, v5, s97
                                        ; implicit-def: $vgpr4
; %bb.398:                              ;   in Loop: Header=BB18_387 Depth=4
	s_andn2_saveexec_b64 s[34:35], s[24:25]
; %bb.399:                              ;   in Loop: Header=BB18_387 Depth=4
	v_or_b32_e32 v5, 0x10000, v4
	v_cmp_eq_u32_sdwa s[24:25], v4, v3 src0_sel:WORD_0 src1_sel:DWORD
	s_nop 1
	v_cndmask_b32_e64 v55, v5, v4, s[24:25]
; %bb.400:                              ;   in Loop: Header=BB18_387 Depth=4
	s_or_b64 exec, exec, s[34:35]
	v_and_b32_e32 v4, 0xffff0000, v21
	v_and_b32_e32 v5, 0xffff0000, v17
	v_max_f32_e32 v5, v5, v5
	v_max_f32_e32 v4, v4, v4
	v_min_f32_e32 v21, v4, v5
	v_max_f32_e32 v4, v4, v5
	v_cndmask_b32_e32 v4, v4, v21, vcc
	v_and_b32_e32 v5, 0x7f800000, v4
	v_cmp_ne_u32_e64 s[24:25], s96, v5
                                        ; implicit-def: $vgpr21
	s_and_saveexec_b64 s[34:35], s[24:25]
	s_xor_b64 s[24:25], exec, s[34:35]
; %bb.401:                              ;   in Loop: Header=BB18_387 Depth=4
	v_bfe_u32 v5, v4, 16, 1
	v_add3_u32 v21, v4, v5, s97
                                        ; implicit-def: $vgpr4
; %bb.402:                              ;   in Loop: Header=BB18_387 Depth=4
	s_andn2_saveexec_b64 s[34:35], s[24:25]
; %bb.403:                              ;   in Loop: Header=BB18_387 Depth=4
	v_or_b32_e32 v5, 0x10000, v4
	v_cmp_eq_u32_sdwa s[24:25], v4, v3 src0_sel:WORD_0 src1_sel:DWORD
	s_nop 1
	v_cndmask_b32_e64 v21, v5, v4, s[24:25]
; %bb.404:                              ;   in Loop: Header=BB18_387 Depth=4
	s_or_b64 exec, exec, s[34:35]
	v_lshlrev_b32_e32 v4, 16, v22
	v_lshlrev_b32_e32 v5, 16, v18
	v_max_f32_e32 v5, v5, v5
	v_max_f32_e32 v4, v4, v4
	v_min_f32_e32 v28, v4, v5
	v_max_f32_e32 v4, v4, v5
	v_cndmask_b32_e32 v4, v4, v28, vcc
	v_and_b32_e32 v5, 0x7f800000, v4
	v_cmp_ne_u32_e64 s[24:25], s96, v5
                                        ; implicit-def: $vgpr28
	s_and_saveexec_b64 s[34:35], s[24:25]
	s_xor_b64 s[24:25], exec, s[34:35]
; %bb.405:                              ;   in Loop: Header=BB18_387 Depth=4
	v_bfe_u32 v5, v4, 16, 1
	v_add3_u32 v28, v4, v5, s97
                                        ; implicit-def: $vgpr4
; %bb.406:                              ;   in Loop: Header=BB18_387 Depth=4
	s_andn2_saveexec_b64 s[34:35], s[24:25]
; %bb.407:                              ;   in Loop: Header=BB18_387 Depth=4
	v_or_b32_e32 v5, 0x10000, v4
	v_cmp_eq_u32_sdwa s[24:25], v4, v3 src0_sel:WORD_0 src1_sel:DWORD
	s_nop 1
	v_cndmask_b32_e64 v28, v5, v4, s[24:25]
; %bb.408:                              ;   in Loop: Header=BB18_387 Depth=4
	s_or_b64 exec, exec, s[34:35]
	v_and_b32_e32 v4, 0xffff0000, v22
	v_and_b32_e32 v5, 0xffff0000, v18
	v_max_f32_e32 v5, v5, v5
	v_max_f32_e32 v4, v4, v4
	v_min_f32_e32 v22, v4, v5
	v_max_f32_e32 v4, v4, v5
	v_cndmask_b32_e32 v4, v4, v22, vcc
	v_and_b32_e32 v5, 0x7f800000, v4
	v_cmp_ne_u32_e64 s[24:25], s96, v5
                                        ; implicit-def: $vgpr22
	s_and_saveexec_b64 s[34:35], s[24:25]
	s_xor_b64 s[24:25], exec, s[34:35]
; %bb.409:                              ;   in Loop: Header=BB18_387 Depth=4
	v_bfe_u32 v5, v4, 16, 1
	v_add3_u32 v22, v4, v5, s97
                                        ; implicit-def: $vgpr4
; %bb.410:                              ;   in Loop: Header=BB18_387 Depth=4
	s_andn2_saveexec_b64 s[34:35], s[24:25]
; %bb.411:                              ;   in Loop: Header=BB18_387 Depth=4
	v_or_b32_e32 v5, 0x10000, v4
	v_cmp_eq_u32_sdwa s[24:25], v4, v3 src0_sel:WORD_0 src1_sel:DWORD
	s_nop 1
	v_cndmask_b32_e64 v22, v5, v4, s[24:25]
; %bb.412:                              ;   in Loop: Header=BB18_387 Depth=4
	s_or_b64 exec, exec, s[34:35]
	v_lshlrev_b32_e32 v4, 16, v23
	v_lshlrev_b32_e32 v5, 16, v19
	v_max_f32_e32 v5, v5, v5
	v_max_f32_e32 v4, v4, v4
	v_min_f32_e32 v29, v4, v5
	v_max_f32_e32 v4, v4, v5
	v_cndmask_b32_e32 v4, v4, v29, vcc
	v_and_b32_e32 v5, 0x7f800000, v4
	v_cmp_ne_u32_e64 s[24:25], s96, v5
                                        ; implicit-def: $vgpr29
	s_and_saveexec_b64 s[34:35], s[24:25]
	s_xor_b64 s[24:25], exec, s[34:35]
; %bb.413:                              ;   in Loop: Header=BB18_387 Depth=4
	v_bfe_u32 v5, v4, 16, 1
	v_add3_u32 v29, v4, v5, s97
                                        ; implicit-def: $vgpr4
; %bb.414:                              ;   in Loop: Header=BB18_387 Depth=4
	s_andn2_saveexec_b64 s[34:35], s[24:25]
; %bb.415:                              ;   in Loop: Header=BB18_387 Depth=4
	v_or_b32_e32 v5, 0x10000, v4
	v_cmp_eq_u32_sdwa s[24:25], v4, v3 src0_sel:WORD_0 src1_sel:DWORD
	s_nop 1
	v_cndmask_b32_e64 v29, v5, v4, s[24:25]
; %bb.416:                              ;   in Loop: Header=BB18_387 Depth=4
	s_or_b64 exec, exec, s[34:35]
	v_and_b32_e32 v4, 0xffff0000, v23
	v_and_b32_e32 v5, 0xffff0000, v19
	v_max_f32_e32 v5, v5, v5
	v_max_f32_e32 v4, v4, v4
	v_min_f32_e32 v23, v4, v5
	v_max_f32_e32 v4, v4, v5
	v_cndmask_b32_e32 v4, v4, v23, vcc
	v_and_b32_e32 v5, 0x7f800000, v4
	v_cmp_ne_u32_e64 s[24:25], s96, v5
                                        ; implicit-def: $vgpr23
	s_and_saveexec_b64 s[34:35], s[24:25]
	s_xor_b64 s[24:25], exec, s[34:35]
; %bb.417:                              ;   in Loop: Header=BB18_387 Depth=4
	v_bfe_u32 v5, v4, 16, 1
	v_add3_u32 v23, v4, v5, s97
                                        ; implicit-def: $vgpr4
; %bb.418:                              ;   in Loop: Header=BB18_387 Depth=4
	s_andn2_saveexec_b64 s[34:35], s[24:25]
; %bb.419:                              ;   in Loop: Header=BB18_387 Depth=4
	v_or_b32_e32 v5, 0x10000, v4
	v_cmp_eq_u32_sdwa s[24:25], v4, v3 src0_sel:WORD_0 src1_sel:DWORD
	s_nop 1
	v_cndmask_b32_e64 v23, v5, v4, s[24:25]
; %bb.420:                              ;   in Loop: Header=BB18_387 Depth=4
	s_or_b64 exec, exec, s[34:35]
	v_lshlrev_b32_e32 v4, 16, v12
	v_lshlrev_b32_e32 v5, 16, v8
	v_max_f32_e32 v5, v5, v5
	v_max_f32_e32 v4, v4, v4
	v_min_f32_e32 v86, v4, v5
	v_max_f32_e32 v4, v4, v5
	v_cndmask_b32_e32 v4, v4, v86, vcc
	v_and_b32_e32 v5, 0x7f800000, v4
	v_cmp_ne_u32_e64 s[24:25], s96, v5
                                        ; implicit-def: $vgpr96
	s_and_saveexec_b64 s[34:35], s[24:25]
	s_xor_b64 s[24:25], exec, s[34:35]
; %bb.421:                              ;   in Loop: Header=BB18_387 Depth=4
	v_bfe_u32 v5, v4, 16, 1
	v_add3_u32 v96, v4, v5, s97
                                        ; implicit-def: $vgpr4
; %bb.422:                              ;   in Loop: Header=BB18_387 Depth=4
	s_andn2_saveexec_b64 s[34:35], s[24:25]
; %bb.423:                              ;   in Loop: Header=BB18_387 Depth=4
	v_or_b32_e32 v5, 0x10000, v4
	v_cmp_eq_u32_sdwa s[24:25], v4, v3 src0_sel:WORD_0 src1_sel:DWORD
	s_nop 1
	v_cndmask_b32_e64 v96, v5, v4, s[24:25]
; %bb.424:                              ;   in Loop: Header=BB18_387 Depth=4
	s_or_b64 exec, exec, s[34:35]
	v_and_b32_e32 v4, 0xffff0000, v12
	v_and_b32_e32 v5, 0xffff0000, v8
	v_max_f32_e32 v5, v5, v5
	v_max_f32_e32 v4, v4, v4
	v_min_f32_e32 v12, v4, v5
	v_max_f32_e32 v4, v4, v5
	v_cndmask_b32_e32 v4, v4, v12, vcc
	v_and_b32_e32 v5, 0x7f800000, v4
	v_cmp_ne_u32_e64 s[24:25], s96, v5
                                        ; implicit-def: $vgpr12
	s_and_saveexec_b64 s[34:35], s[24:25]
	s_xor_b64 s[24:25], exec, s[34:35]
; %bb.425:                              ;   in Loop: Header=BB18_387 Depth=4
	v_bfe_u32 v5, v4, 16, 1
	v_add3_u32 v12, v4, v5, s97
                                        ; implicit-def: $vgpr4
; %bb.426:                              ;   in Loop: Header=BB18_387 Depth=4
	s_andn2_saveexec_b64 s[34:35], s[24:25]
; %bb.427:                              ;   in Loop: Header=BB18_387 Depth=4
	v_or_b32_e32 v5, 0x10000, v4
	v_cmp_eq_u32_sdwa s[24:25], v4, v3 src0_sel:WORD_0 src1_sel:DWORD
	s_nop 1
	v_cndmask_b32_e64 v12, v5, v4, s[24:25]
; %bb.428:                              ;   in Loop: Header=BB18_387 Depth=4
	s_or_b64 exec, exec, s[34:35]
	v_lshlrev_b32_e32 v4, 16, v13
	v_lshlrev_b32_e32 v5, 16, v9
	v_max_f32_e32 v5, v5, v5
	v_max_f32_e32 v4, v4, v4
	v_min_f32_e32 v86, v4, v5
	v_max_f32_e32 v4, v4, v5
	v_cndmask_b32_e32 v4, v4, v86, vcc
	v_and_b32_e32 v5, 0x7f800000, v4
	v_cmp_ne_u32_e64 s[24:25], s96, v5
                                        ; implicit-def: $vgpr97
	s_and_saveexec_b64 s[34:35], s[24:25]
	s_xor_b64 s[24:25], exec, s[34:35]
; %bb.429:                              ;   in Loop: Header=BB18_387 Depth=4
	v_bfe_u32 v5, v4, 16, 1
	v_add3_u32 v97, v4, v5, s97
                                        ; implicit-def: $vgpr4
; %bb.430:                              ;   in Loop: Header=BB18_387 Depth=4
	s_andn2_saveexec_b64 s[34:35], s[24:25]
; %bb.431:                              ;   in Loop: Header=BB18_387 Depth=4
	v_or_b32_e32 v5, 0x10000, v4
	v_cmp_eq_u32_sdwa s[24:25], v4, v3 src0_sel:WORD_0 src1_sel:DWORD
	s_nop 1
	v_cndmask_b32_e64 v97, v5, v4, s[24:25]
; %bb.432:                              ;   in Loop: Header=BB18_387 Depth=4
	s_or_b64 exec, exec, s[34:35]
	v_and_b32_e32 v4, 0xffff0000, v13
	v_and_b32_e32 v5, 0xffff0000, v9
	v_max_f32_e32 v5, v5, v5
	v_max_f32_e32 v4, v4, v4
	v_min_f32_e32 v13, v4, v5
	v_max_f32_e32 v4, v4, v5
	v_cndmask_b32_e32 v4, v4, v13, vcc
	v_and_b32_e32 v5, 0x7f800000, v4
	v_cmp_ne_u32_e64 s[24:25], s96, v5
                                        ; implicit-def: $vgpr13
	s_and_saveexec_b64 s[34:35], s[24:25]
	s_xor_b64 s[24:25], exec, s[34:35]
; %bb.433:                              ;   in Loop: Header=BB18_387 Depth=4
	v_bfe_u32 v5, v4, 16, 1
	v_add3_u32 v13, v4, v5, s97
                                        ; implicit-def: $vgpr4
; %bb.434:                              ;   in Loop: Header=BB18_387 Depth=4
	s_andn2_saveexec_b64 s[34:35], s[24:25]
; %bb.435:                              ;   in Loop: Header=BB18_387 Depth=4
	v_or_b32_e32 v5, 0x10000, v4
	v_cmp_eq_u32_sdwa s[24:25], v4, v3 src0_sel:WORD_0 src1_sel:DWORD
	s_nop 1
	v_cndmask_b32_e64 v13, v5, v4, s[24:25]
; %bb.436:                              ;   in Loop: Header=BB18_387 Depth=4
	s_or_b64 exec, exec, s[34:35]
	v_lshlrev_b32_e32 v4, 16, v14
	v_lshlrev_b32_e32 v5, 16, v10
	v_max_f32_e32 v5, v5, v5
	v_max_f32_e32 v4, v4, v4
	v_min_f32_e32 v86, v4, v5
	v_max_f32_e32 v4, v4, v5
	v_cndmask_b32_e32 v5, v4, v86, vcc
	v_and_b32_e32 v4, 0x7f800000, v5
	v_cmp_ne_u32_e64 s[24:25], s96, v4
                                        ; implicit-def: $vgpr4
	s_and_saveexec_b64 s[34:35], s[24:25]
	s_xor_b64 s[24:25], exec, s[34:35]
; %bb.437:                              ;   in Loop: Header=BB18_387 Depth=4
	v_bfe_u32 v4, v5, 16, 1
	v_add3_u32 v4, v5, v4, s97
                                        ; implicit-def: $vgpr5
; %bb.438:                              ;   in Loop: Header=BB18_387 Depth=4
	s_andn2_saveexec_b64 s[34:35], s[24:25]
; %bb.439:                              ;   in Loop: Header=BB18_387 Depth=4
	v_or_b32_e32 v4, 0x10000, v5
	v_cmp_eq_u32_sdwa s[24:25], v5, v3 src0_sel:WORD_0 src1_sel:DWORD
	s_nop 1
	v_cndmask_b32_e64 v4, v4, v5, s[24:25]
; %bb.440:                              ;   in Loop: Header=BB18_387 Depth=4
	s_or_b64 exec, exec, s[34:35]
	v_and_b32_e32 v5, 0xffff0000, v14
	v_and_b32_e32 v14, 0xffff0000, v10
	v_max_f32_e32 v14, v14, v14
	v_max_f32_e32 v5, v5, v5
	v_min_f32_e32 v86, v5, v14
	v_max_f32_e32 v5, v5, v14
	v_cndmask_b32_e32 v14, v5, v86, vcc
	v_and_b32_e32 v5, 0x7f800000, v14
	v_cmp_ne_u32_e64 s[24:25], s96, v5
                                        ; implicit-def: $vgpr5
	s_and_saveexec_b64 s[34:35], s[24:25]
	s_xor_b64 s[24:25], exec, s[34:35]
; %bb.441:                              ;   in Loop: Header=BB18_387 Depth=4
	v_bfe_u32 v5, v14, 16, 1
	v_add3_u32 v5, v14, v5, s97
                                        ; implicit-def: $vgpr14
; %bb.442:                              ;   in Loop: Header=BB18_387 Depth=4
	s_andn2_saveexec_b64 s[34:35], s[24:25]
; %bb.443:                              ;   in Loop: Header=BB18_387 Depth=4
	v_or_b32_e32 v5, 0x10000, v14
	v_cmp_eq_u32_sdwa s[24:25], v14, v3 src0_sel:WORD_0 src1_sel:DWORD
	s_nop 1
	v_cndmask_b32_e64 v5, v5, v14, s[24:25]
; %bb.444:                              ;   in Loop: Header=BB18_387 Depth=4
	s_or_b64 exec, exec, s[34:35]
	v_lshlrev_b32_e32 v14, 16, v15
	v_lshlrev_b32_e32 v86, 16, v11
	v_max_f32_e32 v86, v86, v86
	v_max_f32_e32 v14, v14, v14
	v_min_f32_e32 v87, v14, v86
	v_max_f32_e32 v14, v14, v86
	v_cndmask_b32_e32 v14, v14, v87, vcc
	v_and_b32_e32 v86, 0x7f800000, v14
	v_cmp_ne_u32_e64 s[24:25], s96, v86
                                        ; implicit-def: $vgpr86
	s_and_saveexec_b64 s[34:35], s[24:25]
	s_xor_b64 s[24:25], exec, s[34:35]
; %bb.445:                              ;   in Loop: Header=BB18_387 Depth=4
	v_bfe_u32 v86, v14, 16, 1
	v_add3_u32 v86, v14, v86, s97
                                        ; implicit-def: $vgpr14
; %bb.446:                              ;   in Loop: Header=BB18_387 Depth=4
	s_andn2_saveexec_b64 s[34:35], s[24:25]
; %bb.447:                              ;   in Loop: Header=BB18_387 Depth=4
	v_or_b32_e32 v86, 0x10000, v14
	v_cmp_eq_u32_sdwa s[24:25], v14, v3 src0_sel:WORD_0 src1_sel:DWORD
	s_nop 1
	v_cndmask_b32_e64 v86, v86, v14, s[24:25]
; %bb.448:                              ;   in Loop: Header=BB18_387 Depth=4
	s_or_b64 exec, exec, s[34:35]
	v_and_b32_e32 v14, 0xffff0000, v15
	v_and_b32_e32 v15, 0xffff0000, v11
	v_max_f32_e32 v15, v15, v15
	v_max_f32_e32 v14, v14, v14
	v_min_f32_e32 v87, v14, v15
	v_max_f32_e32 v14, v14, v15
	v_cndmask_b32_e32 v14, v14, v87, vcc
	v_and_b32_e32 v15, 0x7f800000, v14
	v_cmp_ne_u32_e64 s[24:25], s96, v15
                                        ; implicit-def: $vgpr15
	s_and_saveexec_b64 s[34:35], s[24:25]
	s_xor_b64 s[24:25], exec, s[34:35]
; %bb.449:                              ;   in Loop: Header=BB18_387 Depth=4
	v_bfe_u32 v15, v14, 16, 1
	v_add3_u32 v15, v14, v15, s97
                                        ; implicit-def: $vgpr14
; %bb.450:                              ;   in Loop: Header=BB18_387 Depth=4
	s_andn2_saveexec_b64 s[34:35], s[24:25]
; %bb.451:                              ;   in Loop: Header=BB18_387 Depth=4
	v_or_b32_e32 v15, 0x10000, v14
	v_cmp_eq_u32_sdwa s[24:25], v14, v3 src0_sel:WORD_0 src1_sel:DWORD
	s_nop 1
	v_cndmask_b32_e64 v15, v15, v14, s[24:25]
; %bb.452:                              ;   in Loop: Header=BB18_387 Depth=4
	s_or_b64 exec, exec, s[34:35]
	v_lshrrev_b32_e32 v14, 16, v55
	v_and_or_b32 v21, v21, s44, v14
	v_lshrrev_b32_e32 v14, 16, v54
	v_and_or_b32 v20, v20, s44, v14
	;; [unrolled: 2-line block ×5, first 2 shown]
	v_lshrrev_b32_e32 v14, 16, v96
	v_lshrrev_b32_e32 v4, 16, v4
	v_and_or_b32 v12, v12, s44, v14
	v_and_or_b32 v14, v5, s44, v4
	v_lshrrev_b32_e32 v4, 16, v86
	v_and_or_b32 v15, v15, s44, v4
	global_store_dwordx4 v[88:89], v[20:23], off
	global_store_dwordx4 v[88:89], v[12:15], off offset:1024
	v_lshl_add_u64 v[88:89], v[88:89], 0, v[40:41]
.LBB18_453:                             ;   in Loop: Header=BB18_387 Depth=4
	s_or_b64 exec, exec, s[36:37]
	v_sub_u32_e32 v73, v73, v84
	v_lshl_add_u64 v[90:91], v[90:91], 0, v[40:41]
	v_lshl_add_u64 v[92:93], v[92:93], 0, v[40:41]
	v_cmp_lt_i32_e64 s[34:35], 0, v73
	s_and_saveexec_b64 s[24:25], s[34:35]
	s_cbranch_execz .LBB18_455
; %bb.454:                              ;   in Loop: Header=BB18_387 Depth=4
	global_load_dwordx4 v[20:23], v[90:91], off nt
	global_load_dwordx4 v[12:15], v[90:91], off offset:1024 nt
	global_load_dwordx4 v[16:19], v[92:93], off nt
	global_load_dwordx4 v[8:11], v[92:93], off offset:1024 nt
	v_lshl_add_u64 v[90:91], v[90:91], 0, s[72:73]
	v_lshl_add_u64 v[92:93], v[92:93], 0, s[72:73]
.LBB18_455:                             ;   in Loop: Header=BB18_387 Depth=4
	s_or_b64 exec, exec, s[24:25]
	s_waitcnt vmcnt(0)
	v_lshlrev_b32_e32 v4, 16, v36
	v_lshlrev_b32_e32 v5, 16, v48
	v_max_f32_e32 v5, v5, v5
	v_max_f32_e32 v4, v4, v4
	v_min_f32_e32 v28, v4, v5
	v_max_f32_e32 v4, v4, v5
	v_cndmask_b32_e32 v4, v4, v28, vcc
	v_and_b32_e32 v5, 0x7f800000, v4
	v_cmp_ne_u32_e64 s[24:25], s96, v5
                                        ; implicit-def: $vgpr54
	s_and_saveexec_b64 s[36:37], s[24:25]
	s_xor_b64 s[24:25], exec, s[36:37]
; %bb.456:                              ;   in Loop: Header=BB18_387 Depth=4
	v_bfe_u32 v5, v4, 16, 1
	v_add3_u32 v54, v4, v5, s97
                                        ; implicit-def: $vgpr4
; %bb.457:                              ;   in Loop: Header=BB18_387 Depth=4
	s_andn2_saveexec_b64 s[36:37], s[24:25]
; %bb.458:                              ;   in Loop: Header=BB18_387 Depth=4
	v_or_b32_e32 v5, 0x10000, v4
	v_cmp_eq_u32_sdwa s[24:25], v4, v3 src0_sel:WORD_0 src1_sel:DWORD
	s_nop 1
	v_cndmask_b32_e64 v54, v5, v4, s[24:25]
; %bb.459:                              ;   in Loop: Header=BB18_387 Depth=4
	s_or_b64 exec, exec, s[36:37]
	v_and_b32_e32 v4, 0xffff0000, v36
	v_and_b32_e32 v5, 0xffff0000, v48
	v_max_f32_e32 v5, v5, v5
	v_max_f32_e32 v4, v4, v4
	v_min_f32_e32 v28, v4, v5
	v_max_f32_e32 v4, v4, v5
	v_cndmask_b32_e32 v4, v4, v28, vcc
	v_and_b32_e32 v5, 0x7f800000, v4
	v_cmp_ne_u32_e64 s[24:25], s96, v5
                                        ; implicit-def: $vgpr36
	s_and_saveexec_b64 s[36:37], s[24:25]
	s_xor_b64 s[24:25], exec, s[36:37]
; %bb.460:                              ;   in Loop: Header=BB18_387 Depth=4
	v_bfe_u32 v5, v4, 16, 1
	v_add3_u32 v36, v4, v5, s97
                                        ; implicit-def: $vgpr4
; %bb.461:                              ;   in Loop: Header=BB18_387 Depth=4
	s_andn2_saveexec_b64 s[36:37], s[24:25]
; %bb.462:                              ;   in Loop: Header=BB18_387 Depth=4
	v_or_b32_e32 v5, 0x10000, v4
	v_cmp_eq_u32_sdwa s[24:25], v4, v3 src0_sel:WORD_0 src1_sel:DWORD
	s_nop 1
	v_cndmask_b32_e64 v36, v5, v4, s[24:25]
; %bb.463:                              ;   in Loop: Header=BB18_387 Depth=4
	s_or_b64 exec, exec, s[36:37]
	v_lshlrev_b32_e32 v4, 16, v37
	v_lshlrev_b32_e32 v5, 16, v49
	v_max_f32_e32 v5, v5, v5
	v_max_f32_e32 v4, v4, v4
	v_min_f32_e32 v28, v4, v5
	v_max_f32_e32 v4, v4, v5
	v_cndmask_b32_e32 v4, v4, v28, vcc
	v_and_b32_e32 v5, 0x7f800000, v4
	v_cmp_ne_u32_e64 s[24:25], s96, v5
                                        ; implicit-def: $vgpr48
	s_and_saveexec_b64 s[36:37], s[24:25]
	s_xor_b64 s[24:25], exec, s[36:37]
; %bb.464:                              ;   in Loop: Header=BB18_387 Depth=4
	v_bfe_u32 v5, v4, 16, 1
	v_add3_u32 v48, v4, v5, s97
                                        ; implicit-def: $vgpr4
; %bb.465:                              ;   in Loop: Header=BB18_387 Depth=4
	s_andn2_saveexec_b64 s[36:37], s[24:25]
; %bb.466:                              ;   in Loop: Header=BB18_387 Depth=4
	v_or_b32_e32 v5, 0x10000, v4
	v_cmp_eq_u32_sdwa s[24:25], v4, v3 src0_sel:WORD_0 src1_sel:DWORD
	s_nop 1
	v_cndmask_b32_e64 v48, v5, v4, s[24:25]
; %bb.467:                              ;   in Loop: Header=BB18_387 Depth=4
	s_or_b64 exec, exec, s[36:37]
	v_and_b32_e32 v4, 0xffff0000, v37
	v_and_b32_e32 v5, 0xffff0000, v49
	v_max_f32_e32 v5, v5, v5
	v_max_f32_e32 v4, v4, v4
	v_min_f32_e32 v28, v4, v5
	v_max_f32_e32 v4, v4, v5
	v_cndmask_b32_e32 v4, v4, v28, vcc
	v_and_b32_e32 v5, 0x7f800000, v4
	v_cmp_ne_u32_e64 s[24:25], s96, v5
                                        ; implicit-def: $vgpr37
	s_and_saveexec_b64 s[36:37], s[24:25]
	s_xor_b64 s[24:25], exec, s[36:37]
; %bb.468:                              ;   in Loop: Header=BB18_387 Depth=4
	v_bfe_u32 v5, v4, 16, 1
	v_add3_u32 v37, v4, v5, s97
                                        ; implicit-def: $vgpr4
; %bb.469:                              ;   in Loop: Header=BB18_387 Depth=4
	s_andn2_saveexec_b64 s[36:37], s[24:25]
; %bb.470:                              ;   in Loop: Header=BB18_387 Depth=4
	v_or_b32_e32 v5, 0x10000, v4
	v_cmp_eq_u32_sdwa s[24:25], v4, v3 src0_sel:WORD_0 src1_sel:DWORD
	s_nop 1
	v_cndmask_b32_e64 v37, v5, v4, s[24:25]
; %bb.471:                              ;   in Loop: Header=BB18_387 Depth=4
	s_or_b64 exec, exec, s[36:37]
	v_lshlrev_b32_e32 v4, 16, v38
	v_lshlrev_b32_e32 v5, 16, v50
	v_max_f32_e32 v5, v5, v5
	v_max_f32_e32 v4, v4, v4
	v_min_f32_e32 v28, v4, v5
	v_max_f32_e32 v4, v4, v5
	v_cndmask_b32_e32 v4, v4, v28, vcc
	v_and_b32_e32 v5, 0x7f800000, v4
	v_cmp_ne_u32_e64 s[24:25], s96, v5
                                        ; implicit-def: $vgpr28
	s_and_saveexec_b64 s[36:37], s[24:25]
	s_xor_b64 s[24:25], exec, s[36:37]
; %bb.472:                              ;   in Loop: Header=BB18_387 Depth=4
	v_bfe_u32 v5, v4, 16, 1
	v_add3_u32 v28, v4, v5, s97
                                        ; implicit-def: $vgpr4
; %bb.473:                              ;   in Loop: Header=BB18_387 Depth=4
	s_andn2_saveexec_b64 s[36:37], s[24:25]
; %bb.474:                              ;   in Loop: Header=BB18_387 Depth=4
	v_or_b32_e32 v5, 0x10000, v4
	v_cmp_eq_u32_sdwa s[24:25], v4, v3 src0_sel:WORD_0 src1_sel:DWORD
	s_nop 1
	v_cndmask_b32_e64 v28, v5, v4, s[24:25]
; %bb.475:                              ;   in Loop: Header=BB18_387 Depth=4
	s_or_b64 exec, exec, s[36:37]
	v_and_b32_e32 v4, 0xffff0000, v38
	v_and_b32_e32 v5, 0xffff0000, v50
	v_max_f32_e32 v5, v5, v5
	v_max_f32_e32 v4, v4, v4
	v_min_f32_e32 v29, v4, v5
	v_max_f32_e32 v4, v4, v5
	v_cndmask_b32_e32 v4, v4, v29, vcc
	v_and_b32_e32 v5, 0x7f800000, v4
	v_cmp_ne_u32_e64 s[24:25], s96, v5
                                        ; implicit-def: $vgpr29
	s_and_saveexec_b64 s[36:37], s[24:25]
	s_xor_b64 s[24:25], exec, s[36:37]
; %bb.476:                              ;   in Loop: Header=BB18_387 Depth=4
	v_bfe_u32 v5, v4, 16, 1
	v_add3_u32 v29, v4, v5, s97
                                        ; implicit-def: $vgpr4
; %bb.477:                              ;   in Loop: Header=BB18_387 Depth=4
	s_andn2_saveexec_b64 s[36:37], s[24:25]
; %bb.478:                              ;   in Loop: Header=BB18_387 Depth=4
	v_or_b32_e32 v5, 0x10000, v4
	v_cmp_eq_u32_sdwa s[24:25], v4, v3 src0_sel:WORD_0 src1_sel:DWORD
	s_nop 1
	v_cndmask_b32_e64 v29, v5, v4, s[24:25]
; %bb.479:                              ;   in Loop: Header=BB18_387 Depth=4
	s_or_b64 exec, exec, s[36:37]
	v_lshlrev_b32_e32 v4, 16, v39
	v_lshlrev_b32_e32 v5, 16, v51
	v_max_f32_e32 v5, v5, v5
	v_max_f32_e32 v4, v4, v4
	v_min_f32_e32 v38, v4, v5
	v_max_f32_e32 v4, v4, v5
	v_cndmask_b32_e32 v4, v4, v38, vcc
	v_and_b32_e32 v5, 0x7f800000, v4
	v_cmp_ne_u32_e64 s[24:25], s96, v5
                                        ; implicit-def: $vgpr38
	s_and_saveexec_b64 s[36:37], s[24:25]
	s_xor_b64 s[24:25], exec, s[36:37]
; %bb.480:                              ;   in Loop: Header=BB18_387 Depth=4
	v_bfe_u32 v5, v4, 16, 1
	v_add3_u32 v38, v4, v5, s97
                                        ; implicit-def: $vgpr4
; %bb.481:                              ;   in Loop: Header=BB18_387 Depth=4
	s_andn2_saveexec_b64 s[36:37], s[24:25]
; %bb.482:                              ;   in Loop: Header=BB18_387 Depth=4
	v_or_b32_e32 v5, 0x10000, v4
	v_cmp_eq_u32_sdwa s[24:25], v4, v3 src0_sel:WORD_0 src1_sel:DWORD
	s_nop 1
	v_cndmask_b32_e64 v38, v5, v4, s[24:25]
; %bb.483:                              ;   in Loop: Header=BB18_387 Depth=4
	s_or_b64 exec, exec, s[36:37]
	v_and_b32_e32 v4, 0xffff0000, v39
	v_and_b32_e32 v5, 0xffff0000, v51
	v_max_f32_e32 v5, v5, v5
	v_max_f32_e32 v4, v4, v4
	v_min_f32_e32 v39, v4, v5
	v_max_f32_e32 v4, v4, v5
	v_cndmask_b32_e32 v4, v4, v39, vcc
	v_and_b32_e32 v5, 0x7f800000, v4
	v_cmp_ne_u32_e64 s[24:25], s96, v5
                                        ; implicit-def: $vgpr39
	s_and_saveexec_b64 s[36:37], s[24:25]
	s_xor_b64 s[24:25], exec, s[36:37]
; %bb.484:                              ;   in Loop: Header=BB18_387 Depth=4
	v_bfe_u32 v5, v4, 16, 1
	v_add3_u32 v39, v4, v5, s97
                                        ; implicit-def: $vgpr4
; %bb.485:                              ;   in Loop: Header=BB18_387 Depth=4
	s_andn2_saveexec_b64 s[36:37], s[24:25]
; %bb.486:                              ;   in Loop: Header=BB18_387 Depth=4
	v_or_b32_e32 v5, 0x10000, v4
	v_cmp_eq_u32_sdwa s[24:25], v4, v3 src0_sel:WORD_0 src1_sel:DWORD
	s_nop 1
	v_cndmask_b32_e64 v39, v5, v4, s[24:25]
; %bb.487:                              ;   in Loop: Header=BB18_387 Depth=4
	s_or_b64 exec, exec, s[36:37]
	v_lshlrev_b32_e32 v4, 16, v24
	v_lshlrev_b32_e32 v5, 16, v32
	v_max_f32_e32 v5, v5, v5
	v_max_f32_e32 v4, v4, v4
	v_min_f32_e32 v49, v4, v5
	v_max_f32_e32 v4, v4, v5
	v_cndmask_b32_e32 v4, v4, v49, vcc
	v_and_b32_e32 v5, 0x7f800000, v4
	v_cmp_ne_u32_e64 s[24:25], s96, v5
                                        ; implicit-def: $vgpr49
	s_and_saveexec_b64 s[36:37], s[24:25]
	s_xor_b64 s[24:25], exec, s[36:37]
; %bb.488:                              ;   in Loop: Header=BB18_387 Depth=4
	v_bfe_u32 v5, v4, 16, 1
	v_add3_u32 v49, v4, v5, s97
                                        ; implicit-def: $vgpr4
; %bb.489:                              ;   in Loop: Header=BB18_387 Depth=4
	s_andn2_saveexec_b64 s[36:37], s[24:25]
; %bb.490:                              ;   in Loop: Header=BB18_387 Depth=4
	v_or_b32_e32 v5, 0x10000, v4
	v_cmp_eq_u32_sdwa s[24:25], v4, v3 src0_sel:WORD_0 src1_sel:DWORD
	s_nop 1
	v_cndmask_b32_e64 v49, v5, v4, s[24:25]
; %bb.491:                              ;   in Loop: Header=BB18_387 Depth=4
	s_or_b64 exec, exec, s[36:37]
	v_and_b32_e32 v4, 0xffff0000, v24
	v_and_b32_e32 v5, 0xffff0000, v32
	v_max_f32_e32 v5, v5, v5
	v_max_f32_e32 v4, v4, v4
	v_min_f32_e32 v24, v4, v5
	v_max_f32_e32 v4, v4, v5
	v_cndmask_b32_e32 v4, v4, v24, vcc
	v_and_b32_e32 v5, 0x7f800000, v4
	v_cmp_ne_u32_e64 s[24:25], s96, v5
                                        ; implicit-def: $vgpr24
	s_and_saveexec_b64 s[36:37], s[24:25]
	s_xor_b64 s[24:25], exec, s[36:37]
; %bb.492:                              ;   in Loop: Header=BB18_387 Depth=4
	v_bfe_u32 v5, v4, 16, 1
	v_add3_u32 v24, v4, v5, s97
                                        ; implicit-def: $vgpr4
; %bb.493:                              ;   in Loop: Header=BB18_387 Depth=4
	s_andn2_saveexec_b64 s[36:37], s[24:25]
; %bb.494:                              ;   in Loop: Header=BB18_387 Depth=4
	v_or_b32_e32 v5, 0x10000, v4
	v_cmp_eq_u32_sdwa s[24:25], v4, v3 src0_sel:WORD_0 src1_sel:DWORD
	s_nop 1
	v_cndmask_b32_e64 v24, v5, v4, s[24:25]
; %bb.495:                              ;   in Loop: Header=BB18_387 Depth=4
	s_or_b64 exec, exec, s[36:37]
	v_lshlrev_b32_e32 v4, 16, v25
	v_lshlrev_b32_e32 v5, 16, v33
	v_max_f32_e32 v5, v5, v5
	v_max_f32_e32 v4, v4, v4
	v_min_f32_e32 v32, v4, v5
	v_max_f32_e32 v4, v4, v5
	v_cndmask_b32_e32 v4, v4, v32, vcc
	v_and_b32_e32 v5, 0x7f800000, v4
	v_cmp_ne_u32_e64 s[24:25], s96, v5
                                        ; implicit-def: $vgpr32
	s_and_saveexec_b64 s[36:37], s[24:25]
	s_xor_b64 s[24:25], exec, s[36:37]
; %bb.496:                              ;   in Loop: Header=BB18_387 Depth=4
	v_bfe_u32 v5, v4, 16, 1
	v_add3_u32 v32, v4, v5, s97
                                        ; implicit-def: $vgpr4
; %bb.497:                              ;   in Loop: Header=BB18_387 Depth=4
	s_andn2_saveexec_b64 s[36:37], s[24:25]
; %bb.498:                              ;   in Loop: Header=BB18_387 Depth=4
	v_or_b32_e32 v5, 0x10000, v4
	v_cmp_eq_u32_sdwa s[24:25], v4, v3 src0_sel:WORD_0 src1_sel:DWORD
	s_nop 1
	v_cndmask_b32_e64 v32, v5, v4, s[24:25]
; %bb.499:                              ;   in Loop: Header=BB18_387 Depth=4
	s_or_b64 exec, exec, s[36:37]
	v_and_b32_e32 v4, 0xffff0000, v25
	v_and_b32_e32 v5, 0xffff0000, v33
	v_max_f32_e32 v5, v5, v5
	v_max_f32_e32 v4, v4, v4
	v_min_f32_e32 v25, v4, v5
	v_max_f32_e32 v4, v4, v5
	v_cndmask_b32_e32 v4, v4, v25, vcc
	v_and_b32_e32 v5, 0x7f800000, v4
	v_cmp_ne_u32_e64 s[24:25], s96, v5
                                        ; implicit-def: $vgpr25
	s_and_saveexec_b64 s[36:37], s[24:25]
	s_xor_b64 s[24:25], exec, s[36:37]
; %bb.500:                              ;   in Loop: Header=BB18_387 Depth=4
	v_bfe_u32 v5, v4, 16, 1
	v_add3_u32 v25, v4, v5, s97
                                        ; implicit-def: $vgpr4
; %bb.501:                              ;   in Loop: Header=BB18_387 Depth=4
	s_andn2_saveexec_b64 s[36:37], s[24:25]
; %bb.502:                              ;   in Loop: Header=BB18_387 Depth=4
	v_or_b32_e32 v5, 0x10000, v4
	v_cmp_eq_u32_sdwa s[24:25], v4, v3 src0_sel:WORD_0 src1_sel:DWORD
	s_nop 1
	v_cndmask_b32_e64 v25, v5, v4, s[24:25]
; %bb.503:                              ;   in Loop: Header=BB18_387 Depth=4
	s_or_b64 exec, exec, s[36:37]
	v_lshlrev_b32_e32 v4, 16, v26
	v_lshlrev_b32_e32 v5, 16, v34
	v_max_f32_e32 v5, v5, v5
	v_max_f32_e32 v4, v4, v4
	v_min_f32_e32 v33, v4, v5
	v_max_f32_e32 v4, v4, v5
	v_cndmask_b32_e32 v5, v4, v33, vcc
	v_and_b32_e32 v4, 0x7f800000, v5
	v_cmp_ne_u32_e64 s[24:25], s96, v4
                                        ; implicit-def: $vgpr4
	s_and_saveexec_b64 s[36:37], s[24:25]
	s_xor_b64 s[24:25], exec, s[36:37]
; %bb.504:                              ;   in Loop: Header=BB18_387 Depth=4
	v_bfe_u32 v4, v5, 16, 1
	v_add3_u32 v4, v5, v4, s97
                                        ; implicit-def: $vgpr5
; %bb.505:                              ;   in Loop: Header=BB18_387 Depth=4
	s_andn2_saveexec_b64 s[36:37], s[24:25]
; %bb.506:                              ;   in Loop: Header=BB18_387 Depth=4
	v_or_b32_e32 v4, 0x10000, v5
	v_cmp_eq_u32_sdwa s[24:25], v5, v3 src0_sel:WORD_0 src1_sel:DWORD
	s_nop 1
	v_cndmask_b32_e64 v4, v4, v5, s[24:25]
; %bb.507:                              ;   in Loop: Header=BB18_387 Depth=4
	s_or_b64 exec, exec, s[36:37]
	v_and_b32_e32 v5, 0xffff0000, v26
	v_and_b32_e32 v26, 0xffff0000, v34
	v_max_f32_e32 v26, v26, v26
	v_max_f32_e32 v5, v5, v5
	v_min_f32_e32 v33, v5, v26
	v_max_f32_e32 v5, v5, v26
	v_cndmask_b32_e32 v26, v5, v33, vcc
	v_and_b32_e32 v5, 0x7f800000, v26
	v_cmp_ne_u32_e64 s[24:25], s96, v5
                                        ; implicit-def: $vgpr5
	s_and_saveexec_b64 s[36:37], s[24:25]
	s_xor_b64 s[24:25], exec, s[36:37]
; %bb.508:                              ;   in Loop: Header=BB18_387 Depth=4
	v_bfe_u32 v5, v26, 16, 1
	v_add3_u32 v5, v26, v5, s97
                                        ; implicit-def: $vgpr26
; %bb.509:                              ;   in Loop: Header=BB18_387 Depth=4
	s_andn2_saveexec_b64 s[36:37], s[24:25]
; %bb.510:                              ;   in Loop: Header=BB18_387 Depth=4
	v_or_b32_e32 v5, 0x10000, v26
	v_cmp_eq_u32_sdwa s[24:25], v26, v3 src0_sel:WORD_0 src1_sel:DWORD
	s_nop 1
	v_cndmask_b32_e64 v5, v5, v26, s[24:25]
; %bb.511:                              ;   in Loop: Header=BB18_387 Depth=4
	s_or_b64 exec, exec, s[36:37]
	v_lshlrev_b32_e32 v26, 16, v27
	v_lshlrev_b32_e32 v33, 16, v35
	v_max_f32_e32 v33, v33, v33
	v_max_f32_e32 v26, v26, v26
	v_min_f32_e32 v34, v26, v33
	v_max_f32_e32 v26, v26, v33
	v_cndmask_b32_e32 v33, v26, v34, vcc
	v_and_b32_e32 v26, 0x7f800000, v33
	v_cmp_ne_u32_e64 s[24:25], s96, v26
                                        ; implicit-def: $vgpr26
	s_and_saveexec_b64 s[36:37], s[24:25]
	s_xor_b64 s[24:25], exec, s[36:37]
; %bb.512:                              ;   in Loop: Header=BB18_387 Depth=4
	v_bfe_u32 v26, v33, 16, 1
	v_add3_u32 v26, v33, v26, s97
                                        ; implicit-def: $vgpr33
; %bb.513:                              ;   in Loop: Header=BB18_387 Depth=4
	s_andn2_saveexec_b64 s[36:37], s[24:25]
; %bb.514:                              ;   in Loop: Header=BB18_387 Depth=4
	v_or_b32_e32 v26, 0x10000, v33
	v_cmp_eq_u32_sdwa s[24:25], v33, v3 src0_sel:WORD_0 src1_sel:DWORD
	s_nop 1
	v_cndmask_b32_e64 v26, v26, v33, s[24:25]
; %bb.515:                              ;   in Loop: Header=BB18_387 Depth=4
	s_or_b64 exec, exec, s[36:37]
	v_and_b32_e32 v27, 0xffff0000, v27
	v_and_b32_e32 v33, 0xffff0000, v35
	v_max_f32_e32 v33, v33, v33
	v_max_f32_e32 v27, v27, v27
	v_min_f32_e32 v34, v27, v33
	v_max_f32_e32 v27, v27, v33
	v_cndmask_b32_e32 v33, v27, v34, vcc
	v_and_b32_e32 v27, 0x7f800000, v33
	v_cmp_ne_u32_e64 s[24:25], s96, v27
                                        ; implicit-def: $vgpr27
	s_and_saveexec_b64 s[36:37], s[24:25]
	s_xor_b64 s[24:25], exec, s[36:37]
; %bb.516:                              ;   in Loop: Header=BB18_387 Depth=4
	v_bfe_u32 v27, v33, 16, 1
	v_add3_u32 v27, v33, v27, s97
                                        ; implicit-def: $vgpr33
; %bb.517:                              ;   in Loop: Header=BB18_387 Depth=4
	s_andn2_saveexec_b64 s[36:37], s[24:25]
	s_cbranch_execz .LBB18_386
; %bb.518:                              ;   in Loop: Header=BB18_387 Depth=4
	v_or_b32_e32 v27, 0x10000, v33
	v_cmp_eq_u32_sdwa s[24:25], v33, v3 src0_sel:WORD_0 src1_sel:DWORD
	s_nop 1
	v_cndmask_b32_e64 v27, v27, v33, s[24:25]
	s_branch .LBB18_386
.LBB18_519:                             ;   in Loop: Header=BB18_303 Depth=3
	v_mov_b32_e32 v4, v0
	v_mov_b32_e32 v15, v107
	s_and_saveexec_b64 s[40:41], s[30:31]
	s_cbranch_execnz .LBB18_703
	s_branch .LBB18_834
.LBB18_520:                             ;   in Loop: Header=BB18_303 Depth=3
	s_or_b64 exec, exec, s[28:29]
	s_and_b64 s[24:25], s[40:41], exec
.LBB18_521:                             ;   in Loop: Header=BB18_303 Depth=3
	s_or_b64 exec, exec, s[26:27]
	s_and_saveexec_b64 s[26:27], s[24:25]
	s_cbranch_execz .LBB18_587
; %bb.522:                              ;   in Loop: Header=BB18_303 Depth=3
	s_and_b32 s24, 0xffff, s43
	v_lshlrev_b32_e32 v4, 16, v20
	v_lshlrev_b32_e32 v5, 16, v16
	s_cmp_eq_u32 s24, 0
	v_max_f32_e32 v5, v5, v5
	v_max_f32_e32 v4, v4, v4
	v_min_f32_e32 v24, v4, v5
	v_max_f32_e32 v4, v4, v5
	s_cselect_b64 vcc, -1, 0
	v_cndmask_b32_e32 v4, v4, v24, vcc
	v_and_b32_e32 v5, 0x7f800000, v4
	v_cmp_ne_u32_e64 s[24:25], s96, v5
                                        ; implicit-def: $vgpr24
	s_and_saveexec_b64 s[28:29], s[24:25]
	s_xor_b64 s[24:25], exec, s[28:29]
; %bb.523:                              ;   in Loop: Header=BB18_303 Depth=3
	v_bfe_u32 v5, v4, 16, 1
	v_add3_u32 v24, v4, v5, s97
                                        ; implicit-def: $vgpr4
; %bb.524:                              ;   in Loop: Header=BB18_303 Depth=3
	s_andn2_saveexec_b64 s[28:29], s[24:25]
; %bb.525:                              ;   in Loop: Header=BB18_303 Depth=3
	v_or_b32_e32 v5, 0x10000, v4
	v_cmp_eq_u32_sdwa s[24:25], v4, v3 src0_sel:WORD_0 src1_sel:DWORD
	s_nop 1
	v_cndmask_b32_e64 v24, v5, v4, s[24:25]
; %bb.526:                              ;   in Loop: Header=BB18_303 Depth=3
	s_or_b64 exec, exec, s[28:29]
	v_and_b32_e32 v4, 0xffff0000, v20
	v_and_b32_e32 v5, 0xffff0000, v16
	v_max_f32_e32 v5, v5, v5
	v_max_f32_e32 v4, v4, v4
	v_min_f32_e32 v16, v4, v5
	v_max_f32_e32 v4, v4, v5
	v_cndmask_b32_e32 v4, v4, v16, vcc
	v_and_b32_e32 v5, 0x7f800000, v4
	v_cmp_ne_u32_e64 s[24:25], s96, v5
                                        ; implicit-def: $vgpr16
	s_and_saveexec_b64 s[28:29], s[24:25]
	s_xor_b64 s[24:25], exec, s[28:29]
; %bb.527:                              ;   in Loop: Header=BB18_303 Depth=3
	v_bfe_u32 v5, v4, 16, 1
	v_add3_u32 v16, v4, v5, s97
                                        ; implicit-def: $vgpr4
; %bb.528:                              ;   in Loop: Header=BB18_303 Depth=3
	s_andn2_saveexec_b64 s[28:29], s[24:25]
; %bb.529:                              ;   in Loop: Header=BB18_303 Depth=3
	v_or_b32_e32 v5, 0x10000, v4
	v_cmp_eq_u32_sdwa s[24:25], v4, v3 src0_sel:WORD_0 src1_sel:DWORD
	s_nop 1
	v_cndmask_b32_e64 v16, v5, v4, s[24:25]
; %bb.530:                              ;   in Loop: Header=BB18_303 Depth=3
	s_or_b64 exec, exec, s[28:29]
	v_lshlrev_b32_e32 v4, 16, v21
	v_lshlrev_b32_e32 v5, 16, v17
	v_max_f32_e32 v5, v5, v5
	v_max_f32_e32 v4, v4, v4
	v_min_f32_e32 v20, v4, v5
	v_max_f32_e32 v4, v4, v5
	v_cndmask_b32_e32 v4, v4, v20, vcc
	v_and_b32_e32 v5, 0x7f800000, v4
	v_cmp_ne_u32_e64 s[24:25], s96, v5
                                        ; implicit-def: $vgpr20
	s_and_saveexec_b64 s[28:29], s[24:25]
	s_xor_b64 s[24:25], exec, s[28:29]
; %bb.531:                              ;   in Loop: Header=BB18_303 Depth=3
	v_bfe_u32 v5, v4, 16, 1
	v_add3_u32 v20, v4, v5, s97
                                        ; implicit-def: $vgpr4
; %bb.532:                              ;   in Loop: Header=BB18_303 Depth=3
	s_andn2_saveexec_b64 s[28:29], s[24:25]
; %bb.533:                              ;   in Loop: Header=BB18_303 Depth=3
	v_or_b32_e32 v5, 0x10000, v4
	v_cmp_eq_u32_sdwa s[24:25], v4, v3 src0_sel:WORD_0 src1_sel:DWORD
	s_nop 1
	v_cndmask_b32_e64 v20, v5, v4, s[24:25]
; %bb.534:                              ;   in Loop: Header=BB18_303 Depth=3
	s_or_b64 exec, exec, s[28:29]
	v_and_b32_e32 v4, 0xffff0000, v21
	v_and_b32_e32 v5, 0xffff0000, v17
	v_max_f32_e32 v5, v5, v5
	v_max_f32_e32 v4, v4, v4
	v_min_f32_e32 v17, v4, v5
	v_max_f32_e32 v4, v4, v5
	v_cndmask_b32_e32 v4, v4, v17, vcc
	v_and_b32_e32 v5, 0x7f800000, v4
	v_cmp_ne_u32_e64 s[24:25], s96, v5
                                        ; implicit-def: $vgpr17
	s_and_saveexec_b64 s[28:29], s[24:25]
	s_xor_b64 s[24:25], exec, s[28:29]
; %bb.535:                              ;   in Loop: Header=BB18_303 Depth=3
	v_bfe_u32 v5, v4, 16, 1
	v_add3_u32 v17, v4, v5, s97
                                        ; implicit-def: $vgpr4
; %bb.536:                              ;   in Loop: Header=BB18_303 Depth=3
	s_andn2_saveexec_b64 s[28:29], s[24:25]
; %bb.537:                              ;   in Loop: Header=BB18_303 Depth=3
	v_or_b32_e32 v5, 0x10000, v4
	v_cmp_eq_u32_sdwa s[24:25], v4, v3 src0_sel:WORD_0 src1_sel:DWORD
	s_nop 1
	v_cndmask_b32_e64 v17, v5, v4, s[24:25]
; %bb.538:                              ;   in Loop: Header=BB18_303 Depth=3
	s_or_b64 exec, exec, s[28:29]
	v_lshlrev_b32_e32 v4, 16, v22
	v_lshlrev_b32_e32 v5, 16, v18
	v_max_f32_e32 v5, v5, v5
	v_max_f32_e32 v4, v4, v4
	v_min_f32_e32 v21, v4, v5
	v_max_f32_e32 v4, v4, v5
	v_cndmask_b32_e32 v4, v4, v21, vcc
	v_and_b32_e32 v5, 0x7f800000, v4
	v_cmp_ne_u32_e64 s[24:25], s96, v5
                                        ; implicit-def: $vgpr21
	s_and_saveexec_b64 s[28:29], s[24:25]
	s_xor_b64 s[24:25], exec, s[28:29]
; %bb.539:                              ;   in Loop: Header=BB18_303 Depth=3
	v_bfe_u32 v5, v4, 16, 1
	v_add3_u32 v21, v4, v5, s97
                                        ; implicit-def: $vgpr4
; %bb.540:                              ;   in Loop: Header=BB18_303 Depth=3
	s_andn2_saveexec_b64 s[28:29], s[24:25]
; %bb.541:                              ;   in Loop: Header=BB18_303 Depth=3
	v_or_b32_e32 v5, 0x10000, v4
	v_cmp_eq_u32_sdwa s[24:25], v4, v3 src0_sel:WORD_0 src1_sel:DWORD
	s_nop 1
	v_cndmask_b32_e64 v21, v5, v4, s[24:25]
; %bb.542:                              ;   in Loop: Header=BB18_303 Depth=3
	s_or_b64 exec, exec, s[28:29]
	v_and_b32_e32 v4, 0xffff0000, v22
	v_and_b32_e32 v5, 0xffff0000, v18
	v_max_f32_e32 v5, v5, v5
	v_max_f32_e32 v4, v4, v4
	v_min_f32_e32 v18, v4, v5
	v_max_f32_e32 v4, v4, v5
	v_cndmask_b32_e32 v4, v4, v18, vcc
	v_and_b32_e32 v5, 0x7f800000, v4
	v_cmp_ne_u32_e64 s[24:25], s96, v5
                                        ; implicit-def: $vgpr18
	s_and_saveexec_b64 s[28:29], s[24:25]
	s_xor_b64 s[24:25], exec, s[28:29]
; %bb.543:                              ;   in Loop: Header=BB18_303 Depth=3
	v_bfe_u32 v5, v4, 16, 1
	v_add3_u32 v18, v4, v5, s97
                                        ; implicit-def: $vgpr4
; %bb.544:                              ;   in Loop: Header=BB18_303 Depth=3
	s_andn2_saveexec_b64 s[28:29], s[24:25]
; %bb.545:                              ;   in Loop: Header=BB18_303 Depth=3
	v_or_b32_e32 v5, 0x10000, v4
	v_cmp_eq_u32_sdwa s[24:25], v4, v3 src0_sel:WORD_0 src1_sel:DWORD
	s_nop 1
	v_cndmask_b32_e64 v18, v5, v4, s[24:25]
; %bb.546:                              ;   in Loop: Header=BB18_303 Depth=3
	s_or_b64 exec, exec, s[28:29]
	v_lshlrev_b32_e32 v4, 16, v23
	v_lshlrev_b32_e32 v5, 16, v19
	v_max_f32_e32 v5, v5, v5
	v_max_f32_e32 v4, v4, v4
	v_min_f32_e32 v22, v4, v5
	v_max_f32_e32 v4, v4, v5
	v_cndmask_b32_e32 v4, v4, v22, vcc
	v_and_b32_e32 v5, 0x7f800000, v4
	v_cmp_ne_u32_e64 s[24:25], s96, v5
                                        ; implicit-def: $vgpr22
	s_and_saveexec_b64 s[28:29], s[24:25]
	s_xor_b64 s[24:25], exec, s[28:29]
; %bb.547:                              ;   in Loop: Header=BB18_303 Depth=3
	v_bfe_u32 v5, v4, 16, 1
	v_add3_u32 v22, v4, v5, s97
                                        ; implicit-def: $vgpr4
; %bb.548:                              ;   in Loop: Header=BB18_303 Depth=3
	s_andn2_saveexec_b64 s[28:29], s[24:25]
; %bb.549:                              ;   in Loop: Header=BB18_303 Depth=3
	v_or_b32_e32 v5, 0x10000, v4
	v_cmp_eq_u32_sdwa s[24:25], v4, v3 src0_sel:WORD_0 src1_sel:DWORD
	s_nop 1
	v_cndmask_b32_e64 v22, v5, v4, s[24:25]
; %bb.550:                              ;   in Loop: Header=BB18_303 Depth=3
	s_or_b64 exec, exec, s[28:29]
	v_and_b32_e32 v4, 0xffff0000, v23
	v_and_b32_e32 v5, 0xffff0000, v19
	v_max_f32_e32 v5, v5, v5
	v_max_f32_e32 v4, v4, v4
	v_min_f32_e32 v19, v4, v5
	v_max_f32_e32 v4, v4, v5
	v_cndmask_b32_e32 v4, v4, v19, vcc
	v_and_b32_e32 v5, 0x7f800000, v4
	v_cmp_ne_u32_e64 s[24:25], s96, v5
                                        ; implicit-def: $vgpr19
	s_and_saveexec_b64 s[28:29], s[24:25]
	s_xor_b64 s[24:25], exec, s[28:29]
; %bb.551:                              ;   in Loop: Header=BB18_303 Depth=3
	v_bfe_u32 v5, v4, 16, 1
	v_add3_u32 v19, v4, v5, s97
                                        ; implicit-def: $vgpr4
; %bb.552:                              ;   in Loop: Header=BB18_303 Depth=3
	s_andn2_saveexec_b64 s[28:29], s[24:25]
; %bb.553:                              ;   in Loop: Header=BB18_303 Depth=3
	v_or_b32_e32 v5, 0x10000, v4
	v_cmp_eq_u32_sdwa s[24:25], v4, v3 src0_sel:WORD_0 src1_sel:DWORD
	s_nop 1
	v_cndmask_b32_e64 v19, v5, v4, s[24:25]
; %bb.554:                              ;   in Loop: Header=BB18_303 Depth=3
	s_or_b64 exec, exec, s[28:29]
	v_lshlrev_b32_e32 v4, 16, v12
	v_lshlrev_b32_e32 v5, 16, v8
	v_max_f32_e32 v5, v5, v5
	v_max_f32_e32 v4, v4, v4
	v_min_f32_e32 v23, v4, v5
	v_max_f32_e32 v4, v4, v5
	v_cndmask_b32_e32 v4, v4, v23, vcc
	v_and_b32_e32 v5, 0x7f800000, v4
	v_cmp_ne_u32_e64 s[24:25], s96, v5
                                        ; implicit-def: $vgpr23
	s_and_saveexec_b64 s[28:29], s[24:25]
	s_xor_b64 s[24:25], exec, s[28:29]
; %bb.555:                              ;   in Loop: Header=BB18_303 Depth=3
	v_bfe_u32 v5, v4, 16, 1
	v_add3_u32 v23, v4, v5, s97
                                        ; implicit-def: $vgpr4
; %bb.556:                              ;   in Loop: Header=BB18_303 Depth=3
	s_andn2_saveexec_b64 s[28:29], s[24:25]
; %bb.557:                              ;   in Loop: Header=BB18_303 Depth=3
	v_or_b32_e32 v5, 0x10000, v4
	v_cmp_eq_u32_sdwa s[24:25], v4, v3 src0_sel:WORD_0 src1_sel:DWORD
	s_nop 1
	v_cndmask_b32_e64 v23, v5, v4, s[24:25]
; %bb.558:                              ;   in Loop: Header=BB18_303 Depth=3
	s_or_b64 exec, exec, s[28:29]
	v_and_b32_e32 v4, 0xffff0000, v12
	v_and_b32_e32 v5, 0xffff0000, v8
	v_max_f32_e32 v5, v5, v5
	v_max_f32_e32 v4, v4, v4
	v_min_f32_e32 v8, v4, v5
	v_max_f32_e32 v4, v4, v5
	v_cndmask_b32_e32 v4, v4, v8, vcc
	v_and_b32_e32 v5, 0x7f800000, v4
	v_cmp_ne_u32_e64 s[24:25], s96, v5
                                        ; implicit-def: $vgpr8
	s_and_saveexec_b64 s[28:29], s[24:25]
	s_xor_b64 s[24:25], exec, s[28:29]
; %bb.559:                              ;   in Loop: Header=BB18_303 Depth=3
	v_bfe_u32 v5, v4, 16, 1
	v_add3_u32 v8, v4, v5, s97
                                        ; implicit-def: $vgpr4
; %bb.560:                              ;   in Loop: Header=BB18_303 Depth=3
	s_andn2_saveexec_b64 s[28:29], s[24:25]
; %bb.561:                              ;   in Loop: Header=BB18_303 Depth=3
	v_or_b32_e32 v5, 0x10000, v4
	v_cmp_eq_u32_sdwa s[24:25], v4, v3 src0_sel:WORD_0 src1_sel:DWORD
	s_nop 1
	v_cndmask_b32_e64 v8, v5, v4, s[24:25]
; %bb.562:                              ;   in Loop: Header=BB18_303 Depth=3
	s_or_b64 exec, exec, s[28:29]
	v_lshlrev_b32_e32 v4, 16, v13
	v_lshlrev_b32_e32 v5, 16, v9
	v_max_f32_e32 v5, v5, v5
	v_max_f32_e32 v4, v4, v4
	v_min_f32_e32 v12, v4, v5
	v_max_f32_e32 v4, v4, v5
	v_cndmask_b32_e32 v4, v4, v12, vcc
	v_and_b32_e32 v5, 0x7f800000, v4
	v_cmp_ne_u32_e64 s[24:25], s96, v5
                                        ; implicit-def: $vgpr12
	s_and_saveexec_b64 s[28:29], s[24:25]
	s_xor_b64 s[24:25], exec, s[28:29]
; %bb.563:                              ;   in Loop: Header=BB18_303 Depth=3
	v_bfe_u32 v5, v4, 16, 1
	v_add3_u32 v12, v4, v5, s97
                                        ; implicit-def: $vgpr4
; %bb.564:                              ;   in Loop: Header=BB18_303 Depth=3
	s_andn2_saveexec_b64 s[28:29], s[24:25]
; %bb.565:                              ;   in Loop: Header=BB18_303 Depth=3
	v_or_b32_e32 v5, 0x10000, v4
	v_cmp_eq_u32_sdwa s[24:25], v4, v3 src0_sel:WORD_0 src1_sel:DWORD
	s_nop 1
	v_cndmask_b32_e64 v12, v5, v4, s[24:25]
; %bb.566:                              ;   in Loop: Header=BB18_303 Depth=3
	s_or_b64 exec, exec, s[28:29]
	v_and_b32_e32 v4, 0xffff0000, v13
	v_and_b32_e32 v5, 0xffff0000, v9
	v_max_f32_e32 v5, v5, v5
	v_max_f32_e32 v4, v4, v4
	v_min_f32_e32 v9, v4, v5
	v_max_f32_e32 v4, v4, v5
	v_cndmask_b32_e32 v4, v4, v9, vcc
	v_and_b32_e32 v5, 0x7f800000, v4
	v_cmp_ne_u32_e64 s[24:25], s96, v5
                                        ; implicit-def: $vgpr9
	s_and_saveexec_b64 s[28:29], s[24:25]
	s_xor_b64 s[24:25], exec, s[28:29]
; %bb.567:                              ;   in Loop: Header=BB18_303 Depth=3
	v_bfe_u32 v5, v4, 16, 1
	v_add3_u32 v9, v4, v5, s97
                                        ; implicit-def: $vgpr4
; %bb.568:                              ;   in Loop: Header=BB18_303 Depth=3
	s_andn2_saveexec_b64 s[28:29], s[24:25]
; %bb.569:                              ;   in Loop: Header=BB18_303 Depth=3
	v_or_b32_e32 v5, 0x10000, v4
	v_cmp_eq_u32_sdwa s[24:25], v4, v3 src0_sel:WORD_0 src1_sel:DWORD
	s_nop 1
	v_cndmask_b32_e64 v9, v5, v4, s[24:25]
; %bb.570:                              ;   in Loop: Header=BB18_303 Depth=3
	s_or_b64 exec, exec, s[28:29]
	v_lshlrev_b32_e32 v4, 16, v14
	v_lshlrev_b32_e32 v5, 16, v10
	v_max_f32_e32 v5, v5, v5
	v_max_f32_e32 v4, v4, v4
	v_min_f32_e32 v13, v4, v5
	v_max_f32_e32 v4, v4, v5
	v_cndmask_b32_e32 v5, v4, v13, vcc
	v_and_b32_e32 v4, 0x7f800000, v5
	v_cmp_ne_u32_e64 s[24:25], s96, v4
                                        ; implicit-def: $vgpr4
	s_and_saveexec_b64 s[28:29], s[24:25]
	s_xor_b64 s[24:25], exec, s[28:29]
; %bb.571:                              ;   in Loop: Header=BB18_303 Depth=3
	v_bfe_u32 v4, v5, 16, 1
	v_add3_u32 v4, v5, v4, s97
                                        ; implicit-def: $vgpr5
; %bb.572:                              ;   in Loop: Header=BB18_303 Depth=3
	s_andn2_saveexec_b64 s[28:29], s[24:25]
; %bb.573:                              ;   in Loop: Header=BB18_303 Depth=3
	v_or_b32_e32 v4, 0x10000, v5
	v_cmp_eq_u32_sdwa s[24:25], v5, v3 src0_sel:WORD_0 src1_sel:DWORD
	s_nop 1
	v_cndmask_b32_e64 v4, v4, v5, s[24:25]
; %bb.574:                              ;   in Loop: Header=BB18_303 Depth=3
	s_or_b64 exec, exec, s[28:29]
	v_and_b32_e32 v5, 0xffff0000, v14
	v_and_b32_e32 v10, 0xffff0000, v10
	v_max_f32_e32 v10, v10, v10
	v_max_f32_e32 v5, v5, v5
	v_min_f32_e32 v13, v5, v10
	v_max_f32_e32 v5, v5, v10
	v_cndmask_b32_e32 v10, v5, v13, vcc
	v_and_b32_e32 v5, 0x7f800000, v10
	v_cmp_ne_u32_e64 s[24:25], s96, v5
                                        ; implicit-def: $vgpr5
	s_and_saveexec_b64 s[28:29], s[24:25]
	s_xor_b64 s[24:25], exec, s[28:29]
; %bb.575:                              ;   in Loop: Header=BB18_303 Depth=3
	v_bfe_u32 v5, v10, 16, 1
	v_add3_u32 v5, v10, v5, s97
                                        ; implicit-def: $vgpr10
; %bb.576:                              ;   in Loop: Header=BB18_303 Depth=3
	s_andn2_saveexec_b64 s[28:29], s[24:25]
; %bb.577:                              ;   in Loop: Header=BB18_303 Depth=3
	v_or_b32_e32 v5, 0x10000, v10
	v_cmp_eq_u32_sdwa s[24:25], v10, v3 src0_sel:WORD_0 src1_sel:DWORD
	s_nop 1
	v_cndmask_b32_e64 v5, v5, v10, s[24:25]
; %bb.578:                              ;   in Loop: Header=BB18_303 Depth=3
	s_or_b64 exec, exec, s[28:29]
	v_lshlrev_b32_e32 v10, 16, v15
	v_lshlrev_b32_e32 v13, 16, v11
	v_max_f32_e32 v13, v13, v13
	v_max_f32_e32 v10, v10, v10
	v_min_f32_e32 v14, v10, v13
	v_max_f32_e32 v10, v10, v13
	v_cndmask_b32_e32 v13, v10, v14, vcc
	v_and_b32_e32 v10, 0x7f800000, v13
	v_cmp_ne_u32_e64 s[24:25], s96, v10
                                        ; implicit-def: $vgpr10
	s_and_saveexec_b64 s[28:29], s[24:25]
	s_xor_b64 s[24:25], exec, s[28:29]
; %bb.579:                              ;   in Loop: Header=BB18_303 Depth=3
	v_bfe_u32 v10, v13, 16, 1
	v_add3_u32 v10, v13, v10, s97
                                        ; implicit-def: $vgpr13
; %bb.580:                              ;   in Loop: Header=BB18_303 Depth=3
	s_andn2_saveexec_b64 s[28:29], s[24:25]
; %bb.581:                              ;   in Loop: Header=BB18_303 Depth=3
	v_or_b32_e32 v10, 0x10000, v13
	v_cmp_eq_u32_sdwa s[24:25], v13, v3 src0_sel:WORD_0 src1_sel:DWORD
	s_nop 1
	v_cndmask_b32_e64 v10, v10, v13, s[24:25]
; %bb.582:                              ;   in Loop: Header=BB18_303 Depth=3
	s_or_b64 exec, exec, s[28:29]
	v_and_b32_e32 v13, 0xffff0000, v15
	v_and_b32_e32 v11, 0xffff0000, v11
	v_max_f32_e32 v11, v11, v11
	v_max_f32_e32 v13, v13, v13
	v_min_f32_e32 v14, v13, v11
	v_max_f32_e32 v11, v13, v11
	v_cndmask_b32_e32 v13, v11, v14, vcc
	v_and_b32_e32 v11, 0x7f800000, v13
	v_cmp_ne_u32_e32 vcc, s96, v11
                                        ; implicit-def: $vgpr11
	s_and_saveexec_b64 s[24:25], vcc
	s_xor_b64 s[24:25], exec, s[24:25]
; %bb.583:                              ;   in Loop: Header=BB18_303 Depth=3
	v_bfe_u32 v11, v13, 16, 1
	v_add3_u32 v11, v13, v11, s97
                                        ; implicit-def: $vgpr13
; %bb.584:                              ;   in Loop: Header=BB18_303 Depth=3
	s_andn2_saveexec_b64 s[24:25], s[24:25]
; %bb.585:                              ;   in Loop: Header=BB18_303 Depth=3
	v_or_b32_e32 v11, 0x10000, v13
	v_cmp_eq_u32_sdwa vcc, v13, v3 src0_sel:WORD_0 src1_sel:DWORD
	s_nop 1
	v_cndmask_b32_e32 v11, v11, v13, vcc
; %bb.586:                              ;   in Loop: Header=BB18_303 Depth=3
	s_or_b64 exec, exec, s[24:25]
	v_lshrrev_b32_e32 v13, 16, v20
	v_and_or_b32 v15, v17, s44, v13
	v_lshrrev_b32_e32 v13, 16, v24
	v_and_or_b32 v14, v16, s44, v13
	;; [unrolled: 2-line block ×3, first 2 shown]
	v_lshrrev_b32_e32 v13, 16, v22
	v_lshrrev_b32_e32 v12, 16, v12
	;; [unrolled: 1-line block ×3, first 2 shown]
	v_and_or_b32 v17, v19, s44, v13
	v_and_or_b32 v19, v9, s44, v12
	v_lshrrev_b32_e32 v9, 16, v23
	v_and_or_b32 v20, v5, s44, v4
	v_lshrrev_b32_e32 v4, 16, v10
	v_and_or_b32 v18, v8, s44, v9
	v_and_or_b32 v21, v11, s44, v4
	global_store_dwordx4 v[88:89], v[14:17], off
	global_store_dwordx4 v[88:89], v[18:21], off offset:1024
.LBB18_587:                             ;   in Loop: Header=BB18_303 Depth=3
	s_or_b64 exec, exec, s[26:27]
	v_lshlrev_b32_e32 v22, 11, v82
	v_cmp_ne_u32_e32 vcc, v63, v22
                                        ; implicit-def: $vgpr14
                                        ; implicit-def: $vgpr4
                                        ; implicit-def: $vgpr15
	s_and_saveexec_b64 s[34:35], vcc
	s_cbranch_execz .LBB18_702
; %bb.588:                              ;   in Loop: Header=BB18_303 Depth=3
	v_lshlrev_b32_e32 v5, 6, v73
	v_sub_u32_e32 v5, v107, v5
	v_ashrrev_i32_e32 v8, 31, v5
	v_lshrrev_b32_e32 v8, 26, v8
	v_add_u32_e32 v8, v5, v8
	v_ashrrev_i32_e32 v10, 6, v8
	v_and_b32_e32 v8, 0xffffffc0, v8
	v_sub_u32_e32 v23, v5, v8
	v_lshlrev_b32_e32 v5, 4, v23
	v_sub_u32_e32 v4, v63, v22
	v_lshl_add_u32 v5, v10, 10, v5
	v_add_u32_e32 v8, v5, v22
	v_sub_u32_e32 v27, v4, v5
	v_ashrrev_i32_e32 v5, 31, v4
	v_lshrrev_b32_e32 v5, 22, v5
	v_add_u32_e32 v5, v4, v5
	v_and_b32_e32 v24, 0xfffffc00, v5
	v_sub_u32_e32 v25, v4, v24
	v_ashrrev_i32_e32 v9, 10, v5
	v_cmp_lt_i32_e64 s[24:25], 15, v25
	s_mov_b64 s[26:27], 0
	s_nop 0
	v_addc_co_u32_e64 v4, vcc, 0, v9, s[24:25]
	v_ashrrev_i32_e32 v9, 31, v8
	v_sub_u32_e32 v26, v4, v10
	v_lshl_add_u64 v[16:17], v[8:9], 0, v[78:79]
	v_cmp_lt_i32_e32 vcc, 15, v27
	s_and_saveexec_b64 s[36:37], vcc
	s_cbranch_execz .LBB18_665
; %bb.589:                              ;   in Loop: Header=BB18_303 Depth=3
	s_trap 2
	ds_read_b64 v[4:5], v0
	s_and_b32 s26, 0xffff, s43
	s_cmp_eq_u32 s26, 0
	v_lshl_add_u64 v[18:19], v[8:9], 0, v[76:77]
	s_mov_b64 s[50:51], 0
	s_waitcnt lgkmcnt(0)
	v_lshl_add_u64 v[20:21], v[4:5], 0, v[8:9]
	s_mov_b64 s[38:39], 0
	s_cselect_b64 s[26:27], -1, 0
                                        ; implicit-def: $sgpr48_sgpr49
	s_branch .LBB18_591
.LBB18_590:                             ;   in Loop: Header=BB18_591 Depth=4
	s_or_b64 exec, exec, s[28:29]
	v_cmp_gt_i32_e32 vcc, 16, v27
	s_or_b64 s[38:39], vcc, s[38:39]
	s_andn2_b64 s[28:29], s[48:49], exec
	s_and_b64 s[40:41], s[50:51], exec
	s_or_b64 s[48:49], s[28:29], s[40:41]
	s_andn2_b64 exec, exec, s[38:39]
	s_cbranch_execz .LBB18_664
.LBB18_591:                             ;   Parent Loop BB18_47 Depth=1
                                        ;     Parent Loop BB18_300 Depth=2
                                        ;       Parent Loop BB18_303 Depth=3
                                        ; =>      This Loop Header: Depth=4
                                        ;           Child Loop BB18_592 Depth 5
                                        ;           Child Loop BB18_629 Depth 5
	s_add_i32 s28, s33, 0xc0
	s_mov_b32 s75, s28
	s_mov_b64 s[52:53], -1
	s_mov_b64 s[54:55], 0
.LBB18_592:                             ;   Parent Loop BB18_47 Depth=1
                                        ;     Parent Loop BB18_300 Depth=2
                                        ;       Parent Loop BB18_303 Depth=3
                                        ;         Parent Loop BB18_591 Depth=4
                                        ; =>        This Inner Loop Header: Depth=5
	s_cmp_eq_u32 s54, 1
	s_cselect_b64 vcc, -1, 0
	v_cndmask_b32_e32 v5, v19, v21, vcc
	v_cndmask_b32_e32 v4, v18, v20, vcc
	global_load_dwordx4 v[8:11], v[4:5], off nt
	s_cmp_eq_u32 s54, 0
	v_lshl_add_u64 v[4:5], v[4:5], 0, s[58:59]
	s_cselect_b64 s[28:29], -1, 0
	s_and_b64 s[40:41], exec, s[52:53]
	s_mov_b64 s[54:55], 1
	s_mov_b64 s[52:53], 0
	v_cndmask_b32_e64 v19, v19, v5, s[28:29]
	v_cndmask_b32_e64 v18, v18, v4, s[28:29]
	v_cndmask_b32_e32 v21, v21, v5, vcc
	v_cndmask_b32_e32 v20, v20, v4, vcc
	s_mov_b64 vcc, s[40:41]
	s_waitcnt vmcnt(0)
	scratch_store_dwordx4 off, v[8:11], s75
	s_mov_b32 s75, s71
	s_cbranch_vccnz .LBB18_592
; %bb.593:                              ;   in Loop: Header=BB18_591 Depth=4
	s_and_saveexec_b64 s[28:29], s[50:51]
	s_cbranch_execz .LBB18_627
; %bb.594:                              ;   in Loop: Header=BB18_591 Depth=4
	scratch_load_dwordx4 v[8:11], off, s33 offset:224
	scratch_load_dwordx4 v[12:15], off, s33 offset:240
	s_waitcnt vmcnt(1)
	v_lshlrev_b32_e32 v4, 16, v8
	s_waitcnt vmcnt(0)
	v_lshlrev_b32_e32 v5, 16, v12
	v_max_f32_e32 v5, v5, v5
	v_max_f32_e32 v4, v4, v4
	v_min_f32_e32 v28, v4, v5
	v_max_f32_e32 v4, v4, v5
	v_cndmask_b32_e64 v4, v4, v28, s[26:27]
	v_and_b32_e32 v5, 0x7f800000, v4
	v_cmp_ne_u32_e32 vcc, s96, v5
                                        ; implicit-def: $vgpr28
	s_and_saveexec_b64 s[40:41], vcc
	s_xor_b64 s[40:41], exec, s[40:41]
; %bb.595:                              ;   in Loop: Header=BB18_591 Depth=4
	v_bfe_u32 v5, v4, 16, 1
	v_add3_u32 v28, v4, v5, s97
                                        ; implicit-def: $vgpr4
; %bb.596:                              ;   in Loop: Header=BB18_591 Depth=4
	s_andn2_saveexec_b64 s[40:41], s[40:41]
; %bb.597:                              ;   in Loop: Header=BB18_591 Depth=4
	v_or_b32_e32 v5, 0x10000, v4
	v_cmp_eq_u32_sdwa vcc, v4, v3 src0_sel:WORD_0 src1_sel:DWORD
	s_nop 1
	v_cndmask_b32_e32 v28, v5, v4, vcc
; %bb.598:                              ;   in Loop: Header=BB18_591 Depth=4
	s_or_b64 exec, exec, s[40:41]
	v_and_b32_e32 v4, 0xffff0000, v8
	v_and_b32_e32 v5, 0xffff0000, v12
	v_max_f32_e32 v5, v5, v5
	v_max_f32_e32 v4, v4, v4
	v_min_f32_e32 v8, v4, v5
	v_max_f32_e32 v4, v4, v5
	v_cndmask_b32_e64 v4, v4, v8, s[26:27]
	v_and_b32_e32 v5, 0x7f800000, v4
	v_cmp_ne_u32_e32 vcc, s96, v5
                                        ; implicit-def: $vgpr8
	s_and_saveexec_b64 s[40:41], vcc
	s_xor_b64 s[40:41], exec, s[40:41]
; %bb.599:                              ;   in Loop: Header=BB18_591 Depth=4
	v_bfe_u32 v5, v4, 16, 1
	v_add3_u32 v8, v4, v5, s97
                                        ; implicit-def: $vgpr4
; %bb.600:                              ;   in Loop: Header=BB18_591 Depth=4
	s_andn2_saveexec_b64 s[40:41], s[40:41]
; %bb.601:                              ;   in Loop: Header=BB18_591 Depth=4
	v_or_b32_e32 v5, 0x10000, v4
	v_cmp_eq_u32_sdwa vcc, v4, v3 src0_sel:WORD_0 src1_sel:DWORD
	s_nop 1
	v_cndmask_b32_e32 v8, v5, v4, vcc
; %bb.602:                              ;   in Loop: Header=BB18_591 Depth=4
	s_or_b64 exec, exec, s[40:41]
	v_lshlrev_b32_e32 v4, 16, v9
	v_lshlrev_b32_e32 v5, 16, v13
	v_max_f32_e32 v5, v5, v5
	v_max_f32_e32 v4, v4, v4
	v_min_f32_e32 v12, v4, v5
	v_max_f32_e32 v4, v4, v5
	v_cndmask_b32_e64 v4, v4, v12, s[26:27]
	v_and_b32_e32 v5, 0x7f800000, v4
	v_cmp_ne_u32_e32 vcc, s96, v5
                                        ; implicit-def: $vgpr12
	s_and_saveexec_b64 s[40:41], vcc
	s_xor_b64 s[40:41], exec, s[40:41]
; %bb.603:                              ;   in Loop: Header=BB18_591 Depth=4
	v_bfe_u32 v5, v4, 16, 1
	v_add3_u32 v12, v4, v5, s97
                                        ; implicit-def: $vgpr4
; %bb.604:                              ;   in Loop: Header=BB18_591 Depth=4
	s_andn2_saveexec_b64 s[40:41], s[40:41]
; %bb.605:                              ;   in Loop: Header=BB18_591 Depth=4
	v_or_b32_e32 v5, 0x10000, v4
	v_cmp_eq_u32_sdwa vcc, v4, v3 src0_sel:WORD_0 src1_sel:DWORD
	s_nop 1
	v_cndmask_b32_e32 v12, v5, v4, vcc
; %bb.606:                              ;   in Loop: Header=BB18_591 Depth=4
	s_or_b64 exec, exec, s[40:41]
	v_and_b32_e32 v4, 0xffff0000, v9
	v_and_b32_e32 v5, 0xffff0000, v13
	v_max_f32_e32 v5, v5, v5
	v_max_f32_e32 v4, v4, v4
	v_min_f32_e32 v9, v4, v5
	v_max_f32_e32 v4, v4, v5
	v_cndmask_b32_e64 v4, v4, v9, s[26:27]
	v_and_b32_e32 v5, 0x7f800000, v4
	v_cmp_ne_u32_e32 vcc, s96, v5
                                        ; implicit-def: $vgpr9
	s_and_saveexec_b64 s[40:41], vcc
	s_xor_b64 s[40:41], exec, s[40:41]
; %bb.607:                              ;   in Loop: Header=BB18_591 Depth=4
	v_bfe_u32 v5, v4, 16, 1
	v_add3_u32 v9, v4, v5, s97
                                        ; implicit-def: $vgpr4
; %bb.608:                              ;   in Loop: Header=BB18_591 Depth=4
	s_andn2_saveexec_b64 s[40:41], s[40:41]
; %bb.609:                              ;   in Loop: Header=BB18_591 Depth=4
	v_or_b32_e32 v5, 0x10000, v4
	v_cmp_eq_u32_sdwa vcc, v4, v3 src0_sel:WORD_0 src1_sel:DWORD
	s_nop 1
	v_cndmask_b32_e32 v9, v5, v4, vcc
; %bb.610:                              ;   in Loop: Header=BB18_591 Depth=4
	s_or_b64 exec, exec, s[40:41]
	v_lshlrev_b32_e32 v4, 16, v10
	v_lshlrev_b32_e32 v5, 16, v14
	v_max_f32_e32 v5, v5, v5
	v_max_f32_e32 v4, v4, v4
	v_min_f32_e32 v13, v4, v5
	v_max_f32_e32 v4, v4, v5
	v_cndmask_b32_e64 v5, v4, v13, s[26:27]
	v_and_b32_e32 v4, 0x7f800000, v5
	v_cmp_ne_u32_e32 vcc, s96, v4
                                        ; implicit-def: $vgpr4
	s_and_saveexec_b64 s[40:41], vcc
	s_xor_b64 s[40:41], exec, s[40:41]
; %bb.611:                              ;   in Loop: Header=BB18_591 Depth=4
	v_bfe_u32 v4, v5, 16, 1
	v_add3_u32 v4, v5, v4, s97
                                        ; implicit-def: $vgpr5
; %bb.612:                              ;   in Loop: Header=BB18_591 Depth=4
	s_andn2_saveexec_b64 s[40:41], s[40:41]
; %bb.613:                              ;   in Loop: Header=BB18_591 Depth=4
	v_or_b32_e32 v4, 0x10000, v5
	v_cmp_eq_u32_sdwa vcc, v5, v3 src0_sel:WORD_0 src1_sel:DWORD
	s_nop 1
	v_cndmask_b32_e32 v4, v4, v5, vcc
; %bb.614:                              ;   in Loop: Header=BB18_591 Depth=4
	s_or_b64 exec, exec, s[40:41]
	v_and_b32_e32 v5, 0xffff0000, v10
	v_and_b32_e32 v10, 0xffff0000, v14
	v_max_f32_e32 v10, v10, v10
	v_max_f32_e32 v5, v5, v5
	v_min_f32_e32 v13, v5, v10
	v_max_f32_e32 v5, v5, v10
	v_cndmask_b32_e64 v10, v5, v13, s[26:27]
	v_and_b32_e32 v5, 0x7f800000, v10
	v_cmp_ne_u32_e32 vcc, s96, v5
                                        ; implicit-def: $vgpr5
	s_and_saveexec_b64 s[40:41], vcc
	s_xor_b64 s[40:41], exec, s[40:41]
; %bb.615:                              ;   in Loop: Header=BB18_591 Depth=4
	v_bfe_u32 v5, v10, 16, 1
	v_add3_u32 v5, v10, v5, s97
                                        ; implicit-def: $vgpr10
; %bb.616:                              ;   in Loop: Header=BB18_591 Depth=4
	s_andn2_saveexec_b64 s[40:41], s[40:41]
; %bb.617:                              ;   in Loop: Header=BB18_591 Depth=4
	v_or_b32_e32 v5, 0x10000, v10
	v_cmp_eq_u32_sdwa vcc, v10, v3 src0_sel:WORD_0 src1_sel:DWORD
	s_nop 1
	v_cndmask_b32_e32 v5, v5, v10, vcc
; %bb.618:                              ;   in Loop: Header=BB18_591 Depth=4
	s_or_b64 exec, exec, s[40:41]
	v_lshlrev_b32_e32 v10, 16, v11
	v_lshlrev_b32_e32 v13, 16, v15
	v_max_f32_e32 v13, v13, v13
	v_max_f32_e32 v10, v10, v10
	v_min_f32_e32 v14, v10, v13
	v_max_f32_e32 v10, v10, v13
	v_cndmask_b32_e64 v13, v10, v14, s[26:27]
	v_and_b32_e32 v10, 0x7f800000, v13
	v_cmp_ne_u32_e32 vcc, s96, v10
                                        ; implicit-def: $vgpr10
	s_and_saveexec_b64 s[40:41], vcc
	s_xor_b64 s[40:41], exec, s[40:41]
; %bb.619:                              ;   in Loop: Header=BB18_591 Depth=4
	v_bfe_u32 v10, v13, 16, 1
	v_add3_u32 v10, v13, v10, s97
                                        ; implicit-def: $vgpr13
; %bb.620:                              ;   in Loop: Header=BB18_591 Depth=4
	s_andn2_saveexec_b64 s[40:41], s[40:41]
; %bb.621:                              ;   in Loop: Header=BB18_591 Depth=4
	v_or_b32_e32 v10, 0x10000, v13
	v_cmp_eq_u32_sdwa vcc, v13, v3 src0_sel:WORD_0 src1_sel:DWORD
	s_nop 1
	v_cndmask_b32_e32 v10, v10, v13, vcc
; %bb.622:                              ;   in Loop: Header=BB18_591 Depth=4
	s_or_b64 exec, exec, s[40:41]
	v_and_b32_e32 v11, 0xffff0000, v11
	v_and_b32_e32 v13, 0xffff0000, v15
	v_max_f32_e32 v13, v13, v13
	v_max_f32_e32 v11, v11, v11
	v_min_f32_e32 v14, v11, v13
	v_max_f32_e32 v11, v11, v13
	v_cndmask_b32_e64 v13, v11, v14, s[26:27]
	v_and_b32_e32 v11, 0x7f800000, v13
	v_cmp_ne_u32_e32 vcc, s96, v11
                                        ; implicit-def: $vgpr11
	s_and_saveexec_b64 s[40:41], vcc
	s_xor_b64 s[40:41], exec, s[40:41]
; %bb.623:                              ;   in Loop: Header=BB18_591 Depth=4
	v_bfe_u32 v11, v13, 16, 1
	v_add3_u32 v11, v13, v11, s97
                                        ; implicit-def: $vgpr13
; %bb.624:                              ;   in Loop: Header=BB18_591 Depth=4
	s_andn2_saveexec_b64 s[40:41], s[40:41]
; %bb.625:                              ;   in Loop: Header=BB18_591 Depth=4
	v_or_b32_e32 v11, 0x10000, v13
	v_cmp_eq_u32_sdwa vcc, v13, v3 src0_sel:WORD_0 src1_sel:DWORD
	s_nop 1
	v_cndmask_b32_e32 v11, v11, v13, vcc
; %bb.626:                              ;   in Loop: Header=BB18_591 Depth=4
	s_or_b64 exec, exec, s[40:41]
	v_lshrrev_b32_e32 v12, 16, v12
	v_lshrrev_b32_e32 v4, 16, v4
	v_and_or_b32 v13, v9, s44, v12
	v_lshrrev_b32_e32 v9, 16, v28
	v_and_or_b32 v14, v5, s44, v4
	;; [unrolled: 2-line block ×3, first 2 shown]
	v_and_or_b32 v15, v11, s44, v4
	scratch_store_dwordx4 off, v[12:15], s33 offset:224
	global_store_dwordx4 v[16:17], v[12:15], off
	v_lshl_add_u64 v[16:17], v[42:43], 0, v[16:17]
.LBB18_627:                             ;   in Loop: Header=BB18_591 Depth=4
	s_or_b64 exec, exec, s[28:29]
	v_sub_u32_e32 v27, v27, v109
	v_lshl_add_u64 v[18:19], v[18:19], 0, v[114:115]
	v_lshl_add_u64 v[20:21], v[20:21], 0, v[114:115]
	v_cmp_lt_i32_e64 s[50:51], 15, v27
	s_and_saveexec_b64 s[40:41], s[50:51]
	s_cbranch_execz .LBB18_630
; %bb.628:                              ;   in Loop: Header=BB18_591 Depth=4
	s_add_i32 s28, s33, 0xe0
	s_mov_b32 s75, s28
	s_mov_b64 s[28:29], 0
	s_mov_b64 s[52:53], -1
.LBB18_629:                             ;   Parent Loop BB18_47 Depth=1
                                        ;     Parent Loop BB18_300 Depth=2
                                        ;       Parent Loop BB18_303 Depth=3
                                        ;         Parent Loop BB18_591 Depth=4
                                        ; =>        This Inner Loop Header: Depth=5
	s_cmp_eq_u32 s28, 1
	s_cselect_b64 vcc, -1, 0
	v_cndmask_b32_e32 v5, v19, v21, vcc
	v_cndmask_b32_e32 v4, v18, v20, vcc
	global_load_dwordx4 v[8:11], v[4:5], off nt
	s_cmp_eq_u32 s28, 0
	v_lshl_add_u64 v[4:5], v[4:5], 0, s[58:59]
	s_cselect_b64 s[28:29], -1, 0
	v_cndmask_b32_e64 v19, v19, v5, s[28:29]
	v_cndmask_b32_e64 v18, v18, v4, s[28:29]
	v_cndmask_b32_e32 v21, v21, v5, vcc
	v_cndmask_b32_e32 v20, v20, v4, vcc
	s_mov_b64 s[28:29], 1
	s_and_b64 vcc, exec, s[52:53]
	s_mov_b64 s[52:53], 0
	s_waitcnt vmcnt(0)
	scratch_store_dwordx4 off, v[8:11], s75
	s_mov_b32 s75, s70
	s_cbranch_vccnz .LBB18_629
.LBB18_630:                             ;   in Loop: Header=BB18_591 Depth=4
	s_or_b64 exec, exec, s[40:41]
	scratch_load_dwordx4 v[8:11], off, s33 offset:192
	scratch_load_dwordx4 v[12:15], off, s33 offset:208
	s_waitcnt vmcnt(1)
	v_lshlrev_b32_e32 v4, 16, v8
	s_waitcnt vmcnt(0)
	v_lshlrev_b32_e32 v5, 16, v12
	v_max_f32_e32 v5, v5, v5
	v_max_f32_e32 v4, v4, v4
	v_min_f32_e32 v28, v4, v5
	v_max_f32_e32 v4, v4, v5
	v_cndmask_b32_e64 v4, v4, v28, s[26:27]
	v_and_b32_e32 v5, 0x7f800000, v4
	v_cmp_ne_u32_e32 vcc, s96, v5
                                        ; implicit-def: $vgpr28
	s_and_saveexec_b64 s[28:29], vcc
	s_xor_b64 s[28:29], exec, s[28:29]
; %bb.631:                              ;   in Loop: Header=BB18_591 Depth=4
	v_bfe_u32 v5, v4, 16, 1
	v_add3_u32 v28, v4, v5, s97
                                        ; implicit-def: $vgpr4
; %bb.632:                              ;   in Loop: Header=BB18_591 Depth=4
	s_andn2_saveexec_b64 s[28:29], s[28:29]
; %bb.633:                              ;   in Loop: Header=BB18_591 Depth=4
	v_or_b32_e32 v5, 0x10000, v4
	v_cmp_eq_u32_sdwa vcc, v4, v3 src0_sel:WORD_0 src1_sel:DWORD
	s_nop 1
	v_cndmask_b32_e32 v28, v5, v4, vcc
; %bb.634:                              ;   in Loop: Header=BB18_591 Depth=4
	s_or_b64 exec, exec, s[28:29]
	v_and_b32_e32 v4, 0xffff0000, v8
	v_and_b32_e32 v5, 0xffff0000, v12
	v_max_f32_e32 v5, v5, v5
	v_max_f32_e32 v4, v4, v4
	v_min_f32_e32 v8, v4, v5
	v_max_f32_e32 v4, v4, v5
	v_cndmask_b32_e64 v4, v4, v8, s[26:27]
	v_and_b32_e32 v5, 0x7f800000, v4
	v_cmp_ne_u32_e32 vcc, s96, v5
                                        ; implicit-def: $vgpr8
	s_and_saveexec_b64 s[28:29], vcc
	s_xor_b64 s[28:29], exec, s[28:29]
; %bb.635:                              ;   in Loop: Header=BB18_591 Depth=4
	v_bfe_u32 v5, v4, 16, 1
	v_add3_u32 v8, v4, v5, s97
                                        ; implicit-def: $vgpr4
; %bb.636:                              ;   in Loop: Header=BB18_591 Depth=4
	s_andn2_saveexec_b64 s[28:29], s[28:29]
; %bb.637:                              ;   in Loop: Header=BB18_591 Depth=4
	v_or_b32_e32 v5, 0x10000, v4
	v_cmp_eq_u32_sdwa vcc, v4, v3 src0_sel:WORD_0 src1_sel:DWORD
	s_nop 1
	v_cndmask_b32_e32 v8, v5, v4, vcc
; %bb.638:                              ;   in Loop: Header=BB18_591 Depth=4
	s_or_b64 exec, exec, s[28:29]
	v_lshlrev_b32_e32 v4, 16, v9
	v_lshlrev_b32_e32 v5, 16, v13
	v_max_f32_e32 v5, v5, v5
	v_max_f32_e32 v4, v4, v4
	v_min_f32_e32 v12, v4, v5
	v_max_f32_e32 v4, v4, v5
	v_cndmask_b32_e64 v4, v4, v12, s[26:27]
	v_and_b32_e32 v5, 0x7f800000, v4
	v_cmp_ne_u32_e32 vcc, s96, v5
                                        ; implicit-def: $vgpr12
	s_and_saveexec_b64 s[28:29], vcc
	s_xor_b64 s[28:29], exec, s[28:29]
; %bb.639:                              ;   in Loop: Header=BB18_591 Depth=4
	v_bfe_u32 v5, v4, 16, 1
	v_add3_u32 v12, v4, v5, s97
                                        ; implicit-def: $vgpr4
; %bb.640:                              ;   in Loop: Header=BB18_591 Depth=4
	s_andn2_saveexec_b64 s[28:29], s[28:29]
; %bb.641:                              ;   in Loop: Header=BB18_591 Depth=4
	v_or_b32_e32 v5, 0x10000, v4
	v_cmp_eq_u32_sdwa vcc, v4, v3 src0_sel:WORD_0 src1_sel:DWORD
	s_nop 1
	v_cndmask_b32_e32 v12, v5, v4, vcc
; %bb.642:                              ;   in Loop: Header=BB18_591 Depth=4
	s_or_b64 exec, exec, s[28:29]
	v_and_b32_e32 v4, 0xffff0000, v9
	v_and_b32_e32 v5, 0xffff0000, v13
	v_max_f32_e32 v5, v5, v5
	v_max_f32_e32 v4, v4, v4
	v_min_f32_e32 v9, v4, v5
	v_max_f32_e32 v4, v4, v5
	v_cndmask_b32_e64 v4, v4, v9, s[26:27]
	v_and_b32_e32 v5, 0x7f800000, v4
	v_cmp_ne_u32_e32 vcc, s96, v5
                                        ; implicit-def: $vgpr9
	s_and_saveexec_b64 s[28:29], vcc
	s_xor_b64 s[28:29], exec, s[28:29]
; %bb.643:                              ;   in Loop: Header=BB18_591 Depth=4
	v_bfe_u32 v5, v4, 16, 1
	v_add3_u32 v9, v4, v5, s97
                                        ; implicit-def: $vgpr4
; %bb.644:                              ;   in Loop: Header=BB18_591 Depth=4
	s_andn2_saveexec_b64 s[28:29], s[28:29]
; %bb.645:                              ;   in Loop: Header=BB18_591 Depth=4
	v_or_b32_e32 v5, 0x10000, v4
	v_cmp_eq_u32_sdwa vcc, v4, v3 src0_sel:WORD_0 src1_sel:DWORD
	s_nop 1
	v_cndmask_b32_e32 v9, v5, v4, vcc
; %bb.646:                              ;   in Loop: Header=BB18_591 Depth=4
	s_or_b64 exec, exec, s[28:29]
	v_lshlrev_b32_e32 v4, 16, v10
	v_lshlrev_b32_e32 v5, 16, v14
	v_max_f32_e32 v5, v5, v5
	v_max_f32_e32 v4, v4, v4
	v_min_f32_e32 v13, v4, v5
	v_max_f32_e32 v4, v4, v5
	v_cndmask_b32_e64 v5, v4, v13, s[26:27]
	v_and_b32_e32 v4, 0x7f800000, v5
	v_cmp_ne_u32_e32 vcc, s96, v4
                                        ; implicit-def: $vgpr4
	s_and_saveexec_b64 s[28:29], vcc
	s_xor_b64 s[28:29], exec, s[28:29]
; %bb.647:                              ;   in Loop: Header=BB18_591 Depth=4
	v_bfe_u32 v4, v5, 16, 1
	v_add3_u32 v4, v5, v4, s97
                                        ; implicit-def: $vgpr5
; %bb.648:                              ;   in Loop: Header=BB18_591 Depth=4
	s_andn2_saveexec_b64 s[28:29], s[28:29]
; %bb.649:                              ;   in Loop: Header=BB18_591 Depth=4
	v_or_b32_e32 v4, 0x10000, v5
	v_cmp_eq_u32_sdwa vcc, v5, v3 src0_sel:WORD_0 src1_sel:DWORD
	s_nop 1
	v_cndmask_b32_e32 v4, v4, v5, vcc
; %bb.650:                              ;   in Loop: Header=BB18_591 Depth=4
	s_or_b64 exec, exec, s[28:29]
	v_and_b32_e32 v5, 0xffff0000, v10
	v_and_b32_e32 v10, 0xffff0000, v14
	v_max_f32_e32 v10, v10, v10
	v_max_f32_e32 v5, v5, v5
	v_min_f32_e32 v13, v5, v10
	v_max_f32_e32 v5, v5, v10
	v_cndmask_b32_e64 v10, v5, v13, s[26:27]
	v_and_b32_e32 v5, 0x7f800000, v10
	v_cmp_ne_u32_e32 vcc, s96, v5
                                        ; implicit-def: $vgpr5
	s_and_saveexec_b64 s[28:29], vcc
	s_xor_b64 s[28:29], exec, s[28:29]
; %bb.651:                              ;   in Loop: Header=BB18_591 Depth=4
	v_bfe_u32 v5, v10, 16, 1
	v_add3_u32 v5, v10, v5, s97
                                        ; implicit-def: $vgpr10
; %bb.652:                              ;   in Loop: Header=BB18_591 Depth=4
	s_andn2_saveexec_b64 s[28:29], s[28:29]
; %bb.653:                              ;   in Loop: Header=BB18_591 Depth=4
	v_or_b32_e32 v5, 0x10000, v10
	v_cmp_eq_u32_sdwa vcc, v10, v3 src0_sel:WORD_0 src1_sel:DWORD
	s_nop 1
	v_cndmask_b32_e32 v5, v5, v10, vcc
; %bb.654:                              ;   in Loop: Header=BB18_591 Depth=4
	s_or_b64 exec, exec, s[28:29]
	v_lshlrev_b32_e32 v10, 16, v11
	v_lshlrev_b32_e32 v13, 16, v15
	v_max_f32_e32 v13, v13, v13
	v_max_f32_e32 v10, v10, v10
	v_min_f32_e32 v14, v10, v13
	v_max_f32_e32 v10, v10, v13
	v_cndmask_b32_e64 v13, v10, v14, s[26:27]
	v_and_b32_e32 v10, 0x7f800000, v13
	v_cmp_ne_u32_e32 vcc, s96, v10
                                        ; implicit-def: $vgpr10
	s_and_saveexec_b64 s[28:29], vcc
	s_xor_b64 s[28:29], exec, s[28:29]
; %bb.655:                              ;   in Loop: Header=BB18_591 Depth=4
	v_bfe_u32 v10, v13, 16, 1
	v_add3_u32 v10, v13, v10, s97
                                        ; implicit-def: $vgpr13
; %bb.656:                              ;   in Loop: Header=BB18_591 Depth=4
	s_andn2_saveexec_b64 s[28:29], s[28:29]
; %bb.657:                              ;   in Loop: Header=BB18_591 Depth=4
	v_or_b32_e32 v10, 0x10000, v13
	v_cmp_eq_u32_sdwa vcc, v13, v3 src0_sel:WORD_0 src1_sel:DWORD
	s_nop 1
	v_cndmask_b32_e32 v10, v10, v13, vcc
; %bb.658:                              ;   in Loop: Header=BB18_591 Depth=4
	s_or_b64 exec, exec, s[28:29]
	v_and_b32_e32 v11, 0xffff0000, v11
	v_and_b32_e32 v13, 0xffff0000, v15
	v_max_f32_e32 v13, v13, v13
	v_max_f32_e32 v11, v11, v11
	v_min_f32_e32 v14, v11, v13
	v_max_f32_e32 v11, v11, v13
	v_cndmask_b32_e64 v13, v11, v14, s[26:27]
	v_and_b32_e32 v11, 0x7f800000, v13
	v_cmp_ne_u32_e32 vcc, s96, v11
                                        ; implicit-def: $vgpr11
	s_and_saveexec_b64 s[28:29], vcc
	s_xor_b64 s[28:29], exec, s[28:29]
; %bb.659:                              ;   in Loop: Header=BB18_591 Depth=4
	v_bfe_u32 v11, v13, 16, 1
	v_add3_u32 v11, v13, v11, s97
                                        ; implicit-def: $vgpr13
; %bb.660:                              ;   in Loop: Header=BB18_591 Depth=4
	s_andn2_saveexec_b64 s[28:29], s[28:29]
; %bb.661:                              ;   in Loop: Header=BB18_591 Depth=4
	v_or_b32_e32 v11, 0x10000, v13
	v_cmp_eq_u32_sdwa vcc, v13, v3 src0_sel:WORD_0 src1_sel:DWORD
	s_nop 1
	v_cndmask_b32_e32 v11, v11, v13, vcc
; %bb.662:                              ;   in Loop: Header=BB18_591 Depth=4
	s_or_b64 exec, exec, s[28:29]
	v_lshrrev_b32_e32 v12, 16, v12
	v_lshrrev_b32_e32 v4, 16, v4
	v_and_or_b32 v13, v9, s44, v12
	v_lshrrev_b32_e32 v9, 16, v28
	v_and_or_b32 v14, v5, s44, v4
	;; [unrolled: 2-line block ×3, first 2 shown]
	v_and_or_b32 v15, v11, s44, v4
	v_sub_u32_e32 v26, v26, v84
	scratch_store_dwordx4 off, v[12:15], s33 offset:192
	global_store_dwordx4 v[16:17], v[12:15], off
	v_lshl_add_u64 v[16:17], v[16:17], 0, s[58:59]
	s_and_saveexec_b64 s[28:29], s[50:51]
	s_cbranch_execz .LBB18_590
; %bb.663:                              ;   in Loop: Header=BB18_591 Depth=4
	v_lshl_add_u64 v[18:19], v[18:19], 0, v[114:115]
	v_lshl_add_u64 v[20:21], v[20:21], 0, v[114:115]
	;; [unrolled: 1-line block ×3, first 2 shown]
	v_sub_u32_e32 v27, v27, v109
	v_sub_u32_e32 v26, v26, v84
	s_branch .LBB18_590
.LBB18_664:                             ;   in Loop: Header=BB18_303 Depth=3
	s_or_b64 exec, exec, s[38:39]
	s_and_b64 s[26:27], s[48:49], exec
.LBB18_665:                             ;   in Loop: Header=BB18_303 Depth=3
	s_or_b64 exec, exec, s[36:37]
	s_and_saveexec_b64 s[28:29], s[26:27]
	s_cbranch_execz .LBB18_699
; %bb.666:                              ;   in Loop: Header=BB18_303 Depth=3
	scratch_load_dwordx4 v[8:11], off, s33 offset:224
	scratch_load_dwordx4 v[12:15], off, s33 offset:240
	s_and_b32 s26, 0xffff, s43
	s_cmp_eq_u32 s26, 0
	s_cselect_b64 vcc, -1, 0
	s_waitcnt vmcnt(0)
	v_lshlrev_b32_e32 v4, 16, v8
	v_lshlrev_b32_e32 v5, 16, v12
	v_max_f32_e32 v5, v5, v5
	v_max_f32_e32 v4, v4, v4
	v_min_f32_e32 v18, v4, v5
	v_max_f32_e32 v4, v4, v5
	v_cndmask_b32_e32 v4, v4, v18, vcc
	v_and_b32_e32 v5, 0x7f800000, v4
	v_cmp_ne_u32_e64 s[26:27], s96, v5
                                        ; implicit-def: $vgpr18
	s_and_saveexec_b64 s[40:41], s[26:27]
	s_xor_b64 s[26:27], exec, s[40:41]
; %bb.667:                              ;   in Loop: Header=BB18_303 Depth=3
	v_bfe_u32 v5, v4, 16, 1
	v_add3_u32 v18, v4, v5, s97
                                        ; implicit-def: $vgpr4
; %bb.668:                              ;   in Loop: Header=BB18_303 Depth=3
	s_andn2_saveexec_b64 s[40:41], s[26:27]
; %bb.669:                              ;   in Loop: Header=BB18_303 Depth=3
	v_or_b32_e32 v5, 0x10000, v4
	v_cmp_eq_u32_sdwa s[26:27], v4, v3 src0_sel:WORD_0 src1_sel:DWORD
	s_nop 1
	v_cndmask_b32_e64 v18, v5, v4, s[26:27]
; %bb.670:                              ;   in Loop: Header=BB18_303 Depth=3
	s_or_b64 exec, exec, s[40:41]
	v_and_b32_e32 v4, 0xffff0000, v8
	v_and_b32_e32 v5, 0xffff0000, v12
	v_max_f32_e32 v5, v5, v5
	v_max_f32_e32 v4, v4, v4
	v_min_f32_e32 v8, v4, v5
	v_max_f32_e32 v4, v4, v5
	v_cndmask_b32_e32 v4, v4, v8, vcc
	v_and_b32_e32 v5, 0x7f800000, v4
	v_cmp_ne_u32_e64 s[26:27], s96, v5
                                        ; implicit-def: $vgpr8
	s_and_saveexec_b64 s[40:41], s[26:27]
	s_xor_b64 s[26:27], exec, s[40:41]
; %bb.671:                              ;   in Loop: Header=BB18_303 Depth=3
	v_bfe_u32 v5, v4, 16, 1
	v_add3_u32 v8, v4, v5, s97
                                        ; implicit-def: $vgpr4
; %bb.672:                              ;   in Loop: Header=BB18_303 Depth=3
	s_andn2_saveexec_b64 s[40:41], s[26:27]
; %bb.673:                              ;   in Loop: Header=BB18_303 Depth=3
	v_or_b32_e32 v5, 0x10000, v4
	v_cmp_eq_u32_sdwa s[26:27], v4, v3 src0_sel:WORD_0 src1_sel:DWORD
	s_nop 1
	v_cndmask_b32_e64 v8, v5, v4, s[26:27]
; %bb.674:                              ;   in Loop: Header=BB18_303 Depth=3
	s_or_b64 exec, exec, s[40:41]
	v_lshlrev_b32_e32 v4, 16, v9
	v_lshlrev_b32_e32 v5, 16, v13
	v_max_f32_e32 v5, v5, v5
	v_max_f32_e32 v4, v4, v4
	v_min_f32_e32 v12, v4, v5
	v_max_f32_e32 v4, v4, v5
	v_cndmask_b32_e32 v4, v4, v12, vcc
	v_and_b32_e32 v5, 0x7f800000, v4
	v_cmp_ne_u32_e64 s[26:27], s96, v5
                                        ; implicit-def: $vgpr12
	s_and_saveexec_b64 s[40:41], s[26:27]
	s_xor_b64 s[26:27], exec, s[40:41]
; %bb.675:                              ;   in Loop: Header=BB18_303 Depth=3
	v_bfe_u32 v5, v4, 16, 1
	v_add3_u32 v12, v4, v5, s97
                                        ; implicit-def: $vgpr4
; %bb.676:                              ;   in Loop: Header=BB18_303 Depth=3
	s_andn2_saveexec_b64 s[40:41], s[26:27]
; %bb.677:                              ;   in Loop: Header=BB18_303 Depth=3
	v_or_b32_e32 v5, 0x10000, v4
	v_cmp_eq_u32_sdwa s[26:27], v4, v3 src0_sel:WORD_0 src1_sel:DWORD
	s_nop 1
	v_cndmask_b32_e64 v12, v5, v4, s[26:27]
; %bb.678:                              ;   in Loop: Header=BB18_303 Depth=3
	s_or_b64 exec, exec, s[40:41]
	v_and_b32_e32 v4, 0xffff0000, v9
	v_and_b32_e32 v5, 0xffff0000, v13
	v_max_f32_e32 v5, v5, v5
	v_max_f32_e32 v4, v4, v4
	v_min_f32_e32 v9, v4, v5
	v_max_f32_e32 v4, v4, v5
	v_cndmask_b32_e32 v4, v4, v9, vcc
	v_and_b32_e32 v5, 0x7f800000, v4
	v_cmp_ne_u32_e64 s[26:27], s96, v5
                                        ; implicit-def: $vgpr9
	s_and_saveexec_b64 s[40:41], s[26:27]
	s_xor_b64 s[26:27], exec, s[40:41]
; %bb.679:                              ;   in Loop: Header=BB18_303 Depth=3
	v_bfe_u32 v5, v4, 16, 1
	v_add3_u32 v9, v4, v5, s97
                                        ; implicit-def: $vgpr4
; %bb.680:                              ;   in Loop: Header=BB18_303 Depth=3
	s_andn2_saveexec_b64 s[40:41], s[26:27]
; %bb.681:                              ;   in Loop: Header=BB18_303 Depth=3
	v_or_b32_e32 v5, 0x10000, v4
	v_cmp_eq_u32_sdwa s[26:27], v4, v3 src0_sel:WORD_0 src1_sel:DWORD
	s_nop 1
	v_cndmask_b32_e64 v9, v5, v4, s[26:27]
; %bb.682:                              ;   in Loop: Header=BB18_303 Depth=3
	s_or_b64 exec, exec, s[40:41]
	v_lshlrev_b32_e32 v4, 16, v10
	v_lshlrev_b32_e32 v5, 16, v14
	v_max_f32_e32 v5, v5, v5
	v_max_f32_e32 v4, v4, v4
	v_min_f32_e32 v13, v4, v5
	v_max_f32_e32 v4, v4, v5
	v_cndmask_b32_e32 v5, v4, v13, vcc
	v_and_b32_e32 v4, 0x7f800000, v5
	v_cmp_ne_u32_e64 s[26:27], s96, v4
                                        ; implicit-def: $vgpr4
	s_and_saveexec_b64 s[40:41], s[26:27]
	s_xor_b64 s[26:27], exec, s[40:41]
; %bb.683:                              ;   in Loop: Header=BB18_303 Depth=3
	v_bfe_u32 v4, v5, 16, 1
	v_add3_u32 v4, v5, v4, s97
                                        ; implicit-def: $vgpr5
; %bb.684:                              ;   in Loop: Header=BB18_303 Depth=3
	s_andn2_saveexec_b64 s[40:41], s[26:27]
; %bb.685:                              ;   in Loop: Header=BB18_303 Depth=3
	v_or_b32_e32 v4, 0x10000, v5
	v_cmp_eq_u32_sdwa s[26:27], v5, v3 src0_sel:WORD_0 src1_sel:DWORD
	s_nop 1
	v_cndmask_b32_e64 v4, v4, v5, s[26:27]
; %bb.686:                              ;   in Loop: Header=BB18_303 Depth=3
	s_or_b64 exec, exec, s[40:41]
	v_and_b32_e32 v5, 0xffff0000, v10
	v_and_b32_e32 v10, 0xffff0000, v14
	v_max_f32_e32 v10, v10, v10
	v_max_f32_e32 v5, v5, v5
	v_min_f32_e32 v13, v5, v10
	v_max_f32_e32 v5, v5, v10
	v_cndmask_b32_e32 v10, v5, v13, vcc
	v_and_b32_e32 v5, 0x7f800000, v10
	v_cmp_ne_u32_e64 s[26:27], s96, v5
                                        ; implicit-def: $vgpr5
	s_and_saveexec_b64 s[40:41], s[26:27]
	s_xor_b64 s[26:27], exec, s[40:41]
; %bb.687:                              ;   in Loop: Header=BB18_303 Depth=3
	v_bfe_u32 v5, v10, 16, 1
	v_add3_u32 v5, v10, v5, s97
                                        ; implicit-def: $vgpr10
; %bb.688:                              ;   in Loop: Header=BB18_303 Depth=3
	s_andn2_saveexec_b64 s[40:41], s[26:27]
; %bb.689:                              ;   in Loop: Header=BB18_303 Depth=3
	v_or_b32_e32 v5, 0x10000, v10
	v_cmp_eq_u32_sdwa s[26:27], v10, v3 src0_sel:WORD_0 src1_sel:DWORD
	s_nop 1
	v_cndmask_b32_e64 v5, v5, v10, s[26:27]
; %bb.690:                              ;   in Loop: Header=BB18_303 Depth=3
	s_or_b64 exec, exec, s[40:41]
	v_lshlrev_b32_e32 v10, 16, v11
	v_lshlrev_b32_e32 v13, 16, v15
	v_max_f32_e32 v13, v13, v13
	v_max_f32_e32 v10, v10, v10
	v_min_f32_e32 v14, v10, v13
	v_max_f32_e32 v10, v10, v13
	v_cndmask_b32_e32 v13, v10, v14, vcc
	v_and_b32_e32 v10, 0x7f800000, v13
	v_cmp_ne_u32_e64 s[26:27], s96, v10
                                        ; implicit-def: $vgpr10
	s_and_saveexec_b64 s[40:41], s[26:27]
	s_xor_b64 s[26:27], exec, s[40:41]
; %bb.691:                              ;   in Loop: Header=BB18_303 Depth=3
	v_bfe_u32 v10, v13, 16, 1
	v_add3_u32 v10, v13, v10, s97
                                        ; implicit-def: $vgpr13
; %bb.692:                              ;   in Loop: Header=BB18_303 Depth=3
	s_andn2_saveexec_b64 s[40:41], s[26:27]
; %bb.693:                              ;   in Loop: Header=BB18_303 Depth=3
	v_or_b32_e32 v10, 0x10000, v13
	v_cmp_eq_u32_sdwa s[26:27], v13, v3 src0_sel:WORD_0 src1_sel:DWORD
	s_nop 1
	v_cndmask_b32_e64 v10, v10, v13, s[26:27]
; %bb.694:                              ;   in Loop: Header=BB18_303 Depth=3
	s_or_b64 exec, exec, s[40:41]
	v_and_b32_e32 v11, 0xffff0000, v11
	v_and_b32_e32 v13, 0xffff0000, v15
	v_max_f32_e32 v13, v13, v13
	v_max_f32_e32 v11, v11, v11
	v_min_f32_e32 v14, v11, v13
	v_max_f32_e32 v11, v11, v13
	v_cndmask_b32_e32 v13, v11, v14, vcc
	v_and_b32_e32 v11, 0x7f800000, v13
	v_cmp_ne_u32_e32 vcc, s96, v11
                                        ; implicit-def: $vgpr11
	s_and_saveexec_b64 s[26:27], vcc
	s_xor_b64 s[26:27], exec, s[26:27]
; %bb.695:                              ;   in Loop: Header=BB18_303 Depth=3
	v_bfe_u32 v11, v13, 16, 1
	v_add3_u32 v11, v13, v11, s97
                                        ; implicit-def: $vgpr13
; %bb.696:                              ;   in Loop: Header=BB18_303 Depth=3
	s_andn2_saveexec_b64 s[26:27], s[26:27]
; %bb.697:                              ;   in Loop: Header=BB18_303 Depth=3
	v_or_b32_e32 v11, 0x10000, v13
	v_cmp_eq_u32_sdwa vcc, v13, v3 src0_sel:WORD_0 src1_sel:DWORD
	s_nop 1
	v_cndmask_b32_e32 v11, v11, v13, vcc
; %bb.698:                              ;   in Loop: Header=BB18_303 Depth=3
	s_or_b64 exec, exec, s[26:27]
	v_lshrrev_b32_e32 v12, 16, v12
	v_lshrrev_b32_e32 v4, 16, v4
	v_and_or_b32 v13, v9, s44, v12
	v_lshrrev_b32_e32 v9, 16, v18
	v_and_or_b32 v14, v5, s44, v4
	;; [unrolled: 2-line block ×3, first 2 shown]
	v_and_or_b32 v15, v11, s44, v4
	global_store_dwordx4 v[16:17], v[12:15], off
.LBB18_699:                             ;   in Loop: Header=BB18_303 Depth=3
	s_or_b64 exec, exec, s[28:29]
	v_and_b32_e32 v5, 14, v63
	v_cndmask_b32_e64 v63, v25, v5, s[24:25]
	v_cmp_ne_u32_e32 vcc, 0, v63
	s_mov_b64 s[28:29], s[30:31]
                                        ; implicit-def: $vgpr14
                                        ; implicit-def: $vgpr4
                                        ; implicit-def: $vgpr15
	s_and_saveexec_b64 s[26:27], vcc
	s_cbranch_execz .LBB18_701
; %bb.700:                              ;   in Loop: Header=BB18_303 Depth=3
	v_sub_u32_e32 v4, v25, v5
	v_cndmask_b32_e64 v4, 0, v4, s[24:25]
	v_cmp_lt_i32_e32 vcc, 0, v26
	v_add3_u32 v14, v24, v22, v4
	s_or_b64 s[28:29], s[30:31], exec
	v_cndmask_b32_e32 v4, 0, v84, vcc
	v_sub_u32_e32 v4, v4, v26
	v_lshl_add_u32 v4, v4, 6, v23
	v_ashrrev_i32_e32 v5, 31, v4
	v_lshrrev_b32_e32 v5, 26, v5
	v_add_u32_e32 v5, v4, v5
	v_and_b32_e32 v5, 0xffffffc0, v5
	v_sub_u32_e32 v15, v4, v5
.LBB18_701:                             ;   in Loop: Header=BB18_303 Depth=3
	s_or_b64 exec, exec, s[26:27]
	s_andn2_b64 s[24:25], s[30:31], exec
	s_and_b64 s[26:27], s[28:29], exec
	s_or_b64 s[30:31], s[24:25], s[26:27]
.LBB18_702:                             ;   in Loop: Header=BB18_303 Depth=3
	s_or_b64 exec, exec, s[34:35]
	s_and_saveexec_b64 s[40:41], s[30:31]
	s_cbranch_execz .LBB18_834
.LBB18_703:                             ;   in Loop: Header=BB18_303 Depth=3
	v_ashrrev_i32_e32 v5, 31, v4
	v_lshrrev_b32_e32 v5, 26, v5
	v_add_u32_e32 v4, v4, v5
	v_ashrrev_i32_e32 v4, 6, v4
	v_lshlrev_b32_e32 v5, 10, v4
	v_lshlrev_b32_e32 v8, 1, v15
	v_add3_u32 v12, v14, v8, v5
	v_ashrrev_i32_e32 v5, 31, v63
	v_lshrrev_b32_e32 v5, 22, v5
	v_add_u32_e32 v5, v63, v5
	v_ashrrev_i32_e32 v16, 10, v5
	v_ashrrev_i32_e32 v13, 31, v12
	v_sub_u32_e32 v17, v16, v4
	v_lshl_add_u64 v[8:9], v[78:79], 0, v[12:13]
	v_cmp_lt_i32_e32 vcc, 0, v17
	v_mov_b32_e32 v37, 0
	s_mov_b64 s[24:25], 0
	v_mov_b32_e32 v34, 0
	v_mov_b32_e32 v4, 0
	;; [unrolled: 1-line block ×15, first 2 shown]
	s_and_saveexec_b64 s[26:27], vcc
	s_cbranch_execz .LBB18_775
; %bb.704:                              ;   in Loop: Header=BB18_303 Depth=3
	s_trap 2
	ds_read_b64 v[4:5], v0
	s_and_b32 s24, s43, 0xff
	s_cmp_eq_u32 s24, 0
	v_lshl_add_u64 v[10:11], v[12:13], 0, v[76:77]
	s_mov_b64 s[34:35], 0
	s_waitcnt lgkmcnt(0)
	v_lshl_add_u64 v[12:13], v[4:5], 0, v[12:13]
	s_mov_b64 s[30:31], 0
	s_cselect_b64 vcc, -1, 0
                                        ; implicit-def: $sgpr28_sgpr29
                                        ; implicit-def: $vgpr73
                                        ; implicit-def: $vgpr82
                                        ; implicit-def: $vgpr49
                                        ; implicit-def: $vgpr38
                                        ; implicit-def: $vgpr35
                                        ; implicit-def: $vgpr32
                                        ; implicit-def: $vgpr27
                                        ; implicit-def: $vgpr26
                                        ; implicit-def: $vgpr18
                                        ; implicit-def: $vgpr19
                                        ; implicit-def: $vgpr20
                                        ; implicit-def: $vgpr21
                                        ; implicit-def: $vgpr22
                                        ; implicit-def: $vgpr23
                                        ; implicit-def: $vgpr24
                                        ; implicit-def: $vgpr25
	s_branch .LBB18_706
.LBB18_705:                             ;   in Loop: Header=BB18_706 Depth=4
	s_or_b64 exec, exec, s[36:37]
	flat_store_short_d16_hi v[8:9], v28 nt
	flat_store_short_d16_hi v[8:9], v29 offset:128 nt
	flat_store_short_d16_hi v[8:9], v96 offset:256 nt
	flat_store_short_d16_hi v[8:9], v54 offset:384 nt
	flat_store_short_d16_hi v[8:9], v4 offset:512 nt
	flat_store_short_d16_hi v[8:9], v5 offset:640 nt
	flat_store_short_d16_hi v[8:9], v36 offset:768 nt
	flat_store_short_d16_hi v[8:9], v33 offset:896 nt
	v_lshl_add_u64 v[4:5], v[10:11], 0, v[114:115]
	v_cndmask_b32_e64 v10, v10, v4, s[34:35]
	v_cndmask_b32_e64 v4, 0, v84, s[34:35]
	v_sub_u32_e32 v17, v17, v4
	v_cmp_gt_i32_e64 s[24:25], 1, v17
	s_or_b64 s[30:31], s[24:25], s[30:31]
	v_lshl_add_u64 v[28:29], v[12:13], 0, v[114:115]
	v_cndmask_b32_e64 v37, 0, v43, s[34:35]
	v_cndmask_b32_e64 v36, v123, v42, s[34:35]
	s_andn2_b64 s[24:25], s[28:29], exec
	s_and_b64 s[28:29], s[34:35], exec
	v_lshl_add_u64 v[8:9], v[8:9], 0, v[36:37]
	v_cndmask_b32_e64 v11, v11, v5, s[34:35]
	v_cndmask_b32_e64 v13, v13, v29, s[34:35]
	;; [unrolled: 1-line block ×3, first 2 shown]
	s_or_b64 s[28:29], s[24:25], s[28:29]
	s_andn2_b64 exec, exec, s[30:31]
	s_cbranch_execz .LBB18_774
.LBB18_706:                             ;   Parent Loop BB18_47 Depth=1
                                        ;     Parent Loop BB18_300 Depth=2
                                        ;       Parent Loop BB18_303 Depth=3
                                        ; =>      This Inner Loop Header: Depth=4
	flat_load_ushort v92, v[10:11] nt
	flat_load_ushort v90, v[10:11] offset:128 nt
	flat_load_ushort v88, v[10:11] offset:256 nt
	;; [unrolled: 1-line block ×7, first 2 shown]
	flat_load_ushort v28, v[12:13] nt
	flat_load_ushort v91, v[12:13] offset:128 nt
	flat_load_ushort v89, v[12:13] offset:256 nt
	;; [unrolled: 1-line block ×7, first 2 shown]
	s_and_saveexec_b64 s[36:37], s[34:35]
	s_cbranch_execz .LBB18_740
; %bb.707:                              ;   in Loop: Header=BB18_706 Depth=4
	v_lshlrev_b32_e32 v4, 16, v73
	v_lshlrev_b32_e32 v5, 16, v18
	v_max_f32_e32 v5, v5, v5
	v_max_f32_e32 v4, v4, v4
	v_min_f32_e32 v29, v4, v5
	v_max_f32_e32 v4, v4, v5
	v_cndmask_b32_e32 v4, v4, v29, vcc
	v_and_b32_e32 v5, 0x7f800000, v4
	v_cmp_ne_u32_e64 s[24:25], s96, v5
                                        ; implicit-def: $vgpr29
	s_and_saveexec_b64 s[34:35], s[24:25]
	s_xor_b64 s[24:25], exec, s[34:35]
; %bb.708:                              ;   in Loop: Header=BB18_706 Depth=4
	v_bfe_u32 v5, v4, 16, 1
	v_add3_u32 v29, v4, v5, s97
                                        ; implicit-def: $vgpr4
; %bb.709:                              ;   in Loop: Header=BB18_706 Depth=4
	s_andn2_saveexec_b64 s[34:35], s[24:25]
; %bb.710:                              ;   in Loop: Header=BB18_706 Depth=4
	v_or_b32_e32 v5, 0x10000, v4
	v_cmp_eq_u32_sdwa s[24:25], v4, v3 src0_sel:WORD_0 src1_sel:DWORD
	s_nop 1
	v_cndmask_b32_e64 v29, v5, v4, s[24:25]
; %bb.711:                              ;   in Loop: Header=BB18_706 Depth=4
	s_or_b64 exec, exec, s[34:35]
	v_lshlrev_b32_e32 v4, 16, v82
	v_lshlrev_b32_e32 v5, 16, v19
	v_max_f32_e32 v5, v5, v5
	v_max_f32_e32 v4, v4, v4
	v_min_f32_e32 v82, v4, v5
	v_max_f32_e32 v4, v4, v5
	v_cndmask_b32_e32 v4, v4, v82, vcc
	v_and_b32_e32 v5, 0x7f800000, v4
	v_cmp_ne_u32_e64 s[24:25], s96, v5
                                        ; implicit-def: $vgpr82
	s_and_saveexec_b64 s[34:35], s[24:25]
	s_xor_b64 s[24:25], exec, s[34:35]
; %bb.712:                              ;   in Loop: Header=BB18_706 Depth=4
	v_bfe_u32 v5, v4, 16, 1
	v_add3_u32 v82, v4, v5, s97
                                        ; implicit-def: $vgpr4
; %bb.713:                              ;   in Loop: Header=BB18_706 Depth=4
	s_andn2_saveexec_b64 s[34:35], s[24:25]
; %bb.714:                              ;   in Loop: Header=BB18_706 Depth=4
	v_or_b32_e32 v5, 0x10000, v4
	v_cmp_eq_u32_sdwa s[24:25], v4, v3 src0_sel:WORD_0 src1_sel:DWORD
	s_nop 1
	v_cndmask_b32_e64 v82, v5, v4, s[24:25]
; %bb.715:                              ;   in Loop: Header=BB18_706 Depth=4
	s_or_b64 exec, exec, s[34:35]
	v_lshlrev_b32_e32 v4, 16, v49
	v_lshlrev_b32_e32 v5, 16, v20
	v_max_f32_e32 v5, v5, v5
	v_max_f32_e32 v4, v4, v4
	v_min_f32_e32 v49, v4, v5
	v_max_f32_e32 v4, v4, v5
	v_cndmask_b32_e32 v4, v4, v49, vcc
	v_and_b32_e32 v5, 0x7f800000, v4
	v_cmp_ne_u32_e64 s[24:25], s96, v5
                                        ; implicit-def: $vgpr49
	s_and_saveexec_b64 s[34:35], s[24:25]
	s_xor_b64 s[24:25], exec, s[34:35]
; %bb.716:                              ;   in Loop: Header=BB18_706 Depth=4
	v_bfe_u32 v5, v4, 16, 1
	v_add3_u32 v49, v4, v5, s97
                                        ; implicit-def: $vgpr4
; %bb.717:                              ;   in Loop: Header=BB18_706 Depth=4
	s_andn2_saveexec_b64 s[34:35], s[24:25]
; %bb.718:                              ;   in Loop: Header=BB18_706 Depth=4
	v_or_b32_e32 v5, 0x10000, v4
	v_cmp_eq_u32_sdwa s[24:25], v4, v3 src0_sel:WORD_0 src1_sel:DWORD
	s_nop 1
	v_cndmask_b32_e64 v49, v5, v4, s[24:25]
; %bb.719:                              ;   in Loop: Header=BB18_706 Depth=4
	s_or_b64 exec, exec, s[34:35]
	v_lshlrev_b32_e32 v4, 16, v38
	v_lshlrev_b32_e32 v5, 16, v21
	v_max_f32_e32 v5, v5, v5
	v_max_f32_e32 v4, v4, v4
	v_min_f32_e32 v38, v4, v5
	v_max_f32_e32 v4, v4, v5
	v_cndmask_b32_e32 v4, v4, v38, vcc
	v_and_b32_e32 v5, 0x7f800000, v4
	v_cmp_ne_u32_e64 s[24:25], s96, v5
                                        ; implicit-def: $vgpr38
	s_and_saveexec_b64 s[34:35], s[24:25]
	s_xor_b64 s[24:25], exec, s[34:35]
; %bb.720:                              ;   in Loop: Header=BB18_706 Depth=4
	v_bfe_u32 v5, v4, 16, 1
	v_add3_u32 v38, v4, v5, s97
                                        ; implicit-def: $vgpr4
; %bb.721:                              ;   in Loop: Header=BB18_706 Depth=4
	s_andn2_saveexec_b64 s[34:35], s[24:25]
; %bb.722:                              ;   in Loop: Header=BB18_706 Depth=4
	v_or_b32_e32 v5, 0x10000, v4
	v_cmp_eq_u32_sdwa s[24:25], v4, v3 src0_sel:WORD_0 src1_sel:DWORD
	s_nop 1
	v_cndmask_b32_e64 v38, v5, v4, s[24:25]
; %bb.723:                              ;   in Loop: Header=BB18_706 Depth=4
	s_or_b64 exec, exec, s[34:35]
	v_lshlrev_b32_e32 v4, 16, v35
	v_lshlrev_b32_e32 v5, 16, v22
	v_max_f32_e32 v5, v5, v5
	v_max_f32_e32 v4, v4, v4
	v_min_f32_e32 v35, v4, v5
	v_max_f32_e32 v4, v4, v5
	v_cndmask_b32_e32 v5, v4, v35, vcc
	v_and_b32_e32 v4, 0x7f800000, v5
	v_cmp_ne_u32_e64 s[24:25], s96, v4
                                        ; implicit-def: $vgpr4
	s_and_saveexec_b64 s[34:35], s[24:25]
	s_xor_b64 s[24:25], exec, s[34:35]
; %bb.724:                              ;   in Loop: Header=BB18_706 Depth=4
	v_bfe_u32 v4, v5, 16, 1
	v_add3_u32 v4, v5, v4, s97
                                        ; implicit-def: $vgpr5
; %bb.725:                              ;   in Loop: Header=BB18_706 Depth=4
	s_andn2_saveexec_b64 s[34:35], s[24:25]
; %bb.726:                              ;   in Loop: Header=BB18_706 Depth=4
	v_or_b32_e32 v4, 0x10000, v5
	v_cmp_eq_u32_sdwa s[24:25], v5, v3 src0_sel:WORD_0 src1_sel:DWORD
	s_nop 1
	v_cndmask_b32_e64 v4, v4, v5, s[24:25]
; %bb.727:                              ;   in Loop: Header=BB18_706 Depth=4
	s_or_b64 exec, exec, s[34:35]
	v_lshlrev_b32_e32 v5, 16, v32
	v_lshlrev_b32_e32 v32, 16, v23
	v_max_f32_e32 v32, v32, v32
	v_max_f32_e32 v5, v5, v5
	v_min_f32_e32 v35, v5, v32
	v_max_f32_e32 v5, v5, v32
	v_cndmask_b32_e32 v32, v5, v35, vcc
	v_and_b32_e32 v5, 0x7f800000, v32
	v_cmp_ne_u32_e64 s[24:25], s96, v5
                                        ; implicit-def: $vgpr5
	s_and_saveexec_b64 s[34:35], s[24:25]
	s_xor_b64 s[24:25], exec, s[34:35]
; %bb.728:                              ;   in Loop: Header=BB18_706 Depth=4
	v_bfe_u32 v5, v32, 16, 1
	v_add3_u32 v5, v32, v5, s97
                                        ; implicit-def: $vgpr32
; %bb.729:                              ;   in Loop: Header=BB18_706 Depth=4
	s_andn2_saveexec_b64 s[34:35], s[24:25]
; %bb.730:                              ;   in Loop: Header=BB18_706 Depth=4
	v_or_b32_e32 v5, 0x10000, v32
	v_cmp_eq_u32_sdwa s[24:25], v32, v3 src0_sel:WORD_0 src1_sel:DWORD
	s_nop 1
	v_cndmask_b32_e64 v5, v5, v32, s[24:25]
; %bb.731:                              ;   in Loop: Header=BB18_706 Depth=4
	s_or_b64 exec, exec, s[34:35]
	v_lshlrev_b32_e32 v27, 16, v27
	v_lshlrev_b32_e32 v32, 16, v24
	v_max_f32_e32 v32, v32, v32
	v_max_f32_e32 v27, v27, v27
	v_min_f32_e32 v35, v27, v32
	v_max_f32_e32 v27, v27, v32
	v_cndmask_b32_e32 v32, v27, v35, vcc
	v_and_b32_e32 v27, 0x7f800000, v32
	v_cmp_ne_u32_e64 s[24:25], s96, v27
                                        ; implicit-def: $vgpr27
	s_and_saveexec_b64 s[34:35], s[24:25]
	s_xor_b64 s[24:25], exec, s[34:35]
; %bb.732:                              ;   in Loop: Header=BB18_706 Depth=4
	v_bfe_u32 v27, v32, 16, 1
	v_add3_u32 v27, v32, v27, s97
                                        ; implicit-def: $vgpr32
; %bb.733:                              ;   in Loop: Header=BB18_706 Depth=4
	s_andn2_saveexec_b64 s[34:35], s[24:25]
; %bb.734:                              ;   in Loop: Header=BB18_706 Depth=4
	v_or_b32_e32 v27, 0x10000, v32
	v_cmp_eq_u32_sdwa s[24:25], v32, v3 src0_sel:WORD_0 src1_sel:DWORD
	s_nop 1
	v_cndmask_b32_e64 v27, v27, v32, s[24:25]
; %bb.735:                              ;   in Loop: Header=BB18_706 Depth=4
	s_or_b64 exec, exec, s[34:35]
	v_lshlrev_b32_e32 v26, 16, v26
	v_lshlrev_b32_e32 v32, 16, v25
	v_max_f32_e32 v32, v32, v32
	v_max_f32_e32 v26, v26, v26
	v_min_f32_e32 v35, v26, v32
	v_max_f32_e32 v26, v26, v32
	v_cndmask_b32_e32 v32, v26, v35, vcc
	v_and_b32_e32 v26, 0x7f800000, v32
	v_cmp_ne_u32_e64 s[24:25], s96, v26
                                        ; implicit-def: $vgpr26
	s_and_saveexec_b64 s[34:35], s[24:25]
	s_xor_b64 s[24:25], exec, s[34:35]
; %bb.736:                              ;   in Loop: Header=BB18_706 Depth=4
	v_bfe_u32 v26, v32, 16, 1
	v_add3_u32 v26, v32, v26, s97
                                        ; implicit-def: $vgpr32
; %bb.737:                              ;   in Loop: Header=BB18_706 Depth=4
	s_andn2_saveexec_b64 s[34:35], s[24:25]
; %bb.738:                              ;   in Loop: Header=BB18_706 Depth=4
	v_or_b32_e32 v26, 0x10000, v32
	v_cmp_eq_u32_sdwa s[24:25], v32, v3 src0_sel:WORD_0 src1_sel:DWORD
	s_nop 1
	v_cndmask_b32_e64 v26, v26, v32, s[24:25]
; %bb.739:                              ;   in Loop: Header=BB18_706 Depth=4
	s_or_b64 exec, exec, s[34:35]
	v_lshrrev_b32_e32 v73, 16, v29
	v_lshrrev_b32_e32 v27, 16, v27
	;; [unrolled: 1-line block ×8, first 2 shown]
	flat_store_short v[8:9], v73 nt
	flat_store_short v[8:9], v82 offset:128 nt
	flat_store_short v[8:9], v49 offset:256 nt
	;; [unrolled: 1-line block ×7, first 2 shown]
	v_lshl_add_u64 v[8:9], v[8:9], 0, v[42:43]
.LBB18_740:                             ;   in Loop: Header=BB18_706 Depth=4
	s_or_b64 exec, exec, s[36:37]
	v_sub_u32_e32 v17, v17, v84
	v_lshl_add_u64 v[10:11], v[10:11], 0, v[42:43]
	v_lshl_add_u64 v[12:13], v[12:13], 0, v[42:43]
	v_cmp_lt_i32_e64 s[34:35], 0, v17
	s_and_saveexec_b64 s[24:25], s[34:35]
	s_cbranch_execz .LBB18_742
; %bb.741:                              ;   in Loop: Header=BB18_706 Depth=4
	flat_load_ushort v73, v[10:11] nt
	flat_load_ushort v82, v[10:11] offset:128 nt
	flat_load_ushort v49, v[10:11] offset:256 nt
	flat_load_ushort v38, v[10:11] offset:384 nt
	flat_load_ushort v35, v[10:11] offset:512 nt
	flat_load_ushort v32, v[10:11] offset:640 nt
	flat_load_ushort v27, v[10:11] offset:768 nt
	flat_load_ushort v26, v[10:11] offset:896 nt
	flat_load_ushort v18, v[12:13] nt
	flat_load_ushort v19, v[12:13] offset:128 nt
	flat_load_ushort v20, v[12:13] offset:256 nt
	;; [unrolled: 1-line block ×7, first 2 shown]
	v_lshl_add_u64 v[10:11], v[10:11], 0, s[58:59]
	v_lshl_add_u64 v[12:13], v[12:13], 0, s[58:59]
.LBB18_742:                             ;   in Loop: Header=BB18_706 Depth=4
	s_or_b64 exec, exec, s[24:25]
	s_waitcnt vmcnt(0) lgkmcnt(0)
	v_lshlrev_b32_e32 v4, 16, v92
	v_lshlrev_b32_e32 v5, 16, v28
	v_max_f32_e32 v5, v5, v5
	v_max_f32_e32 v4, v4, v4
	v_min_f32_e32 v28, v4, v5
	v_max_f32_e32 v4, v4, v5
	v_cndmask_b32_e32 v4, v4, v28, vcc
	v_and_b32_e32 v5, 0x7f800000, v4
	v_cmp_ne_u32_e64 s[24:25], s96, v5
                                        ; implicit-def: $vgpr28
	s_and_saveexec_b64 s[36:37], s[24:25]
	s_xor_b64 s[24:25], exec, s[36:37]
; %bb.743:                              ;   in Loop: Header=BB18_706 Depth=4
	v_bfe_u32 v5, v4, 16, 1
	v_add3_u32 v28, v4, v5, s97
                                        ; implicit-def: $vgpr4
; %bb.744:                              ;   in Loop: Header=BB18_706 Depth=4
	s_andn2_saveexec_b64 s[36:37], s[24:25]
; %bb.745:                              ;   in Loop: Header=BB18_706 Depth=4
	v_or_b32_e32 v5, 0x10000, v4
	v_cmp_eq_u32_sdwa s[24:25], v4, v3 src0_sel:WORD_0 src1_sel:DWORD
	s_nop 1
	v_cndmask_b32_e64 v28, v5, v4, s[24:25]
; %bb.746:                              ;   in Loop: Header=BB18_706 Depth=4
	s_or_b64 exec, exec, s[36:37]
	v_lshlrev_b32_e32 v4, 16, v90
	v_lshlrev_b32_e32 v5, 16, v91
	v_max_f32_e32 v5, v5, v5
	v_max_f32_e32 v4, v4, v4
	v_min_f32_e32 v29, v4, v5
	v_max_f32_e32 v4, v4, v5
	v_cndmask_b32_e32 v4, v4, v29, vcc
	v_and_b32_e32 v5, 0x7f800000, v4
	v_cmp_ne_u32_e64 s[24:25], s96, v5
                                        ; implicit-def: $vgpr29
	s_and_saveexec_b64 s[36:37], s[24:25]
	s_xor_b64 s[24:25], exec, s[36:37]
; %bb.747:                              ;   in Loop: Header=BB18_706 Depth=4
	v_bfe_u32 v5, v4, 16, 1
	v_add3_u32 v29, v4, v5, s97
                                        ; implicit-def: $vgpr4
; %bb.748:                              ;   in Loop: Header=BB18_706 Depth=4
	s_andn2_saveexec_b64 s[36:37], s[24:25]
; %bb.749:                              ;   in Loop: Header=BB18_706 Depth=4
	v_or_b32_e32 v5, 0x10000, v4
	v_cmp_eq_u32_sdwa s[24:25], v4, v3 src0_sel:WORD_0 src1_sel:DWORD
	s_nop 1
	v_cndmask_b32_e64 v29, v5, v4, s[24:25]
; %bb.750:                              ;   in Loop: Header=BB18_706 Depth=4
	s_or_b64 exec, exec, s[36:37]
	v_lshlrev_b32_e32 v4, 16, v88
	v_lshlrev_b32_e32 v5, 16, v89
	v_max_f32_e32 v5, v5, v5
	v_max_f32_e32 v4, v4, v4
	v_min_f32_e32 v86, v4, v5
	v_max_f32_e32 v4, v4, v5
	v_cndmask_b32_e32 v4, v4, v86, vcc
	v_and_b32_e32 v5, 0x7f800000, v4
	v_cmp_ne_u32_e64 s[24:25], s96, v5
                                        ; implicit-def: $vgpr96
	s_and_saveexec_b64 s[36:37], s[24:25]
	s_xor_b64 s[24:25], exec, s[36:37]
; %bb.751:                              ;   in Loop: Header=BB18_706 Depth=4
	v_bfe_u32 v5, v4, 16, 1
	v_add3_u32 v96, v4, v5, s97
                                        ; implicit-def: $vgpr4
; %bb.752:                              ;   in Loop: Header=BB18_706 Depth=4
	s_andn2_saveexec_b64 s[36:37], s[24:25]
; %bb.753:                              ;   in Loop: Header=BB18_706 Depth=4
	v_or_b32_e32 v5, 0x10000, v4
	v_cmp_eq_u32_sdwa s[24:25], v4, v3 src0_sel:WORD_0 src1_sel:DWORD
	s_nop 1
	v_cndmask_b32_e64 v96, v5, v4, s[24:25]
; %bb.754:                              ;   in Loop: Header=BB18_706 Depth=4
	s_or_b64 exec, exec, s[36:37]
	v_lshlrev_b32_e32 v4, 16, v54
	v_lshlrev_b32_e32 v5, 16, v55
	v_max_f32_e32 v5, v5, v5
	v_max_f32_e32 v4, v4, v4
	v_min_f32_e32 v54, v4, v5
	v_max_f32_e32 v4, v4, v5
	v_cndmask_b32_e32 v4, v4, v54, vcc
	v_and_b32_e32 v5, 0x7f800000, v4
	v_cmp_ne_u32_e64 s[24:25], s96, v5
                                        ; implicit-def: $vgpr54
	s_and_saveexec_b64 s[36:37], s[24:25]
	s_xor_b64 s[24:25], exec, s[36:37]
; %bb.755:                              ;   in Loop: Header=BB18_706 Depth=4
	v_bfe_u32 v5, v4, 16, 1
	v_add3_u32 v54, v4, v5, s97
                                        ; implicit-def: $vgpr4
; %bb.756:                              ;   in Loop: Header=BB18_706 Depth=4
	s_andn2_saveexec_b64 s[36:37], s[24:25]
; %bb.757:                              ;   in Loop: Header=BB18_706 Depth=4
	v_or_b32_e32 v5, 0x10000, v4
	v_cmp_eq_u32_sdwa s[24:25], v4, v3 src0_sel:WORD_0 src1_sel:DWORD
	s_nop 1
	v_cndmask_b32_e64 v54, v5, v4, s[24:25]
; %bb.758:                              ;   in Loop: Header=BB18_706 Depth=4
	s_or_b64 exec, exec, s[36:37]
	v_lshlrev_b32_e32 v4, 16, v50
	v_lshlrev_b32_e32 v5, 16, v51
	v_max_f32_e32 v5, v5, v5
	v_max_f32_e32 v4, v4, v4
	v_min_f32_e32 v50, v4, v5
	v_max_f32_e32 v4, v4, v5
	v_cndmask_b32_e32 v5, v4, v50, vcc
	v_and_b32_e32 v4, 0x7f800000, v5
	v_cmp_ne_u32_e64 s[24:25], s96, v4
                                        ; implicit-def: $vgpr4
	s_and_saveexec_b64 s[36:37], s[24:25]
	s_xor_b64 s[24:25], exec, s[36:37]
; %bb.759:                              ;   in Loop: Header=BB18_706 Depth=4
	v_bfe_u32 v4, v5, 16, 1
	v_add3_u32 v4, v5, v4, s97
                                        ; implicit-def: $vgpr5
; %bb.760:                              ;   in Loop: Header=BB18_706 Depth=4
	s_andn2_saveexec_b64 s[36:37], s[24:25]
; %bb.761:                              ;   in Loop: Header=BB18_706 Depth=4
	v_or_b32_e32 v4, 0x10000, v5
	v_cmp_eq_u32_sdwa s[24:25], v5, v3 src0_sel:WORD_0 src1_sel:DWORD
	s_nop 1
	v_cndmask_b32_e64 v4, v4, v5, s[24:25]
; %bb.762:                              ;   in Loop: Header=BB18_706 Depth=4
	s_or_b64 exec, exec, s[36:37]
	v_lshlrev_b32_e32 v5, 16, v39
	v_lshlrev_b32_e32 v39, 16, v48
	v_max_f32_e32 v39, v39, v39
	v_max_f32_e32 v5, v5, v5
	v_min_f32_e32 v48, v5, v39
	v_max_f32_e32 v5, v5, v39
	v_cndmask_b32_e32 v39, v5, v48, vcc
	v_and_b32_e32 v5, 0x7f800000, v39
	v_cmp_ne_u32_e64 s[24:25], s96, v5
                                        ; implicit-def: $vgpr5
	s_and_saveexec_b64 s[36:37], s[24:25]
	s_xor_b64 s[24:25], exec, s[36:37]
; %bb.763:                              ;   in Loop: Header=BB18_706 Depth=4
	v_bfe_u32 v5, v39, 16, 1
	v_add3_u32 v5, v39, v5, s97
                                        ; implicit-def: $vgpr39
; %bb.764:                              ;   in Loop: Header=BB18_706 Depth=4
	s_andn2_saveexec_b64 s[36:37], s[24:25]
; %bb.765:                              ;   in Loop: Header=BB18_706 Depth=4
	v_or_b32_e32 v5, 0x10000, v39
	v_cmp_eq_u32_sdwa s[24:25], v39, v3 src0_sel:WORD_0 src1_sel:DWORD
	s_nop 1
	v_cndmask_b32_e64 v5, v5, v39, s[24:25]
; %bb.766:                              ;   in Loop: Header=BB18_706 Depth=4
	s_or_b64 exec, exec, s[36:37]
	v_lshlrev_b32_e32 v36, 16, v36
	v_lshlrev_b32_e32 v37, 16, v37
	v_max_f32_e32 v37, v37, v37
	v_max_f32_e32 v36, v36, v36
	v_min_f32_e32 v39, v36, v37
	v_max_f32_e32 v36, v36, v37
	v_cndmask_b32_e32 v37, v36, v39, vcc
	v_and_b32_e32 v36, 0x7f800000, v37
	v_cmp_ne_u32_e64 s[24:25], s96, v36
                                        ; implicit-def: $vgpr36
	s_and_saveexec_b64 s[36:37], s[24:25]
	s_xor_b64 s[24:25], exec, s[36:37]
; %bb.767:                              ;   in Loop: Header=BB18_706 Depth=4
	v_bfe_u32 v36, v37, 16, 1
	v_add3_u32 v36, v37, v36, s97
                                        ; implicit-def: $vgpr37
; %bb.768:                              ;   in Loop: Header=BB18_706 Depth=4
	s_andn2_saveexec_b64 s[36:37], s[24:25]
; %bb.769:                              ;   in Loop: Header=BB18_706 Depth=4
	v_or_b32_e32 v36, 0x10000, v37
	v_cmp_eq_u32_sdwa s[24:25], v37, v3 src0_sel:WORD_0 src1_sel:DWORD
	s_nop 1
	v_cndmask_b32_e64 v36, v36, v37, s[24:25]
; %bb.770:                              ;   in Loop: Header=BB18_706 Depth=4
	s_or_b64 exec, exec, s[36:37]
	v_lshlrev_b32_e32 v33, 16, v33
	v_lshlrev_b32_e32 v34, 16, v34
	v_max_f32_e32 v34, v34, v34
	v_max_f32_e32 v33, v33, v33
	v_min_f32_e32 v37, v33, v34
	v_max_f32_e32 v33, v33, v34
	v_cndmask_b32_e32 v34, v33, v37, vcc
	v_and_b32_e32 v33, 0x7f800000, v34
	v_cmp_ne_u32_e64 s[24:25], s96, v33
                                        ; implicit-def: $vgpr33
	s_and_saveexec_b64 s[36:37], s[24:25]
	s_xor_b64 s[24:25], exec, s[36:37]
; %bb.771:                              ;   in Loop: Header=BB18_706 Depth=4
	v_bfe_u32 v33, v34, 16, 1
	v_add3_u32 v33, v34, v33, s97
                                        ; implicit-def: $vgpr34
; %bb.772:                              ;   in Loop: Header=BB18_706 Depth=4
	s_andn2_saveexec_b64 s[36:37], s[24:25]
	s_cbranch_execz .LBB18_705
; %bb.773:                              ;   in Loop: Header=BB18_706 Depth=4
	v_or_b32_e32 v33, 0x10000, v34
	v_cmp_eq_u32_sdwa s[24:25], v34, v3 src0_sel:WORD_0 src1_sel:DWORD
	s_nop 1
	v_cndmask_b32_e64 v33, v33, v34, s[24:25]
	s_branch .LBB18_705
.LBB18_774:                             ;   in Loop: Header=BB18_303 Depth=3
	s_or_b64 exec, exec, s[30:31]
	v_lshlrev_b32_e32 v37, 16, v73
	v_lshlrev_b32_e32 v39, 16, v18
	;; [unrolled: 1-line block ×16, first 2 shown]
	s_and_b64 s[24:25], s[28:29], exec
.LBB18_775:                             ;   in Loop: Header=BB18_303 Depth=3
	s_or_b64 exec, exec, s[26:27]
	s_and_saveexec_b64 s[26:27], s[24:25]
	s_cbranch_execz .LBB18_809
; %bb.776:                              ;   in Loop: Header=BB18_303 Depth=3
	s_and_b32 s24, s43, 0xff
	s_cmp_eq_u32 s24, 0
	v_max_f32_e32 v12, v39, v39
	v_max_f32_e32 v13, v37, v37
	v_min_f32_e32 v23, v13, v12
	v_max_f32_e32 v12, v13, v12
	s_cselect_b64 vcc, -1, 0
	v_cndmask_b32_e32 v13, v12, v23, vcc
	v_and_b32_e32 v12, 0x7f800000, v13
	v_cmp_ne_u32_e64 s[24:25], s96, v12
                                        ; implicit-def: $vgpr12
	s_and_saveexec_b64 s[28:29], s[24:25]
	s_xor_b64 s[24:25], exec, s[28:29]
; %bb.777:                              ;   in Loop: Header=BB18_303 Depth=3
	v_bfe_u32 v12, v13, 16, 1
	v_add3_u32 v12, v13, v12, s97
                                        ; implicit-def: $vgpr13
; %bb.778:                              ;   in Loop: Header=BB18_303 Depth=3
	s_andn2_saveexec_b64 s[28:29], s[24:25]
; %bb.779:                              ;   in Loop: Header=BB18_303 Depth=3
	v_or_b32_e32 v12, 0x10000, v13
	v_cmp_eq_u32_sdwa s[24:25], v13, v3 src0_sel:WORD_0 src1_sel:DWORD
	s_nop 1
	v_cndmask_b32_e64 v12, v12, v13, s[24:25]
; %bb.780:                              ;   in Loop: Header=BB18_303 Depth=3
	s_or_b64 exec, exec, s[28:29]
	v_max_f32_e32 v13, v36, v36
	v_max_f32_e32 v23, v34, v34
	v_min_f32_e32 v24, v23, v13
	v_max_f32_e32 v13, v23, v13
	v_cndmask_b32_e32 v23, v13, v24, vcc
	v_and_b32_e32 v13, 0x7f800000, v23
	v_cmp_ne_u32_e64 s[24:25], s96, v13
                                        ; implicit-def: $vgpr13
	s_and_saveexec_b64 s[28:29], s[24:25]
	s_xor_b64 s[24:25], exec, s[28:29]
; %bb.781:                              ;   in Loop: Header=BB18_303 Depth=3
	v_bfe_u32 v13, v23, 16, 1
	v_add3_u32 v13, v23, v13, s97
                                        ; implicit-def: $vgpr23
; %bb.782:                              ;   in Loop: Header=BB18_303 Depth=3
	s_andn2_saveexec_b64 s[28:29], s[24:25]
; %bb.783:                              ;   in Loop: Header=BB18_303 Depth=3
	v_or_b32_e32 v13, 0x10000, v23
	v_cmp_eq_u32_sdwa s[24:25], v23, v3 src0_sel:WORD_0 src1_sel:DWORD
	s_nop 1
	v_cndmask_b32_e64 v13, v13, v23, s[24:25]
; %bb.784:                              ;   in Loop: Header=BB18_303 Depth=3
	s_or_b64 exec, exec, s[28:29]
	v_max_f32_e32 v5, v5, v5
	v_max_f32_e32 v4, v4, v4
	v_min_f32_e32 v23, v4, v5
	v_max_f32_e32 v4, v4, v5
	v_cndmask_b32_e32 v4, v4, v23, vcc
	v_and_b32_e32 v5, 0x7f800000, v4
	v_cmp_ne_u32_e64 s[24:25], s96, v5
                                        ; implicit-def: $vgpr23
	s_and_saveexec_b64 s[28:29], s[24:25]
	s_xor_b64 s[24:25], exec, s[28:29]
; %bb.785:                              ;   in Loop: Header=BB18_303 Depth=3
	v_bfe_u32 v5, v4, 16, 1
	v_add3_u32 v23, v4, v5, s97
                                        ; implicit-def: $vgpr4
; %bb.786:                              ;   in Loop: Header=BB18_303 Depth=3
	s_andn2_saveexec_b64 s[28:29], s[24:25]
; %bb.787:                              ;   in Loop: Header=BB18_303 Depth=3
	v_or_b32_e32 v5, 0x10000, v4
	v_cmp_eq_u32_sdwa s[24:25], v4, v3 src0_sel:WORD_0 src1_sel:DWORD
	s_nop 1
	v_cndmask_b32_e64 v23, v5, v4, s[24:25]
; %bb.788:                              ;   in Loop: Header=BB18_303 Depth=3
	s_or_b64 exec, exec, s[28:29]
	v_max_f32_e32 v4, v33, v33
	v_max_f32_e32 v5, v29, v29
	v_min_f32_e32 v24, v5, v4
	v_max_f32_e32 v4, v5, v4
	v_cndmask_b32_e32 v4, v4, v24, vcc
	v_and_b32_e32 v5, 0x7f800000, v4
	v_cmp_ne_u32_e64 s[24:25], s96, v5
                                        ; implicit-def: $vgpr24
	s_and_saveexec_b64 s[28:29], s[24:25]
	s_xor_b64 s[24:25], exec, s[28:29]
; %bb.789:                              ;   in Loop: Header=BB18_303 Depth=3
	v_bfe_u32 v5, v4, 16, 1
	v_add3_u32 v24, v4, v5, s97
                                        ; implicit-def: $vgpr4
; %bb.790:                              ;   in Loop: Header=BB18_303 Depth=3
	s_andn2_saveexec_b64 s[28:29], s[24:25]
; %bb.791:                              ;   in Loop: Header=BB18_303 Depth=3
	v_or_b32_e32 v5, 0x10000, v4
	v_cmp_eq_u32_sdwa s[24:25], v4, v3 src0_sel:WORD_0 src1_sel:DWORD
	s_nop 1
	v_cndmask_b32_e64 v24, v5, v4, s[24:25]
; %bb.792:                              ;   in Loop: Header=BB18_303 Depth=3
	s_or_b64 exec, exec, s[28:29]
	v_max_f32_e32 v4, v22, v22
	v_max_f32_e32 v5, v28, v28
	v_min_f32_e32 v22, v5, v4
	v_max_f32_e32 v4, v5, v4
	v_cndmask_b32_e32 v5, v4, v22, vcc
	v_and_b32_e32 v4, 0x7f800000, v5
	v_cmp_ne_u32_e64 s[24:25], s96, v4
                                        ; implicit-def: $vgpr4
	s_and_saveexec_b64 s[28:29], s[24:25]
	s_xor_b64 s[24:25], exec, s[28:29]
; %bb.793:                              ;   in Loop: Header=BB18_303 Depth=3
	v_bfe_u32 v4, v5, 16, 1
	v_add3_u32 v4, v5, v4, s97
                                        ; implicit-def: $vgpr5
; %bb.794:                              ;   in Loop: Header=BB18_303 Depth=3
	s_andn2_saveexec_b64 s[28:29], s[24:25]
; %bb.795:                              ;   in Loop: Header=BB18_303 Depth=3
	v_or_b32_e32 v4, 0x10000, v5
	v_cmp_eq_u32_sdwa s[24:25], v5, v3 src0_sel:WORD_0 src1_sel:DWORD
	s_nop 1
	v_cndmask_b32_e64 v4, v4, v5, s[24:25]
; %bb.796:                              ;   in Loop: Header=BB18_303 Depth=3
	s_or_b64 exec, exec, s[28:29]
	v_max_f32_e32 v5, v21, v21
	v_max_f32_e32 v20, v20, v20
	v_min_f32_e32 v21, v20, v5
	v_max_f32_e32 v5, v20, v5
	v_cndmask_b32_e32 v20, v5, v21, vcc
	v_and_b32_e32 v5, 0x7f800000, v20
	v_cmp_ne_u32_e64 s[24:25], s96, v5
                                        ; implicit-def: $vgpr5
	s_and_saveexec_b64 s[28:29], s[24:25]
	s_xor_b64 s[24:25], exec, s[28:29]
; %bb.797:                              ;   in Loop: Header=BB18_303 Depth=3
	v_bfe_u32 v5, v20, 16, 1
	v_add3_u32 v5, v20, v5, s97
                                        ; implicit-def: $vgpr20
; %bb.798:                              ;   in Loop: Header=BB18_303 Depth=3
	s_andn2_saveexec_b64 s[28:29], s[24:25]
; %bb.799:                              ;   in Loop: Header=BB18_303 Depth=3
	v_or_b32_e32 v5, 0x10000, v20
	v_cmp_eq_u32_sdwa s[24:25], v20, v3 src0_sel:WORD_0 src1_sel:DWORD
	s_nop 1
	v_cndmask_b32_e64 v5, v5, v20, s[24:25]
; %bb.800:                              ;   in Loop: Header=BB18_303 Depth=3
	s_or_b64 exec, exec, s[28:29]
	v_max_f32_e32 v19, v19, v19
	v_max_f32_e32 v18, v18, v18
	v_min_f32_e32 v20, v18, v19
	v_max_f32_e32 v18, v18, v19
	v_cndmask_b32_e32 v19, v18, v20, vcc
	v_and_b32_e32 v18, 0x7f800000, v19
	v_cmp_ne_u32_e64 s[24:25], s96, v18
                                        ; implicit-def: $vgpr18
	s_and_saveexec_b64 s[28:29], s[24:25]
	s_xor_b64 s[24:25], exec, s[28:29]
; %bb.801:                              ;   in Loop: Header=BB18_303 Depth=3
	v_bfe_u32 v18, v19, 16, 1
	v_add3_u32 v18, v19, v18, s97
                                        ; implicit-def: $vgpr19
; %bb.802:                              ;   in Loop: Header=BB18_303 Depth=3
	s_andn2_saveexec_b64 s[28:29], s[24:25]
; %bb.803:                              ;   in Loop: Header=BB18_303 Depth=3
	v_or_b32_e32 v18, 0x10000, v19
	v_cmp_eq_u32_sdwa s[24:25], v19, v3 src0_sel:WORD_0 src1_sel:DWORD
	s_nop 1
	v_cndmask_b32_e64 v18, v18, v19, s[24:25]
; %bb.804:                              ;   in Loop: Header=BB18_303 Depth=3
	s_or_b64 exec, exec, s[28:29]
	v_max_f32_e32 v11, v11, v11
	v_max_f32_e32 v10, v10, v10
	v_min_f32_e32 v19, v10, v11
	v_max_f32_e32 v10, v10, v11
	v_cndmask_b32_e32 v11, v10, v19, vcc
	v_and_b32_e32 v10, 0x7f800000, v11
	v_cmp_ne_u32_e32 vcc, s96, v10
                                        ; implicit-def: $vgpr10
	s_and_saveexec_b64 s[24:25], vcc
	s_xor_b64 s[24:25], exec, s[24:25]
; %bb.805:                              ;   in Loop: Header=BB18_303 Depth=3
	v_bfe_u32 v10, v11, 16, 1
	v_add3_u32 v10, v11, v10, s97
                                        ; implicit-def: $vgpr11
; %bb.806:                              ;   in Loop: Header=BB18_303 Depth=3
	s_andn2_saveexec_b64 s[24:25], s[24:25]
; %bb.807:                              ;   in Loop: Header=BB18_303 Depth=3
	v_or_b32_e32 v10, 0x10000, v11
	v_cmp_eq_u32_sdwa vcc, v11, v3 src0_sel:WORD_0 src1_sel:DWORD
	s_nop 1
	v_cndmask_b32_e32 v10, v10, v11, vcc
; %bb.808:                              ;   in Loop: Header=BB18_303 Depth=3
	s_or_b64 exec, exec, s[24:25]
	flat_store_short_d16_hi v[8:9], v12 nt
	flat_store_short_d16_hi v[8:9], v13 offset:128 nt
	flat_store_short_d16_hi v[8:9], v23 offset:256 nt
	;; [unrolled: 1-line block ×7, first 2 shown]
.LBB18_809:                             ;   in Loop: Header=BB18_303 Depth=3
	s_or_b64 exec, exec, s[26:27]
	v_lshlrev_b32_e32 v4, 10, v16
	v_cmp_ne_u32_e32 vcc, v63, v4
	s_and_b64 exec, exec, vcc
	s_cbranch_execz .LBB18_834
; %bb.810:                              ;   in Loop: Header=BB18_303 Depth=3
	v_lshlrev_b32_e32 v5, 6, v17
	v_sub_u32_e32 v5, v15, v5
	v_ashrrev_i32_e32 v8, 31, v5
	v_lshrrev_b32_e32 v8, 26, v8
	v_add_u32_e32 v8, v5, v8
	v_and_b32_e32 v9, 0x7fffffc0, v8
	v_sub_u32_e32 v5, v5, v9
	v_lshlrev_b32_e32 v8, 1, v8
	v_and_b32_e32 v8, 0xffffff80, v8
	v_lshlrev_b32_e32 v5, 1, v5
	v_add3_u32 v4, v8, v5, v4
	v_sub_u32_e32 v15, v63, v4
	v_cmp_lt_i32_e32 vcc, 1, v15
	s_and_b64 exec, exec, vcc
	s_cbranch_execz .LBB18_834
; %bb.811:                              ;   in Loop: Header=BB18_303 Depth=3
	s_trap 2
	ds_read_b64 v[10:11], v0
	v_add_u32_e32 v4, v4, v14
	s_and_b32 s24, s43, 0xff
	v_ashrrev_i32_e32 v5, 31, v4
	s_cmp_eq_u32 s24, 0
	v_lshl_add_u64 v[8:9], v[78:79], 0, v[4:5]
	v_lshl_add_u64 v[12:13], v[4:5], 0, v[76:77]
	s_waitcnt lgkmcnt(0)
	v_lshl_add_u64 v[10:11], v[10:11], 0, v[4:5]
	s_mov_b64 s[36:37], 0
	s_mov_b64 s[30:31], 0
	s_cselect_b64 s[24:25], -1, 0
                                        ; implicit-def: $sgpr34_sgpr35
	s_branch .LBB18_813
.LBB18_812:                             ;   in Loop: Header=BB18_813 Depth=4
	s_or_b64 exec, exec, s[26:27]
	v_lshrrev_b32_e32 v5, 16, v14
	scratch_store_short off, v5, s33 offset:192
	flat_store_short v[8:9], v5 nt
	v_lshl_add_u64 v[14:15], v[12:13], 0, v[116:117]
	v_cndmask_b32_e64 v5, 0, v110, s[36:37]
	v_cndmask_b32_e64 v13, v13, v15, s[36:37]
	v_sub_u32_e32 v15, v4, v5
	v_cmp_gt_i32_e32 vcc, 2, v15
	s_or_b64 s[30:31], vcc, s[30:31]
	v_lshl_add_u64 v[16:17], v[10:11], 0, v[116:117]
	v_cndmask_b32_e64 v19, 0, v45, s[36:37]
	v_cndmask_b32_e64 v18, v124, v44, s[36:37]
	s_andn2_b64 s[26:27], s[34:35], exec
	s_and_b64 s[28:29], s[36:37], exec
	v_lshl_add_u64 v[8:9], v[8:9], 0, v[18:19]
	v_cndmask_b32_e64 v11, v11, v17, s[36:37]
	v_cndmask_b32_e64 v10, v10, v16, s[36:37]
	;; [unrolled: 1-line block ×3, first 2 shown]
	s_or_b64 s[34:35], s[26:27], s[28:29]
	s_andn2_b64 exec, exec, s[30:31]
	s_cbranch_execz .LBB18_828
.LBB18_813:                             ;   Parent Loop BB18_47 Depth=1
                                        ;     Parent Loop BB18_300 Depth=2
                                        ;       Parent Loop BB18_303 Depth=3
                                        ; =>      This Loop Header: Depth=4
                                        ;           Child Loop BB18_814 Depth 5
                                        ;           Child Loop BB18_823 Depth 5
	s_add_i32 s26, s33, 0xc0
	s_mov_b32 s43, s26
	s_mov_b64 s[38:39], -1
	s_mov_b64 s[48:49], 0
.LBB18_814:                             ;   Parent Loop BB18_47 Depth=1
                                        ;     Parent Loop BB18_300 Depth=2
                                        ;       Parent Loop BB18_303 Depth=3
                                        ;         Parent Loop BB18_813 Depth=4
                                        ; =>        This Inner Loop Header: Depth=5
	s_cmp_eq_u32 s48, 1
	s_cselect_b64 vcc, -1, 0
	v_cndmask_b32_e32 v5, v13, v11, vcc
	v_cndmask_b32_e32 v4, v12, v10, vcc
	flat_load_ushort v14, v[4:5] nt
	s_cmp_eq_u32 s48, 0
	v_lshl_add_u64 v[4:5], v[4:5], 0, s[60:61]
	s_cselect_b64 s[26:27], -1, 0
	s_and_b64 s[28:29], exec, s[38:39]
	v_cndmask_b32_e64 v13, v13, v5, s[26:27]
	v_cndmask_b32_e64 v12, v12, v4, s[26:27]
	s_add_i32 s26, s33, 0xe0
	s_mov_b64 s[48:49], 1
	s_mov_b64 s[38:39], 0
	v_cndmask_b32_e32 v11, v11, v5, vcc
	v_cndmask_b32_e32 v10, v10, v4, vcc
	s_mov_b64 vcc, s[28:29]
	s_waitcnt vmcnt(0) lgkmcnt(0)
	scratch_store_short off, v14, s43
	s_mov_b32 s43, s26
	s_cbranch_vccnz .LBB18_814
; %bb.815:                              ;   in Loop: Header=BB18_813 Depth=4
	s_and_saveexec_b64 s[26:27], s[36:37]
	s_cbranch_execz .LBB18_821
; %bb.816:                              ;   in Loop: Header=BB18_813 Depth=4
	scratch_load_ushort v4, off, s33 offset:184
	scratch_load_ushort v5, off, s33 offset:186
	s_waitcnt vmcnt(1)
	v_lshlrev_b32_e32 v4, 16, v4
	s_waitcnt vmcnt(0)
	v_lshlrev_b32_e32 v5, 16, v5
	v_max_f32_e32 v5, v5, v5
	v_max_f32_e32 v4, v4, v4
	v_min_f32_e32 v14, v4, v5
	v_max_f32_e32 v4, v4, v5
	v_cndmask_b32_e64 v4, v4, v14, s[24:25]
	v_and_b32_e32 v5, 0x7f800000, v4
	v_cmp_ne_u32_e32 vcc, s96, v5
                                        ; implicit-def: $vgpr5
	s_and_saveexec_b64 s[28:29], vcc
	s_xor_b64 s[28:29], exec, s[28:29]
; %bb.817:                              ;   in Loop: Header=BB18_813 Depth=4
	v_bfe_u32 v5, v4, 16, 1
	v_add3_u32 v5, v4, v5, s97
                                        ; implicit-def: $vgpr4
; %bb.818:                              ;   in Loop: Header=BB18_813 Depth=4
	s_andn2_saveexec_b64 s[28:29], s[28:29]
; %bb.819:                              ;   in Loop: Header=BB18_813 Depth=4
	v_or_b32_e32 v5, 0x10000, v4
	v_cmp_eq_u32_sdwa vcc, v4, v3 src0_sel:WORD_0 src1_sel:DWORD
	s_nop 1
	v_cndmask_b32_e32 v5, v5, v4, vcc
; %bb.820:                              ;   in Loop: Header=BB18_813 Depth=4
	s_or_b64 exec, exec, s[28:29]
	v_lshrrev_b32_e32 v4, 16, v5
	scratch_store_short off, v4, s33 offset:184
	flat_store_short v[8:9], v4 nt
	v_lshl_add_u64 v[8:9], v[8:9], 0, v[44:45]
.LBB18_821:                             ;   in Loop: Header=BB18_813 Depth=4
	s_or_b64 exec, exec, s[26:27]
	v_sub_u32_e32 v4, v15, v110
	v_lshl_add_u64 v[12:13], v[12:13], 0, v[116:117]
	v_lshl_add_u64 v[10:11], v[10:11], 0, v[116:117]
	v_cmp_lt_i32_e64 s[36:37], 1, v4
	s_and_saveexec_b64 s[38:39], s[36:37]
	s_cbranch_execz .LBB18_824
; %bb.822:                              ;   in Loop: Header=BB18_813 Depth=4
	s_add_i32 s26, s33, 0xb8
	s_mov_b32 s43, s26
	s_mov_b64 s[50:51], 0
	s_mov_b64 s[48:49], -1
.LBB18_823:                             ;   Parent Loop BB18_47 Depth=1
                                        ;     Parent Loop BB18_300 Depth=2
                                        ;       Parent Loop BB18_303 Depth=3
                                        ;         Parent Loop BB18_813 Depth=4
                                        ; =>        This Inner Loop Header: Depth=5
	s_cmp_eq_u32 s50, 1
	s_cselect_b64 vcc, -1, 0
	v_cndmask_b32_e32 v15, v13, v11, vcc
	v_cndmask_b32_e32 v14, v12, v10, vcc
	flat_load_ushort v5, v[14:15] nt
	s_cmp_eq_u32 s50, 0
	v_lshl_add_u64 v[14:15], v[14:15], 0, s[60:61]
	s_cselect_b64 s[26:27], -1, 0
	s_and_b64 s[28:29], exec, s[48:49]
	v_cndmask_b32_e64 v13, v13, v15, s[26:27]
	v_cndmask_b32_e64 v12, v12, v14, s[26:27]
	s_add_i32 s26, s33, 0xba
	s_mov_b64 s[50:51], 1
	s_mov_b64 s[48:49], 0
	v_cndmask_b32_e32 v11, v11, v15, vcc
	v_cndmask_b32_e32 v10, v10, v14, vcc
	s_mov_b64 vcc, s[28:29]
	s_waitcnt vmcnt(0) lgkmcnt(0)
	scratch_store_short off, v5, s43
	s_mov_b32 s43, s26
	s_cbranch_vccnz .LBB18_823
.LBB18_824:                             ;   in Loop: Header=BB18_813 Depth=4
	s_or_b64 exec, exec, s[38:39]
	scratch_load_ushort v5, off, s33 offset:192
	scratch_load_ushort v14, off, s33 offset:224
	s_waitcnt vmcnt(0)
	v_lshlrev_b32_e32 v5, 16, v5
	v_lshlrev_b32_e32 v14, 16, v14
	v_max_f32_e32 v14, v14, v14
	v_max_f32_e32 v5, v5, v5
	v_min_f32_e32 v15, v5, v14
	v_max_f32_e32 v5, v5, v14
	v_cndmask_b32_e64 v5, v5, v15, s[24:25]
	v_and_b32_e32 v14, 0x7f800000, v5
	v_cmp_ne_u32_e32 vcc, s96, v14
                                        ; implicit-def: $vgpr14
	s_and_saveexec_b64 s[26:27], vcc
	s_xor_b64 s[26:27], exec, s[26:27]
; %bb.825:                              ;   in Loop: Header=BB18_813 Depth=4
	v_bfe_u32 v14, v5, 16, 1
	v_add3_u32 v14, v5, v14, s97
                                        ; implicit-def: $vgpr5
; %bb.826:                              ;   in Loop: Header=BB18_813 Depth=4
	s_andn2_saveexec_b64 s[26:27], s[26:27]
	s_cbranch_execz .LBB18_812
; %bb.827:                              ;   in Loop: Header=BB18_813 Depth=4
	v_or_b32_e32 v14, 0x10000, v5
	v_cmp_eq_u32_sdwa vcc, v5, v3 src0_sel:WORD_0 src1_sel:DWORD
	s_nop 1
	v_cndmask_b32_e32 v14, v14, v5, vcc
	s_branch .LBB18_812
.LBB18_828:                             ;   in Loop: Header=BB18_303 Depth=3
	s_or_b64 exec, exec, s[30:31]
	s_and_b64 exec, exec, s[34:35]
	s_cbranch_execz .LBB18_834
; %bb.829:                              ;   in Loop: Header=BB18_303 Depth=3
	scratch_load_ushort v4, off, s33 offset:184
	scratch_load_ushort v5, off, s33 offset:186
	s_waitcnt vmcnt(0)
	v_lshlrev_b32_e32 v4, 16, v4
	v_lshlrev_b32_e32 v5, 16, v5
	v_max_f32_e32 v5, v5, v5
	v_max_f32_e32 v4, v4, v4
	v_min_f32_e32 v10, v4, v5
	v_max_f32_e32 v4, v4, v5
	v_cndmask_b32_e64 v4, v4, v10, s[24:25]
	v_and_b32_e32 v5, 0x7f800000, v4
	v_cmp_ne_u32_e32 vcc, s96, v5
                                        ; implicit-def: $vgpr5
	s_and_saveexec_b64 s[24:25], vcc
	s_xor_b64 s[24:25], exec, s[24:25]
; %bb.830:                              ;   in Loop: Header=BB18_303 Depth=3
	v_bfe_u32 v5, v4, 16, 1
	v_add3_u32 v5, v4, v5, s97
                                        ; implicit-def: $vgpr4
; %bb.831:                              ;   in Loop: Header=BB18_303 Depth=3
	s_andn2_saveexec_b64 s[24:25], s[24:25]
; %bb.832:                              ;   in Loop: Header=BB18_303 Depth=3
	v_or_b32_e32 v5, 0x10000, v4
	v_cmp_eq_u32_sdwa vcc, v4, v3 src0_sel:WORD_0 src1_sel:DWORD
	s_nop 1
	v_cndmask_b32_e32 v5, v5, v4, vcc
; %bb.833:                              ;   in Loop: Header=BB18_303 Depth=3
	s_or_b64 exec, exec, s[24:25]
	flat_store_short_d16_hi v[8:9], v5 nt
.LBB18_834:                             ;   in Loop: Header=BB18_303 Depth=3
	s_or_b64 exec, exec, s[40:41]
	v_cmp_lt_i32_e64 s[24:25], 0, v2
	s_and_saveexec_b64 s[26:27], s[4:5]
	s_cbranch_execz .LBB18_378
.LBB18_835:                             ;   in Loop: Header=BB18_303 Depth=3
	s_and_saveexec_b64 s[28:29], s[46:47]
	s_xor_b64 s[28:29], exec, s[28:29]
	s_cbranch_execz .LBB18_850
; %bb.836:                              ;   in Loop: Header=BB18_303 Depth=3
	s_and_saveexec_b64 s[40:41], s[12:13]
	s_cbranch_execz .LBB18_849
; %bb.837:                              ;   in Loop: Header=BB18_303 Depth=3
	s_mov_b64 s[34:35], exec
	v_mbcnt_lo_u32_b32 v2, s34, 0
	v_mbcnt_hi_u32_b32 v2, s35, v2
	v_cmp_eq_u32_e32 vcc, 0, v2
	s_waitcnt lgkmcnt(0)
	s_and_saveexec_b64 s[30:31], vcc
	s_cbranch_execz .LBB18_839
; %bb.838:                              ;   in Loop: Header=BB18_303 Depth=3
	s_bcnt1_i32_b64 s43, s[34:35]
	v_mov_b32_e32 v2, s43
	ds_add_u64 v0, v[2:3]
	s_trap 2
.LBB18_839:                             ;   in Loop: Header=BB18_303 Depth=3
	s_or_b64 exec, exec, s[30:31]
	s_trap 2
	ds_read_b64 v[4:5], v0
	s_waitcnt lgkmcnt(0)
	v_lshl_add_u64 v[70:71], v[70:71], 0, v[84:85]
	v_cmp_lt_u64_e32 vcc, v[4:5], v[70:71]
	s_and_saveexec_b64 s[30:31], vcc
	s_cbranch_execz .LBB18_848
; %bb.840:                              ;   in Loop: Header=BB18_303 Depth=3
	s_mov_b32 s43, 0
	s_mov_b64 s[34:35], 0
                                        ; implicit-def: $sgpr36_sgpr37
                                        ; implicit-def: $sgpr38_sgpr39
	s_branch .LBB18_842
.LBB18_841:                             ;   in Loop: Header=BB18_842 Depth=4
	s_or_b64 exec, exec, s[50:51]
	s_and_b64 vcc, exec, vcc
	s_or_b64 s[34:35], vcc, s[34:35]
	s_andn2_b64 vcc, s[36:37], exec
	s_and_b64 s[36:37], s[38:39], exec
	s_or_b64 s[36:37], vcc, s[36:37]
	s_andn2_b64 exec, exec, s[34:35]
	s_cbranch_execz .LBB18_846
.LBB18_842:                             ;   Parent Loop BB18_47 Depth=1
                                        ;     Parent Loop BB18_300 Depth=2
                                        ;       Parent Loop BB18_303 Depth=3
                                        ; =>      This Inner Loop Header: Depth=4
	s_add_i32 s43, s43, 1
	s_cmpk_lg_i32 s43, 0x2710
	s_cselect_b64 s[48:49], -1, 0
	s_and_b64 vcc, exec, s[48:49]
	s_cbranch_vccz .LBB18_844
; %bb.843:                              ;   in Loop: Header=BB18_842 Depth=4
	s_mov_b64 vcc, -1
	s_or_b64 s[38:39], s[38:39], exec
	s_and_saveexec_b64 s[50:51], s[48:49]
	s_cbranch_execz .LBB18_841
	s_branch .LBB18_845
.LBB18_844:                             ;   in Loop: Header=BB18_842 Depth=4
	s_trap 2
	ds_read_b64 v[4:5], v0
	s_andn2_b64 s[48:49], s[48:49], exec
	s_mov_b32 s43, 0
	s_waitcnt vmcnt(0) lgkmcnt(0)
	flat_load_dword v2, v[4:5] sc0 sc1
	s_waitcnt vmcnt(0) lgkmcnt(0)
	buffer_inv sc0 sc1
	v_cmp_eq_u32_e32 vcc, 0, v2
	s_and_b64 vcc, vcc, exec
	s_or_b64 s[48:49], s[48:49], vcc
	s_mov_b64 vcc, -1
	s_or_b64 s[38:39], s[38:39], exec
	s_and_saveexec_b64 s[50:51], s[48:49]
	s_cbranch_execz .LBB18_841
.LBB18_845:                             ;   in Loop: Header=BB18_842 Depth=4
	s_sleep 1
	s_trap 2
	ds_read_b64 v[4:5], v0
	s_waitcnt lgkmcnt(0)
	s_andn2_b64 s[38:39], s[38:39], exec
	v_cmp_ge_u64_e32 vcc, v[4:5], v[70:71]
	s_orn2_b64 vcc, vcc, exec
	s_branch .LBB18_841
.LBB18_846:                             ;   in Loop: Header=BB18_303 Depth=3
	s_or_b64 exec, exec, s[34:35]
	s_and_saveexec_b64 vcc, s[36:37]
	s_xor_b64 vcc, exec, vcc
	s_cbranch_execz .LBB18_848
; %bb.847:                              ;   in Loop: Header=BB18_303 Depth=3
	ds_write_b32 v0, v111
	s_trap 2
.LBB18_848:                             ;   in Loop: Header=BB18_303 Depth=3
	s_or_b64 exec, exec, s[30:31]
	;;#ASMSTART
	s_wakeup
	;;#ASMEND
.LBB18_849:                             ;   in Loop: Header=BB18_303 Depth=3
	s_or_b64 exec, exec, s[40:41]
.LBB18_850:                             ;   in Loop: Header=BB18_303 Depth=3
	s_andn2_saveexec_b64 s[28:29], s[28:29]
	s_cbranch_execz .LBB18_852
; %bb.851:                              ;   in Loop: Header=BB18_303 Depth=3
	s_waitcnt lgkmcnt(0)
	s_barrier
.LBB18_852:                             ;   in Loop: Header=BB18_303 Depth=3
	s_or_b64 exec, exec, s[28:29]
	s_or_b64 exec, exec, s[26:27]
                                        ; implicit-def: $vgpr2
	s_and_saveexec_b64 s[26:27], s[20:21]
	s_xor_b64 s[26:27], exec, s[26:27]
	s_cbranch_execnz .LBB18_379
.LBB18_853:                             ;   in Loop: Header=BB18_303 Depth=3
	s_andn2_saveexec_b64 s[24:25], s[26:27]
	s_cbranch_execz .LBB18_872
.LBB18_854:                             ;   in Loop: Header=BB18_303 Depth=3
	s_and_saveexec_b64 s[26:27], s[46:47]
	s_xor_b64 s[26:27], exec, s[26:27]
	s_cbranch_execz .LBB18_869
; %bb.855:                              ;   in Loop: Header=BB18_303 Depth=3
	s_and_saveexec_b64 s[28:29], s[12:13]
	s_cbranch_execz .LBB18_868
; %bb.856:                              ;   in Loop: Header=BB18_303 Depth=3
	s_mov_b64 s[30:31], exec
	v_mbcnt_lo_u32_b32 v2, s30, 0
	v_mbcnt_hi_u32_b32 v2, s31, v2
	v_cmp_eq_u32_e32 vcc, 0, v2
	;;#ASMSTART
	s_waitcnt lgkmcnt(0) vmcnt(0)
	;;#ASMEND
	s_and_saveexec_b64 s[40:41], vcc
	s_cbranch_execz .LBB18_858
; %bb.857:                              ;   in Loop: Header=BB18_303 Depth=3
	s_bcnt1_i32_b64 s43, s[30:31]
	v_mov_b32_e32 v2, s43
	s_waitcnt lgkmcnt(0)
	ds_add_u64 v0, v[2:3]
	s_trap 2
.LBB18_858:                             ;   in Loop: Header=BB18_303 Depth=3
	s_or_b64 exec, exec, s[40:41]
	s_trap 2
	ds_read_b64 v[4:5], v0
	s_waitcnt lgkmcnt(0)
	v_lshl_add_u64 v[70:71], v[70:71], 0, v[84:85]
	v_cmp_lt_u64_e32 vcc, v[4:5], v[70:71]
	s_and_saveexec_b64 s[40:41], vcc
	s_cbranch_execz .LBB18_867
; %bb.859:                              ;   in Loop: Header=BB18_303 Depth=3
	s_mov_b32 s43, 0
	s_mov_b64 s[30:31], 0
                                        ; implicit-def: $sgpr34_sgpr35
                                        ; implicit-def: $sgpr36_sgpr37
	s_branch .LBB18_861
.LBB18_860:                             ;   in Loop: Header=BB18_861 Depth=4
	s_or_b64 exec, exec, s[48:49]
	s_and_b64 vcc, exec, vcc
	s_or_b64 s[30:31], vcc, s[30:31]
	s_andn2_b64 vcc, s[34:35], exec
	s_and_b64 s[34:35], s[36:37], exec
	s_or_b64 s[34:35], vcc, s[34:35]
	s_andn2_b64 exec, exec, s[30:31]
	s_cbranch_execz .LBB18_865
.LBB18_861:                             ;   Parent Loop BB18_47 Depth=1
                                        ;     Parent Loop BB18_300 Depth=2
                                        ;       Parent Loop BB18_303 Depth=3
                                        ; =>      This Inner Loop Header: Depth=4
	s_add_i32 s43, s43, 1
	s_cmpk_lg_i32 s43, 0x2710
	s_cselect_b64 s[38:39], -1, 0
	s_and_b64 vcc, exec, s[38:39]
	s_cbranch_vccz .LBB18_863
; %bb.862:                              ;   in Loop: Header=BB18_861 Depth=4
	s_mov_b64 vcc, -1
	s_or_b64 s[36:37], s[36:37], exec
	s_and_saveexec_b64 s[48:49], s[38:39]
	s_cbranch_execz .LBB18_860
	s_branch .LBB18_864
.LBB18_863:                             ;   in Loop: Header=BB18_861 Depth=4
	s_trap 2
	ds_read_b64 v[4:5], v0
	s_andn2_b64 s[38:39], s[38:39], exec
	s_mov_b32 s43, 0
	s_waitcnt vmcnt(0) lgkmcnt(0)
	flat_load_dword v2, v[4:5] sc0 sc1
	s_waitcnt vmcnt(0) lgkmcnt(0)
	buffer_inv sc0 sc1
	v_cmp_eq_u32_e32 vcc, 0, v2
	s_and_b64 vcc, vcc, exec
	s_or_b64 s[38:39], s[38:39], vcc
	s_mov_b64 vcc, -1
	s_or_b64 s[36:37], s[36:37], exec
	s_and_saveexec_b64 s[48:49], s[38:39]
	s_cbranch_execz .LBB18_860
.LBB18_864:                             ;   in Loop: Header=BB18_861 Depth=4
	s_sleep 1
	s_trap 2
	ds_read_b64 v[4:5], v0
	s_waitcnt lgkmcnt(0)
	s_andn2_b64 s[36:37], s[36:37], exec
	v_cmp_ge_u64_e32 vcc, v[4:5], v[70:71]
	s_orn2_b64 vcc, vcc, exec
	s_branch .LBB18_860
.LBB18_865:                             ;   in Loop: Header=BB18_303 Depth=3
	s_or_b64 exec, exec, s[30:31]
	s_and_saveexec_b64 vcc, s[34:35]
	s_xor_b64 vcc, exec, vcc
	s_cbranch_execz .LBB18_867
; %bb.866:                              ;   in Loop: Header=BB18_303 Depth=3
	ds_write_b32 v0, v111
	s_trap 2
.LBB18_867:                             ;   in Loop: Header=BB18_303 Depth=3
	s_or_b64 exec, exec, s[40:41]
	;;#ASMSTART
	s_wakeup
	;;#ASMEND
.LBB18_868:                             ;   in Loop: Header=BB18_303 Depth=3
	s_or_b64 exec, exec, s[28:29]
.LBB18_869:                             ;   in Loop: Header=BB18_303 Depth=3
	s_andn2_saveexec_b64 s[26:27], s[26:27]
	s_cbranch_execz .LBB18_871
; %bb.870:                              ;   in Loop: Header=BB18_303 Depth=3
	;;#ASMSTART
	s_waitcnt lgkmcnt(0) vmcnt(0)
	;;#ASMEND
	s_barrier
.LBB18_871:                             ;   in Loop: Header=BB18_303 Depth=3
	s_or_b64 exec, exec, s[26:27]
	v_and_b32_e32 v2, 16, v106
.LBB18_872:                             ;   in Loop: Header=BB18_303 Depth=3
	s_or_b64 exec, exec, s[24:25]
	v_cmp_ne_u32_e32 vcc, 0, v2
	s_xor_b64 s[24:25], s[6:7], -1
	s_and_b64 s[26:27], vcc, s[24:25]
	s_and_saveexec_b64 s[24:25], s[26:27]
	s_cbranch_execz .LBB18_874
; %bb.873:                              ;   in Loop: Header=BB18_303 Depth=3
	flat_store_dword v[68:69], v111 sc0 sc1
.LBB18_874:                             ;   in Loop: Header=BB18_303 Depth=3
	s_or_b64 exec, exec, s[24:25]
	v_and_b32_e32 v2, 48, v106
	v_cmp_ne_u32_e32 vcc, 0, v2
	s_and_saveexec_b64 s[24:25], vcc
	s_cbranch_execz .LBB18_302
; %bb.875:                              ;   in Loop: Header=BB18_303 Depth=3
	v_lshl_add_u64 v[56:57], v[56:57], 0, 2
	flat_store_dwordx2 v[64:65], v[56:57] sc0 sc1
	s_branch .LBB18_302
.LBB18_876:                             ;   in Loop: Header=BB18_300 Depth=2
	s_or_b64 exec, exec, s[92:93]
.LBB18_877:                             ;   in Loop: Header=BB18_300 Depth=2
	s_or_b64 exec, exec, s[90:91]
	v_cmp_gt_i32_e32 vcc, 2, v2
	s_and_saveexec_b64 s[26:27], vcc
	s_cbranch_execz .LBB18_299
; %bb.878:                              ;   in Loop: Header=BB18_300 Depth=2
	v_cmp_eq_u32_e64 s[40:41], 0, v2
	s_mov_b64 s[28:29], 0
	s_branch .LBB18_880
.LBB18_879:                             ;   in Loop: Header=BB18_880 Depth=3
	s_or_b64 exec, exec, s[24:25]
	v_add_u32_e32 v72, v62, v72
	s_mov_b64 s[40:41], 0
	s_andn2_b64 exec, exec, s[28:29]
	s_cbranch_execz .LBB18_298
.LBB18_880:                             ;   Parent Loop BB18_47 Depth=1
                                        ;     Parent Loop BB18_300 Depth=2
                                        ; =>    This Loop Header: Depth=3
                                        ;         Child Loop BB18_886 Depth 4
                                        ;         Child Loop BB18_914 Depth 4
	;; [unrolled: 1-line block ×3, first 2 shown]
	v_sub_u32_e32 v2, v53, v72
	v_min_i32_e32 v62, v62, v2
	v_and_b32_e32 v2, 12, v106
	v_cmp_ne_u32_e32 vcc, 0, v2
	s_and_saveexec_b64 s[90:91], vcc
	s_cbranch_execz .LBB18_906
; %bb.881:                              ;   in Loop: Header=BB18_880 Depth=3
	v_and_b32_e32 v2, 8, v106
	s_waitcnt vmcnt(0) lgkmcnt(0)
	v_lshl_add_u64 v[4:5], v[80:81], 0, v[2:3]
	v_lshl_add_u64 v[8:9], v[56:57], 0, 2
	v_cmp_lt_u64_e32 vcc, v[4:5], v[8:9]
	s_and_saveexec_b64 s[92:93], vcc
	s_cbranch_execz .LBB18_893
; %bb.882:                              ;   in Loop: Header=BB18_880 Depth=3
	v_and_b32_e32 v4, 64, v106
	s_mov_b32 s42, 0
	v_cmp_eq_u32_e32 vcc, 0, v4
	s_mov_b64 s[94:95], 0
                                        ; implicit-def: $sgpr30_sgpr31
                                        ; implicit-def: $sgpr34_sgpr35
                                        ; implicit-def: $sgpr36_sgpr37
	s_branch .LBB18_886
.LBB18_883:                             ;   in Loop: Header=BB18_886 Depth=4
	s_waitcnt vmcnt(0) lgkmcnt(0)
	v_lshl_add_u64 v[10:11], v[80:81], 0, v[2:3]
	v_cmp_ge_u64_e64 s[24:25], v[10:11], v[8:9]
	s_or_b64 s[50:51], s[50:51], exec
	s_orn2_b64 s[48:49], s[24:25], exec
.LBB18_884:                             ;   in Loop: Header=BB18_886 Depth=4
	s_or_b64 exec, exec, s[54:55]
	s_andn2_b64 s[24:25], s[36:37], exec
	s_and_b64 s[36:37], s[50:51], exec
	s_or_b64 s[36:37], s[24:25], s[36:37]
	s_andn2_b64 s[24:25], s[34:35], exec
	s_and_b64 s[34:35], s[48:49], exec
	s_or_b64 s[34:35], s[24:25], s[34:35]
.LBB18_885:                             ;   in Loop: Header=BB18_886 Depth=4
	s_or_b64 exec, exec, s[38:39]
	s_and_b64 s[24:25], exec, s[34:35]
	s_or_b64 s[94:95], s[24:25], s[94:95]
	s_andn2_b64 s[24:25], s[30:31], exec
	s_and_b64 s[30:31], s[36:37], exec
	s_or_b64 s[30:31], s[24:25], s[30:31]
	s_andn2_b64 exec, exec, s[94:95]
	s_cbranch_execz .LBB18_890
.LBB18_886:                             ;   Parent Loop BB18_47 Depth=1
                                        ;     Parent Loop BB18_300 Depth=2
                                        ;       Parent Loop BB18_880 Depth=3
                                        ; =>      This Inner Loop Header: Depth=4
	s_sleep 1
	s_waitcnt vmcnt(0) lgkmcnt(0)
	flat_load_dwordx2 v[80:81], v[64:65] sc0 sc1
	s_or_b64 s[36:37], s[36:37], exec
	s_or_b64 s[34:35], s[34:35], exec
                                        ; implicit-def: $vgpr4
	s_and_saveexec_b64 s[38:39], vcc
	s_cbranch_execz .LBB18_885
; %bb.887:                              ;   in Loop: Header=BB18_886 Depth=4
	s_cmpk_lt_i32 s42, 0x270f
	s_cselect_b64 s[52:53], -1, 0
	s_cmpk_gt_i32 s42, 0x270e
	s_mov_b64 s[48:49], -1
	s_cbranch_scc0 .LBB18_889
; %bb.888:                              ;   in Loop: Header=BB18_886 Depth=4
	s_trap 2
	ds_read_b64 v[4:5], v0
	s_andn2_b64 s[52:53], s[52:53], exec
	s_mov_b32 s42, 0
	s_mov_b64 s[50:51], 0
	s_waitcnt vmcnt(0) lgkmcnt(0)
	flat_load_dword v4, v[4:5] sc0 sc1
	s_waitcnt vmcnt(0) lgkmcnt(0)
	buffer_inv sc0 sc1
	v_cmp_eq_u32_e64 s[24:25], 0, v4
	s_and_b64 s[24:25], s[24:25], exec
	s_or_b64 s[52:53], s[52:53], s[24:25]
	s_and_saveexec_b64 s[54:55], s[52:53]
	s_cbranch_execz .LBB18_884
	s_branch .LBB18_883
.LBB18_889:                             ;   in Loop: Header=BB18_886 Depth=4
	s_add_i32 s42, s42, 1
	s_mov_b64 s[50:51], -1
                                        ; implicit-def: $vgpr4
	s_and_saveexec_b64 s[54:55], s[52:53]
	s_cbranch_execz .LBB18_884
	s_branch .LBB18_883
.LBB18_890:                             ;   in Loop: Header=BB18_880 Depth=3
	s_or_b64 exec, exec, s[94:95]
	s_xor_b64 s[24:25], s[30:31], -1
	s_and_saveexec_b64 s[42:43], s[24:25]
	s_xor_b64 s[24:25], exec, s[42:43]
	s_cbranch_execz .LBB18_892
; %bb.891:                              ;   in Loop: Header=BB18_880 Depth=3
	v_or_b32_e32 v106, 64, v106
	s_waitcnt lgkmcnt(0)
	ds_write_b32 v0, v4
	s_trap 2
.LBB18_892:                             ;   in Loop: Header=BB18_880 Depth=3
	s_or_b64 exec, exec, s[24:25]
.LBB18_893:                             ;   in Loop: Header=BB18_880 Depth=3
	s_or_b64 exec, exec, s[92:93]
	v_and_b32_e32 v4, 0x108, v106
	v_cmp_ne_u32_e32 vcc, s87, v4
	;;#ASMSTART
	s_wakeup
	;;#ASMEND
                                        ; implicit-def: $vgpr10_vgpr11
	s_and_saveexec_b64 s[24:25], vcc
	s_xor_b64 s[24:25], exec, s[24:25]
; %bb.894:                              ;   in Loop: Header=BB18_880 Depth=3
	v_and_b32_e32 v10, 7, v56
	v_mov_b32_e32 v11, v3
                                        ; implicit-def: $vgpr56_vgpr57
; %bb.895:                              ;   in Loop: Header=BB18_880 Depth=3
	s_andn2_saveexec_b64 s[24:25], s[24:25]
	s_cbranch_execz .LBB18_897
; %bb.896:                              ;   in Loop: Header=BB18_880 Depth=3
	v_and_b32_e32 v10, 7, v56
	v_ashrrev_i32_e32 v63, 31, v62
	v_mov_b32_e32 v11, v3
	v_mad_u64_u32 v[4:5], s[42:43], v10, 24, v[6:7]
	v_lshlrev_b64 v[12:13], 1, v[62:63]
	flat_store_dwordx2 v[4:5], v[12:13] offset:8
.LBB18_897:                             ;   in Loop: Header=BB18_880 Depth=3
	s_or_b64 exec, exec, s[24:25]
	v_and_b32_e32 v4, 0x100, v106
	v_cmp_ne_u32_e32 vcc, 0, v4
	s_mov_b64 s[24:25], -1
                                        ; implicit-def: $vgpr12_vgpr13
	s_and_saveexec_b64 s[92:93], vcc
	s_cbranch_execz .LBB18_901
; %bb.898:                              ;   in Loop: Header=BB18_880 Depth=3
	v_mad_u64_u32 v[14:15], s[24:25], v10, 24, v[6:7]
	v_mov_b32_e32 v4, v15
	v_mad_u64_u32 v[4:5], s[24:25], v11, 24, v[4:5]
	v_mov_b32_e32 v15, v4
	flat_load_dword v4, v[14:15]
                                        ; implicit-def: $vgpr12_vgpr13
	s_waitcnt vmcnt(0) lgkmcnt(0)
	v_cmp_ne_u32_e32 vcc, 1, v4
	v_cmp_eq_u32_e64 s[24:25], 1, v4
	s_and_saveexec_b64 s[94:95], s[24:25]
	s_cbranch_execz .LBB18_900
; %bb.899:                              ;   in Loop: Header=BB18_880 Depth=3
	flat_load_dword v4, v[14:15] offset:4 sc0 sc1
	s_waitcnt vmcnt(0) lgkmcnt(0)
	v_ashrrev_i32_e32 v5, 31, v4
	v_lshrrev_b64 v[12:13], 1, v[4:5]
.LBB18_900:                             ;   in Loop: Header=BB18_880 Depth=3
	s_or_b64 exec, exec, s[94:95]
	s_orn2_b64 s[24:25], vcc, exec
.LBB18_901:                             ;   in Loop: Header=BB18_880 Depth=3
	s_or_b64 exec, exec, s[92:93]
	s_and_saveexec_b64 s[92:93], s[24:25]
; %bb.902:                              ;   in Loop: Header=BB18_880 Depth=3
	v_mul_lo_u32 v4, v11, v30
	v_mul_lo_u32 v5, v10, v83
	v_mad_u64_u32 v[12:13], s[24:25], v10, v30, 0
	v_add3_u32 v13, v13, v5, v4
; %bb.903:                              ;   in Loop: Header=BB18_880 Depth=3
	s_or_b64 exec, exec, s[92:93]
	v_cmp_eq_u32_e32 vcc, 0, v2
	v_lshl_add_u64 v[4:5], v[12:13], 1, v[66:67]
	s_nop 0
	v_cndmask_b32_e32 v2, v120, v121, vcc
	v_add_u32_e32 v2, v0, v2
	ds_write_b64 v2, v[4:5] offset:584
	v_and_b32_e32 v2, 0x2000, v106
	v_cmp_ne_u32_e32 vcc, 0, v2
	s_and_saveexec_b64 s[24:25], vcc
	s_cbranch_execz .LBB18_905
; %bb.904:                              ;   in Loop: Header=BB18_880 Depth=3
	ds_read_b64 v[4:5], v0 offset:872
	s_waitcnt lgkmcnt(0)
	v_lshl_add_u64 v[4:5], v[4:5], 0, 1
	ds_write_b64 v0, v[4:5] offset:872
.LBB18_905:                             ;   in Loop: Header=BB18_880 Depth=3
	s_or_b64 exec, exec, s[24:25]
	v_mov_b64_e32 v[56:57], v[8:9]
.LBB18_906:                             ;   in Loop: Header=BB18_880 Depth=3
	s_or_b64 exec, exec, s[90:91]
	s_xor_b64 s[24:25], s[40:41], -1
	s_and_b64 s[24:25], exec, s[24:25]
	s_or_b64 s[28:29], s[24:25], s[28:29]
	s_and_saveexec_b64 s[24:25], s[4:5]
	s_cbranch_execz .LBB18_925
; %bb.907:                              ;   in Loop: Header=BB18_880 Depth=3
	s_and_saveexec_b64 s[40:41], s[46:47]
	s_xor_b64 s[40:41], exec, s[40:41]
	s_cbranch_execz .LBB18_922
; %bb.908:                              ;   in Loop: Header=BB18_880 Depth=3
	s_and_saveexec_b64 s[90:91], s[12:13]
	s_cbranch_execz .LBB18_921
; %bb.909:                              ;   in Loop: Header=BB18_880 Depth=3
	s_mov_b64 s[94:95], exec
	v_mbcnt_lo_u32_b32 v2, s94, 0
	v_mbcnt_hi_u32_b32 v2, s95, v2
	v_cmp_eq_u32_e32 vcc, 0, v2
	s_waitcnt lgkmcnt(0)
	s_and_saveexec_b64 s[92:93], vcc
	s_cbranch_execz .LBB18_911
; %bb.910:                              ;   in Loop: Header=BB18_880 Depth=3
	s_bcnt1_i32_b64 s42, s[94:95]
	v_mov_b32_e32 v2, s42
	ds_add_u64 v0, v[2:3]
	s_trap 2
.LBB18_911:                             ;   in Loop: Header=BB18_880 Depth=3
	s_or_b64 exec, exec, s[92:93]
	s_trap 2
	ds_read_b64 v[4:5], v0
	s_waitcnt lgkmcnt(0)
	v_lshl_add_u64 v[70:71], v[70:71], 0, v[84:85]
	v_cmp_lt_u64_e32 vcc, v[4:5], v[70:71]
	s_and_saveexec_b64 s[92:93], vcc
	s_cbranch_execz .LBB18_920
; %bb.912:                              ;   in Loop: Header=BB18_880 Depth=3
	s_mov_b32 s42, 0
	s_mov_b64 s[94:95], 0
                                        ; implicit-def: $sgpr30_sgpr31
                                        ; implicit-def: $sgpr34_sgpr35
	s_branch .LBB18_914
.LBB18_913:                             ;   in Loop: Header=BB18_914 Depth=4
	s_or_b64 exec, exec, s[38:39]
	s_and_b64 vcc, exec, vcc
	s_or_b64 s[94:95], vcc, s[94:95]
	s_andn2_b64 vcc, s[30:31], exec
	s_and_b64 s[30:31], s[34:35], exec
	s_or_b64 s[30:31], vcc, s[30:31]
	s_andn2_b64 exec, exec, s[94:95]
	s_cbranch_execz .LBB18_918
.LBB18_914:                             ;   Parent Loop BB18_47 Depth=1
                                        ;     Parent Loop BB18_300 Depth=2
                                        ;       Parent Loop BB18_880 Depth=3
                                        ; =>      This Inner Loop Header: Depth=4
	s_add_i32 s42, s42, 1
	s_cmpk_lg_i32 s42, 0x2710
	s_cselect_b64 s[36:37], -1, 0
	s_and_b64 vcc, exec, s[36:37]
	s_cbranch_vccz .LBB18_916
; %bb.915:                              ;   in Loop: Header=BB18_914 Depth=4
	s_mov_b64 vcc, -1
	s_or_b64 s[34:35], s[34:35], exec
	s_and_saveexec_b64 s[38:39], s[36:37]
	s_cbranch_execz .LBB18_913
	s_branch .LBB18_917
.LBB18_916:                             ;   in Loop: Header=BB18_914 Depth=4
	s_trap 2
	ds_read_b64 v[4:5], v0
	s_andn2_b64 s[36:37], s[36:37], exec
	s_mov_b32 s42, 0
	s_waitcnt vmcnt(0) lgkmcnt(0)
	flat_load_dword v2, v[4:5] sc0 sc1
	s_waitcnt vmcnt(0) lgkmcnt(0)
	buffer_inv sc0 sc1
	v_cmp_eq_u32_e32 vcc, 0, v2
	s_and_b64 vcc, vcc, exec
	s_or_b64 s[36:37], s[36:37], vcc
	s_mov_b64 vcc, -1
	s_or_b64 s[34:35], s[34:35], exec
	s_and_saveexec_b64 s[38:39], s[36:37]
	s_cbranch_execz .LBB18_913
.LBB18_917:                             ;   in Loop: Header=BB18_914 Depth=4
	s_sleep 1
	s_trap 2
	ds_read_b64 v[4:5], v0
	s_waitcnt lgkmcnt(0)
	s_andn2_b64 s[34:35], s[34:35], exec
	v_cmp_ge_u64_e32 vcc, v[4:5], v[70:71]
	s_orn2_b64 vcc, vcc, exec
	s_branch .LBB18_913
.LBB18_918:                             ;   in Loop: Header=BB18_880 Depth=3
	s_or_b64 exec, exec, s[94:95]
	s_and_saveexec_b64 s[42:43], s[30:31]
	s_xor_b64 s[42:43], exec, s[42:43]
	s_cbranch_execz .LBB18_920
; %bb.919:                              ;   in Loop: Header=BB18_880 Depth=3
	ds_write_b32 v0, v111
	s_trap 2
.LBB18_920:                             ;   in Loop: Header=BB18_880 Depth=3
	s_or_b64 exec, exec, s[92:93]
	;;#ASMSTART
	s_wakeup
	;;#ASMEND
.LBB18_921:                             ;   in Loop: Header=BB18_880 Depth=3
	s_or_b64 exec, exec, s[90:91]
.LBB18_922:                             ;   in Loop: Header=BB18_880 Depth=3
	s_andn2_saveexec_b64 s[40:41], s[40:41]
	s_cbranch_execz .LBB18_924
; %bb.923:                              ;   in Loop: Header=BB18_880 Depth=3
	s_waitcnt lgkmcnt(0)
	s_barrier
.LBB18_924:                             ;   in Loop: Header=BB18_880 Depth=3
	s_or_b64 exec, exec, s[40:41]
.LBB18_925:                             ;   in Loop: Header=BB18_880 Depth=3
	s_or_b64 exec, exec, s[24:25]
                                        ; implicit-def: $vgpr2
	s_and_saveexec_b64 s[24:25], s[78:79]
	s_xor_b64 s[24:25], exec, s[24:25]
	s_cbranch_execz .LBB18_937
; %bb.926:                              ;   in Loop: Header=BB18_880 Depth=3
	s_and_saveexec_b64 s[40:41], s[46:47]
	s_xor_b64 s[40:41], exec, s[40:41]
	s_cbranch_execz .LBB18_942
; %bb.927:                              ;   in Loop: Header=BB18_880 Depth=3
	s_and_saveexec_b64 s[90:91], s[12:13]
	s_cbranch_execz .LBB18_941
; %bb.928:                              ;   in Loop: Header=BB18_880 Depth=3
	s_mov_b64 s[94:95], exec
	v_mbcnt_lo_u32_b32 v2, s94, 0
	v_mbcnt_hi_u32_b32 v2, s95, v2
	v_cmp_eq_u32_e32 vcc, 0, v2
	;;#ASMSTART
	s_waitcnt lgkmcnt(0) vmcnt(0)
	;;#ASMEND
	s_and_saveexec_b64 s[92:93], vcc
	s_cbranch_execz .LBB18_930
; %bb.929:                              ;   in Loop: Header=BB18_880 Depth=3
	s_bcnt1_i32_b64 s42, s[94:95]
	v_mov_b32_e32 v2, s42
	s_waitcnt lgkmcnt(0)
	ds_add_u64 v0, v[2:3]
	s_trap 2
.LBB18_930:                             ;   in Loop: Header=BB18_880 Depth=3
	s_or_b64 exec, exec, s[92:93]
	s_trap 2
	ds_read_b64 v[4:5], v0
	s_waitcnt lgkmcnt(0)
	v_lshl_add_u64 v[70:71], v[70:71], 0, v[84:85]
	v_cmp_lt_u64_e32 vcc, v[4:5], v[70:71]
	s_and_saveexec_b64 s[92:93], vcc
	s_cbranch_execz .LBB18_940
; %bb.931:                              ;   in Loop: Header=BB18_880 Depth=3
	s_mov_b32 s42, 0
	s_mov_b64 s[94:95], 0
                                        ; implicit-def: $sgpr30_sgpr31
                                        ; implicit-def: $sgpr34_sgpr35
	s_branch .LBB18_933
.LBB18_932:                             ;   in Loop: Header=BB18_933 Depth=4
	s_or_b64 exec, exec, s[38:39]
	s_and_b64 vcc, exec, vcc
	s_or_b64 s[94:95], vcc, s[94:95]
	s_andn2_b64 vcc, s[30:31], exec
	s_and_b64 s[30:31], s[34:35], exec
	s_or_b64 s[30:31], vcc, s[30:31]
	s_andn2_b64 exec, exec, s[94:95]
	s_cbranch_execz .LBB18_938
.LBB18_933:                             ;   Parent Loop BB18_47 Depth=1
                                        ;     Parent Loop BB18_300 Depth=2
                                        ;       Parent Loop BB18_880 Depth=3
                                        ; =>      This Inner Loop Header: Depth=4
	s_add_i32 s42, s42, 1
	s_cmpk_lg_i32 s42, 0x2710
	s_cselect_b64 s[36:37], -1, 0
	s_and_b64 vcc, exec, s[36:37]
	s_cbranch_vccz .LBB18_935
; %bb.934:                              ;   in Loop: Header=BB18_933 Depth=4
	s_mov_b64 vcc, -1
	s_or_b64 s[34:35], s[34:35], exec
	s_and_saveexec_b64 s[38:39], s[36:37]
	s_cbranch_execz .LBB18_932
	s_branch .LBB18_936
.LBB18_935:                             ;   in Loop: Header=BB18_933 Depth=4
	s_trap 2
	ds_read_b64 v[4:5], v0
	s_andn2_b64 s[36:37], s[36:37], exec
	s_mov_b32 s42, 0
	s_waitcnt vmcnt(0) lgkmcnt(0)
	flat_load_dword v2, v[4:5] sc0 sc1
	s_waitcnt vmcnt(0) lgkmcnt(0)
	buffer_inv sc0 sc1
	v_cmp_eq_u32_e32 vcc, 0, v2
	s_and_b64 vcc, vcc, exec
	s_or_b64 s[36:37], s[36:37], vcc
	s_mov_b64 vcc, -1
	s_or_b64 s[34:35], s[34:35], exec
	s_and_saveexec_b64 s[38:39], s[36:37]
	s_cbranch_execz .LBB18_932
.LBB18_936:                             ;   in Loop: Header=BB18_933 Depth=4
	s_sleep 1
	s_trap 2
	ds_read_b64 v[4:5], v0
	s_waitcnt lgkmcnt(0)
	s_andn2_b64 s[34:35], s[34:35], exec
	v_cmp_ge_u64_e32 vcc, v[4:5], v[70:71]
	s_orn2_b64 vcc, vcc, exec
	s_branch .LBB18_932
.LBB18_937:                             ;   in Loop: Header=BB18_880 Depth=3
	s_andn2_saveexec_b64 s[24:25], s[24:25]
	s_cbranch_execnz .LBB18_945
	s_branch .LBB18_948
.LBB18_938:                             ;   in Loop: Header=BB18_880 Depth=3
	s_or_b64 exec, exec, s[94:95]
	s_and_saveexec_b64 s[42:43], s[30:31]
	s_xor_b64 s[42:43], exec, s[42:43]
	s_cbranch_execz .LBB18_940
; %bb.939:                              ;   in Loop: Header=BB18_880 Depth=3
	ds_write_b32 v0, v111
	s_trap 2
.LBB18_940:                             ;   in Loop: Header=BB18_880 Depth=3
	s_or_b64 exec, exec, s[92:93]
	;;#ASMSTART
	s_wakeup
	;;#ASMEND
.LBB18_941:                             ;   in Loop: Header=BB18_880 Depth=3
	s_or_b64 exec, exec, s[90:91]
.LBB18_942:                             ;   in Loop: Header=BB18_880 Depth=3
	s_andn2_saveexec_b64 s[40:41], s[40:41]
	s_cbranch_execz .LBB18_944
; %bb.943:                              ;   in Loop: Header=BB18_880 Depth=3
	;;#ASMSTART
	s_waitcnt lgkmcnt(0) vmcnt(0)
	;;#ASMEND
	s_barrier
.LBB18_944:                             ;   in Loop: Header=BB18_880 Depth=3
	s_or_b64 exec, exec, s[40:41]
	v_and_b32_e32 v2, 16, v106
	s_andn2_saveexec_b64 s[24:25], s[24:25]
	s_cbranch_execz .LBB18_948
.LBB18_945:                             ;   in Loop: Header=BB18_880 Depth=3
	s_trap 2
	ds_read_b32 v4, v0
	v_cmp_lt_i32_e32 vcc, 0, v62
	v_and_b32_e32 v5, 16, v106
	v_and_b32_e32 v2, 16, v106
	s_waitcnt lgkmcnt(0)
	v_readfirstlane_b32 s40, v4
	s_cmp_eq_u32 s40, 0
	s_cselect_b64 s[40:41], -1, 0
	s_and_b64 s[40:41], vcc, s[40:41]
	v_cmp_ne_u32_e32 vcc, 0, v5
	s_and_b64 s[42:43], vcc, s[40:41]
	s_and_saveexec_b64 s[40:41], s[42:43]
	s_cbranch_execz .LBB18_947
; %bb.946:                              ;   in Loop: Header=BB18_880 Depth=3
	v_mov_b32_e32 v2, 1
	buffer_wbl2 sc1
	s_waitcnt vmcnt(0)
	buffer_inv sc1
.LBB18_947:                             ;   in Loop: Header=BB18_880 Depth=3
	s_or_b64 exec, exec, s[40:41]
.LBB18_948:                             ;   in Loop: Header=BB18_880 Depth=3
	s_or_b64 exec, exec, s[24:25]
	v_cmp_ne_u32_e32 vcc, 0, v2
	s_xor_b64 s[24:25], s[6:7], -1
	s_and_b64 s[40:41], vcc, s[24:25]
	s_and_saveexec_b64 s[24:25], s[40:41]
	s_cbranch_execz .LBB18_950
; %bb.949:                              ;   in Loop: Header=BB18_880 Depth=3
	flat_store_dword v[68:69], v111 sc0 sc1
.LBB18_950:                             ;   in Loop: Header=BB18_880 Depth=3
	s_or_b64 exec, exec, s[24:25]
	v_and_b32_e32 v2, 48, v106
	v_cmp_ne_u32_e32 vcc, 0, v2
	s_and_saveexec_b64 s[24:25], vcc
	s_cbranch_execz .LBB18_879
; %bb.951:                              ;   in Loop: Header=BB18_880 Depth=3
	v_lshl_add_u64 v[56:57], v[56:57], 0, 2
	flat_store_dwordx2 v[64:65], v[56:57] sc0 sc1
	s_branch .LBB18_879
.LBB18_952:                             ;   in Loop: Header=BB18_47 Depth=1
	v_mul_lo_u32 v2, v47, s64
	v_mul_lo_u32 v4, v46, s65
	v_mad_u64_u32 v[8:9], s[24:25], v46, s64, 0
	v_add3_u32 v9, v9, v4, v2
	scratch_load_dwordx2 v[4:5], off, s33 offset:256 ; 8-byte Folded Reload
	v_mov_b32_e32 v2, 0
	v_mov_b32_e32 v72, 0
	s_waitcnt vmcnt(0)
	v_sub_co_u32_e32 v4, vcc, v4, v8
	s_nop 1
	v_subb_co_u32_e32 v5, vcc, v5, v9, vcc
	v_cmp_lt_i64_e32 vcc, v[46:47], v[4:5]
	s_nop 1
	v_cndmask_b32_e32 v4, v4, v46, vcc
	v_max_i32_e32 v53, 0, v4
	v_add_u32_e32 v5, 31, v53
	v_ashrrev_i32_e32 v10, 31, v5
	v_lshrrev_b32_e32 v10, 27, v10
	v_add_u32_e32 v5, v5, v10
	v_ashrrev_i32_e32 v5, 5, v5
	v_lshlrev_b32_e32 v5, 4, v5
	v_cmp_lt_i32_e32 vcc, 0, v4
	v_max_i32_e32 v62, s69, v5
	s_and_b64 s[24:25], s[88:89], vcc
	s_and_saveexec_b64 s[90:91], s[24:25]
	s_cbranch_execz .LBB18_2004
; %bb.953:                              ;   in Loop: Header=BB18_47 Depth=1
	v_lshl_add_u64 v[4:5], v[8:9], 0, v[60:61]
	s_mov_b32 s45, 1
	s_mov_b64 s[94:95], -1
	v_mov_b32_e32 v72, 0
	s_mov_b64 s[92:93], 0
	v_lshlrev_b64 v[4:5], 1, v[4:5]
	scratch_store_dwordx2 off, v[4:5], s33 offset:264 ; 8-byte Folded Spill
	s_branch .LBB18_955
.LBB18_954:                             ;   in Loop: Header=BB18_955 Depth=2
	s_or_b64 exec, exec, s[24:25]
	v_add_u32_e32 v72, v62, v72
	v_cmp_ge_i32_e32 vcc, v72, v53
	s_xor_b64 s[24:25], s[94:95], -1
	s_or_b64 s[24:25], s[24:25], vcc
	s_and_b64 s[24:25], exec, s[24:25]
	s_or_b64 s[92:93], s[24:25], s[92:93]
	s_mov_b64 s[94:95], 0
	v_mov_b32_e32 v2, s45
	s_mov_b32 s45, 2
	s_andn2_b64 exec, exec, s[92:93]
	s_cbranch_execz .LBB18_2079
.LBB18_955:                             ;   Parent Loop BB18_47 Depth=1
                                        ; =>  This Loop Header: Depth=2
                                        ;       Child Loop BB18_963 Depth 3
                                        ;       Child Loop BB18_991 Depth 3
	;; [unrolled: 1-line block ×5, first 2 shown]
                                        ;         Child Loop BB18_1242 Depth 4
                                        ;         Child Loop BB18_1277 Depth 4
	;; [unrolled: 1-line block ×4, first 2 shown]
                                        ;       Child Loop BB18_1353 Depth 3
                                        ;       Child Loop BB18_1361 Depth 3
	;; [unrolled: 1-line block ×3, first 2 shown]
                                        ;         Child Loop BB18_1471 Depth 4
                                        ;         Child Loop BB18_1478 Depth 4
	;; [unrolled: 1-line block ×4, first 2 shown]
                                        ;       Child Loop BB18_1497 Depth 3
                                        ;       Child Loop BB18_1509 Depth 3
	;; [unrolled: 1-line block ×3, first 2 shown]
                                        ;         Child Loop BB18_1716 Depth 4
                                        ;         Child Loop BB18_1753 Depth 4
                                        ;       Child Loop BB18_1830 Depth 3
                                        ;       Child Loop BB18_1937 Depth 3
                                        ;         Child Loop BB18_1938 Depth 4
                                        ;         Child Loop BB18_1947 Depth 4
                                        ;       Child Loop BB18_1966 Depth 3
                                        ;       Child Loop BB18_1989 Depth 3
	s_and_saveexec_b64 s[24:25], s[0:1]
	s_cbranch_execz .LBB18_957
; %bb.956:                              ;   in Loop: Header=BB18_955 Depth=2
	s_trap 2
	scratch_load_dwordx2 v[14:15], off, s33 offset:264 ; 8-byte Folded Reload
	ds_read2_b64 v[8:11], v0 offset1:1
	ds_read_b64 v[4:5], v0
	v_ashrrev_i32_e32 v73, 31, v72
	v_lshlrev_b64 v[12:13], 1, v[72:73]
	s_waitcnt lgkmcnt(0)
	v_cmp_ne_u64_e32 vcc, 0, v[4:5]
	s_waitcnt vmcnt(0)
	v_lshl_add_u64 v[8:9], v[8:9], 0, v[14:15]
	v_lshl_add_u64 v[8:9], v[8:9], 0, v[12:13]
	ds_write_b64 v0, v[8:9]
	v_lshl_add_u64 v[8:9], v[10:11], 0, v[14:15]
	v_lshl_add_u64 v[8:9], v[8:9], 0, v[12:13]
	ds_write_b64 v0, v[8:9]
	v_lshl_add_u64 v[8:9], v[4:5], 0, v[14:15]
	v_lshl_add_u64 v[8:9], v[8:9], 0, v[12:13]
	v_cndmask_b32_e32 v5, 0, v9, vcc
	v_cndmask_b32_e32 v4, 0, v8, vcc
	ds_write_b64 v0, v[4:5]
.LBB18_957:                             ;   in Loop: Header=BB18_955 Depth=2
	s_or_b64 exec, exec, s[24:25]
	v_sub_u32_e32 v2, v53, v72
	v_min_i32_e32 v62, v62, v2
	v_and_b32_e32 v2, 12, v106
	v_cmp_ne_u32_e32 vcc, 0, v2
	s_and_saveexec_b64 s[26:27], vcc
	s_cbranch_execz .LBB18_983
; %bb.958:                              ;   in Loop: Header=BB18_955 Depth=2
	v_and_b32_e32 v2, 8, v106
	s_waitcnt vmcnt(0) lgkmcnt(0)
	v_lshl_add_u64 v[4:5], v[80:81], 0, v[2:3]
	v_lshl_add_u64 v[8:9], v[56:57], 0, 2
	v_cmp_lt_u64_e32 vcc, v[4:5], v[8:9]
	s_and_saveexec_b64 s[28:29], vcc
	s_cbranch_execz .LBB18_970
; %bb.959:                              ;   in Loop: Header=BB18_955 Depth=2
	v_and_b32_e32 v4, 64, v106
	s_mov_b32 s42, 0
	v_cmp_eq_u32_e32 vcc, 0, v4
	s_mov_b64 s[40:41], 0
                                        ; implicit-def: $sgpr30_sgpr31
                                        ; implicit-def: $sgpr34_sgpr35
                                        ; implicit-def: $sgpr36_sgpr37
	s_branch .LBB18_963
.LBB18_960:                             ;   in Loop: Header=BB18_963 Depth=3
	s_waitcnt vmcnt(0) lgkmcnt(0)
	v_lshl_add_u64 v[10:11], v[80:81], 0, v[2:3]
	v_cmp_ge_u64_e64 s[24:25], v[10:11], v[8:9]
	s_or_b64 s[50:51], s[50:51], exec
	s_orn2_b64 s[48:49], s[24:25], exec
.LBB18_961:                             ;   in Loop: Header=BB18_963 Depth=3
	s_or_b64 exec, exec, s[54:55]
	s_andn2_b64 s[24:25], s[36:37], exec
	s_and_b64 s[36:37], s[50:51], exec
	s_or_b64 s[36:37], s[24:25], s[36:37]
	s_andn2_b64 s[24:25], s[34:35], exec
	s_and_b64 s[34:35], s[48:49], exec
	s_or_b64 s[34:35], s[24:25], s[34:35]
.LBB18_962:                             ;   in Loop: Header=BB18_963 Depth=3
	s_or_b64 exec, exec, s[38:39]
	s_and_b64 s[24:25], exec, s[34:35]
	s_or_b64 s[40:41], s[24:25], s[40:41]
	s_andn2_b64 s[24:25], s[30:31], exec
	s_and_b64 s[30:31], s[36:37], exec
	s_or_b64 s[30:31], s[24:25], s[30:31]
	s_andn2_b64 exec, exec, s[40:41]
	s_cbranch_execz .LBB18_967
.LBB18_963:                             ;   Parent Loop BB18_47 Depth=1
                                        ;     Parent Loop BB18_955 Depth=2
                                        ; =>    This Inner Loop Header: Depth=3
	s_sleep 1
	s_waitcnt vmcnt(0) lgkmcnt(0)
	flat_load_dwordx2 v[80:81], v[64:65] sc0 sc1
	s_or_b64 s[36:37], s[36:37], exec
	s_or_b64 s[34:35], s[34:35], exec
                                        ; implicit-def: $vgpr4
	s_and_saveexec_b64 s[38:39], vcc
	s_cbranch_execz .LBB18_962
; %bb.964:                              ;   in Loop: Header=BB18_963 Depth=3
	s_cmpk_lt_i32 s42, 0x270f
	s_cselect_b64 s[52:53], -1, 0
	s_cmpk_gt_i32 s42, 0x270e
	s_mov_b64 s[48:49], -1
	s_cbranch_scc0 .LBB18_966
; %bb.965:                              ;   in Loop: Header=BB18_963 Depth=3
	s_trap 2
	ds_read_b64 v[4:5], v0
	s_andn2_b64 s[52:53], s[52:53], exec
	s_mov_b32 s42, 0
	s_mov_b64 s[50:51], 0
	s_waitcnt vmcnt(0) lgkmcnt(0)
	flat_load_dword v4, v[4:5] sc0 sc1
	s_waitcnt vmcnt(0) lgkmcnt(0)
	buffer_inv sc0 sc1
	v_cmp_eq_u32_e64 s[24:25], 0, v4
	s_and_b64 s[24:25], s[24:25], exec
	s_or_b64 s[52:53], s[52:53], s[24:25]
	s_and_saveexec_b64 s[54:55], s[52:53]
	s_cbranch_execz .LBB18_961
	s_branch .LBB18_960
.LBB18_966:                             ;   in Loop: Header=BB18_963 Depth=3
	s_add_i32 s42, s42, 1
	s_mov_b64 s[50:51], -1
                                        ; implicit-def: $vgpr4
	s_and_saveexec_b64 s[54:55], s[52:53]
	s_cbranch_execz .LBB18_961
	s_branch .LBB18_960
.LBB18_967:                             ;   in Loop: Header=BB18_955 Depth=2
	s_or_b64 exec, exec, s[40:41]
	s_xor_b64 s[24:25], s[30:31], -1
	s_and_saveexec_b64 s[40:41], s[24:25]
	s_xor_b64 s[24:25], exec, s[40:41]
	s_cbranch_execz .LBB18_969
; %bb.968:                              ;   in Loop: Header=BB18_955 Depth=2
	v_or_b32_e32 v106, 64, v106
	s_waitcnt lgkmcnt(0)
	ds_write_b32 v0, v4
	s_trap 2
.LBB18_969:                             ;   in Loop: Header=BB18_955 Depth=2
	s_or_b64 exec, exec, s[24:25]
.LBB18_970:                             ;   in Loop: Header=BB18_955 Depth=2
	s_or_b64 exec, exec, s[28:29]
	v_and_b32_e32 v4, 0x108, v106
	v_cmp_ne_u32_e32 vcc, s87, v4
	v_and_b32_e32 v10, 7, v56
	;;#ASMSTART
	s_wakeup
	;;#ASMEND
	s_and_saveexec_b64 s[24:25], vcc
	s_xor_b64 s[24:25], exec, s[24:25]
                                        ; implicit-def: $vgpr11
; %bb.971:                              ;   in Loop: Header=BB18_955 Depth=2
	v_mov_b32_e32 v11, v3
; %bb.972:                              ;   in Loop: Header=BB18_955 Depth=2
	s_andn2_saveexec_b64 s[24:25], s[24:25]
	s_cbranch_execz .LBB18_974
; %bb.973:                              ;   in Loop: Header=BB18_955 Depth=2
	v_ashrrev_i32_e32 v63, 31, v62
	v_mov_b32_e32 v11, v3
	v_mad_u64_u32 v[4:5], s[28:29], v10, 24, v[6:7]
	v_lshlrev_b64 v[12:13], 1, v[62:63]
	flat_store_dwordx2 v[4:5], v[12:13] offset:8
.LBB18_974:                             ;   in Loop: Header=BB18_955 Depth=2
	s_or_b64 exec, exec, s[24:25]
	v_and_b32_e32 v4, 0x100, v106
	v_cmp_ne_u32_e32 vcc, 0, v4
	s_mov_b64 s[24:25], -1
                                        ; implicit-def: $vgpr12_vgpr13
	s_and_saveexec_b64 s[28:29], vcc
	s_cbranch_execz .LBB18_978
; %bb.975:                              ;   in Loop: Header=BB18_955 Depth=2
	v_mad_u64_u32 v[14:15], s[24:25], v10, 24, v[6:7]
	v_mov_b32_e32 v4, v15
	v_mad_u64_u32 v[4:5], s[24:25], v11, 24, v[4:5]
	v_mov_b32_e32 v15, v4
	flat_load_dword v4, v[14:15]
                                        ; implicit-def: $vgpr12_vgpr13
	s_waitcnt vmcnt(0) lgkmcnt(0)
	v_cmp_ne_u32_e32 vcc, 1, v4
	v_cmp_eq_u32_e64 s[24:25], 1, v4
	s_and_saveexec_b64 s[40:41], s[24:25]
	s_cbranch_execz .LBB18_977
; %bb.976:                              ;   in Loop: Header=BB18_955 Depth=2
	flat_load_dword v4, v[14:15] offset:4 sc0 sc1
	s_waitcnt vmcnt(0) lgkmcnt(0)
	v_ashrrev_i32_e32 v5, 31, v4
	v_lshrrev_b64 v[12:13], 1, v[4:5]
.LBB18_977:                             ;   in Loop: Header=BB18_955 Depth=2
	s_or_b64 exec, exec, s[40:41]
	s_orn2_b64 s[24:25], vcc, exec
.LBB18_978:                             ;   in Loop: Header=BB18_955 Depth=2
	s_or_b64 exec, exec, s[28:29]
	s_and_saveexec_b64 s[28:29], s[24:25]
; %bb.979:                              ;   in Loop: Header=BB18_955 Depth=2
	v_mul_lo_u32 v4, v11, v30
	v_mul_lo_u32 v5, v10, v83
	v_mad_u64_u32 v[12:13], s[24:25], v10, v30, 0
	v_add3_u32 v13, v13, v5, v4
; %bb.980:                              ;   in Loop: Header=BB18_955 Depth=2
	s_or_b64 exec, exec, s[28:29]
	v_cmp_eq_u32_e32 vcc, 0, v2
	v_lshl_add_u64 v[4:5], v[12:13], 1, v[66:67]
	s_nop 0
	v_cndmask_b32_e32 v2, v125, v121, vcc
	v_add_u32_e32 v2, v0, v2
	ds_write_b64 v2, v[4:5] offset:584
	v_and_b32_e32 v2, 0x2000, v106
	v_cmp_ne_u32_e32 vcc, 0, v2
	s_and_saveexec_b64 s[24:25], vcc
	s_cbranch_execz .LBB18_982
; %bb.981:                              ;   in Loop: Header=BB18_955 Depth=2
	ds_read_b64 v[4:5], v0 offset:872
	s_waitcnt lgkmcnt(0)
	v_lshl_add_u64 v[4:5], v[4:5], 0, 1
	ds_write_b64 v0, v[4:5] offset:872
.LBB18_982:                             ;   in Loop: Header=BB18_955 Depth=2
	s_or_b64 exec, exec, s[24:25]
	v_mov_b64_e32 v[56:57], v[8:9]
.LBB18_983:                             ;   in Loop: Header=BB18_955 Depth=2
	s_or_b64 exec, exec, s[26:27]
	s_and_saveexec_b64 s[24:25], s[4:5]
	s_cbranch_execz .LBB18_1002
; %bb.984:                              ;   in Loop: Header=BB18_955 Depth=2
	s_and_saveexec_b64 s[26:27], s[46:47]
	s_xor_b64 s[26:27], exec, s[26:27]
	s_cbranch_execz .LBB18_999
; %bb.985:                              ;   in Loop: Header=BB18_955 Depth=2
	s_and_saveexec_b64 s[28:29], s[12:13]
	s_cbranch_execz .LBB18_998
; %bb.986:                              ;   in Loop: Header=BB18_955 Depth=2
	s_mov_b64 s[30:31], exec
	v_mbcnt_lo_u32_b32 v2, s30, 0
	v_mbcnt_hi_u32_b32 v2, s31, v2
	v_cmp_eq_u32_e32 vcc, 0, v2
	s_waitcnt lgkmcnt(0)
	s_and_saveexec_b64 s[40:41], vcc
	s_cbranch_execz .LBB18_988
; %bb.987:                              ;   in Loop: Header=BB18_955 Depth=2
	s_bcnt1_i32_b64 s42, s[30:31]
	v_mov_b32_e32 v2, s42
	ds_add_u64 v0, v[2:3]
	s_trap 2
.LBB18_988:                             ;   in Loop: Header=BB18_955 Depth=2
	s_or_b64 exec, exec, s[40:41]
	s_trap 2
	ds_read_b64 v[4:5], v0
	s_waitcnt lgkmcnt(0)
	v_lshl_add_u64 v[70:71], v[70:71], 0, v[84:85]
	v_cmp_lt_u64_e32 vcc, v[4:5], v[70:71]
	s_and_saveexec_b64 s[40:41], vcc
	s_cbranch_execz .LBB18_997
; %bb.989:                              ;   in Loop: Header=BB18_955 Depth=2
	s_mov_b32 s42, 0
	s_mov_b64 s[30:31], 0
                                        ; implicit-def: $sgpr34_sgpr35
                                        ; implicit-def: $sgpr36_sgpr37
	s_branch .LBB18_991
.LBB18_990:                             ;   in Loop: Header=BB18_991 Depth=3
	s_or_b64 exec, exec, s[48:49]
	s_and_b64 vcc, exec, vcc
	s_or_b64 s[30:31], vcc, s[30:31]
	s_andn2_b64 vcc, s[34:35], exec
	s_and_b64 s[34:35], s[36:37], exec
	s_or_b64 s[34:35], vcc, s[34:35]
	s_andn2_b64 exec, exec, s[30:31]
	s_cbranch_execz .LBB18_995
.LBB18_991:                             ;   Parent Loop BB18_47 Depth=1
                                        ;     Parent Loop BB18_955 Depth=2
                                        ; =>    This Inner Loop Header: Depth=3
	s_add_i32 s42, s42, 1
	s_cmpk_lg_i32 s42, 0x2710
	s_cselect_b64 s[38:39], -1, 0
	s_and_b64 vcc, exec, s[38:39]
	s_cbranch_vccz .LBB18_993
; %bb.992:                              ;   in Loop: Header=BB18_991 Depth=3
	s_mov_b64 vcc, -1
	s_or_b64 s[36:37], s[36:37], exec
	s_and_saveexec_b64 s[48:49], s[38:39]
	s_cbranch_execz .LBB18_990
	s_branch .LBB18_994
.LBB18_993:                             ;   in Loop: Header=BB18_991 Depth=3
	s_trap 2
	ds_read_b64 v[4:5], v0
	s_andn2_b64 s[38:39], s[38:39], exec
	s_mov_b32 s42, 0
	s_waitcnt vmcnt(0) lgkmcnt(0)
	flat_load_dword v2, v[4:5] sc0 sc1
	s_waitcnt vmcnt(0) lgkmcnt(0)
	buffer_inv sc0 sc1
	v_cmp_eq_u32_e32 vcc, 0, v2
	s_and_b64 vcc, vcc, exec
	s_or_b64 s[38:39], s[38:39], vcc
	s_mov_b64 vcc, -1
	s_or_b64 s[36:37], s[36:37], exec
	s_and_saveexec_b64 s[48:49], s[38:39]
	s_cbranch_execz .LBB18_990
.LBB18_994:                             ;   in Loop: Header=BB18_991 Depth=3
	s_sleep 1
	s_trap 2
	ds_read_b64 v[4:5], v0
	s_waitcnt lgkmcnt(0)
	s_andn2_b64 s[36:37], s[36:37], exec
	v_cmp_ge_u64_e32 vcc, v[4:5], v[70:71]
	s_orn2_b64 vcc, vcc, exec
	s_branch .LBB18_990
.LBB18_995:                             ;   in Loop: Header=BB18_955 Depth=2
	s_or_b64 exec, exec, s[30:31]
	s_and_saveexec_b64 s[42:43], s[34:35]
	s_xor_b64 s[42:43], exec, s[42:43]
	s_cbranch_execz .LBB18_997
; %bb.996:                              ;   in Loop: Header=BB18_955 Depth=2
	ds_write_b32 v0, v111
	s_trap 2
.LBB18_997:                             ;   in Loop: Header=BB18_955 Depth=2
	s_or_b64 exec, exec, s[40:41]
	;;#ASMSTART
	s_wakeup
	;;#ASMEND
.LBB18_998:                             ;   in Loop: Header=BB18_955 Depth=2
	s_or_b64 exec, exec, s[28:29]
.LBB18_999:                             ;   in Loop: Header=BB18_955 Depth=2
	s_andn2_saveexec_b64 s[26:27], s[26:27]
	s_cbranch_execz .LBB18_1001
; %bb.1000:                             ;   in Loop: Header=BB18_955 Depth=2
	s_waitcnt lgkmcnt(0)
	s_barrier
.LBB18_1001:                            ;   in Loop: Header=BB18_955 Depth=2
	s_or_b64 exec, exec, s[26:27]
.LBB18_1002:                            ;   in Loop: Header=BB18_955 Depth=2
	s_or_b64 exec, exec, s[24:25]
	s_trap 2
	ds_read_b32 v8, v0
	v_and_b32_e32 v2, 0x4000, v106
	v_cmp_ne_u32_e32 vcc, 0, v2
	s_xor_b64 s[24:25], s[2:3], -1
	s_and_b64 s[26:27], s[24:25], vcc
	s_and_saveexec_b64 s[24:25], s[26:27]
	s_cbranch_execz .LBB18_1021
; %bb.1003:                             ;   in Loop: Header=BB18_955 Depth=2
	s_and_saveexec_b64 s[26:27], s[46:47]
	s_xor_b64 s[26:27], exec, s[26:27]
	s_cbranch_execz .LBB18_1018
; %bb.1004:                             ;   in Loop: Header=BB18_955 Depth=2
	s_and_saveexec_b64 s[28:29], s[12:13]
	s_cbranch_execz .LBB18_1017
; %bb.1005:                             ;   in Loop: Header=BB18_955 Depth=2
	s_mov_b64 s[30:31], exec
	v_mbcnt_lo_u32_b32 v2, s30, 0
	v_mbcnt_hi_u32_b32 v2, s31, v2
	v_cmp_eq_u32_e32 vcc, 0, v2
	s_waitcnt lgkmcnt(0)
	s_and_saveexec_b64 s[40:41], vcc
	s_cbranch_execz .LBB18_1007
; %bb.1006:                             ;   in Loop: Header=BB18_955 Depth=2
	s_bcnt1_i32_b64 s42, s[30:31]
	v_mov_b32_e32 v2, s42
	ds_add_u64 v0, v[2:3]
	s_trap 2
.LBB18_1007:                            ;   in Loop: Header=BB18_955 Depth=2
	s_or_b64 exec, exec, s[40:41]
	s_trap 2
	ds_read_b64 v[4:5], v0
	s_waitcnt lgkmcnt(0)
	v_lshl_add_u64 v[70:71], v[70:71], 0, v[84:85]
	v_cmp_lt_u64_e32 vcc, v[4:5], v[70:71]
	s_and_saveexec_b64 s[40:41], vcc
	s_cbranch_execz .LBB18_1016
; %bb.1008:                             ;   in Loop: Header=BB18_955 Depth=2
	s_mov_b32 s42, 0
	s_mov_b64 s[30:31], 0
                                        ; implicit-def: $sgpr34_sgpr35
                                        ; implicit-def: $sgpr36_sgpr37
	s_branch .LBB18_1010
.LBB18_1009:                            ;   in Loop: Header=BB18_1010 Depth=3
	s_or_b64 exec, exec, s[48:49]
	s_and_b64 vcc, exec, vcc
	s_or_b64 s[30:31], vcc, s[30:31]
	s_andn2_b64 vcc, s[34:35], exec
	s_and_b64 s[34:35], s[36:37], exec
	s_or_b64 s[34:35], vcc, s[34:35]
	s_andn2_b64 exec, exec, s[30:31]
	s_cbranch_execz .LBB18_1014
.LBB18_1010:                            ;   Parent Loop BB18_47 Depth=1
                                        ;     Parent Loop BB18_955 Depth=2
                                        ; =>    This Inner Loop Header: Depth=3
	s_add_i32 s42, s42, 1
	s_cmpk_lg_i32 s42, 0x2710
	s_cselect_b64 s[38:39], -1, 0
	s_and_b64 vcc, exec, s[38:39]
	s_cbranch_vccz .LBB18_1012
; %bb.1011:                             ;   in Loop: Header=BB18_1010 Depth=3
	s_mov_b64 vcc, -1
	s_or_b64 s[36:37], s[36:37], exec
	s_and_saveexec_b64 s[48:49], s[38:39]
	s_cbranch_execz .LBB18_1009
	s_branch .LBB18_1013
.LBB18_1012:                            ;   in Loop: Header=BB18_1010 Depth=3
	s_trap 2
	ds_read_b64 v[4:5], v0
	s_andn2_b64 s[38:39], s[38:39], exec
	s_mov_b32 s42, 0
	s_waitcnt vmcnt(0) lgkmcnt(0)
	flat_load_dword v2, v[4:5] sc0 sc1
	s_waitcnt vmcnt(0) lgkmcnt(0)
	buffer_inv sc0 sc1
	v_cmp_eq_u32_e32 vcc, 0, v2
	s_and_b64 vcc, vcc, exec
	s_or_b64 s[38:39], s[38:39], vcc
	s_mov_b64 vcc, -1
	s_or_b64 s[36:37], s[36:37], exec
	s_and_saveexec_b64 s[48:49], s[38:39]
	s_cbranch_execz .LBB18_1009
.LBB18_1013:                            ;   in Loop: Header=BB18_1010 Depth=3
	s_sleep 1
	s_trap 2
	ds_read_b64 v[4:5], v0
	s_waitcnt lgkmcnt(0)
	s_andn2_b64 s[36:37], s[36:37], exec
	v_cmp_ge_u64_e32 vcc, v[4:5], v[70:71]
	s_orn2_b64 vcc, vcc, exec
	s_branch .LBB18_1009
.LBB18_1014:                            ;   in Loop: Header=BB18_955 Depth=2
	s_or_b64 exec, exec, s[30:31]
	s_and_saveexec_b64 s[42:43], s[34:35]
	s_xor_b64 s[42:43], exec, s[42:43]
	s_cbranch_execz .LBB18_1016
; %bb.1015:                             ;   in Loop: Header=BB18_955 Depth=2
	ds_write_b32 v0, v111
	s_trap 2
.LBB18_1016:                            ;   in Loop: Header=BB18_955 Depth=2
	s_or_b64 exec, exec, s[40:41]
	;;#ASMSTART
	s_wakeup
	;;#ASMEND
.LBB18_1017:                            ;   in Loop: Header=BB18_955 Depth=2
	s_or_b64 exec, exec, s[28:29]
.LBB18_1018:                            ;   in Loop: Header=BB18_955 Depth=2
	s_andn2_saveexec_b64 s[26:27], s[26:27]
	s_cbranch_execz .LBB18_1020
; %bb.1019:                             ;   in Loop: Header=BB18_955 Depth=2
	s_waitcnt lgkmcnt(0)
	s_barrier
.LBB18_1020:                            ;   in Loop: Header=BB18_955 Depth=2
	s_or_b64 exec, exec, s[26:27]
.LBB18_1021:                            ;   in Loop: Header=BB18_955 Depth=2
	s_or_b64 exec, exec, s[24:25]
	s_trap 2
	ds_read_b64 v[58:59], v0
	s_waitcnt lgkmcnt(0)
	v_cmp_eq_u64_e32 vcc, 0, v[58:59]
	s_cbranch_vccnz .LBB18_1167
; %bb.1022:                             ;   in Loop: Header=BB18_955 Depth=2
	s_trap 2
	ds_read_b64 v[78:79], v0
	s_waitcnt lgkmcnt(0)
	v_cmp_eq_u64_e32 vcc, 0, v[78:79]
	s_cbranch_vccnz .LBB18_1167
; %bb.1023:                             ;   in Loop: Header=BB18_955 Depth=2
	s_trap 2
	ds_read_b64 v[88:89], v0
	v_cmp_eq_u32_e32 vcc, 0, v8
	s_mov_b64 s[24:25], -1
	s_waitcnt lgkmcnt(0)
	v_readfirstlane_b32 s42, v88
	v_cndmask_b32_e32 v2, 0, v62, vcc
	v_cmp_ne_u64_e32 vcc, 0, v[88:89]
	v_lshlrev_b32_e32 v63, 1, v2
	s_cbranch_vccz .LBB18_1499
; %bb.1024:                             ;   in Loop: Header=BB18_955 Depth=2
	s_and_saveexec_b64 s[26:27], s[18:19]
	s_cbranch_execz .LBB18_1026
; %bb.1025:                             ;   in Loop: Header=BB18_955 Depth=2
	ds_read_b32 v4, v0 offset:720
	s_waitcnt lgkmcnt(0)
	v_and_b32_e32 v4, 15, v4
	v_cmp_eq_u32_e32 vcc, 0, v4
	s_orn2_b64 s[24:25], vcc, exec
.LBB18_1026:                            ;   in Loop: Header=BB18_955 Depth=2
	s_or_b64 exec, exec, s[26:27]
	s_and_saveexec_b64 s[26:27], s[18:19]
	s_cbranch_execz .LBB18_1028
; %bb.1027:                             ;   in Loop: Header=BB18_955 Depth=2
	ds_read_b32 v4, v0 offset:784
	s_waitcnt lgkmcnt(0)
	v_and_b32_e32 v4, 15, v4
	v_cmp_eq_u32_e32 vcc, 0, v4
	s_and_b64 s[28:29], s[24:25], vcc
	s_andn2_b64 s[24:25], s[24:25], exec
	s_and_b64 s[28:29], s[28:29], exec
	s_or_b64 s[24:25], s[24:25], s[28:29]
.LBB18_1028:                            ;   in Loop: Header=BB18_955 Depth=2
	s_or_b64 exec, exec, s[26:27]
	s_xor_b64 s[24:25], s[24:25], -1
	v_cndmask_b32_e64 v4, 0, 1, s[24:25]
	s_mov_b64 s[26:27], -1
	v_cmp_ne_u32_e32 vcc, 0, v4
	s_cbranch_vccz .LBB18_1168
; %bb.1029:                             ;   in Loop: Header=BB18_955 Depth=2
	s_and_b32 s43, s42, 1
	s_mov_b64 s[30:31], -1
	v_mov_b32_e32 v16, 0
	s_cbranch_execnz .LBB18_1169
.LBB18_1030:                            ;   in Loop: Header=BB18_955 Depth=2
	v_ashrrev_i32_e32 v4, 31, v63
	v_lshrrev_b32_e32 v4, 21, v4
	v_add_u32_e32 v4, v63, v4
	v_ashrrev_i32_e32 v82, 11, v4
	v_sub_u32_e32 v73, v82, v108
	v_lshl_add_u64 v[92:93], v[78:79], 0, v[102:103]
	v_lshl_add_u64 v[90:91], v[88:89], 0, v[102:103]
	s_and_b32 s43, s42, 1
	v_cmp_lt_i32_e32 vcc, 0, v73
	s_mov_b64 s[24:25], 0
                                        ; implicit-def: $vgpr20_vgpr21
                                        ; implicit-def: $vgpr12_vgpr13
                                        ; implicit-def: $vgpr16_vgpr17
                                        ; implicit-def: $vgpr8_vgpr9
	s_and_saveexec_b64 s[26:27], vcc
	s_cbranch_execz .LBB18_1171
; %bb.1031:                             ;   in Loop: Header=BB18_955 Depth=2
	s_trap 2
	ds_read_b64 v[4:5], v0
	s_and_b32 s24, 0xffff, s43
	s_cmp_eq_u32 s24, 0
	v_lshl_add_u64 v[94:95], v[58:59], 0, v[102:103]
	s_mov_b64 s[34:35], 0
	s_waitcnt vmcnt(0) lgkmcnt(0)
	v_lshl_add_u64 v[104:105], v[4:5], 0, v[102:103]
	s_mov_b64 s[28:29], 0
	s_cselect_b64 vcc, -1, 0
                                        ; implicit-def: $sgpr40_sgpr41
                                        ; implicit-def: $vgpr20_vgpr21
                                        ; implicit-def: $vgpr12_vgpr13
                                        ; implicit-def: $vgpr16_vgpr17
                                        ; implicit-def: $vgpr8_vgpr9
	s_branch .LBB18_1033
.LBB18_1032:                            ;   in Loop: Header=BB18_1033 Depth=3
	s_or_b64 exec, exec, s[24:25]
	v_cmp_gt_i32_e64 s[24:25], 1, v73
	s_or_b64 s[28:29], s[24:25], s[28:29]
	s_andn2_b64 s[24:25], s[40:41], exec
	s_and_b64 s[40:41], s[34:35], exec
	s_or_b64 s[40:41], s[24:25], s[40:41]
	s_andn2_b64 exec, exec, s[28:29]
	s_cbranch_execz .LBB18_1170
.LBB18_1033:                            ;   Parent Loop BB18_47 Depth=1
                                        ;     Parent Loop BB18_955 Depth=2
                                        ; =>    This Inner Loop Header: Depth=3
	global_load_dwordx4 v[36:39], v[94:95], off nt
	global_load_dwordx4 v[24:27], v[94:95], off offset:1024 nt
	global_load_dwordx4 v[48:51], v[104:105], off nt
	global_load_dwordx4 v[32:35], v[104:105], off offset:1024 nt
	s_and_saveexec_b64 s[36:37], s[34:35]
	s_cbranch_execz .LBB18_1099
; %bb.1034:                             ;   in Loop: Header=BB18_1033 Depth=3
	v_lshlrev_b32_e32 v4, 16, v20
	v_lshlrev_b32_e32 v5, 16, v16
	v_max_f32_e32 v5, v5, v5
	v_max_f32_e32 v4, v4, v4
	v_min_f32_e32 v28, v4, v5
	v_max_f32_e32 v4, v4, v5
	v_cndmask_b32_e32 v4, v4, v28, vcc
	v_and_b32_e32 v5, 0x7f800000, v4
	v_cmp_ne_u32_e64 s[24:25], s96, v5
                                        ; implicit-def: $vgpr54
	s_and_saveexec_b64 s[34:35], s[24:25]
	s_xor_b64 s[24:25], exec, s[34:35]
; %bb.1035:                             ;   in Loop: Header=BB18_1033 Depth=3
	v_bfe_u32 v5, v4, 16, 1
	v_add3_u32 v54, v4, v5, s97
                                        ; implicit-def: $vgpr4
; %bb.1036:                             ;   in Loop: Header=BB18_1033 Depth=3
	s_andn2_saveexec_b64 s[34:35], s[24:25]
; %bb.1037:                             ;   in Loop: Header=BB18_1033 Depth=3
	v_or_b32_e32 v5, 0x10000, v4
	v_cmp_eq_u32_sdwa s[24:25], v4, v3 src0_sel:WORD_0 src1_sel:DWORD
	s_nop 1
	v_cndmask_b32_e64 v54, v5, v4, s[24:25]
; %bb.1038:                             ;   in Loop: Header=BB18_1033 Depth=3
	s_or_b64 exec, exec, s[34:35]
	v_and_b32_e32 v4, 0xffff0000, v20
	v_and_b32_e32 v5, 0xffff0000, v16
	v_max_f32_e32 v5, v5, v5
	v_max_f32_e32 v4, v4, v4
	v_min_f32_e32 v20, v4, v5
	v_max_f32_e32 v4, v4, v5
	v_cndmask_b32_e32 v4, v4, v20, vcc
	v_and_b32_e32 v5, 0x7f800000, v4
	v_cmp_ne_u32_e64 s[24:25], s96, v5
                                        ; implicit-def: $vgpr20
	s_and_saveexec_b64 s[34:35], s[24:25]
	s_xor_b64 s[24:25], exec, s[34:35]
; %bb.1039:                             ;   in Loop: Header=BB18_1033 Depth=3
	v_bfe_u32 v5, v4, 16, 1
	v_add3_u32 v20, v4, v5, s97
                                        ; implicit-def: $vgpr4
; %bb.1040:                             ;   in Loop: Header=BB18_1033 Depth=3
	s_andn2_saveexec_b64 s[34:35], s[24:25]
; %bb.1041:                             ;   in Loop: Header=BB18_1033 Depth=3
	v_or_b32_e32 v5, 0x10000, v4
	v_cmp_eq_u32_sdwa s[24:25], v4, v3 src0_sel:WORD_0 src1_sel:DWORD
	s_nop 1
	v_cndmask_b32_e64 v20, v5, v4, s[24:25]
; %bb.1042:                             ;   in Loop: Header=BB18_1033 Depth=3
	s_or_b64 exec, exec, s[34:35]
	v_lshlrev_b32_e32 v4, 16, v21
	v_lshlrev_b32_e32 v5, 16, v17
	v_max_f32_e32 v5, v5, v5
	v_max_f32_e32 v4, v4, v4
	v_min_f32_e32 v28, v4, v5
	v_max_f32_e32 v4, v4, v5
	v_cndmask_b32_e32 v4, v4, v28, vcc
	v_and_b32_e32 v5, 0x7f800000, v4
	v_cmp_ne_u32_e64 s[24:25], s96, v5
                                        ; implicit-def: $vgpr55
	s_and_saveexec_b64 s[34:35], s[24:25]
	s_xor_b64 s[24:25], exec, s[34:35]
; %bb.1043:                             ;   in Loop: Header=BB18_1033 Depth=3
	v_bfe_u32 v5, v4, 16, 1
	v_add3_u32 v55, v4, v5, s97
                                        ; implicit-def: $vgpr4
; %bb.1044:                             ;   in Loop: Header=BB18_1033 Depth=3
	s_andn2_saveexec_b64 s[34:35], s[24:25]
; %bb.1045:                             ;   in Loop: Header=BB18_1033 Depth=3
	v_or_b32_e32 v5, 0x10000, v4
	v_cmp_eq_u32_sdwa s[24:25], v4, v3 src0_sel:WORD_0 src1_sel:DWORD
	s_nop 1
	v_cndmask_b32_e64 v55, v5, v4, s[24:25]
; %bb.1046:                             ;   in Loop: Header=BB18_1033 Depth=3
	s_or_b64 exec, exec, s[34:35]
	v_and_b32_e32 v4, 0xffff0000, v21
	v_and_b32_e32 v5, 0xffff0000, v17
	v_max_f32_e32 v5, v5, v5
	v_max_f32_e32 v4, v4, v4
	v_min_f32_e32 v21, v4, v5
	v_max_f32_e32 v4, v4, v5
	v_cndmask_b32_e32 v4, v4, v21, vcc
	v_and_b32_e32 v5, 0x7f800000, v4
	v_cmp_ne_u32_e64 s[24:25], s96, v5
                                        ; implicit-def: $vgpr21
	s_and_saveexec_b64 s[34:35], s[24:25]
	s_xor_b64 s[24:25], exec, s[34:35]
; %bb.1047:                             ;   in Loop: Header=BB18_1033 Depth=3
	v_bfe_u32 v5, v4, 16, 1
	v_add3_u32 v21, v4, v5, s97
                                        ; implicit-def: $vgpr4
; %bb.1048:                             ;   in Loop: Header=BB18_1033 Depth=3
	s_andn2_saveexec_b64 s[34:35], s[24:25]
; %bb.1049:                             ;   in Loop: Header=BB18_1033 Depth=3
	v_or_b32_e32 v5, 0x10000, v4
	v_cmp_eq_u32_sdwa s[24:25], v4, v3 src0_sel:WORD_0 src1_sel:DWORD
	s_nop 1
	v_cndmask_b32_e64 v21, v5, v4, s[24:25]
; %bb.1050:                             ;   in Loop: Header=BB18_1033 Depth=3
	s_or_b64 exec, exec, s[34:35]
	v_lshlrev_b32_e32 v4, 16, v22
	v_lshlrev_b32_e32 v5, 16, v18
	v_max_f32_e32 v5, v5, v5
	v_max_f32_e32 v4, v4, v4
	v_min_f32_e32 v28, v4, v5
	v_max_f32_e32 v4, v4, v5
	v_cndmask_b32_e32 v4, v4, v28, vcc
	v_and_b32_e32 v5, 0x7f800000, v4
	v_cmp_ne_u32_e64 s[24:25], s96, v5
                                        ; implicit-def: $vgpr28
	s_and_saveexec_b64 s[34:35], s[24:25]
	s_xor_b64 s[24:25], exec, s[34:35]
; %bb.1051:                             ;   in Loop: Header=BB18_1033 Depth=3
	v_bfe_u32 v5, v4, 16, 1
	v_add3_u32 v28, v4, v5, s97
                                        ; implicit-def: $vgpr4
; %bb.1052:                             ;   in Loop: Header=BB18_1033 Depth=3
	s_andn2_saveexec_b64 s[34:35], s[24:25]
; %bb.1053:                             ;   in Loop: Header=BB18_1033 Depth=3
	v_or_b32_e32 v5, 0x10000, v4
	v_cmp_eq_u32_sdwa s[24:25], v4, v3 src0_sel:WORD_0 src1_sel:DWORD
	s_nop 1
	v_cndmask_b32_e64 v28, v5, v4, s[24:25]
; %bb.1054:                             ;   in Loop: Header=BB18_1033 Depth=3
	s_or_b64 exec, exec, s[34:35]
	v_and_b32_e32 v4, 0xffff0000, v22
	v_and_b32_e32 v5, 0xffff0000, v18
	v_max_f32_e32 v5, v5, v5
	v_max_f32_e32 v4, v4, v4
	v_min_f32_e32 v22, v4, v5
	v_max_f32_e32 v4, v4, v5
	v_cndmask_b32_e32 v4, v4, v22, vcc
	v_and_b32_e32 v5, 0x7f800000, v4
	v_cmp_ne_u32_e64 s[24:25], s96, v5
                                        ; implicit-def: $vgpr22
	s_and_saveexec_b64 s[34:35], s[24:25]
	s_xor_b64 s[24:25], exec, s[34:35]
; %bb.1055:                             ;   in Loop: Header=BB18_1033 Depth=3
	v_bfe_u32 v5, v4, 16, 1
	v_add3_u32 v22, v4, v5, s97
                                        ; implicit-def: $vgpr4
; %bb.1056:                             ;   in Loop: Header=BB18_1033 Depth=3
	s_andn2_saveexec_b64 s[34:35], s[24:25]
; %bb.1057:                             ;   in Loop: Header=BB18_1033 Depth=3
	v_or_b32_e32 v5, 0x10000, v4
	v_cmp_eq_u32_sdwa s[24:25], v4, v3 src0_sel:WORD_0 src1_sel:DWORD
	s_nop 1
	v_cndmask_b32_e64 v22, v5, v4, s[24:25]
; %bb.1058:                             ;   in Loop: Header=BB18_1033 Depth=3
	s_or_b64 exec, exec, s[34:35]
	v_lshlrev_b32_e32 v4, 16, v23
	v_lshlrev_b32_e32 v5, 16, v19
	v_max_f32_e32 v5, v5, v5
	v_max_f32_e32 v4, v4, v4
	v_min_f32_e32 v29, v4, v5
	v_max_f32_e32 v4, v4, v5
	v_cndmask_b32_e32 v4, v4, v29, vcc
	v_and_b32_e32 v5, 0x7f800000, v4
	v_cmp_ne_u32_e64 s[24:25], s96, v5
                                        ; implicit-def: $vgpr29
	s_and_saveexec_b64 s[34:35], s[24:25]
	s_xor_b64 s[24:25], exec, s[34:35]
; %bb.1059:                             ;   in Loop: Header=BB18_1033 Depth=3
	v_bfe_u32 v5, v4, 16, 1
	v_add3_u32 v29, v4, v5, s97
                                        ; implicit-def: $vgpr4
; %bb.1060:                             ;   in Loop: Header=BB18_1033 Depth=3
	s_andn2_saveexec_b64 s[34:35], s[24:25]
; %bb.1061:                             ;   in Loop: Header=BB18_1033 Depth=3
	v_or_b32_e32 v5, 0x10000, v4
	v_cmp_eq_u32_sdwa s[24:25], v4, v3 src0_sel:WORD_0 src1_sel:DWORD
	s_nop 1
	v_cndmask_b32_e64 v29, v5, v4, s[24:25]
; %bb.1062:                             ;   in Loop: Header=BB18_1033 Depth=3
	s_or_b64 exec, exec, s[34:35]
	v_and_b32_e32 v4, 0xffff0000, v23
	v_and_b32_e32 v5, 0xffff0000, v19
	v_max_f32_e32 v5, v5, v5
	v_max_f32_e32 v4, v4, v4
	v_min_f32_e32 v23, v4, v5
	v_max_f32_e32 v4, v4, v5
	v_cndmask_b32_e32 v4, v4, v23, vcc
	v_and_b32_e32 v5, 0x7f800000, v4
	v_cmp_ne_u32_e64 s[24:25], s96, v5
                                        ; implicit-def: $vgpr23
	s_and_saveexec_b64 s[34:35], s[24:25]
	s_xor_b64 s[24:25], exec, s[34:35]
; %bb.1063:                             ;   in Loop: Header=BB18_1033 Depth=3
	v_bfe_u32 v5, v4, 16, 1
	v_add3_u32 v23, v4, v5, s97
                                        ; implicit-def: $vgpr4
; %bb.1064:                             ;   in Loop: Header=BB18_1033 Depth=3
	s_andn2_saveexec_b64 s[34:35], s[24:25]
; %bb.1065:                             ;   in Loop: Header=BB18_1033 Depth=3
	v_or_b32_e32 v5, 0x10000, v4
	v_cmp_eq_u32_sdwa s[24:25], v4, v3 src0_sel:WORD_0 src1_sel:DWORD
	s_nop 1
	v_cndmask_b32_e64 v23, v5, v4, s[24:25]
; %bb.1066:                             ;   in Loop: Header=BB18_1033 Depth=3
	s_or_b64 exec, exec, s[34:35]
	v_lshlrev_b32_e32 v4, 16, v12
	v_lshlrev_b32_e32 v5, 16, v8
	v_max_f32_e32 v5, v5, v5
	v_max_f32_e32 v4, v4, v4
	v_min_f32_e32 v86, v4, v5
	v_max_f32_e32 v4, v4, v5
	v_cndmask_b32_e32 v4, v4, v86, vcc
	v_and_b32_e32 v5, 0x7f800000, v4
	v_cmp_ne_u32_e64 s[24:25], s96, v5
                                        ; implicit-def: $vgpr96
	s_and_saveexec_b64 s[34:35], s[24:25]
	s_xor_b64 s[24:25], exec, s[34:35]
; %bb.1067:                             ;   in Loop: Header=BB18_1033 Depth=3
	v_bfe_u32 v5, v4, 16, 1
	v_add3_u32 v96, v4, v5, s97
                                        ; implicit-def: $vgpr4
; %bb.1068:                             ;   in Loop: Header=BB18_1033 Depth=3
	s_andn2_saveexec_b64 s[34:35], s[24:25]
; %bb.1069:                             ;   in Loop: Header=BB18_1033 Depth=3
	v_or_b32_e32 v5, 0x10000, v4
	v_cmp_eq_u32_sdwa s[24:25], v4, v3 src0_sel:WORD_0 src1_sel:DWORD
	s_nop 1
	v_cndmask_b32_e64 v96, v5, v4, s[24:25]
; %bb.1070:                             ;   in Loop: Header=BB18_1033 Depth=3
	s_or_b64 exec, exec, s[34:35]
	v_and_b32_e32 v4, 0xffff0000, v12
	v_and_b32_e32 v5, 0xffff0000, v8
	v_max_f32_e32 v5, v5, v5
	v_max_f32_e32 v4, v4, v4
	v_min_f32_e32 v12, v4, v5
	v_max_f32_e32 v4, v4, v5
	v_cndmask_b32_e32 v4, v4, v12, vcc
	v_and_b32_e32 v5, 0x7f800000, v4
	v_cmp_ne_u32_e64 s[24:25], s96, v5
                                        ; implicit-def: $vgpr12
	s_and_saveexec_b64 s[34:35], s[24:25]
	s_xor_b64 s[24:25], exec, s[34:35]
; %bb.1071:                             ;   in Loop: Header=BB18_1033 Depth=3
	v_bfe_u32 v5, v4, 16, 1
	v_add3_u32 v12, v4, v5, s97
                                        ; implicit-def: $vgpr4
; %bb.1072:                             ;   in Loop: Header=BB18_1033 Depth=3
	s_andn2_saveexec_b64 s[34:35], s[24:25]
; %bb.1073:                             ;   in Loop: Header=BB18_1033 Depth=3
	v_or_b32_e32 v5, 0x10000, v4
	v_cmp_eq_u32_sdwa s[24:25], v4, v3 src0_sel:WORD_0 src1_sel:DWORD
	s_nop 1
	v_cndmask_b32_e64 v12, v5, v4, s[24:25]
; %bb.1074:                             ;   in Loop: Header=BB18_1033 Depth=3
	s_or_b64 exec, exec, s[34:35]
	v_lshlrev_b32_e32 v4, 16, v13
	v_lshlrev_b32_e32 v5, 16, v9
	v_max_f32_e32 v5, v5, v5
	v_max_f32_e32 v4, v4, v4
	v_min_f32_e32 v86, v4, v5
	v_max_f32_e32 v4, v4, v5
	v_cndmask_b32_e32 v4, v4, v86, vcc
	v_and_b32_e32 v5, 0x7f800000, v4
	v_cmp_ne_u32_e64 s[24:25], s96, v5
                                        ; implicit-def: $vgpr97
	s_and_saveexec_b64 s[34:35], s[24:25]
	s_xor_b64 s[24:25], exec, s[34:35]
; %bb.1075:                             ;   in Loop: Header=BB18_1033 Depth=3
	v_bfe_u32 v5, v4, 16, 1
	v_add3_u32 v97, v4, v5, s97
                                        ; implicit-def: $vgpr4
; %bb.1076:                             ;   in Loop: Header=BB18_1033 Depth=3
	s_andn2_saveexec_b64 s[34:35], s[24:25]
; %bb.1077:                             ;   in Loop: Header=BB18_1033 Depth=3
	v_or_b32_e32 v5, 0x10000, v4
	v_cmp_eq_u32_sdwa s[24:25], v4, v3 src0_sel:WORD_0 src1_sel:DWORD
	s_nop 1
	v_cndmask_b32_e64 v97, v5, v4, s[24:25]
; %bb.1078:                             ;   in Loop: Header=BB18_1033 Depth=3
	s_or_b64 exec, exec, s[34:35]
	v_and_b32_e32 v4, 0xffff0000, v13
	v_and_b32_e32 v5, 0xffff0000, v9
	v_max_f32_e32 v5, v5, v5
	v_max_f32_e32 v4, v4, v4
	v_min_f32_e32 v13, v4, v5
	v_max_f32_e32 v4, v4, v5
	v_cndmask_b32_e32 v4, v4, v13, vcc
	v_and_b32_e32 v5, 0x7f800000, v4
	v_cmp_ne_u32_e64 s[24:25], s96, v5
                                        ; implicit-def: $vgpr13
	s_and_saveexec_b64 s[34:35], s[24:25]
	s_xor_b64 s[24:25], exec, s[34:35]
; %bb.1079:                             ;   in Loop: Header=BB18_1033 Depth=3
	v_bfe_u32 v5, v4, 16, 1
	v_add3_u32 v13, v4, v5, s97
                                        ; implicit-def: $vgpr4
; %bb.1080:                             ;   in Loop: Header=BB18_1033 Depth=3
	s_andn2_saveexec_b64 s[34:35], s[24:25]
; %bb.1081:                             ;   in Loop: Header=BB18_1033 Depth=3
	v_or_b32_e32 v5, 0x10000, v4
	v_cmp_eq_u32_sdwa s[24:25], v4, v3 src0_sel:WORD_0 src1_sel:DWORD
	s_nop 1
	v_cndmask_b32_e64 v13, v5, v4, s[24:25]
; %bb.1082:                             ;   in Loop: Header=BB18_1033 Depth=3
	s_or_b64 exec, exec, s[34:35]
	v_lshlrev_b32_e32 v4, 16, v14
	v_lshlrev_b32_e32 v5, 16, v10
	v_max_f32_e32 v5, v5, v5
	v_max_f32_e32 v4, v4, v4
	v_min_f32_e32 v86, v4, v5
	v_max_f32_e32 v4, v4, v5
	v_cndmask_b32_e32 v5, v4, v86, vcc
	v_and_b32_e32 v4, 0x7f800000, v5
	v_cmp_ne_u32_e64 s[24:25], s96, v4
                                        ; implicit-def: $vgpr4
	s_and_saveexec_b64 s[34:35], s[24:25]
	s_xor_b64 s[24:25], exec, s[34:35]
; %bb.1083:                             ;   in Loop: Header=BB18_1033 Depth=3
	v_bfe_u32 v4, v5, 16, 1
	v_add3_u32 v4, v5, v4, s97
                                        ; implicit-def: $vgpr5
; %bb.1084:                             ;   in Loop: Header=BB18_1033 Depth=3
	s_andn2_saveexec_b64 s[34:35], s[24:25]
; %bb.1085:                             ;   in Loop: Header=BB18_1033 Depth=3
	v_or_b32_e32 v4, 0x10000, v5
	v_cmp_eq_u32_sdwa s[24:25], v5, v3 src0_sel:WORD_0 src1_sel:DWORD
	s_nop 1
	v_cndmask_b32_e64 v4, v4, v5, s[24:25]
; %bb.1086:                             ;   in Loop: Header=BB18_1033 Depth=3
	s_or_b64 exec, exec, s[34:35]
	v_and_b32_e32 v5, 0xffff0000, v14
	v_and_b32_e32 v14, 0xffff0000, v10
	v_max_f32_e32 v14, v14, v14
	v_max_f32_e32 v5, v5, v5
	v_min_f32_e32 v86, v5, v14
	v_max_f32_e32 v5, v5, v14
	v_cndmask_b32_e32 v14, v5, v86, vcc
	v_and_b32_e32 v5, 0x7f800000, v14
	v_cmp_ne_u32_e64 s[24:25], s96, v5
                                        ; implicit-def: $vgpr5
	s_and_saveexec_b64 s[34:35], s[24:25]
	s_xor_b64 s[24:25], exec, s[34:35]
; %bb.1087:                             ;   in Loop: Header=BB18_1033 Depth=3
	v_bfe_u32 v5, v14, 16, 1
	v_add3_u32 v5, v14, v5, s97
                                        ; implicit-def: $vgpr14
; %bb.1088:                             ;   in Loop: Header=BB18_1033 Depth=3
	s_andn2_saveexec_b64 s[34:35], s[24:25]
; %bb.1089:                             ;   in Loop: Header=BB18_1033 Depth=3
	v_or_b32_e32 v5, 0x10000, v14
	v_cmp_eq_u32_sdwa s[24:25], v14, v3 src0_sel:WORD_0 src1_sel:DWORD
	s_nop 1
	v_cndmask_b32_e64 v5, v5, v14, s[24:25]
; %bb.1090:                             ;   in Loop: Header=BB18_1033 Depth=3
	s_or_b64 exec, exec, s[34:35]
	v_lshlrev_b32_e32 v14, 16, v15
	v_lshlrev_b32_e32 v86, 16, v11
	v_max_f32_e32 v86, v86, v86
	v_max_f32_e32 v14, v14, v14
	v_min_f32_e32 v87, v14, v86
	v_max_f32_e32 v14, v14, v86
	v_cndmask_b32_e32 v14, v14, v87, vcc
	v_and_b32_e32 v86, 0x7f800000, v14
	v_cmp_ne_u32_e64 s[24:25], s96, v86
                                        ; implicit-def: $vgpr86
	s_and_saveexec_b64 s[34:35], s[24:25]
	s_xor_b64 s[24:25], exec, s[34:35]
; %bb.1091:                             ;   in Loop: Header=BB18_1033 Depth=3
	v_bfe_u32 v86, v14, 16, 1
	v_add3_u32 v86, v14, v86, s97
                                        ; implicit-def: $vgpr14
; %bb.1092:                             ;   in Loop: Header=BB18_1033 Depth=3
	s_andn2_saveexec_b64 s[34:35], s[24:25]
; %bb.1093:                             ;   in Loop: Header=BB18_1033 Depth=3
	v_or_b32_e32 v86, 0x10000, v14
	v_cmp_eq_u32_sdwa s[24:25], v14, v3 src0_sel:WORD_0 src1_sel:DWORD
	s_nop 1
	v_cndmask_b32_e64 v86, v86, v14, s[24:25]
; %bb.1094:                             ;   in Loop: Header=BB18_1033 Depth=3
	s_or_b64 exec, exec, s[34:35]
	v_and_b32_e32 v14, 0xffff0000, v15
	v_and_b32_e32 v15, 0xffff0000, v11
	v_max_f32_e32 v15, v15, v15
	v_max_f32_e32 v14, v14, v14
	v_min_f32_e32 v87, v14, v15
	v_max_f32_e32 v14, v14, v15
	v_cndmask_b32_e32 v14, v14, v87, vcc
	v_and_b32_e32 v15, 0x7f800000, v14
	v_cmp_ne_u32_e64 s[24:25], s96, v15
                                        ; implicit-def: $vgpr15
	s_and_saveexec_b64 s[34:35], s[24:25]
	s_xor_b64 s[24:25], exec, s[34:35]
; %bb.1095:                             ;   in Loop: Header=BB18_1033 Depth=3
	v_bfe_u32 v15, v14, 16, 1
	v_add3_u32 v15, v14, v15, s97
                                        ; implicit-def: $vgpr14
; %bb.1096:                             ;   in Loop: Header=BB18_1033 Depth=3
	s_andn2_saveexec_b64 s[34:35], s[24:25]
; %bb.1097:                             ;   in Loop: Header=BB18_1033 Depth=3
	v_or_b32_e32 v15, 0x10000, v14
	v_cmp_eq_u32_sdwa s[24:25], v14, v3 src0_sel:WORD_0 src1_sel:DWORD
	s_nop 1
	v_cndmask_b32_e64 v15, v15, v14, s[24:25]
; %bb.1098:                             ;   in Loop: Header=BB18_1033 Depth=3
	s_or_b64 exec, exec, s[34:35]
	v_lshrrev_b32_e32 v14, 16, v55
	v_and_or_b32 v21, v21, s44, v14
	v_lshrrev_b32_e32 v14, 16, v54
	v_and_or_b32 v20, v20, s44, v14
	;; [unrolled: 2-line block ×5, first 2 shown]
	v_lshrrev_b32_e32 v14, 16, v96
	v_lshrrev_b32_e32 v4, 16, v4
	v_and_or_b32 v12, v12, s44, v14
	v_and_or_b32 v14, v5, s44, v4
	v_lshrrev_b32_e32 v4, 16, v86
	v_and_or_b32 v15, v15, s44, v4
	global_store_dwordx4 v[92:93], v[20:23], off
	global_store_dwordx4 v[92:93], v[12:15], off offset:1024
	global_store_dwordx4 v[90:91], v[20:23], off
	global_store_dwordx4 v[90:91], v[12:15], off offset:1024
	v_lshl_add_u64 v[92:93], v[92:93], 0, v[40:41]
	v_lshl_add_u64 v[90:91], v[90:91], 0, v[40:41]
.LBB18_1099:                            ;   in Loop: Header=BB18_1033 Depth=3
	s_or_b64 exec, exec, s[36:37]
	v_sub_u32_e32 v73, v73, v84
	v_lshl_add_u64 v[94:95], v[94:95], 0, v[40:41]
	v_lshl_add_u64 v[104:105], v[104:105], 0, v[40:41]
	v_cmp_lt_i32_e64 s[34:35], 0, v73
	s_and_saveexec_b64 s[24:25], s[34:35]
	s_cbranch_execz .LBB18_1101
; %bb.1100:                             ;   in Loop: Header=BB18_1033 Depth=3
	global_load_dwordx4 v[20:23], v[94:95], off nt
	global_load_dwordx4 v[12:15], v[94:95], off offset:1024 nt
	global_load_dwordx4 v[16:19], v[104:105], off nt
	global_load_dwordx4 v[8:11], v[104:105], off offset:1024 nt
	v_lshl_add_u64 v[94:95], v[94:95], 0, s[72:73]
	v_lshl_add_u64 v[104:105], v[104:105], 0, s[72:73]
.LBB18_1101:                            ;   in Loop: Header=BB18_1033 Depth=3
	s_or_b64 exec, exec, s[24:25]
	s_waitcnt vmcnt(0)
	v_lshlrev_b32_e32 v4, 16, v36
	v_lshlrev_b32_e32 v5, 16, v48
	v_max_f32_e32 v5, v5, v5
	v_max_f32_e32 v4, v4, v4
	v_min_f32_e32 v28, v4, v5
	v_max_f32_e32 v4, v4, v5
	v_cndmask_b32_e32 v4, v4, v28, vcc
	v_and_b32_e32 v5, 0x7f800000, v4
	v_cmp_ne_u32_e64 s[24:25], s96, v5
                                        ; implicit-def: $vgpr54
	s_and_saveexec_b64 s[36:37], s[24:25]
	s_xor_b64 s[24:25], exec, s[36:37]
; %bb.1102:                             ;   in Loop: Header=BB18_1033 Depth=3
	v_bfe_u32 v5, v4, 16, 1
	v_add3_u32 v54, v4, v5, s97
                                        ; implicit-def: $vgpr4
; %bb.1103:                             ;   in Loop: Header=BB18_1033 Depth=3
	s_andn2_saveexec_b64 s[36:37], s[24:25]
; %bb.1104:                             ;   in Loop: Header=BB18_1033 Depth=3
	v_or_b32_e32 v5, 0x10000, v4
	v_cmp_eq_u32_sdwa s[24:25], v4, v3 src0_sel:WORD_0 src1_sel:DWORD
	s_nop 1
	v_cndmask_b32_e64 v54, v5, v4, s[24:25]
; %bb.1105:                             ;   in Loop: Header=BB18_1033 Depth=3
	s_or_b64 exec, exec, s[36:37]
	v_and_b32_e32 v4, 0xffff0000, v36
	v_and_b32_e32 v5, 0xffff0000, v48
	v_max_f32_e32 v5, v5, v5
	v_max_f32_e32 v4, v4, v4
	v_min_f32_e32 v28, v4, v5
	v_max_f32_e32 v4, v4, v5
	v_cndmask_b32_e32 v4, v4, v28, vcc
	v_and_b32_e32 v5, 0x7f800000, v4
	v_cmp_ne_u32_e64 s[24:25], s96, v5
                                        ; implicit-def: $vgpr36
	s_and_saveexec_b64 s[36:37], s[24:25]
	s_xor_b64 s[24:25], exec, s[36:37]
; %bb.1106:                             ;   in Loop: Header=BB18_1033 Depth=3
	v_bfe_u32 v5, v4, 16, 1
	v_add3_u32 v36, v4, v5, s97
                                        ; implicit-def: $vgpr4
; %bb.1107:                             ;   in Loop: Header=BB18_1033 Depth=3
	s_andn2_saveexec_b64 s[36:37], s[24:25]
; %bb.1108:                             ;   in Loop: Header=BB18_1033 Depth=3
	v_or_b32_e32 v5, 0x10000, v4
	v_cmp_eq_u32_sdwa s[24:25], v4, v3 src0_sel:WORD_0 src1_sel:DWORD
	s_nop 1
	v_cndmask_b32_e64 v36, v5, v4, s[24:25]
; %bb.1109:                             ;   in Loop: Header=BB18_1033 Depth=3
	s_or_b64 exec, exec, s[36:37]
	v_lshlrev_b32_e32 v4, 16, v37
	v_lshlrev_b32_e32 v5, 16, v49
	v_max_f32_e32 v5, v5, v5
	v_max_f32_e32 v4, v4, v4
	v_min_f32_e32 v28, v4, v5
	v_max_f32_e32 v4, v4, v5
	v_cndmask_b32_e32 v4, v4, v28, vcc
	v_and_b32_e32 v5, 0x7f800000, v4
	v_cmp_ne_u32_e64 s[24:25], s96, v5
                                        ; implicit-def: $vgpr48
	s_and_saveexec_b64 s[36:37], s[24:25]
	s_xor_b64 s[24:25], exec, s[36:37]
; %bb.1110:                             ;   in Loop: Header=BB18_1033 Depth=3
	v_bfe_u32 v5, v4, 16, 1
	v_add3_u32 v48, v4, v5, s97
                                        ; implicit-def: $vgpr4
; %bb.1111:                             ;   in Loop: Header=BB18_1033 Depth=3
	s_andn2_saveexec_b64 s[36:37], s[24:25]
; %bb.1112:                             ;   in Loop: Header=BB18_1033 Depth=3
	v_or_b32_e32 v5, 0x10000, v4
	v_cmp_eq_u32_sdwa s[24:25], v4, v3 src0_sel:WORD_0 src1_sel:DWORD
	s_nop 1
	v_cndmask_b32_e64 v48, v5, v4, s[24:25]
; %bb.1113:                             ;   in Loop: Header=BB18_1033 Depth=3
	s_or_b64 exec, exec, s[36:37]
	v_and_b32_e32 v4, 0xffff0000, v37
	v_and_b32_e32 v5, 0xffff0000, v49
	v_max_f32_e32 v5, v5, v5
	v_max_f32_e32 v4, v4, v4
	v_min_f32_e32 v28, v4, v5
	v_max_f32_e32 v4, v4, v5
	v_cndmask_b32_e32 v4, v4, v28, vcc
	v_and_b32_e32 v5, 0x7f800000, v4
	v_cmp_ne_u32_e64 s[24:25], s96, v5
                                        ; implicit-def: $vgpr37
	s_and_saveexec_b64 s[36:37], s[24:25]
	s_xor_b64 s[24:25], exec, s[36:37]
; %bb.1114:                             ;   in Loop: Header=BB18_1033 Depth=3
	v_bfe_u32 v5, v4, 16, 1
	v_add3_u32 v37, v4, v5, s97
                                        ; implicit-def: $vgpr4
; %bb.1115:                             ;   in Loop: Header=BB18_1033 Depth=3
	s_andn2_saveexec_b64 s[36:37], s[24:25]
; %bb.1116:                             ;   in Loop: Header=BB18_1033 Depth=3
	v_or_b32_e32 v5, 0x10000, v4
	v_cmp_eq_u32_sdwa s[24:25], v4, v3 src0_sel:WORD_0 src1_sel:DWORD
	s_nop 1
	v_cndmask_b32_e64 v37, v5, v4, s[24:25]
; %bb.1117:                             ;   in Loop: Header=BB18_1033 Depth=3
	s_or_b64 exec, exec, s[36:37]
	v_lshlrev_b32_e32 v4, 16, v38
	v_lshlrev_b32_e32 v5, 16, v50
	v_max_f32_e32 v5, v5, v5
	v_max_f32_e32 v4, v4, v4
	v_min_f32_e32 v28, v4, v5
	v_max_f32_e32 v4, v4, v5
	v_cndmask_b32_e32 v4, v4, v28, vcc
	v_and_b32_e32 v5, 0x7f800000, v4
	v_cmp_ne_u32_e64 s[24:25], s96, v5
                                        ; implicit-def: $vgpr28
	s_and_saveexec_b64 s[36:37], s[24:25]
	s_xor_b64 s[24:25], exec, s[36:37]
; %bb.1118:                             ;   in Loop: Header=BB18_1033 Depth=3
	v_bfe_u32 v5, v4, 16, 1
	v_add3_u32 v28, v4, v5, s97
                                        ; implicit-def: $vgpr4
; %bb.1119:                             ;   in Loop: Header=BB18_1033 Depth=3
	s_andn2_saveexec_b64 s[36:37], s[24:25]
; %bb.1120:                             ;   in Loop: Header=BB18_1033 Depth=3
	v_or_b32_e32 v5, 0x10000, v4
	v_cmp_eq_u32_sdwa s[24:25], v4, v3 src0_sel:WORD_0 src1_sel:DWORD
	s_nop 1
	v_cndmask_b32_e64 v28, v5, v4, s[24:25]
; %bb.1121:                             ;   in Loop: Header=BB18_1033 Depth=3
	s_or_b64 exec, exec, s[36:37]
	v_and_b32_e32 v4, 0xffff0000, v38
	v_and_b32_e32 v5, 0xffff0000, v50
	v_max_f32_e32 v5, v5, v5
	v_max_f32_e32 v4, v4, v4
	v_min_f32_e32 v29, v4, v5
	v_max_f32_e32 v4, v4, v5
	v_cndmask_b32_e32 v4, v4, v29, vcc
	v_and_b32_e32 v5, 0x7f800000, v4
	v_cmp_ne_u32_e64 s[24:25], s96, v5
                                        ; implicit-def: $vgpr29
	s_and_saveexec_b64 s[36:37], s[24:25]
	s_xor_b64 s[24:25], exec, s[36:37]
; %bb.1122:                             ;   in Loop: Header=BB18_1033 Depth=3
	v_bfe_u32 v5, v4, 16, 1
	v_add3_u32 v29, v4, v5, s97
                                        ; implicit-def: $vgpr4
; %bb.1123:                             ;   in Loop: Header=BB18_1033 Depth=3
	s_andn2_saveexec_b64 s[36:37], s[24:25]
; %bb.1124:                             ;   in Loop: Header=BB18_1033 Depth=3
	v_or_b32_e32 v5, 0x10000, v4
	v_cmp_eq_u32_sdwa s[24:25], v4, v3 src0_sel:WORD_0 src1_sel:DWORD
	s_nop 1
	v_cndmask_b32_e64 v29, v5, v4, s[24:25]
; %bb.1125:                             ;   in Loop: Header=BB18_1033 Depth=3
	s_or_b64 exec, exec, s[36:37]
	v_lshlrev_b32_e32 v4, 16, v39
	v_lshlrev_b32_e32 v5, 16, v51
	v_max_f32_e32 v5, v5, v5
	v_max_f32_e32 v4, v4, v4
	v_min_f32_e32 v38, v4, v5
	v_max_f32_e32 v4, v4, v5
	v_cndmask_b32_e32 v4, v4, v38, vcc
	v_and_b32_e32 v5, 0x7f800000, v4
	v_cmp_ne_u32_e64 s[24:25], s96, v5
                                        ; implicit-def: $vgpr38
	s_and_saveexec_b64 s[36:37], s[24:25]
	s_xor_b64 s[24:25], exec, s[36:37]
; %bb.1126:                             ;   in Loop: Header=BB18_1033 Depth=3
	v_bfe_u32 v5, v4, 16, 1
	v_add3_u32 v38, v4, v5, s97
                                        ; implicit-def: $vgpr4
; %bb.1127:                             ;   in Loop: Header=BB18_1033 Depth=3
	s_andn2_saveexec_b64 s[36:37], s[24:25]
; %bb.1128:                             ;   in Loop: Header=BB18_1033 Depth=3
	v_or_b32_e32 v5, 0x10000, v4
	v_cmp_eq_u32_sdwa s[24:25], v4, v3 src0_sel:WORD_0 src1_sel:DWORD
	s_nop 1
	v_cndmask_b32_e64 v38, v5, v4, s[24:25]
; %bb.1129:                             ;   in Loop: Header=BB18_1033 Depth=3
	s_or_b64 exec, exec, s[36:37]
	v_and_b32_e32 v4, 0xffff0000, v39
	v_and_b32_e32 v5, 0xffff0000, v51
	v_max_f32_e32 v5, v5, v5
	v_max_f32_e32 v4, v4, v4
	v_min_f32_e32 v39, v4, v5
	v_max_f32_e32 v4, v4, v5
	v_cndmask_b32_e32 v4, v4, v39, vcc
	v_and_b32_e32 v5, 0x7f800000, v4
	v_cmp_ne_u32_e64 s[24:25], s96, v5
                                        ; implicit-def: $vgpr39
	s_and_saveexec_b64 s[36:37], s[24:25]
	s_xor_b64 s[24:25], exec, s[36:37]
; %bb.1130:                             ;   in Loop: Header=BB18_1033 Depth=3
	v_bfe_u32 v5, v4, 16, 1
	v_add3_u32 v39, v4, v5, s97
                                        ; implicit-def: $vgpr4
; %bb.1131:                             ;   in Loop: Header=BB18_1033 Depth=3
	s_andn2_saveexec_b64 s[36:37], s[24:25]
; %bb.1132:                             ;   in Loop: Header=BB18_1033 Depth=3
	v_or_b32_e32 v5, 0x10000, v4
	v_cmp_eq_u32_sdwa s[24:25], v4, v3 src0_sel:WORD_0 src1_sel:DWORD
	s_nop 1
	v_cndmask_b32_e64 v39, v5, v4, s[24:25]
; %bb.1133:                             ;   in Loop: Header=BB18_1033 Depth=3
	s_or_b64 exec, exec, s[36:37]
	v_lshlrev_b32_e32 v4, 16, v24
	v_lshlrev_b32_e32 v5, 16, v32
	v_max_f32_e32 v5, v5, v5
	v_max_f32_e32 v4, v4, v4
	v_min_f32_e32 v49, v4, v5
	v_max_f32_e32 v4, v4, v5
	v_cndmask_b32_e32 v4, v4, v49, vcc
	v_and_b32_e32 v5, 0x7f800000, v4
	v_cmp_ne_u32_e64 s[24:25], s96, v5
                                        ; implicit-def: $vgpr49
	s_and_saveexec_b64 s[36:37], s[24:25]
	s_xor_b64 s[24:25], exec, s[36:37]
; %bb.1134:                             ;   in Loop: Header=BB18_1033 Depth=3
	v_bfe_u32 v5, v4, 16, 1
	v_add3_u32 v49, v4, v5, s97
                                        ; implicit-def: $vgpr4
; %bb.1135:                             ;   in Loop: Header=BB18_1033 Depth=3
	s_andn2_saveexec_b64 s[36:37], s[24:25]
; %bb.1136:                             ;   in Loop: Header=BB18_1033 Depth=3
	v_or_b32_e32 v5, 0x10000, v4
	v_cmp_eq_u32_sdwa s[24:25], v4, v3 src0_sel:WORD_0 src1_sel:DWORD
	s_nop 1
	v_cndmask_b32_e64 v49, v5, v4, s[24:25]
; %bb.1137:                             ;   in Loop: Header=BB18_1033 Depth=3
	s_or_b64 exec, exec, s[36:37]
	v_and_b32_e32 v4, 0xffff0000, v24
	v_and_b32_e32 v5, 0xffff0000, v32
	v_max_f32_e32 v5, v5, v5
	v_max_f32_e32 v4, v4, v4
	v_min_f32_e32 v24, v4, v5
	v_max_f32_e32 v4, v4, v5
	v_cndmask_b32_e32 v4, v4, v24, vcc
	v_and_b32_e32 v5, 0x7f800000, v4
	v_cmp_ne_u32_e64 s[24:25], s96, v5
                                        ; implicit-def: $vgpr24
	s_and_saveexec_b64 s[36:37], s[24:25]
	s_xor_b64 s[24:25], exec, s[36:37]
; %bb.1138:                             ;   in Loop: Header=BB18_1033 Depth=3
	v_bfe_u32 v5, v4, 16, 1
	v_add3_u32 v24, v4, v5, s97
                                        ; implicit-def: $vgpr4
; %bb.1139:                             ;   in Loop: Header=BB18_1033 Depth=3
	s_andn2_saveexec_b64 s[36:37], s[24:25]
; %bb.1140:                             ;   in Loop: Header=BB18_1033 Depth=3
	v_or_b32_e32 v5, 0x10000, v4
	v_cmp_eq_u32_sdwa s[24:25], v4, v3 src0_sel:WORD_0 src1_sel:DWORD
	s_nop 1
	v_cndmask_b32_e64 v24, v5, v4, s[24:25]
; %bb.1141:                             ;   in Loop: Header=BB18_1033 Depth=3
	s_or_b64 exec, exec, s[36:37]
	v_lshlrev_b32_e32 v4, 16, v25
	v_lshlrev_b32_e32 v5, 16, v33
	v_max_f32_e32 v5, v5, v5
	v_max_f32_e32 v4, v4, v4
	v_min_f32_e32 v32, v4, v5
	v_max_f32_e32 v4, v4, v5
	v_cndmask_b32_e32 v4, v4, v32, vcc
	v_and_b32_e32 v5, 0x7f800000, v4
	v_cmp_ne_u32_e64 s[24:25], s96, v5
                                        ; implicit-def: $vgpr32
	s_and_saveexec_b64 s[36:37], s[24:25]
	s_xor_b64 s[24:25], exec, s[36:37]
; %bb.1142:                             ;   in Loop: Header=BB18_1033 Depth=3
	v_bfe_u32 v5, v4, 16, 1
	v_add3_u32 v32, v4, v5, s97
                                        ; implicit-def: $vgpr4
; %bb.1143:                             ;   in Loop: Header=BB18_1033 Depth=3
	s_andn2_saveexec_b64 s[36:37], s[24:25]
; %bb.1144:                             ;   in Loop: Header=BB18_1033 Depth=3
	v_or_b32_e32 v5, 0x10000, v4
	v_cmp_eq_u32_sdwa s[24:25], v4, v3 src0_sel:WORD_0 src1_sel:DWORD
	s_nop 1
	v_cndmask_b32_e64 v32, v5, v4, s[24:25]
; %bb.1145:                             ;   in Loop: Header=BB18_1033 Depth=3
	s_or_b64 exec, exec, s[36:37]
	v_and_b32_e32 v4, 0xffff0000, v25
	v_and_b32_e32 v5, 0xffff0000, v33
	v_max_f32_e32 v5, v5, v5
	v_max_f32_e32 v4, v4, v4
	v_min_f32_e32 v25, v4, v5
	v_max_f32_e32 v4, v4, v5
	v_cndmask_b32_e32 v4, v4, v25, vcc
	v_and_b32_e32 v5, 0x7f800000, v4
	v_cmp_ne_u32_e64 s[24:25], s96, v5
                                        ; implicit-def: $vgpr25
	s_and_saveexec_b64 s[36:37], s[24:25]
	s_xor_b64 s[24:25], exec, s[36:37]
; %bb.1146:                             ;   in Loop: Header=BB18_1033 Depth=3
	v_bfe_u32 v5, v4, 16, 1
	v_add3_u32 v25, v4, v5, s97
                                        ; implicit-def: $vgpr4
; %bb.1147:                             ;   in Loop: Header=BB18_1033 Depth=3
	s_andn2_saveexec_b64 s[36:37], s[24:25]
; %bb.1148:                             ;   in Loop: Header=BB18_1033 Depth=3
	v_or_b32_e32 v5, 0x10000, v4
	v_cmp_eq_u32_sdwa s[24:25], v4, v3 src0_sel:WORD_0 src1_sel:DWORD
	s_nop 1
	v_cndmask_b32_e64 v25, v5, v4, s[24:25]
; %bb.1149:                             ;   in Loop: Header=BB18_1033 Depth=3
	s_or_b64 exec, exec, s[36:37]
	v_lshlrev_b32_e32 v4, 16, v26
	v_lshlrev_b32_e32 v5, 16, v34
	v_max_f32_e32 v5, v5, v5
	v_max_f32_e32 v4, v4, v4
	v_min_f32_e32 v33, v4, v5
	v_max_f32_e32 v4, v4, v5
	v_cndmask_b32_e32 v5, v4, v33, vcc
	v_and_b32_e32 v4, 0x7f800000, v5
	v_cmp_ne_u32_e64 s[24:25], s96, v4
                                        ; implicit-def: $vgpr4
	s_and_saveexec_b64 s[36:37], s[24:25]
	s_xor_b64 s[24:25], exec, s[36:37]
; %bb.1150:                             ;   in Loop: Header=BB18_1033 Depth=3
	v_bfe_u32 v4, v5, 16, 1
	v_add3_u32 v4, v5, v4, s97
                                        ; implicit-def: $vgpr5
; %bb.1151:                             ;   in Loop: Header=BB18_1033 Depth=3
	s_andn2_saveexec_b64 s[36:37], s[24:25]
; %bb.1152:                             ;   in Loop: Header=BB18_1033 Depth=3
	v_or_b32_e32 v4, 0x10000, v5
	v_cmp_eq_u32_sdwa s[24:25], v5, v3 src0_sel:WORD_0 src1_sel:DWORD
	s_nop 1
	v_cndmask_b32_e64 v4, v4, v5, s[24:25]
; %bb.1153:                             ;   in Loop: Header=BB18_1033 Depth=3
	s_or_b64 exec, exec, s[36:37]
	v_and_b32_e32 v5, 0xffff0000, v26
	v_and_b32_e32 v26, 0xffff0000, v34
	v_max_f32_e32 v26, v26, v26
	v_max_f32_e32 v5, v5, v5
	v_min_f32_e32 v33, v5, v26
	v_max_f32_e32 v5, v5, v26
	v_cndmask_b32_e32 v26, v5, v33, vcc
	v_and_b32_e32 v5, 0x7f800000, v26
	v_cmp_ne_u32_e64 s[24:25], s96, v5
                                        ; implicit-def: $vgpr5
	s_and_saveexec_b64 s[36:37], s[24:25]
	s_xor_b64 s[24:25], exec, s[36:37]
; %bb.1154:                             ;   in Loop: Header=BB18_1033 Depth=3
	v_bfe_u32 v5, v26, 16, 1
	v_add3_u32 v5, v26, v5, s97
                                        ; implicit-def: $vgpr26
; %bb.1155:                             ;   in Loop: Header=BB18_1033 Depth=3
	s_andn2_saveexec_b64 s[36:37], s[24:25]
; %bb.1156:                             ;   in Loop: Header=BB18_1033 Depth=3
	v_or_b32_e32 v5, 0x10000, v26
	v_cmp_eq_u32_sdwa s[24:25], v26, v3 src0_sel:WORD_0 src1_sel:DWORD
	s_nop 1
	v_cndmask_b32_e64 v5, v5, v26, s[24:25]
; %bb.1157:                             ;   in Loop: Header=BB18_1033 Depth=3
	s_or_b64 exec, exec, s[36:37]
	v_lshlrev_b32_e32 v26, 16, v27
	v_lshlrev_b32_e32 v33, 16, v35
	v_max_f32_e32 v33, v33, v33
	v_max_f32_e32 v26, v26, v26
	v_min_f32_e32 v34, v26, v33
	v_max_f32_e32 v26, v26, v33
	v_cndmask_b32_e32 v33, v26, v34, vcc
	v_and_b32_e32 v26, 0x7f800000, v33
	v_cmp_ne_u32_e64 s[24:25], s96, v26
                                        ; implicit-def: $vgpr26
	s_and_saveexec_b64 s[36:37], s[24:25]
	s_xor_b64 s[24:25], exec, s[36:37]
; %bb.1158:                             ;   in Loop: Header=BB18_1033 Depth=3
	v_bfe_u32 v26, v33, 16, 1
	v_add3_u32 v26, v33, v26, s97
                                        ; implicit-def: $vgpr33
; %bb.1159:                             ;   in Loop: Header=BB18_1033 Depth=3
	s_andn2_saveexec_b64 s[36:37], s[24:25]
; %bb.1160:                             ;   in Loop: Header=BB18_1033 Depth=3
	v_or_b32_e32 v26, 0x10000, v33
	v_cmp_eq_u32_sdwa s[24:25], v33, v3 src0_sel:WORD_0 src1_sel:DWORD
	s_nop 1
	v_cndmask_b32_e64 v26, v26, v33, s[24:25]
; %bb.1161:                             ;   in Loop: Header=BB18_1033 Depth=3
	s_or_b64 exec, exec, s[36:37]
	v_and_b32_e32 v27, 0xffff0000, v27
	v_and_b32_e32 v33, 0xffff0000, v35
	v_max_f32_e32 v33, v33, v33
	v_max_f32_e32 v27, v27, v27
	v_min_f32_e32 v34, v27, v33
	v_max_f32_e32 v27, v27, v33
	v_cndmask_b32_e32 v33, v27, v34, vcc
	v_and_b32_e32 v27, 0x7f800000, v33
	v_cmp_ne_u32_e64 s[24:25], s96, v27
                                        ; implicit-def: $vgpr27
	s_and_saveexec_b64 s[36:37], s[24:25]
	s_xor_b64 s[24:25], exec, s[36:37]
; %bb.1162:                             ;   in Loop: Header=BB18_1033 Depth=3
	v_bfe_u32 v27, v33, 16, 1
	v_add3_u32 v27, v33, v27, s97
                                        ; implicit-def: $vgpr33
; %bb.1163:                             ;   in Loop: Header=BB18_1033 Depth=3
	s_andn2_saveexec_b64 s[36:37], s[24:25]
; %bb.1164:                             ;   in Loop: Header=BB18_1033 Depth=3
	v_or_b32_e32 v27, 0x10000, v33
	v_cmp_eq_u32_sdwa s[24:25], v33, v3 src0_sel:WORD_0 src1_sel:DWORD
	s_nop 1
	v_cndmask_b32_e64 v27, v27, v33, s[24:25]
; %bb.1165:                             ;   in Loop: Header=BB18_1033 Depth=3
	s_or_b64 exec, exec, s[36:37]
	v_lshrrev_b32_e32 v33, 16, v48
	v_and_or_b32 v35, v37, s44, v33
	v_lshrrev_b32_e32 v33, 16, v54
	v_lshrrev_b32_e32 v28, 16, v28
	v_and_or_b32 v34, v36, s44, v33
	v_and_or_b32 v36, v29, s44, v28
	v_lshrrev_b32_e32 v28, 16, v38
	v_and_or_b32 v37, v39, s44, v28
	v_lshrrev_b32_e32 v28, 16, v32
	v_lshrrev_b32_e32 v4, 16, v4
	v_and_or_b32 v75, v25, s44, v28
	v_lshrrev_b32_e32 v25, 16, v49
	v_and_or_b32 v76, v5, s44, v4
	;; [unrolled: 2-line block ×3, first 2 shown]
	v_and_or_b32 v77, v27, s44, v4
	global_store_dwordx4 v[92:93], v[34:37], off
	global_store_dwordx4 v[92:93], v[74:77], off offset:1024
	v_lshl_add_u64 v[92:93], v[92:93], 0, s[72:73]
	global_store_dwordx4 v[90:91], v[34:37], off
	global_store_dwordx4 v[90:91], v[74:77], off offset:1024
	v_lshl_add_u64 v[90:91], v[90:91], 0, s[72:73]
	s_and_saveexec_b64 s[24:25], s[34:35]
	s_cbranch_execz .LBB18_1032
; %bb.1166:                             ;   in Loop: Header=BB18_1033 Depth=3
	v_lshl_add_u64 v[92:93], v[92:93], 0, v[112:113]
	v_lshl_add_u64 v[90:91], v[90:91], 0, v[112:113]
	;; [unrolled: 1-line block ×4, first 2 shown]
	v_sub_u32_e32 v73, v73, v84
	s_branch .LBB18_1032
.LBB18_1167:                            ;   in Loop: Header=BB18_955 Depth=2
	s_mov_b64 s[24:25], 0
	s_and_saveexec_b64 s[26:27], s[4:5]
	s_cbranch_execnz .LBB18_1959
	s_branch .LBB18_1977
.LBB18_1168:                            ;   in Loop: Header=BB18_955 Depth=2
	s_mov_b64 s[30:31], 0
                                        ; implicit-def: $sgpr43
	s_andn2_b64 vcc, exec, s[26:27]
	v_mov_b32_e32 v16, 0
	s_cbranch_vccz .LBB18_1030
.LBB18_1169:                            ;   in Loop: Header=BB18_955 Depth=2
	v_mov_b32_e32 v17, v63
	v_mov_b32_e32 v4, v0
	;; [unrolled: 1-line block ×3, first 2 shown]
	s_and_saveexec_b64 s[40:41], s[30:31]
	s_cbranch_execnz .LBB18_1358
	s_branch .LBB18_1498
.LBB18_1170:                            ;   in Loop: Header=BB18_955 Depth=2
	s_or_b64 exec, exec, s[28:29]
	scratch_load_dwordx2 v[104:105], off, s33 offset:280 ; 8-byte Folded Reload
	s_and_b64 s[24:25], s[40:41], exec
.LBB18_1171:                            ;   in Loop: Header=BB18_955 Depth=2
	s_or_b64 exec, exec, s[26:27]
	s_and_saveexec_b64 s[26:27], s[24:25]
	s_cbranch_execz .LBB18_1237
; %bb.1172:                             ;   in Loop: Header=BB18_955 Depth=2
	s_and_b32 s24, 0xffff, s43
	v_lshlrev_b32_e32 v4, 16, v20
	v_lshlrev_b32_e32 v5, 16, v16
	s_cmp_eq_u32 s24, 0
	v_max_f32_e32 v5, v5, v5
	v_max_f32_e32 v4, v4, v4
	v_min_f32_e32 v24, v4, v5
	v_max_f32_e32 v4, v4, v5
	s_cselect_b64 vcc, -1, 0
	v_cndmask_b32_e32 v4, v4, v24, vcc
	v_and_b32_e32 v5, 0x7f800000, v4
	v_cmp_ne_u32_e64 s[24:25], s96, v5
                                        ; implicit-def: $vgpr24
	s_and_saveexec_b64 s[28:29], s[24:25]
	s_xor_b64 s[24:25], exec, s[28:29]
; %bb.1173:                             ;   in Loop: Header=BB18_955 Depth=2
	v_bfe_u32 v5, v4, 16, 1
	v_add3_u32 v24, v4, v5, s97
                                        ; implicit-def: $vgpr4
; %bb.1174:                             ;   in Loop: Header=BB18_955 Depth=2
	s_andn2_saveexec_b64 s[28:29], s[24:25]
; %bb.1175:                             ;   in Loop: Header=BB18_955 Depth=2
	v_or_b32_e32 v5, 0x10000, v4
	v_cmp_eq_u32_sdwa s[24:25], v4, v3 src0_sel:WORD_0 src1_sel:DWORD
	s_nop 1
	v_cndmask_b32_e64 v24, v5, v4, s[24:25]
; %bb.1176:                             ;   in Loop: Header=BB18_955 Depth=2
	s_or_b64 exec, exec, s[28:29]
	v_and_b32_e32 v4, 0xffff0000, v20
	v_and_b32_e32 v5, 0xffff0000, v16
	v_max_f32_e32 v5, v5, v5
	v_max_f32_e32 v4, v4, v4
	v_min_f32_e32 v16, v4, v5
	v_max_f32_e32 v4, v4, v5
	v_cndmask_b32_e32 v4, v4, v16, vcc
	v_and_b32_e32 v5, 0x7f800000, v4
	v_cmp_ne_u32_e64 s[24:25], s96, v5
                                        ; implicit-def: $vgpr16
	s_and_saveexec_b64 s[28:29], s[24:25]
	s_xor_b64 s[24:25], exec, s[28:29]
; %bb.1177:                             ;   in Loop: Header=BB18_955 Depth=2
	v_bfe_u32 v5, v4, 16, 1
	v_add3_u32 v16, v4, v5, s97
                                        ; implicit-def: $vgpr4
; %bb.1178:                             ;   in Loop: Header=BB18_955 Depth=2
	s_andn2_saveexec_b64 s[28:29], s[24:25]
; %bb.1179:                             ;   in Loop: Header=BB18_955 Depth=2
	v_or_b32_e32 v5, 0x10000, v4
	v_cmp_eq_u32_sdwa s[24:25], v4, v3 src0_sel:WORD_0 src1_sel:DWORD
	s_nop 1
	v_cndmask_b32_e64 v16, v5, v4, s[24:25]
; %bb.1180:                             ;   in Loop: Header=BB18_955 Depth=2
	s_or_b64 exec, exec, s[28:29]
	v_lshlrev_b32_e32 v4, 16, v21
	v_lshlrev_b32_e32 v5, 16, v17
	v_max_f32_e32 v5, v5, v5
	v_max_f32_e32 v4, v4, v4
	v_min_f32_e32 v20, v4, v5
	v_max_f32_e32 v4, v4, v5
	v_cndmask_b32_e32 v4, v4, v20, vcc
	v_and_b32_e32 v5, 0x7f800000, v4
	v_cmp_ne_u32_e64 s[24:25], s96, v5
                                        ; implicit-def: $vgpr20
	s_and_saveexec_b64 s[28:29], s[24:25]
	s_xor_b64 s[24:25], exec, s[28:29]
; %bb.1181:                             ;   in Loop: Header=BB18_955 Depth=2
	v_bfe_u32 v5, v4, 16, 1
	v_add3_u32 v20, v4, v5, s97
                                        ; implicit-def: $vgpr4
; %bb.1182:                             ;   in Loop: Header=BB18_955 Depth=2
	s_andn2_saveexec_b64 s[28:29], s[24:25]
; %bb.1183:                             ;   in Loop: Header=BB18_955 Depth=2
	v_or_b32_e32 v5, 0x10000, v4
	v_cmp_eq_u32_sdwa s[24:25], v4, v3 src0_sel:WORD_0 src1_sel:DWORD
	s_nop 1
	v_cndmask_b32_e64 v20, v5, v4, s[24:25]
; %bb.1184:                             ;   in Loop: Header=BB18_955 Depth=2
	s_or_b64 exec, exec, s[28:29]
	v_and_b32_e32 v4, 0xffff0000, v21
	v_and_b32_e32 v5, 0xffff0000, v17
	v_max_f32_e32 v5, v5, v5
	v_max_f32_e32 v4, v4, v4
	v_min_f32_e32 v17, v4, v5
	v_max_f32_e32 v4, v4, v5
	v_cndmask_b32_e32 v4, v4, v17, vcc
	v_and_b32_e32 v5, 0x7f800000, v4
	v_cmp_ne_u32_e64 s[24:25], s96, v5
                                        ; implicit-def: $vgpr17
	s_and_saveexec_b64 s[28:29], s[24:25]
	s_xor_b64 s[24:25], exec, s[28:29]
; %bb.1185:                             ;   in Loop: Header=BB18_955 Depth=2
	v_bfe_u32 v5, v4, 16, 1
	v_add3_u32 v17, v4, v5, s97
                                        ; implicit-def: $vgpr4
; %bb.1186:                             ;   in Loop: Header=BB18_955 Depth=2
	s_andn2_saveexec_b64 s[28:29], s[24:25]
; %bb.1187:                             ;   in Loop: Header=BB18_955 Depth=2
	v_or_b32_e32 v5, 0x10000, v4
	v_cmp_eq_u32_sdwa s[24:25], v4, v3 src0_sel:WORD_0 src1_sel:DWORD
	s_nop 1
	v_cndmask_b32_e64 v17, v5, v4, s[24:25]
; %bb.1188:                             ;   in Loop: Header=BB18_955 Depth=2
	s_or_b64 exec, exec, s[28:29]
	v_lshlrev_b32_e32 v4, 16, v22
	v_lshlrev_b32_e32 v5, 16, v18
	v_max_f32_e32 v5, v5, v5
	v_max_f32_e32 v4, v4, v4
	v_min_f32_e32 v21, v4, v5
	v_max_f32_e32 v4, v4, v5
	v_cndmask_b32_e32 v4, v4, v21, vcc
	v_and_b32_e32 v5, 0x7f800000, v4
	v_cmp_ne_u32_e64 s[24:25], s96, v5
                                        ; implicit-def: $vgpr21
	s_and_saveexec_b64 s[28:29], s[24:25]
	s_xor_b64 s[24:25], exec, s[28:29]
; %bb.1189:                             ;   in Loop: Header=BB18_955 Depth=2
	v_bfe_u32 v5, v4, 16, 1
	v_add3_u32 v21, v4, v5, s97
                                        ; implicit-def: $vgpr4
; %bb.1190:                             ;   in Loop: Header=BB18_955 Depth=2
	s_andn2_saveexec_b64 s[28:29], s[24:25]
; %bb.1191:                             ;   in Loop: Header=BB18_955 Depth=2
	v_or_b32_e32 v5, 0x10000, v4
	v_cmp_eq_u32_sdwa s[24:25], v4, v3 src0_sel:WORD_0 src1_sel:DWORD
	s_nop 1
	v_cndmask_b32_e64 v21, v5, v4, s[24:25]
; %bb.1192:                             ;   in Loop: Header=BB18_955 Depth=2
	s_or_b64 exec, exec, s[28:29]
	v_and_b32_e32 v4, 0xffff0000, v22
	v_and_b32_e32 v5, 0xffff0000, v18
	v_max_f32_e32 v5, v5, v5
	v_max_f32_e32 v4, v4, v4
	v_min_f32_e32 v18, v4, v5
	v_max_f32_e32 v4, v4, v5
	v_cndmask_b32_e32 v4, v4, v18, vcc
	v_and_b32_e32 v5, 0x7f800000, v4
	v_cmp_ne_u32_e64 s[24:25], s96, v5
                                        ; implicit-def: $vgpr18
	s_and_saveexec_b64 s[28:29], s[24:25]
	s_xor_b64 s[24:25], exec, s[28:29]
; %bb.1193:                             ;   in Loop: Header=BB18_955 Depth=2
	v_bfe_u32 v5, v4, 16, 1
	v_add3_u32 v18, v4, v5, s97
                                        ; implicit-def: $vgpr4
; %bb.1194:                             ;   in Loop: Header=BB18_955 Depth=2
	s_andn2_saveexec_b64 s[28:29], s[24:25]
; %bb.1195:                             ;   in Loop: Header=BB18_955 Depth=2
	v_or_b32_e32 v5, 0x10000, v4
	v_cmp_eq_u32_sdwa s[24:25], v4, v3 src0_sel:WORD_0 src1_sel:DWORD
	s_nop 1
	v_cndmask_b32_e64 v18, v5, v4, s[24:25]
; %bb.1196:                             ;   in Loop: Header=BB18_955 Depth=2
	s_or_b64 exec, exec, s[28:29]
	v_lshlrev_b32_e32 v4, 16, v23
	v_lshlrev_b32_e32 v5, 16, v19
	v_max_f32_e32 v5, v5, v5
	v_max_f32_e32 v4, v4, v4
	v_min_f32_e32 v22, v4, v5
	v_max_f32_e32 v4, v4, v5
	v_cndmask_b32_e32 v4, v4, v22, vcc
	v_and_b32_e32 v5, 0x7f800000, v4
	v_cmp_ne_u32_e64 s[24:25], s96, v5
                                        ; implicit-def: $vgpr22
	s_and_saveexec_b64 s[28:29], s[24:25]
	s_xor_b64 s[24:25], exec, s[28:29]
; %bb.1197:                             ;   in Loop: Header=BB18_955 Depth=2
	v_bfe_u32 v5, v4, 16, 1
	v_add3_u32 v22, v4, v5, s97
                                        ; implicit-def: $vgpr4
; %bb.1198:                             ;   in Loop: Header=BB18_955 Depth=2
	s_andn2_saveexec_b64 s[28:29], s[24:25]
; %bb.1199:                             ;   in Loop: Header=BB18_955 Depth=2
	v_or_b32_e32 v5, 0x10000, v4
	v_cmp_eq_u32_sdwa s[24:25], v4, v3 src0_sel:WORD_0 src1_sel:DWORD
	s_nop 1
	v_cndmask_b32_e64 v22, v5, v4, s[24:25]
; %bb.1200:                             ;   in Loop: Header=BB18_955 Depth=2
	s_or_b64 exec, exec, s[28:29]
	v_and_b32_e32 v4, 0xffff0000, v23
	v_and_b32_e32 v5, 0xffff0000, v19
	v_max_f32_e32 v5, v5, v5
	v_max_f32_e32 v4, v4, v4
	v_min_f32_e32 v19, v4, v5
	v_max_f32_e32 v4, v4, v5
	v_cndmask_b32_e32 v4, v4, v19, vcc
	v_and_b32_e32 v5, 0x7f800000, v4
	v_cmp_ne_u32_e64 s[24:25], s96, v5
                                        ; implicit-def: $vgpr19
	s_and_saveexec_b64 s[28:29], s[24:25]
	s_xor_b64 s[24:25], exec, s[28:29]
; %bb.1201:                             ;   in Loop: Header=BB18_955 Depth=2
	v_bfe_u32 v5, v4, 16, 1
	v_add3_u32 v19, v4, v5, s97
                                        ; implicit-def: $vgpr4
; %bb.1202:                             ;   in Loop: Header=BB18_955 Depth=2
	s_andn2_saveexec_b64 s[28:29], s[24:25]
; %bb.1203:                             ;   in Loop: Header=BB18_955 Depth=2
	v_or_b32_e32 v5, 0x10000, v4
	v_cmp_eq_u32_sdwa s[24:25], v4, v3 src0_sel:WORD_0 src1_sel:DWORD
	s_nop 1
	v_cndmask_b32_e64 v19, v5, v4, s[24:25]
; %bb.1204:                             ;   in Loop: Header=BB18_955 Depth=2
	s_or_b64 exec, exec, s[28:29]
	v_lshlrev_b32_e32 v4, 16, v12
	v_lshlrev_b32_e32 v5, 16, v8
	v_max_f32_e32 v5, v5, v5
	v_max_f32_e32 v4, v4, v4
	v_min_f32_e32 v23, v4, v5
	v_max_f32_e32 v4, v4, v5
	v_cndmask_b32_e32 v4, v4, v23, vcc
	v_and_b32_e32 v5, 0x7f800000, v4
	v_cmp_ne_u32_e64 s[24:25], s96, v5
                                        ; implicit-def: $vgpr23
	s_and_saveexec_b64 s[28:29], s[24:25]
	s_xor_b64 s[24:25], exec, s[28:29]
; %bb.1205:                             ;   in Loop: Header=BB18_955 Depth=2
	v_bfe_u32 v5, v4, 16, 1
	v_add3_u32 v23, v4, v5, s97
                                        ; implicit-def: $vgpr4
; %bb.1206:                             ;   in Loop: Header=BB18_955 Depth=2
	s_andn2_saveexec_b64 s[28:29], s[24:25]
; %bb.1207:                             ;   in Loop: Header=BB18_955 Depth=2
	v_or_b32_e32 v5, 0x10000, v4
	v_cmp_eq_u32_sdwa s[24:25], v4, v3 src0_sel:WORD_0 src1_sel:DWORD
	s_nop 1
	v_cndmask_b32_e64 v23, v5, v4, s[24:25]
; %bb.1208:                             ;   in Loop: Header=BB18_955 Depth=2
	s_or_b64 exec, exec, s[28:29]
	v_and_b32_e32 v4, 0xffff0000, v12
	v_and_b32_e32 v5, 0xffff0000, v8
	v_max_f32_e32 v5, v5, v5
	v_max_f32_e32 v4, v4, v4
	v_min_f32_e32 v8, v4, v5
	v_max_f32_e32 v4, v4, v5
	v_cndmask_b32_e32 v4, v4, v8, vcc
	v_and_b32_e32 v5, 0x7f800000, v4
	v_cmp_ne_u32_e64 s[24:25], s96, v5
                                        ; implicit-def: $vgpr8
	s_and_saveexec_b64 s[28:29], s[24:25]
	s_xor_b64 s[24:25], exec, s[28:29]
; %bb.1209:                             ;   in Loop: Header=BB18_955 Depth=2
	v_bfe_u32 v5, v4, 16, 1
	v_add3_u32 v8, v4, v5, s97
                                        ; implicit-def: $vgpr4
; %bb.1210:                             ;   in Loop: Header=BB18_955 Depth=2
	s_andn2_saveexec_b64 s[28:29], s[24:25]
; %bb.1211:                             ;   in Loop: Header=BB18_955 Depth=2
	v_or_b32_e32 v5, 0x10000, v4
	v_cmp_eq_u32_sdwa s[24:25], v4, v3 src0_sel:WORD_0 src1_sel:DWORD
	s_nop 1
	v_cndmask_b32_e64 v8, v5, v4, s[24:25]
; %bb.1212:                             ;   in Loop: Header=BB18_955 Depth=2
	s_or_b64 exec, exec, s[28:29]
	v_lshlrev_b32_e32 v4, 16, v13
	v_lshlrev_b32_e32 v5, 16, v9
	v_max_f32_e32 v5, v5, v5
	v_max_f32_e32 v4, v4, v4
	v_min_f32_e32 v12, v4, v5
	v_max_f32_e32 v4, v4, v5
	v_cndmask_b32_e32 v4, v4, v12, vcc
	v_and_b32_e32 v5, 0x7f800000, v4
	v_cmp_ne_u32_e64 s[24:25], s96, v5
                                        ; implicit-def: $vgpr12
	s_and_saveexec_b64 s[28:29], s[24:25]
	s_xor_b64 s[24:25], exec, s[28:29]
; %bb.1213:                             ;   in Loop: Header=BB18_955 Depth=2
	v_bfe_u32 v5, v4, 16, 1
	v_add3_u32 v12, v4, v5, s97
                                        ; implicit-def: $vgpr4
; %bb.1214:                             ;   in Loop: Header=BB18_955 Depth=2
	s_andn2_saveexec_b64 s[28:29], s[24:25]
; %bb.1215:                             ;   in Loop: Header=BB18_955 Depth=2
	v_or_b32_e32 v5, 0x10000, v4
	v_cmp_eq_u32_sdwa s[24:25], v4, v3 src0_sel:WORD_0 src1_sel:DWORD
	s_nop 1
	v_cndmask_b32_e64 v12, v5, v4, s[24:25]
; %bb.1216:                             ;   in Loop: Header=BB18_955 Depth=2
	s_or_b64 exec, exec, s[28:29]
	v_and_b32_e32 v4, 0xffff0000, v13
	v_and_b32_e32 v5, 0xffff0000, v9
	v_max_f32_e32 v5, v5, v5
	v_max_f32_e32 v4, v4, v4
	v_min_f32_e32 v9, v4, v5
	v_max_f32_e32 v4, v4, v5
	v_cndmask_b32_e32 v4, v4, v9, vcc
	v_and_b32_e32 v5, 0x7f800000, v4
	v_cmp_ne_u32_e64 s[24:25], s96, v5
                                        ; implicit-def: $vgpr9
	s_and_saveexec_b64 s[28:29], s[24:25]
	s_xor_b64 s[24:25], exec, s[28:29]
; %bb.1217:                             ;   in Loop: Header=BB18_955 Depth=2
	v_bfe_u32 v5, v4, 16, 1
	v_add3_u32 v9, v4, v5, s97
                                        ; implicit-def: $vgpr4
; %bb.1218:                             ;   in Loop: Header=BB18_955 Depth=2
	s_andn2_saveexec_b64 s[28:29], s[24:25]
; %bb.1219:                             ;   in Loop: Header=BB18_955 Depth=2
	v_or_b32_e32 v5, 0x10000, v4
	v_cmp_eq_u32_sdwa s[24:25], v4, v3 src0_sel:WORD_0 src1_sel:DWORD
	s_nop 1
	v_cndmask_b32_e64 v9, v5, v4, s[24:25]
; %bb.1220:                             ;   in Loop: Header=BB18_955 Depth=2
	s_or_b64 exec, exec, s[28:29]
	v_lshlrev_b32_e32 v4, 16, v14
	v_lshlrev_b32_e32 v5, 16, v10
	v_max_f32_e32 v5, v5, v5
	v_max_f32_e32 v4, v4, v4
	v_min_f32_e32 v13, v4, v5
	v_max_f32_e32 v4, v4, v5
	v_cndmask_b32_e32 v5, v4, v13, vcc
	v_and_b32_e32 v4, 0x7f800000, v5
	v_cmp_ne_u32_e64 s[24:25], s96, v4
                                        ; implicit-def: $vgpr4
	s_and_saveexec_b64 s[28:29], s[24:25]
	s_xor_b64 s[24:25], exec, s[28:29]
; %bb.1221:                             ;   in Loop: Header=BB18_955 Depth=2
	v_bfe_u32 v4, v5, 16, 1
	v_add3_u32 v4, v5, v4, s97
                                        ; implicit-def: $vgpr5
; %bb.1222:                             ;   in Loop: Header=BB18_955 Depth=2
	s_andn2_saveexec_b64 s[28:29], s[24:25]
; %bb.1223:                             ;   in Loop: Header=BB18_955 Depth=2
	v_or_b32_e32 v4, 0x10000, v5
	v_cmp_eq_u32_sdwa s[24:25], v5, v3 src0_sel:WORD_0 src1_sel:DWORD
	s_nop 1
	v_cndmask_b32_e64 v4, v4, v5, s[24:25]
; %bb.1224:                             ;   in Loop: Header=BB18_955 Depth=2
	s_or_b64 exec, exec, s[28:29]
	v_and_b32_e32 v5, 0xffff0000, v14
	v_and_b32_e32 v10, 0xffff0000, v10
	v_max_f32_e32 v10, v10, v10
	v_max_f32_e32 v5, v5, v5
	v_min_f32_e32 v13, v5, v10
	v_max_f32_e32 v5, v5, v10
	v_cndmask_b32_e32 v10, v5, v13, vcc
	v_and_b32_e32 v5, 0x7f800000, v10
	v_cmp_ne_u32_e64 s[24:25], s96, v5
                                        ; implicit-def: $vgpr5
	s_and_saveexec_b64 s[28:29], s[24:25]
	s_xor_b64 s[24:25], exec, s[28:29]
; %bb.1225:                             ;   in Loop: Header=BB18_955 Depth=2
	v_bfe_u32 v5, v10, 16, 1
	v_add3_u32 v5, v10, v5, s97
                                        ; implicit-def: $vgpr10
; %bb.1226:                             ;   in Loop: Header=BB18_955 Depth=2
	s_andn2_saveexec_b64 s[28:29], s[24:25]
; %bb.1227:                             ;   in Loop: Header=BB18_955 Depth=2
	v_or_b32_e32 v5, 0x10000, v10
	v_cmp_eq_u32_sdwa s[24:25], v10, v3 src0_sel:WORD_0 src1_sel:DWORD
	s_nop 1
	v_cndmask_b32_e64 v5, v5, v10, s[24:25]
; %bb.1228:                             ;   in Loop: Header=BB18_955 Depth=2
	s_or_b64 exec, exec, s[28:29]
	v_lshlrev_b32_e32 v10, 16, v15
	v_lshlrev_b32_e32 v13, 16, v11
	v_max_f32_e32 v13, v13, v13
	v_max_f32_e32 v10, v10, v10
	v_min_f32_e32 v14, v10, v13
	v_max_f32_e32 v10, v10, v13
	v_cndmask_b32_e32 v13, v10, v14, vcc
	v_and_b32_e32 v10, 0x7f800000, v13
	v_cmp_ne_u32_e64 s[24:25], s96, v10
                                        ; implicit-def: $vgpr10
	s_and_saveexec_b64 s[28:29], s[24:25]
	s_xor_b64 s[24:25], exec, s[28:29]
; %bb.1229:                             ;   in Loop: Header=BB18_955 Depth=2
	v_bfe_u32 v10, v13, 16, 1
	v_add3_u32 v10, v13, v10, s97
                                        ; implicit-def: $vgpr13
; %bb.1230:                             ;   in Loop: Header=BB18_955 Depth=2
	s_andn2_saveexec_b64 s[28:29], s[24:25]
; %bb.1231:                             ;   in Loop: Header=BB18_955 Depth=2
	v_or_b32_e32 v10, 0x10000, v13
	v_cmp_eq_u32_sdwa s[24:25], v13, v3 src0_sel:WORD_0 src1_sel:DWORD
	s_nop 1
	v_cndmask_b32_e64 v10, v10, v13, s[24:25]
; %bb.1232:                             ;   in Loop: Header=BB18_955 Depth=2
	s_or_b64 exec, exec, s[28:29]
	v_and_b32_e32 v13, 0xffff0000, v15
	v_and_b32_e32 v11, 0xffff0000, v11
	v_max_f32_e32 v11, v11, v11
	v_max_f32_e32 v13, v13, v13
	v_min_f32_e32 v14, v13, v11
	v_max_f32_e32 v11, v13, v11
	v_cndmask_b32_e32 v13, v11, v14, vcc
	v_and_b32_e32 v11, 0x7f800000, v13
	v_cmp_ne_u32_e32 vcc, s96, v11
                                        ; implicit-def: $vgpr11
	s_and_saveexec_b64 s[24:25], vcc
	s_xor_b64 s[24:25], exec, s[24:25]
; %bb.1233:                             ;   in Loop: Header=BB18_955 Depth=2
	v_bfe_u32 v11, v13, 16, 1
	v_add3_u32 v11, v13, v11, s97
                                        ; implicit-def: $vgpr13
; %bb.1234:                             ;   in Loop: Header=BB18_955 Depth=2
	s_andn2_saveexec_b64 s[24:25], s[24:25]
; %bb.1235:                             ;   in Loop: Header=BB18_955 Depth=2
	v_or_b32_e32 v11, 0x10000, v13
	v_cmp_eq_u32_sdwa vcc, v13, v3 src0_sel:WORD_0 src1_sel:DWORD
	s_nop 1
	v_cndmask_b32_e32 v11, v11, v13, vcc
; %bb.1236:                             ;   in Loop: Header=BB18_955 Depth=2
	s_or_b64 exec, exec, s[24:25]
	v_lshrrev_b32_e32 v13, 16, v20
	v_and_or_b32 v15, v17, s44, v13
	v_lshrrev_b32_e32 v13, 16, v24
	v_and_or_b32 v14, v16, s44, v13
	;; [unrolled: 2-line block ×3, first 2 shown]
	v_lshrrev_b32_e32 v13, 16, v22
	v_lshrrev_b32_e32 v12, 16, v12
	;; [unrolled: 1-line block ×3, first 2 shown]
	v_and_or_b32 v17, v19, s44, v13
	v_and_or_b32 v19, v9, s44, v12
	v_lshrrev_b32_e32 v9, 16, v23
	v_and_or_b32 v20, v5, s44, v4
	v_lshrrev_b32_e32 v4, 16, v10
	v_and_or_b32 v18, v8, s44, v9
	v_and_or_b32 v21, v11, s44, v4
	global_store_dwordx4 v[92:93], v[14:17], off
	global_store_dwordx4 v[92:93], v[18:21], off offset:1024
	global_store_dwordx4 v[90:91], v[14:17], off
	global_store_dwordx4 v[90:91], v[18:21], off offset:1024
.LBB18_1237:                            ;   in Loop: Header=BB18_955 Depth=2
	s_or_b64 exec, exec, s[26:27]
	v_lshlrev_b32_e32 v24, 11, v82
	v_cmp_ne_u32_e32 vcc, v63, v24
                                        ; implicit-def: $vgpr17
                                        ; implicit-def: $vgpr16
                                        ; implicit-def: $vgpr4
                                        ; implicit-def: $vgpr18
	s_and_saveexec_b64 s[34:35], vcc
	s_cbranch_execz .LBB18_1357
; %bb.1238:                             ;   in Loop: Header=BB18_955 Depth=2
	v_lshlrev_b32_e32 v5, 6, v73
	v_sub_u32_e32 v5, v107, v5
	v_ashrrev_i32_e32 v8, 31, v5
	v_lshrrev_b32_e32 v8, 26, v8
	v_add_u32_e32 v8, v5, v8
	v_ashrrev_i32_e32 v10, 6, v8
	v_and_b32_e32 v8, 0xffffffc0, v8
	v_sub_u32_e32 v25, v5, v8
	v_lshlrev_b32_e32 v5, 4, v25
	v_sub_u32_e32 v4, v63, v24
	v_lshl_add_u32 v5, v10, 10, v5
	v_add_u32_e32 v8, v5, v24
	v_sub_u32_e32 v33, v4, v5
	v_ashrrev_i32_e32 v5, 31, v4
	v_lshrrev_b32_e32 v5, 22, v5
	v_add_u32_e32 v5, v4, v5
	v_and_b32_e32 v26, 0xfffffc00, v5
	v_sub_u32_e32 v27, v4, v26
	v_ashrrev_i32_e32 v9, 10, v5
	v_cmp_lt_i32_e64 s[24:25], 15, v27
	s_mov_b64 s[26:27], 0
	s_nop 0
	v_addc_co_u32_e64 v4, vcc, 0, v9, s[24:25]
	v_ashrrev_i32_e32 v9, 31, v8
	v_sub_u32_e32 v32, v4, v10
	v_lshl_add_u64 v[16:17], v[8:9], 0, v[78:79]
	v_lshl_add_u64 v[18:19], v[8:9], 0, v[88:89]
	v_cmp_lt_i32_e32 vcc, 15, v33
	s_and_saveexec_b64 s[36:37], vcc
	s_cbranch_execz .LBB18_1319
; %bb.1239:                             ;   in Loop: Header=BB18_955 Depth=2
	s_trap 2
	ds_read_b64 v[4:5], v0
	s_and_b32 s26, 0xffff, s43
	s_cmp_eq_u32 s26, 0
	v_lshl_add_u64 v[20:21], v[8:9], 0, v[58:59]
	s_mov_b64 s[50:51], 0
	s_waitcnt lgkmcnt(0)
	v_lshl_add_u64 v[22:23], v[4:5], 0, v[8:9]
	s_mov_b64 s[38:39], 0
	s_cselect_b64 s[26:27], -1, 0
                                        ; implicit-def: $sgpr48_sgpr49
	s_branch .LBB18_1241
.LBB18_1240:                            ;   in Loop: Header=BB18_1241 Depth=3
	s_or_b64 exec, exec, s[28:29]
	v_cmp_gt_i32_e32 vcc, 16, v33
	s_or_b64 s[38:39], vcc, s[38:39]
	s_andn2_b64 s[28:29], s[48:49], exec
	s_and_b64 s[40:41], s[50:51], exec
	s_or_b64 s[48:49], s[28:29], s[40:41]
	s_andn2_b64 exec, exec, s[38:39]
	s_cbranch_execz .LBB18_1318
.LBB18_1241:                            ;   Parent Loop BB18_47 Depth=1
                                        ;     Parent Loop BB18_955 Depth=2
                                        ; =>    This Loop Header: Depth=3
                                        ;         Child Loop BB18_1242 Depth 4
                                        ;         Child Loop BB18_1277 Depth 4
	;; [unrolled: 1-line block ×4, first 2 shown]
	s_add_i32 s28, s33, 0xc0
	s_mov_b32 s81, s28
	s_mov_b64 s[52:53], -1
	s_mov_b64 s[54:55], 0
.LBB18_1242:                            ;   Parent Loop BB18_47 Depth=1
                                        ;     Parent Loop BB18_955 Depth=2
                                        ;       Parent Loop BB18_1241 Depth=3
                                        ; =>      This Inner Loop Header: Depth=4
	s_cmp_eq_u32 s54, 1
	s_cselect_b64 vcc, -1, 0
	v_cndmask_b32_e32 v5, v21, v23, vcc
	v_cndmask_b32_e32 v4, v20, v22, vcc
	global_load_dwordx4 v[8:11], v[4:5], off nt
	s_cmp_eq_u32 s54, 0
	v_lshl_add_u64 v[4:5], v[4:5], 0, s[58:59]
	s_cselect_b64 s[28:29], -1, 0
	s_and_b64 s[40:41], exec, s[52:53]
	s_mov_b64 s[54:55], 1
	s_mov_b64 s[52:53], 0
	v_cndmask_b32_e64 v21, v21, v5, s[28:29]
	v_cndmask_b32_e64 v20, v20, v4, s[28:29]
	v_cndmask_b32_e32 v23, v23, v5, vcc
	v_cndmask_b32_e32 v22, v22, v4, vcc
	s_mov_b64 vcc, s[40:41]
	s_waitcnt vmcnt(0)
	scratch_store_dwordx4 off, v[8:11], s81
	s_mov_b32 s81, s74
	s_cbranch_vccnz .LBB18_1242
; %bb.1243:                             ;   in Loop: Header=BB18_1241 Depth=3
	s_and_saveexec_b64 s[52:53], s[50:51]
	s_cbranch_execz .LBB18_1279
; %bb.1244:                             ;   in Loop: Header=BB18_1241 Depth=3
	scratch_load_dwordx4 v[8:11], off, s33 offset:224
	scratch_load_dwordx4 v[12:15], off, s33 offset:240
	s_waitcnt vmcnt(1)
	v_lshlrev_b32_e32 v4, 16, v8
	s_waitcnt vmcnt(0)
	v_lshlrev_b32_e32 v5, 16, v12
	v_max_f32_e32 v5, v5, v5
	v_max_f32_e32 v4, v4, v4
	v_min_f32_e32 v28, v4, v5
	v_max_f32_e32 v4, v4, v5
	v_cndmask_b32_e64 v4, v4, v28, s[26:27]
	v_and_b32_e32 v5, 0x7f800000, v4
	v_cmp_ne_u32_e32 vcc, s96, v5
                                        ; implicit-def: $vgpr28
	s_and_saveexec_b64 s[28:29], vcc
	s_xor_b64 s[28:29], exec, s[28:29]
; %bb.1245:                             ;   in Loop: Header=BB18_1241 Depth=3
	v_bfe_u32 v5, v4, 16, 1
	v_add3_u32 v28, v4, v5, s97
                                        ; implicit-def: $vgpr4
; %bb.1246:                             ;   in Loop: Header=BB18_1241 Depth=3
	s_andn2_saveexec_b64 s[28:29], s[28:29]
; %bb.1247:                             ;   in Loop: Header=BB18_1241 Depth=3
	v_or_b32_e32 v5, 0x10000, v4
	v_cmp_eq_u32_sdwa vcc, v4, v3 src0_sel:WORD_0 src1_sel:DWORD
	s_nop 1
	v_cndmask_b32_e32 v28, v5, v4, vcc
; %bb.1248:                             ;   in Loop: Header=BB18_1241 Depth=3
	s_or_b64 exec, exec, s[28:29]
	v_and_b32_e32 v4, 0xffff0000, v8
	v_and_b32_e32 v5, 0xffff0000, v12
	v_max_f32_e32 v5, v5, v5
	v_max_f32_e32 v4, v4, v4
	v_min_f32_e32 v8, v4, v5
	v_max_f32_e32 v4, v4, v5
	v_cndmask_b32_e64 v4, v4, v8, s[26:27]
	v_and_b32_e32 v5, 0x7f800000, v4
	v_cmp_ne_u32_e32 vcc, s96, v5
                                        ; implicit-def: $vgpr8
	s_and_saveexec_b64 s[28:29], vcc
	s_xor_b64 s[28:29], exec, s[28:29]
; %bb.1249:                             ;   in Loop: Header=BB18_1241 Depth=3
	v_bfe_u32 v5, v4, 16, 1
	v_add3_u32 v8, v4, v5, s97
                                        ; implicit-def: $vgpr4
; %bb.1250:                             ;   in Loop: Header=BB18_1241 Depth=3
	s_andn2_saveexec_b64 s[28:29], s[28:29]
; %bb.1251:                             ;   in Loop: Header=BB18_1241 Depth=3
	v_or_b32_e32 v5, 0x10000, v4
	v_cmp_eq_u32_sdwa vcc, v4, v3 src0_sel:WORD_0 src1_sel:DWORD
	s_nop 1
	v_cndmask_b32_e32 v8, v5, v4, vcc
; %bb.1252:                             ;   in Loop: Header=BB18_1241 Depth=3
	s_or_b64 exec, exec, s[28:29]
	v_lshlrev_b32_e32 v4, 16, v9
	v_lshlrev_b32_e32 v5, 16, v13
	v_max_f32_e32 v5, v5, v5
	v_max_f32_e32 v4, v4, v4
	v_min_f32_e32 v12, v4, v5
	v_max_f32_e32 v4, v4, v5
	v_cndmask_b32_e64 v4, v4, v12, s[26:27]
	v_and_b32_e32 v5, 0x7f800000, v4
	v_cmp_ne_u32_e32 vcc, s96, v5
                                        ; implicit-def: $vgpr12
	s_and_saveexec_b64 s[28:29], vcc
	s_xor_b64 s[28:29], exec, s[28:29]
; %bb.1253:                             ;   in Loop: Header=BB18_1241 Depth=3
	v_bfe_u32 v5, v4, 16, 1
	v_add3_u32 v12, v4, v5, s97
                                        ; implicit-def: $vgpr4
; %bb.1254:                             ;   in Loop: Header=BB18_1241 Depth=3
	s_andn2_saveexec_b64 s[28:29], s[28:29]
; %bb.1255:                             ;   in Loop: Header=BB18_1241 Depth=3
	v_or_b32_e32 v5, 0x10000, v4
	v_cmp_eq_u32_sdwa vcc, v4, v3 src0_sel:WORD_0 src1_sel:DWORD
	s_nop 1
	v_cndmask_b32_e32 v12, v5, v4, vcc
; %bb.1256:                             ;   in Loop: Header=BB18_1241 Depth=3
	s_or_b64 exec, exec, s[28:29]
	v_and_b32_e32 v4, 0xffff0000, v9
	v_and_b32_e32 v5, 0xffff0000, v13
	v_max_f32_e32 v5, v5, v5
	v_max_f32_e32 v4, v4, v4
	v_min_f32_e32 v9, v4, v5
	v_max_f32_e32 v4, v4, v5
	v_cndmask_b32_e64 v4, v4, v9, s[26:27]
	v_and_b32_e32 v5, 0x7f800000, v4
	v_cmp_ne_u32_e32 vcc, s96, v5
                                        ; implicit-def: $vgpr9
	s_and_saveexec_b64 s[28:29], vcc
	s_xor_b64 s[28:29], exec, s[28:29]
; %bb.1257:                             ;   in Loop: Header=BB18_1241 Depth=3
	v_bfe_u32 v5, v4, 16, 1
	v_add3_u32 v9, v4, v5, s97
                                        ; implicit-def: $vgpr4
; %bb.1258:                             ;   in Loop: Header=BB18_1241 Depth=3
	s_andn2_saveexec_b64 s[28:29], s[28:29]
; %bb.1259:                             ;   in Loop: Header=BB18_1241 Depth=3
	v_or_b32_e32 v5, 0x10000, v4
	v_cmp_eq_u32_sdwa vcc, v4, v3 src0_sel:WORD_0 src1_sel:DWORD
	s_nop 1
	v_cndmask_b32_e32 v9, v5, v4, vcc
; %bb.1260:                             ;   in Loop: Header=BB18_1241 Depth=3
	s_or_b64 exec, exec, s[28:29]
	v_lshlrev_b32_e32 v4, 16, v10
	v_lshlrev_b32_e32 v5, 16, v14
	v_max_f32_e32 v5, v5, v5
	v_max_f32_e32 v4, v4, v4
	v_min_f32_e32 v13, v4, v5
	v_max_f32_e32 v4, v4, v5
	v_cndmask_b32_e64 v5, v4, v13, s[26:27]
	v_and_b32_e32 v4, 0x7f800000, v5
	v_cmp_ne_u32_e32 vcc, s96, v4
                                        ; implicit-def: $vgpr4
	s_and_saveexec_b64 s[28:29], vcc
	s_xor_b64 s[28:29], exec, s[28:29]
; %bb.1261:                             ;   in Loop: Header=BB18_1241 Depth=3
	v_bfe_u32 v4, v5, 16, 1
	v_add3_u32 v4, v5, v4, s97
                                        ; implicit-def: $vgpr5
; %bb.1262:                             ;   in Loop: Header=BB18_1241 Depth=3
	s_andn2_saveexec_b64 s[28:29], s[28:29]
; %bb.1263:                             ;   in Loop: Header=BB18_1241 Depth=3
	v_or_b32_e32 v4, 0x10000, v5
	v_cmp_eq_u32_sdwa vcc, v5, v3 src0_sel:WORD_0 src1_sel:DWORD
	s_nop 1
	v_cndmask_b32_e32 v4, v4, v5, vcc
; %bb.1264:                             ;   in Loop: Header=BB18_1241 Depth=3
	s_or_b64 exec, exec, s[28:29]
	v_and_b32_e32 v5, 0xffff0000, v10
	v_and_b32_e32 v10, 0xffff0000, v14
	v_max_f32_e32 v10, v10, v10
	v_max_f32_e32 v5, v5, v5
	v_min_f32_e32 v13, v5, v10
	v_max_f32_e32 v5, v5, v10
	v_cndmask_b32_e64 v10, v5, v13, s[26:27]
	v_and_b32_e32 v5, 0x7f800000, v10
	v_cmp_ne_u32_e32 vcc, s96, v5
                                        ; implicit-def: $vgpr5
	s_and_saveexec_b64 s[28:29], vcc
	s_xor_b64 s[28:29], exec, s[28:29]
; %bb.1265:                             ;   in Loop: Header=BB18_1241 Depth=3
	v_bfe_u32 v5, v10, 16, 1
	v_add3_u32 v5, v10, v5, s97
                                        ; implicit-def: $vgpr10
; %bb.1266:                             ;   in Loop: Header=BB18_1241 Depth=3
	s_andn2_saveexec_b64 s[28:29], s[28:29]
; %bb.1267:                             ;   in Loop: Header=BB18_1241 Depth=3
	v_or_b32_e32 v5, 0x10000, v10
	v_cmp_eq_u32_sdwa vcc, v10, v3 src0_sel:WORD_0 src1_sel:DWORD
	s_nop 1
	v_cndmask_b32_e32 v5, v5, v10, vcc
; %bb.1268:                             ;   in Loop: Header=BB18_1241 Depth=3
	s_or_b64 exec, exec, s[28:29]
	v_lshlrev_b32_e32 v10, 16, v11
	v_lshlrev_b32_e32 v13, 16, v15
	v_max_f32_e32 v13, v13, v13
	v_max_f32_e32 v10, v10, v10
	v_min_f32_e32 v14, v10, v13
	v_max_f32_e32 v10, v10, v13
	v_cndmask_b32_e64 v10, v10, v14, s[26:27]
	v_and_b32_e32 v13, 0x7f800000, v10
	v_cmp_ne_u32_e32 vcc, s96, v13
                                        ; implicit-def: $vgpr13
	s_and_saveexec_b64 s[28:29], vcc
	s_xor_b64 s[28:29], exec, s[28:29]
; %bb.1269:                             ;   in Loop: Header=BB18_1241 Depth=3
	v_bfe_u32 v13, v10, 16, 1
	v_add3_u32 v13, v10, v13, s97
                                        ; implicit-def: $vgpr10
; %bb.1270:                             ;   in Loop: Header=BB18_1241 Depth=3
	s_andn2_saveexec_b64 s[28:29], s[28:29]
; %bb.1271:                             ;   in Loop: Header=BB18_1241 Depth=3
	v_or_b32_e32 v13, 0x10000, v10
	v_cmp_eq_u32_sdwa vcc, v10, v3 src0_sel:WORD_0 src1_sel:DWORD
	s_nop 1
	v_cndmask_b32_e32 v13, v13, v10, vcc
; %bb.1272:                             ;   in Loop: Header=BB18_1241 Depth=3
	s_or_b64 exec, exec, s[28:29]
	v_and_b32_e32 v10, 0xffff0000, v11
	v_and_b32_e32 v11, 0xffff0000, v15
	v_max_f32_e32 v11, v11, v11
	v_max_f32_e32 v10, v10, v10
	v_min_f32_e32 v14, v10, v11
	v_max_f32_e32 v10, v10, v11
	v_cndmask_b32_e64 v10, v10, v14, s[26:27]
	v_and_b32_e32 v11, 0x7f800000, v10
	v_cmp_ne_u32_e32 vcc, s96, v11
                                        ; implicit-def: $vgpr11
	s_and_saveexec_b64 s[28:29], vcc
	s_xor_b64 s[28:29], exec, s[28:29]
; %bb.1273:                             ;   in Loop: Header=BB18_1241 Depth=3
	v_bfe_u32 v11, v10, 16, 1
	v_add3_u32 v11, v10, v11, s97
                                        ; implicit-def: $vgpr10
; %bb.1274:                             ;   in Loop: Header=BB18_1241 Depth=3
	s_andn2_saveexec_b64 s[28:29], s[28:29]
; %bb.1275:                             ;   in Loop: Header=BB18_1241 Depth=3
	v_or_b32_e32 v11, 0x10000, v10
	v_cmp_eq_u32_sdwa vcc, v10, v3 src0_sel:WORD_0 src1_sel:DWORD
	s_nop 1
	v_cndmask_b32_e32 v11, v11, v10, vcc
; %bb.1276:                             ;   in Loop: Header=BB18_1241 Depth=3
	s_or_b64 exec, exec, s[28:29]
	v_lshrrev_b32_e32 v10, 16, v12
	v_and_or_b32 v9, v9, s44, v10
	v_lshrrev_b32_e32 v10, 16, v28
	v_lshrrev_b32_e32 v4, 16, v4
	v_and_or_b32 v8, v8, s44, v10
	v_and_or_b32 v10, v5, s44, v4
	v_lshrrev_b32_e32 v4, 16, v13
	v_and_or_b32 v11, v11, s44, v4
	s_mov_b64 s[54:55], 0
	s_mov_b64 s[50:51], -1
	scratch_store_dwordx4 off, v[8:11], s33 offset:224
.LBB18_1277:                            ;   Parent Loop BB18_47 Depth=1
                                        ;     Parent Loop BB18_955 Depth=2
                                        ;       Parent Loop BB18_1241 Depth=3
                                        ; =>      This Inner Loop Header: Depth=4
	s_cmp_eq_u32 s54, 1
	s_cselect_b64 vcc, -1, 0
	v_cndmask_b32_e32 v5, v17, v19, vcc
	s_cmp_eq_u32 s54, 0
	v_cndmask_b32_e32 v4, v16, v18, vcc
	global_store_dwordx4 v[4:5], v[8:11], off
	v_lshl_add_u64 v[4:5], v[4:5], 0, s[58:59]
	s_cselect_b64 s[28:29], -1, 0
	s_and_b64 s[40:41], exec, s[50:51]
	s_mov_b64 s[54:55], 1
	s_mov_b64 s[50:51], 0
	v_cndmask_b32_e32 v19, v19, v5, vcc
	v_cndmask_b32_e32 v18, v18, v4, vcc
	v_cndmask_b32_e64 v17, v17, v5, s[28:29]
	v_cndmask_b32_e64 v16, v16, v4, s[28:29]
	s_mov_b64 vcc, s[40:41]
	s_cbranch_vccnz .LBB18_1277
; %bb.1278:                             ;   in Loop: Header=BB18_1241 Depth=3
	v_lshl_add_u64 v[16:17], v[16:17], 0, v[114:115]
	v_lshl_add_u64 v[18:19], v[18:19], 0, v[114:115]
.LBB18_1279:                            ;   in Loop: Header=BB18_1241 Depth=3
	s_or_b64 exec, exec, s[52:53]
	v_sub_u32_e32 v33, v33, v109
	v_lshl_add_u64 v[20:21], v[20:21], 0, v[114:115]
	v_lshl_add_u64 v[22:23], v[22:23], 0, v[114:115]
	v_cmp_lt_i32_e64 s[50:51], 15, v33
	s_and_saveexec_b64 s[40:41], s[50:51]
	s_cbranch_execz .LBB18_1282
; %bb.1280:                             ;   in Loop: Header=BB18_1241 Depth=3
	s_add_i32 s28, s33, 0xe0
	s_mov_b32 s75, s28
	s_mov_b64 s[28:29], 0
	s_mov_b64 s[52:53], -1
.LBB18_1281:                            ;   Parent Loop BB18_47 Depth=1
                                        ;     Parent Loop BB18_955 Depth=2
                                        ;       Parent Loop BB18_1241 Depth=3
                                        ; =>      This Inner Loop Header: Depth=4
	s_cmp_eq_u32 s28, 1
	s_cselect_b64 vcc, -1, 0
	v_cndmask_b32_e32 v5, v21, v23, vcc
	v_cndmask_b32_e32 v4, v20, v22, vcc
	global_load_dwordx4 v[8:11], v[4:5], off nt
	s_cmp_eq_u32 s28, 0
	v_lshl_add_u64 v[4:5], v[4:5], 0, s[58:59]
	s_cselect_b64 s[28:29], -1, 0
	v_cndmask_b32_e64 v21, v21, v5, s[28:29]
	v_cndmask_b32_e64 v20, v20, v4, s[28:29]
	v_cndmask_b32_e32 v23, v23, v5, vcc
	v_cndmask_b32_e32 v22, v22, v4, vcc
	s_mov_b64 s[28:29], 1
	s_and_b64 vcc, exec, s[52:53]
	s_mov_b64 s[52:53], 0
	s_waitcnt vmcnt(0)
	scratch_store_dwordx4 off, v[8:11], s75
	s_mov_b32 s75, s80
	s_cbranch_vccnz .LBB18_1281
.LBB18_1282:                            ;   in Loop: Header=BB18_1241 Depth=3
	s_or_b64 exec, exec, s[40:41]
	scratch_load_dwordx4 v[8:11], off, s33 offset:192
	scratch_load_dwordx4 v[12:15], off, s33 offset:208
	s_waitcnt vmcnt(1)
	v_lshlrev_b32_e32 v4, 16, v8
	s_waitcnt vmcnt(0)
	v_lshlrev_b32_e32 v5, 16, v12
	v_max_f32_e32 v5, v5, v5
	v_max_f32_e32 v4, v4, v4
	v_min_f32_e32 v28, v4, v5
	v_max_f32_e32 v4, v4, v5
	v_cndmask_b32_e64 v4, v4, v28, s[26:27]
	v_and_b32_e32 v5, 0x7f800000, v4
	v_cmp_ne_u32_e32 vcc, s96, v5
                                        ; implicit-def: $vgpr28
	s_and_saveexec_b64 s[28:29], vcc
	s_xor_b64 s[28:29], exec, s[28:29]
; %bb.1283:                             ;   in Loop: Header=BB18_1241 Depth=3
	v_bfe_u32 v5, v4, 16, 1
	v_add3_u32 v28, v4, v5, s97
                                        ; implicit-def: $vgpr4
; %bb.1284:                             ;   in Loop: Header=BB18_1241 Depth=3
	s_andn2_saveexec_b64 s[28:29], s[28:29]
; %bb.1285:                             ;   in Loop: Header=BB18_1241 Depth=3
	v_or_b32_e32 v5, 0x10000, v4
	v_cmp_eq_u32_sdwa vcc, v4, v3 src0_sel:WORD_0 src1_sel:DWORD
	s_nop 1
	v_cndmask_b32_e32 v28, v5, v4, vcc
; %bb.1286:                             ;   in Loop: Header=BB18_1241 Depth=3
	s_or_b64 exec, exec, s[28:29]
	v_and_b32_e32 v4, 0xffff0000, v8
	v_and_b32_e32 v5, 0xffff0000, v12
	v_max_f32_e32 v5, v5, v5
	v_max_f32_e32 v4, v4, v4
	v_min_f32_e32 v8, v4, v5
	v_max_f32_e32 v4, v4, v5
	v_cndmask_b32_e64 v4, v4, v8, s[26:27]
	v_and_b32_e32 v5, 0x7f800000, v4
	v_cmp_ne_u32_e32 vcc, s96, v5
                                        ; implicit-def: $vgpr8
	s_and_saveexec_b64 s[28:29], vcc
	s_xor_b64 s[28:29], exec, s[28:29]
; %bb.1287:                             ;   in Loop: Header=BB18_1241 Depth=3
	v_bfe_u32 v5, v4, 16, 1
	v_add3_u32 v8, v4, v5, s97
                                        ; implicit-def: $vgpr4
; %bb.1288:                             ;   in Loop: Header=BB18_1241 Depth=3
	s_andn2_saveexec_b64 s[28:29], s[28:29]
; %bb.1289:                             ;   in Loop: Header=BB18_1241 Depth=3
	v_or_b32_e32 v5, 0x10000, v4
	v_cmp_eq_u32_sdwa vcc, v4, v3 src0_sel:WORD_0 src1_sel:DWORD
	s_nop 1
	v_cndmask_b32_e32 v8, v5, v4, vcc
; %bb.1290:                             ;   in Loop: Header=BB18_1241 Depth=3
	s_or_b64 exec, exec, s[28:29]
	v_lshlrev_b32_e32 v4, 16, v9
	v_lshlrev_b32_e32 v5, 16, v13
	v_max_f32_e32 v5, v5, v5
	v_max_f32_e32 v4, v4, v4
	v_min_f32_e32 v12, v4, v5
	v_max_f32_e32 v4, v4, v5
	v_cndmask_b32_e64 v4, v4, v12, s[26:27]
	v_and_b32_e32 v5, 0x7f800000, v4
	v_cmp_ne_u32_e32 vcc, s96, v5
                                        ; implicit-def: $vgpr12
	s_and_saveexec_b64 s[28:29], vcc
	s_xor_b64 s[28:29], exec, s[28:29]
; %bb.1291:                             ;   in Loop: Header=BB18_1241 Depth=3
	v_bfe_u32 v5, v4, 16, 1
	v_add3_u32 v12, v4, v5, s97
                                        ; implicit-def: $vgpr4
; %bb.1292:                             ;   in Loop: Header=BB18_1241 Depth=3
	s_andn2_saveexec_b64 s[28:29], s[28:29]
; %bb.1293:                             ;   in Loop: Header=BB18_1241 Depth=3
	v_or_b32_e32 v5, 0x10000, v4
	v_cmp_eq_u32_sdwa vcc, v4, v3 src0_sel:WORD_0 src1_sel:DWORD
	s_nop 1
	v_cndmask_b32_e32 v12, v5, v4, vcc
; %bb.1294:                             ;   in Loop: Header=BB18_1241 Depth=3
	s_or_b64 exec, exec, s[28:29]
	v_and_b32_e32 v4, 0xffff0000, v9
	v_and_b32_e32 v5, 0xffff0000, v13
	v_max_f32_e32 v5, v5, v5
	v_max_f32_e32 v4, v4, v4
	v_min_f32_e32 v9, v4, v5
	v_max_f32_e32 v4, v4, v5
	v_cndmask_b32_e64 v4, v4, v9, s[26:27]
	v_and_b32_e32 v5, 0x7f800000, v4
	v_cmp_ne_u32_e32 vcc, s96, v5
                                        ; implicit-def: $vgpr9
	s_and_saveexec_b64 s[28:29], vcc
	s_xor_b64 s[28:29], exec, s[28:29]
; %bb.1295:                             ;   in Loop: Header=BB18_1241 Depth=3
	v_bfe_u32 v5, v4, 16, 1
	v_add3_u32 v9, v4, v5, s97
                                        ; implicit-def: $vgpr4
; %bb.1296:                             ;   in Loop: Header=BB18_1241 Depth=3
	s_andn2_saveexec_b64 s[28:29], s[28:29]
; %bb.1297:                             ;   in Loop: Header=BB18_1241 Depth=3
	v_or_b32_e32 v5, 0x10000, v4
	v_cmp_eq_u32_sdwa vcc, v4, v3 src0_sel:WORD_0 src1_sel:DWORD
	s_nop 1
	v_cndmask_b32_e32 v9, v5, v4, vcc
; %bb.1298:                             ;   in Loop: Header=BB18_1241 Depth=3
	s_or_b64 exec, exec, s[28:29]
	v_lshlrev_b32_e32 v4, 16, v10
	v_lshlrev_b32_e32 v5, 16, v14
	v_max_f32_e32 v5, v5, v5
	v_max_f32_e32 v4, v4, v4
	v_min_f32_e32 v13, v4, v5
	v_max_f32_e32 v4, v4, v5
	v_cndmask_b32_e64 v5, v4, v13, s[26:27]
	v_and_b32_e32 v4, 0x7f800000, v5
	v_cmp_ne_u32_e32 vcc, s96, v4
                                        ; implicit-def: $vgpr4
	s_and_saveexec_b64 s[28:29], vcc
	s_xor_b64 s[28:29], exec, s[28:29]
; %bb.1299:                             ;   in Loop: Header=BB18_1241 Depth=3
	v_bfe_u32 v4, v5, 16, 1
	v_add3_u32 v4, v5, v4, s97
                                        ; implicit-def: $vgpr5
; %bb.1300:                             ;   in Loop: Header=BB18_1241 Depth=3
	s_andn2_saveexec_b64 s[28:29], s[28:29]
; %bb.1301:                             ;   in Loop: Header=BB18_1241 Depth=3
	v_or_b32_e32 v4, 0x10000, v5
	v_cmp_eq_u32_sdwa vcc, v5, v3 src0_sel:WORD_0 src1_sel:DWORD
	s_nop 1
	v_cndmask_b32_e32 v4, v4, v5, vcc
; %bb.1302:                             ;   in Loop: Header=BB18_1241 Depth=3
	s_or_b64 exec, exec, s[28:29]
	v_and_b32_e32 v5, 0xffff0000, v10
	v_and_b32_e32 v10, 0xffff0000, v14
	v_max_f32_e32 v10, v10, v10
	v_max_f32_e32 v5, v5, v5
	v_min_f32_e32 v13, v5, v10
	v_max_f32_e32 v5, v5, v10
	v_cndmask_b32_e64 v10, v5, v13, s[26:27]
	v_and_b32_e32 v5, 0x7f800000, v10
	v_cmp_ne_u32_e32 vcc, s96, v5
                                        ; implicit-def: $vgpr5
	s_and_saveexec_b64 s[28:29], vcc
	s_xor_b64 s[28:29], exec, s[28:29]
; %bb.1303:                             ;   in Loop: Header=BB18_1241 Depth=3
	v_bfe_u32 v5, v10, 16, 1
	v_add3_u32 v5, v10, v5, s97
                                        ; implicit-def: $vgpr10
; %bb.1304:                             ;   in Loop: Header=BB18_1241 Depth=3
	s_andn2_saveexec_b64 s[28:29], s[28:29]
; %bb.1305:                             ;   in Loop: Header=BB18_1241 Depth=3
	v_or_b32_e32 v5, 0x10000, v10
	v_cmp_eq_u32_sdwa vcc, v10, v3 src0_sel:WORD_0 src1_sel:DWORD
	s_nop 1
	v_cndmask_b32_e32 v5, v5, v10, vcc
; %bb.1306:                             ;   in Loop: Header=BB18_1241 Depth=3
	s_or_b64 exec, exec, s[28:29]
	v_lshlrev_b32_e32 v10, 16, v11
	v_lshlrev_b32_e32 v13, 16, v15
	v_max_f32_e32 v13, v13, v13
	v_max_f32_e32 v10, v10, v10
	v_min_f32_e32 v14, v10, v13
	v_max_f32_e32 v10, v10, v13
	v_cndmask_b32_e64 v10, v10, v14, s[26:27]
	v_and_b32_e32 v13, 0x7f800000, v10
	v_cmp_ne_u32_e32 vcc, s96, v13
                                        ; implicit-def: $vgpr13
	s_and_saveexec_b64 s[28:29], vcc
	s_xor_b64 s[28:29], exec, s[28:29]
; %bb.1307:                             ;   in Loop: Header=BB18_1241 Depth=3
	v_bfe_u32 v13, v10, 16, 1
	v_add3_u32 v13, v10, v13, s97
                                        ; implicit-def: $vgpr10
; %bb.1308:                             ;   in Loop: Header=BB18_1241 Depth=3
	s_andn2_saveexec_b64 s[28:29], s[28:29]
; %bb.1309:                             ;   in Loop: Header=BB18_1241 Depth=3
	v_or_b32_e32 v13, 0x10000, v10
	v_cmp_eq_u32_sdwa vcc, v10, v3 src0_sel:WORD_0 src1_sel:DWORD
	s_nop 1
	v_cndmask_b32_e32 v13, v13, v10, vcc
; %bb.1310:                             ;   in Loop: Header=BB18_1241 Depth=3
	s_or_b64 exec, exec, s[28:29]
	v_and_b32_e32 v10, 0xffff0000, v11
	v_and_b32_e32 v11, 0xffff0000, v15
	v_max_f32_e32 v11, v11, v11
	v_max_f32_e32 v10, v10, v10
	v_min_f32_e32 v14, v10, v11
	v_max_f32_e32 v10, v10, v11
	v_cndmask_b32_e64 v10, v10, v14, s[26:27]
	v_and_b32_e32 v11, 0x7f800000, v10
	v_cmp_ne_u32_e32 vcc, s96, v11
                                        ; implicit-def: $vgpr11
	s_and_saveexec_b64 s[28:29], vcc
	s_xor_b64 s[28:29], exec, s[28:29]
; %bb.1311:                             ;   in Loop: Header=BB18_1241 Depth=3
	v_bfe_u32 v11, v10, 16, 1
	v_add3_u32 v11, v10, v11, s97
                                        ; implicit-def: $vgpr10
; %bb.1312:                             ;   in Loop: Header=BB18_1241 Depth=3
	s_andn2_saveexec_b64 s[28:29], s[28:29]
; %bb.1313:                             ;   in Loop: Header=BB18_1241 Depth=3
	v_or_b32_e32 v11, 0x10000, v10
	v_cmp_eq_u32_sdwa vcc, v10, v3 src0_sel:WORD_0 src1_sel:DWORD
	s_nop 1
	v_cndmask_b32_e32 v11, v11, v10, vcc
; %bb.1314:                             ;   in Loop: Header=BB18_1241 Depth=3
	s_or_b64 exec, exec, s[28:29]
	v_lshrrev_b32_e32 v10, 16, v12
	v_and_or_b32 v9, v9, s44, v10
	v_lshrrev_b32_e32 v10, 16, v28
	v_lshrrev_b32_e32 v4, 16, v4
	v_and_or_b32 v8, v8, s44, v10
	v_and_or_b32 v10, v5, s44, v4
	v_lshrrev_b32_e32 v4, 16, v13
	v_and_or_b32 v11, v11, s44, v4
	s_mov_b64 s[54:55], 0
	s_mov_b64 s[52:53], -1
	scratch_store_dwordx4 off, v[8:11], s33 offset:192
.LBB18_1315:                            ;   Parent Loop BB18_47 Depth=1
                                        ;     Parent Loop BB18_955 Depth=2
                                        ;       Parent Loop BB18_1241 Depth=3
                                        ; =>      This Inner Loop Header: Depth=4
	s_cmp_eq_u32 s54, 1
	s_cselect_b64 vcc, -1, 0
	v_cndmask_b32_e32 v5, v17, v19, vcc
	s_cmp_eq_u32 s54, 0
	v_cndmask_b32_e32 v4, v16, v18, vcc
	global_store_dwordx4 v[4:5], v[8:11], off
	v_lshl_add_u64 v[4:5], v[4:5], 0, s[58:59]
	s_cselect_b64 s[28:29], -1, 0
	s_and_b64 s[40:41], exec, s[52:53]
	s_mov_b64 s[54:55], 1
	s_mov_b64 s[52:53], 0
	v_cndmask_b32_e32 v19, v19, v5, vcc
	v_cndmask_b32_e32 v18, v18, v4, vcc
	v_cndmask_b32_e64 v17, v17, v5, s[28:29]
	v_cndmask_b32_e64 v16, v16, v4, s[28:29]
	s_mov_b64 vcc, s[40:41]
	s_cbranch_vccnz .LBB18_1315
; %bb.1316:                             ;   in Loop: Header=BB18_1241 Depth=3
	v_sub_u32_e32 v32, v32, v84
	s_and_saveexec_b64 s[28:29], s[50:51]
	s_cbranch_execz .LBB18_1240
; %bb.1317:                             ;   in Loop: Header=BB18_1241 Depth=3
	v_lshl_add_u64 v[16:17], v[16:17], 0, v[114:115]
	v_lshl_add_u64 v[18:19], v[18:19], 0, v[114:115]
	;; [unrolled: 1-line block ×4, first 2 shown]
	v_sub_u32_e32 v33, v33, v109
	v_sub_u32_e32 v32, v32, v84
	s_branch .LBB18_1240
.LBB18_1318:                            ;   in Loop: Header=BB18_955 Depth=2
	s_or_b64 exec, exec, s[38:39]
	s_and_b64 s[26:27], s[48:49], exec
.LBB18_1319:                            ;   in Loop: Header=BB18_955 Depth=2
	s_or_b64 exec, exec, s[36:37]
	s_and_saveexec_b64 s[40:41], s[26:27]
	s_cbranch_execz .LBB18_1354
; %bb.1320:                             ;   in Loop: Header=BB18_955 Depth=2
	scratch_load_dwordx4 v[8:11], off, s33 offset:224
	scratch_load_dwordx4 v[12:15], off, s33 offset:240
	s_and_b32 s26, 0xffff, s43
	s_cmp_eq_u32 s26, 0
	s_cselect_b64 vcc, -1, 0
	s_waitcnt vmcnt(0)
	v_lshlrev_b32_e32 v4, 16, v8
	v_lshlrev_b32_e32 v5, 16, v12
	v_max_f32_e32 v5, v5, v5
	v_max_f32_e32 v4, v4, v4
	v_min_f32_e32 v20, v4, v5
	v_max_f32_e32 v4, v4, v5
	v_cndmask_b32_e32 v4, v4, v20, vcc
	v_and_b32_e32 v5, 0x7f800000, v4
	v_cmp_ne_u32_e64 s[26:27], s96, v5
                                        ; implicit-def: $vgpr20
	s_and_saveexec_b64 s[28:29], s[26:27]
	s_xor_b64 s[26:27], exec, s[28:29]
; %bb.1321:                             ;   in Loop: Header=BB18_955 Depth=2
	v_bfe_u32 v5, v4, 16, 1
	v_add3_u32 v20, v4, v5, s97
                                        ; implicit-def: $vgpr4
; %bb.1322:                             ;   in Loop: Header=BB18_955 Depth=2
	s_andn2_saveexec_b64 s[28:29], s[26:27]
; %bb.1323:                             ;   in Loop: Header=BB18_955 Depth=2
	v_or_b32_e32 v5, 0x10000, v4
	v_cmp_eq_u32_sdwa s[26:27], v4, v3 src0_sel:WORD_0 src1_sel:DWORD
	s_nop 1
	v_cndmask_b32_e64 v20, v5, v4, s[26:27]
; %bb.1324:                             ;   in Loop: Header=BB18_955 Depth=2
	s_or_b64 exec, exec, s[28:29]
	v_and_b32_e32 v4, 0xffff0000, v8
	v_and_b32_e32 v5, 0xffff0000, v12
	v_max_f32_e32 v5, v5, v5
	v_max_f32_e32 v4, v4, v4
	v_min_f32_e32 v8, v4, v5
	v_max_f32_e32 v4, v4, v5
	v_cndmask_b32_e32 v4, v4, v8, vcc
	v_and_b32_e32 v5, 0x7f800000, v4
	v_cmp_ne_u32_e64 s[26:27], s96, v5
                                        ; implicit-def: $vgpr8
	s_and_saveexec_b64 s[28:29], s[26:27]
	s_xor_b64 s[26:27], exec, s[28:29]
; %bb.1325:                             ;   in Loop: Header=BB18_955 Depth=2
	v_bfe_u32 v5, v4, 16, 1
	v_add3_u32 v8, v4, v5, s97
                                        ; implicit-def: $vgpr4
; %bb.1326:                             ;   in Loop: Header=BB18_955 Depth=2
	s_andn2_saveexec_b64 s[28:29], s[26:27]
; %bb.1327:                             ;   in Loop: Header=BB18_955 Depth=2
	v_or_b32_e32 v5, 0x10000, v4
	v_cmp_eq_u32_sdwa s[26:27], v4, v3 src0_sel:WORD_0 src1_sel:DWORD
	s_nop 1
	v_cndmask_b32_e64 v8, v5, v4, s[26:27]
; %bb.1328:                             ;   in Loop: Header=BB18_955 Depth=2
	s_or_b64 exec, exec, s[28:29]
	v_lshlrev_b32_e32 v4, 16, v9
	v_lshlrev_b32_e32 v5, 16, v13
	v_max_f32_e32 v5, v5, v5
	v_max_f32_e32 v4, v4, v4
	v_min_f32_e32 v12, v4, v5
	v_max_f32_e32 v4, v4, v5
	v_cndmask_b32_e32 v4, v4, v12, vcc
	v_and_b32_e32 v5, 0x7f800000, v4
	v_cmp_ne_u32_e64 s[26:27], s96, v5
                                        ; implicit-def: $vgpr12
	s_and_saveexec_b64 s[28:29], s[26:27]
	s_xor_b64 s[26:27], exec, s[28:29]
; %bb.1329:                             ;   in Loop: Header=BB18_955 Depth=2
	v_bfe_u32 v5, v4, 16, 1
	v_add3_u32 v12, v4, v5, s97
                                        ; implicit-def: $vgpr4
; %bb.1330:                             ;   in Loop: Header=BB18_955 Depth=2
	s_andn2_saveexec_b64 s[28:29], s[26:27]
; %bb.1331:                             ;   in Loop: Header=BB18_955 Depth=2
	v_or_b32_e32 v5, 0x10000, v4
	v_cmp_eq_u32_sdwa s[26:27], v4, v3 src0_sel:WORD_0 src1_sel:DWORD
	s_nop 1
	v_cndmask_b32_e64 v12, v5, v4, s[26:27]
; %bb.1332:                             ;   in Loop: Header=BB18_955 Depth=2
	s_or_b64 exec, exec, s[28:29]
	v_and_b32_e32 v4, 0xffff0000, v9
	v_and_b32_e32 v5, 0xffff0000, v13
	v_max_f32_e32 v5, v5, v5
	v_max_f32_e32 v4, v4, v4
	v_min_f32_e32 v9, v4, v5
	v_max_f32_e32 v4, v4, v5
	v_cndmask_b32_e32 v4, v4, v9, vcc
	v_and_b32_e32 v5, 0x7f800000, v4
	v_cmp_ne_u32_e64 s[26:27], s96, v5
                                        ; implicit-def: $vgpr9
	s_and_saveexec_b64 s[28:29], s[26:27]
	s_xor_b64 s[26:27], exec, s[28:29]
; %bb.1333:                             ;   in Loop: Header=BB18_955 Depth=2
	v_bfe_u32 v5, v4, 16, 1
	v_add3_u32 v9, v4, v5, s97
                                        ; implicit-def: $vgpr4
; %bb.1334:                             ;   in Loop: Header=BB18_955 Depth=2
	s_andn2_saveexec_b64 s[28:29], s[26:27]
; %bb.1335:                             ;   in Loop: Header=BB18_955 Depth=2
	v_or_b32_e32 v5, 0x10000, v4
	v_cmp_eq_u32_sdwa s[26:27], v4, v3 src0_sel:WORD_0 src1_sel:DWORD
	s_nop 1
	v_cndmask_b32_e64 v9, v5, v4, s[26:27]
; %bb.1336:                             ;   in Loop: Header=BB18_955 Depth=2
	s_or_b64 exec, exec, s[28:29]
	v_lshlrev_b32_e32 v4, 16, v10
	v_lshlrev_b32_e32 v5, 16, v14
	v_max_f32_e32 v5, v5, v5
	v_max_f32_e32 v4, v4, v4
	v_min_f32_e32 v13, v4, v5
	v_max_f32_e32 v4, v4, v5
	v_cndmask_b32_e32 v5, v4, v13, vcc
	v_and_b32_e32 v4, 0x7f800000, v5
	v_cmp_ne_u32_e64 s[26:27], s96, v4
                                        ; implicit-def: $vgpr4
	s_and_saveexec_b64 s[28:29], s[26:27]
	s_xor_b64 s[26:27], exec, s[28:29]
; %bb.1337:                             ;   in Loop: Header=BB18_955 Depth=2
	v_bfe_u32 v4, v5, 16, 1
	v_add3_u32 v4, v5, v4, s97
                                        ; implicit-def: $vgpr5
; %bb.1338:                             ;   in Loop: Header=BB18_955 Depth=2
	s_andn2_saveexec_b64 s[28:29], s[26:27]
; %bb.1339:                             ;   in Loop: Header=BB18_955 Depth=2
	v_or_b32_e32 v4, 0x10000, v5
	v_cmp_eq_u32_sdwa s[26:27], v5, v3 src0_sel:WORD_0 src1_sel:DWORD
	s_nop 1
	v_cndmask_b32_e64 v4, v4, v5, s[26:27]
; %bb.1340:                             ;   in Loop: Header=BB18_955 Depth=2
	s_or_b64 exec, exec, s[28:29]
	v_and_b32_e32 v5, 0xffff0000, v10
	v_and_b32_e32 v10, 0xffff0000, v14
	v_max_f32_e32 v10, v10, v10
	v_max_f32_e32 v5, v5, v5
	v_min_f32_e32 v13, v5, v10
	v_max_f32_e32 v5, v5, v10
	v_cndmask_b32_e32 v10, v5, v13, vcc
	v_and_b32_e32 v5, 0x7f800000, v10
	v_cmp_ne_u32_e64 s[26:27], s96, v5
                                        ; implicit-def: $vgpr5
	s_and_saveexec_b64 s[28:29], s[26:27]
	s_xor_b64 s[26:27], exec, s[28:29]
; %bb.1341:                             ;   in Loop: Header=BB18_955 Depth=2
	v_bfe_u32 v5, v10, 16, 1
	v_add3_u32 v5, v10, v5, s97
                                        ; implicit-def: $vgpr10
; %bb.1342:                             ;   in Loop: Header=BB18_955 Depth=2
	s_andn2_saveexec_b64 s[28:29], s[26:27]
; %bb.1343:                             ;   in Loop: Header=BB18_955 Depth=2
	v_or_b32_e32 v5, 0x10000, v10
	v_cmp_eq_u32_sdwa s[26:27], v10, v3 src0_sel:WORD_0 src1_sel:DWORD
	s_nop 1
	v_cndmask_b32_e64 v5, v5, v10, s[26:27]
; %bb.1344:                             ;   in Loop: Header=BB18_955 Depth=2
	s_or_b64 exec, exec, s[28:29]
	v_lshlrev_b32_e32 v10, 16, v11
	v_lshlrev_b32_e32 v13, 16, v15
	v_max_f32_e32 v13, v13, v13
	v_max_f32_e32 v10, v10, v10
	v_min_f32_e32 v14, v10, v13
	v_max_f32_e32 v10, v10, v13
	v_cndmask_b32_e32 v10, v10, v14, vcc
	v_and_b32_e32 v13, 0x7f800000, v10
	v_cmp_ne_u32_e64 s[26:27], s96, v13
                                        ; implicit-def: $vgpr13
	s_and_saveexec_b64 s[28:29], s[26:27]
	s_xor_b64 s[26:27], exec, s[28:29]
; %bb.1345:                             ;   in Loop: Header=BB18_955 Depth=2
	v_bfe_u32 v13, v10, 16, 1
	v_add3_u32 v13, v10, v13, s97
                                        ; implicit-def: $vgpr10
; %bb.1346:                             ;   in Loop: Header=BB18_955 Depth=2
	s_andn2_saveexec_b64 s[28:29], s[26:27]
; %bb.1347:                             ;   in Loop: Header=BB18_955 Depth=2
	v_or_b32_e32 v13, 0x10000, v10
	v_cmp_eq_u32_sdwa s[26:27], v10, v3 src0_sel:WORD_0 src1_sel:DWORD
	s_nop 1
	v_cndmask_b32_e64 v13, v13, v10, s[26:27]
; %bb.1348:                             ;   in Loop: Header=BB18_955 Depth=2
	s_or_b64 exec, exec, s[28:29]
	v_and_b32_e32 v10, 0xffff0000, v11
	v_and_b32_e32 v11, 0xffff0000, v15
	v_max_f32_e32 v11, v11, v11
	v_max_f32_e32 v10, v10, v10
	v_min_f32_e32 v14, v10, v11
	v_max_f32_e32 v10, v10, v11
	v_cndmask_b32_e32 v10, v10, v14, vcc
	v_and_b32_e32 v11, 0x7f800000, v10
	v_cmp_ne_u32_e32 vcc, s96, v11
                                        ; implicit-def: $vgpr11
	s_and_saveexec_b64 s[26:27], vcc
	s_xor_b64 s[26:27], exec, s[26:27]
; %bb.1349:                             ;   in Loop: Header=BB18_955 Depth=2
	v_bfe_u32 v11, v10, 16, 1
	v_add3_u32 v11, v10, v11, s97
                                        ; implicit-def: $vgpr10
; %bb.1350:                             ;   in Loop: Header=BB18_955 Depth=2
	s_andn2_saveexec_b64 s[26:27], s[26:27]
; %bb.1351:                             ;   in Loop: Header=BB18_955 Depth=2
	v_or_b32_e32 v11, 0x10000, v10
	v_cmp_eq_u32_sdwa vcc, v10, v3 src0_sel:WORD_0 src1_sel:DWORD
	s_nop 1
	v_cndmask_b32_e32 v11, v11, v10, vcc
; %bb.1352:                             ;   in Loop: Header=BB18_955 Depth=2
	s_or_b64 exec, exec, s[26:27]
	v_lshrrev_b32_e32 v10, 16, v12
	v_and_or_b32 v9, v9, s44, v10
	v_lshrrev_b32_e32 v10, 16, v20
	v_lshrrev_b32_e32 v4, 16, v4
	v_and_or_b32 v8, v8, s44, v10
	v_and_or_b32 v10, v5, s44, v4
	v_lshrrev_b32_e32 v4, 16, v13
	v_and_or_b32 v11, v11, s44, v4
	s_mov_b64 s[38:39], 0
	s_mov_b64 s[36:37], -1
.LBB18_1353:                            ;   Parent Loop BB18_47 Depth=1
                                        ;     Parent Loop BB18_955 Depth=2
                                        ; =>    This Inner Loop Header: Depth=3
	s_cmp_eq_u32 s38, 1
	s_cselect_b64 vcc, -1, 0
	v_cndmask_b32_e32 v5, v17, v19, vcc
	s_cmp_eq_u32 s38, 0
	v_cndmask_b32_e32 v4, v16, v18, vcc
	global_store_dwordx4 v[4:5], v[8:11], off
	v_lshl_add_u64 v[4:5], v[4:5], 0, s[58:59]
	s_cselect_b64 s[26:27], -1, 0
	s_and_b64 s[28:29], exec, s[36:37]
	s_mov_b64 s[38:39], 1
	s_mov_b64 s[36:37], 0
	v_cndmask_b32_e32 v19, v19, v5, vcc
	v_cndmask_b32_e32 v18, v18, v4, vcc
	v_cndmask_b32_e64 v17, v17, v5, s[26:27]
	v_cndmask_b32_e64 v16, v16, v4, s[26:27]
	s_mov_b64 vcc, s[28:29]
	s_cbranch_vccnz .LBB18_1353
.LBB18_1354:                            ;   in Loop: Header=BB18_955 Depth=2
	s_or_b64 exec, exec, s[40:41]
	v_and_b32_e32 v5, 14, v63
	v_cndmask_b32_e64 v17, v27, v5, s[24:25]
	v_cmp_ne_u32_e32 vcc, 0, v17
	s_mov_b64 s[26:27], s[30:31]
                                        ; implicit-def: $vgpr16
                                        ; implicit-def: $vgpr4
                                        ; implicit-def: $vgpr18
	s_and_saveexec_b64 s[28:29], vcc
	s_cbranch_execz .LBB18_1356
; %bb.1355:                             ;   in Loop: Header=BB18_955 Depth=2
	v_sub_u32_e32 v4, v27, v5
	v_cndmask_b32_e64 v4, 0, v4, s[24:25]
	v_cmp_lt_i32_e32 vcc, 0, v32
	v_add3_u32 v16, v26, v24, v4
	s_or_b64 s[26:27], s[30:31], exec
	v_cndmask_b32_e32 v4, 0, v84, vcc
	v_sub_u32_e32 v4, v4, v32
	v_lshl_add_u32 v4, v4, 6, v25
	v_ashrrev_i32_e32 v5, 31, v4
	v_lshrrev_b32_e32 v5, 26, v5
	v_add_u32_e32 v5, v4, v5
	v_and_b32_e32 v5, 0xffffffc0, v5
	v_sub_u32_e32 v18, v4, v5
.LBB18_1356:                            ;   in Loop: Header=BB18_955 Depth=2
	s_or_b64 exec, exec, s[28:29]
	s_andn2_b64 s[24:25], s[30:31], exec
	s_and_b64 s[26:27], s[26:27], exec
	s_or_b64 s[30:31], s[24:25], s[26:27]
.LBB18_1357:                            ;   in Loop: Header=BB18_955 Depth=2
	s_or_b64 exec, exec, s[34:35]
	s_and_saveexec_b64 s[40:41], s[30:31]
	s_cbranch_execz .LBB18_1498
.LBB18_1358:                            ;   in Loop: Header=BB18_955 Depth=2
	v_ashrrev_i32_e32 v5, 31, v4
	v_lshrrev_b32_e32 v5, 26, v5
	v_add_u32_e32 v4, v4, v5
	v_ashrrev_i32_e32 v4, 6, v4
	v_lshlrev_b32_e32 v5, 10, v4
	v_lshlrev_b32_e32 v8, 1, v18
	v_add3_u32 v14, v16, v8, v5
	v_ashrrev_i32_e32 v5, 31, v17
	v_lshrrev_b32_e32 v5, 22, v5
	v_add_u32_e32 v5, v17, v5
	v_ashrrev_i32_e32 v20, 10, v5
	v_ashrrev_i32_e32 v15, 31, v14
	v_sub_u32_e32 v19, v20, v4
	v_lshl_add_u64 v[10:11], v[78:79], 0, v[14:15]
	v_lshl_add_u64 v[8:9], v[88:89], 0, v[14:15]
	v_cmp_lt_i32_e32 vcc, 0, v19
	v_mov_b32_e32 v49, 0
	s_mov_b64 s[24:25], 0
	v_mov_b32_e32 v5, 0
	v_mov_b32_e32 v38, 0
	;; [unrolled: 1-line block ×15, first 2 shown]
	s_and_saveexec_b64 s[26:27], vcc
	s_cbranch_execz .LBB18_1432
; %bb.1359:                             ;   in Loop: Header=BB18_955 Depth=2
	s_trap 2
	ds_read_b64 v[4:5], v0
	s_and_b32 s24, s43, 0xff
	s_cmp_eq_u32 s24, 0
	v_lshl_add_u64 v[12:13], v[14:15], 0, v[58:59]
	s_mov_b64 s[34:35], 0
	s_waitcnt lgkmcnt(0)
	v_lshl_add_u64 v[14:15], v[4:5], 0, v[14:15]
	s_mov_b64 s[30:31], 0
	s_cselect_b64 vcc, -1, 0
                                        ; implicit-def: $sgpr28_sgpr29
                                        ; implicit-def: $vgpr54
                                        ; implicit-def: $vgpr73
                                        ; implicit-def: $vgpr50
                                        ; implicit-def: $vgpr39
                                        ; implicit-def: $vgpr36
                                        ; implicit-def: $vgpr35
                                        ; implicit-def: $vgpr34
                                        ; implicit-def: $vgpr33
                                        ; implicit-def: $vgpr21
                                        ; implicit-def: $vgpr22
                                        ; implicit-def: $vgpr23
                                        ; implicit-def: $vgpr24
                                        ; implicit-def: $vgpr25
                                        ; implicit-def: $vgpr26
                                        ; implicit-def: $vgpr27
                                        ; implicit-def: $vgpr32
	s_branch .LBB18_1361
.LBB18_1360:                            ;   in Loop: Header=BB18_1361 Depth=3
	s_or_b64 exec, exec, s[24:25]
	v_cmp_gt_i32_e64 s[24:25], 1, v19
	s_or_b64 s[30:31], s[24:25], s[30:31]
	s_andn2_b64 s[24:25], s[28:29], exec
	s_and_b64 s[28:29], s[34:35], exec
	s_or_b64 s[28:29], s[24:25], s[28:29]
	s_andn2_b64 exec, exec, s[30:31]
	s_cbranch_execz .LBB18_1431
.LBB18_1361:                            ;   Parent Loop BB18_47 Depth=1
                                        ;     Parent Loop BB18_955 Depth=2
                                        ; =>    This Inner Loop Header: Depth=3
	s_waitcnt vmcnt(0)
	flat_load_ushort v105, v[12:13] nt
	flat_load_ushort v95, v[12:13] offset:128 nt
	flat_load_ushort v93, v[12:13] offset:256 nt
	;; [unrolled: 1-line block ×7, first 2 shown]
	flat_load_ushort v28, v[14:15] nt
	flat_load_ushort v104, v[14:15] offset:128 nt
	flat_load_ushort v94, v[14:15] offset:256 nt
	;; [unrolled: 1-line block ×7, first 2 shown]
	s_and_saveexec_b64 s[36:37], s[34:35]
	s_cbranch_execz .LBB18_1395
; %bb.1362:                             ;   in Loop: Header=BB18_1361 Depth=3
	v_lshlrev_b32_e32 v4, 16, v54
	v_lshlrev_b32_e32 v5, 16, v21
	v_max_f32_e32 v5, v5, v5
	v_max_f32_e32 v4, v4, v4
	v_min_f32_e32 v29, v4, v5
	v_max_f32_e32 v4, v4, v5
	v_cndmask_b32_e32 v4, v4, v29, vcc
	v_and_b32_e32 v5, 0x7f800000, v4
	v_cmp_ne_u32_e64 s[24:25], s96, v5
                                        ; implicit-def: $vgpr29
	s_and_saveexec_b64 s[34:35], s[24:25]
	s_xor_b64 s[24:25], exec, s[34:35]
; %bb.1363:                             ;   in Loop: Header=BB18_1361 Depth=3
	v_bfe_u32 v5, v4, 16, 1
	v_add3_u32 v29, v4, v5, s97
                                        ; implicit-def: $vgpr4
; %bb.1364:                             ;   in Loop: Header=BB18_1361 Depth=3
	s_andn2_saveexec_b64 s[34:35], s[24:25]
; %bb.1365:                             ;   in Loop: Header=BB18_1361 Depth=3
	v_or_b32_e32 v5, 0x10000, v4
	v_cmp_eq_u32_sdwa s[24:25], v4, v3 src0_sel:WORD_0 src1_sel:DWORD
	s_nop 1
	v_cndmask_b32_e64 v29, v5, v4, s[24:25]
; %bb.1366:                             ;   in Loop: Header=BB18_1361 Depth=3
	s_or_b64 exec, exec, s[34:35]
	v_lshlrev_b32_e32 v4, 16, v73
	v_lshlrev_b32_e32 v5, 16, v22
	v_max_f32_e32 v5, v5, v5
	v_max_f32_e32 v4, v4, v4
	v_min_f32_e32 v54, v4, v5
	v_max_f32_e32 v4, v4, v5
	v_cndmask_b32_e32 v4, v4, v54, vcc
	v_and_b32_e32 v5, 0x7f800000, v4
	v_cmp_ne_u32_e64 s[24:25], s96, v5
                                        ; implicit-def: $vgpr54
	s_and_saveexec_b64 s[34:35], s[24:25]
	s_xor_b64 s[24:25], exec, s[34:35]
; %bb.1367:                             ;   in Loop: Header=BB18_1361 Depth=3
	v_bfe_u32 v5, v4, 16, 1
	v_add3_u32 v54, v4, v5, s97
                                        ; implicit-def: $vgpr4
; %bb.1368:                             ;   in Loop: Header=BB18_1361 Depth=3
	s_andn2_saveexec_b64 s[34:35], s[24:25]
; %bb.1369:                             ;   in Loop: Header=BB18_1361 Depth=3
	v_or_b32_e32 v5, 0x10000, v4
	v_cmp_eq_u32_sdwa s[24:25], v4, v3 src0_sel:WORD_0 src1_sel:DWORD
	s_nop 1
	v_cndmask_b32_e64 v54, v5, v4, s[24:25]
; %bb.1370:                             ;   in Loop: Header=BB18_1361 Depth=3
	s_or_b64 exec, exec, s[34:35]
	v_lshlrev_b32_e32 v4, 16, v50
	v_lshlrev_b32_e32 v5, 16, v23
	v_max_f32_e32 v5, v5, v5
	v_max_f32_e32 v4, v4, v4
	v_min_f32_e32 v50, v4, v5
	v_max_f32_e32 v4, v4, v5
	v_cndmask_b32_e32 v4, v4, v50, vcc
	v_and_b32_e32 v5, 0x7f800000, v4
	v_cmp_ne_u32_e64 s[24:25], s96, v5
                                        ; implicit-def: $vgpr50
	s_and_saveexec_b64 s[34:35], s[24:25]
	s_xor_b64 s[24:25], exec, s[34:35]
; %bb.1371:                             ;   in Loop: Header=BB18_1361 Depth=3
	v_bfe_u32 v5, v4, 16, 1
	v_add3_u32 v50, v4, v5, s97
                                        ; implicit-def: $vgpr4
; %bb.1372:                             ;   in Loop: Header=BB18_1361 Depth=3
	s_andn2_saveexec_b64 s[34:35], s[24:25]
; %bb.1373:                             ;   in Loop: Header=BB18_1361 Depth=3
	v_or_b32_e32 v5, 0x10000, v4
	v_cmp_eq_u32_sdwa s[24:25], v4, v3 src0_sel:WORD_0 src1_sel:DWORD
	s_nop 1
	v_cndmask_b32_e64 v50, v5, v4, s[24:25]
; %bb.1374:                             ;   in Loop: Header=BB18_1361 Depth=3
	s_or_b64 exec, exec, s[34:35]
	v_lshlrev_b32_e32 v4, 16, v39
	v_lshlrev_b32_e32 v5, 16, v24
	v_max_f32_e32 v5, v5, v5
	v_max_f32_e32 v4, v4, v4
	v_min_f32_e32 v39, v4, v5
	v_max_f32_e32 v4, v4, v5
	v_cndmask_b32_e32 v4, v4, v39, vcc
	v_and_b32_e32 v5, 0x7f800000, v4
	v_cmp_ne_u32_e64 s[24:25], s96, v5
                                        ; implicit-def: $vgpr39
	s_and_saveexec_b64 s[34:35], s[24:25]
	s_xor_b64 s[24:25], exec, s[34:35]
; %bb.1375:                             ;   in Loop: Header=BB18_1361 Depth=3
	v_bfe_u32 v5, v4, 16, 1
	v_add3_u32 v39, v4, v5, s97
                                        ; implicit-def: $vgpr4
; %bb.1376:                             ;   in Loop: Header=BB18_1361 Depth=3
	s_andn2_saveexec_b64 s[34:35], s[24:25]
; %bb.1377:                             ;   in Loop: Header=BB18_1361 Depth=3
	v_or_b32_e32 v5, 0x10000, v4
	v_cmp_eq_u32_sdwa s[24:25], v4, v3 src0_sel:WORD_0 src1_sel:DWORD
	s_nop 1
	v_cndmask_b32_e64 v39, v5, v4, s[24:25]
; %bb.1378:                             ;   in Loop: Header=BB18_1361 Depth=3
	s_or_b64 exec, exec, s[34:35]
	v_lshlrev_b32_e32 v4, 16, v36
	v_lshlrev_b32_e32 v5, 16, v25
	v_max_f32_e32 v5, v5, v5
	v_max_f32_e32 v4, v4, v4
	v_min_f32_e32 v36, v4, v5
	v_max_f32_e32 v4, v4, v5
	v_cndmask_b32_e32 v5, v4, v36, vcc
	v_and_b32_e32 v4, 0x7f800000, v5
	v_cmp_ne_u32_e64 s[24:25], s96, v4
                                        ; implicit-def: $vgpr4
	s_and_saveexec_b64 s[34:35], s[24:25]
	s_xor_b64 s[24:25], exec, s[34:35]
; %bb.1379:                             ;   in Loop: Header=BB18_1361 Depth=3
	v_bfe_u32 v4, v5, 16, 1
	v_add3_u32 v4, v5, v4, s97
                                        ; implicit-def: $vgpr5
; %bb.1380:                             ;   in Loop: Header=BB18_1361 Depth=3
	s_andn2_saveexec_b64 s[34:35], s[24:25]
; %bb.1381:                             ;   in Loop: Header=BB18_1361 Depth=3
	v_or_b32_e32 v4, 0x10000, v5
	v_cmp_eq_u32_sdwa s[24:25], v5, v3 src0_sel:WORD_0 src1_sel:DWORD
	s_nop 1
	v_cndmask_b32_e64 v4, v4, v5, s[24:25]
; %bb.1382:                             ;   in Loop: Header=BB18_1361 Depth=3
	s_or_b64 exec, exec, s[34:35]
	v_lshlrev_b32_e32 v5, 16, v35
	v_lshlrev_b32_e32 v35, 16, v26
	v_max_f32_e32 v35, v35, v35
	v_max_f32_e32 v5, v5, v5
	v_min_f32_e32 v36, v5, v35
	v_max_f32_e32 v5, v5, v35
	v_cndmask_b32_e32 v35, v5, v36, vcc
	v_and_b32_e32 v5, 0x7f800000, v35
	v_cmp_ne_u32_e64 s[24:25], s96, v5
                                        ; implicit-def: $vgpr5
	s_and_saveexec_b64 s[34:35], s[24:25]
	s_xor_b64 s[24:25], exec, s[34:35]
; %bb.1383:                             ;   in Loop: Header=BB18_1361 Depth=3
	v_bfe_u32 v5, v35, 16, 1
	v_add3_u32 v5, v35, v5, s97
                                        ; implicit-def: $vgpr35
; %bb.1384:                             ;   in Loop: Header=BB18_1361 Depth=3
	s_andn2_saveexec_b64 s[34:35], s[24:25]
; %bb.1385:                             ;   in Loop: Header=BB18_1361 Depth=3
	v_or_b32_e32 v5, 0x10000, v35
	v_cmp_eq_u32_sdwa s[24:25], v35, v3 src0_sel:WORD_0 src1_sel:DWORD
	s_nop 1
	v_cndmask_b32_e64 v5, v5, v35, s[24:25]
; %bb.1386:                             ;   in Loop: Header=BB18_1361 Depth=3
	s_or_b64 exec, exec, s[34:35]
	v_lshlrev_b32_e32 v34, 16, v34
	v_lshlrev_b32_e32 v35, 16, v27
	v_max_f32_e32 v35, v35, v35
	v_max_f32_e32 v34, v34, v34
	v_min_f32_e32 v36, v34, v35
	v_max_f32_e32 v34, v34, v35
	v_cndmask_b32_e32 v35, v34, v36, vcc
	v_and_b32_e32 v34, 0x7f800000, v35
	v_cmp_ne_u32_e64 s[24:25], s96, v34
                                        ; implicit-def: $vgpr34
	s_and_saveexec_b64 s[34:35], s[24:25]
	s_xor_b64 s[24:25], exec, s[34:35]
; %bb.1387:                             ;   in Loop: Header=BB18_1361 Depth=3
	v_bfe_u32 v34, v35, 16, 1
	v_add3_u32 v34, v35, v34, s97
                                        ; implicit-def: $vgpr35
; %bb.1388:                             ;   in Loop: Header=BB18_1361 Depth=3
	s_andn2_saveexec_b64 s[34:35], s[24:25]
; %bb.1389:                             ;   in Loop: Header=BB18_1361 Depth=3
	v_or_b32_e32 v34, 0x10000, v35
	v_cmp_eq_u32_sdwa s[24:25], v35, v3 src0_sel:WORD_0 src1_sel:DWORD
	s_nop 1
	v_cndmask_b32_e64 v34, v34, v35, s[24:25]
; %bb.1390:                             ;   in Loop: Header=BB18_1361 Depth=3
	s_or_b64 exec, exec, s[34:35]
	v_lshlrev_b32_e32 v33, 16, v33
	v_lshlrev_b32_e32 v35, 16, v32
	v_max_f32_e32 v35, v35, v35
	v_max_f32_e32 v33, v33, v33
	v_min_f32_e32 v36, v33, v35
	v_max_f32_e32 v33, v33, v35
	v_cndmask_b32_e32 v35, v33, v36, vcc
	v_and_b32_e32 v33, 0x7f800000, v35
	v_cmp_ne_u32_e64 s[24:25], s96, v33
                                        ; implicit-def: $vgpr33
	s_and_saveexec_b64 s[34:35], s[24:25]
	s_xor_b64 s[24:25], exec, s[34:35]
; %bb.1391:                             ;   in Loop: Header=BB18_1361 Depth=3
	v_bfe_u32 v33, v35, 16, 1
	v_add3_u32 v33, v35, v33, s97
                                        ; implicit-def: $vgpr35
; %bb.1392:                             ;   in Loop: Header=BB18_1361 Depth=3
	s_andn2_saveexec_b64 s[34:35], s[24:25]
; %bb.1393:                             ;   in Loop: Header=BB18_1361 Depth=3
	v_or_b32_e32 v33, 0x10000, v35
	v_cmp_eq_u32_sdwa s[24:25], v35, v3 src0_sel:WORD_0 src1_sel:DWORD
	s_nop 1
	v_cndmask_b32_e64 v33, v33, v35, s[24:25]
; %bb.1394:                             ;   in Loop: Header=BB18_1361 Depth=3
	s_or_b64 exec, exec, s[34:35]
	v_lshrrev_b32_e32 v73, 16, v54
	v_lshrrev_b32_e32 v54, 16, v29
	;; [unrolled: 1-line block ×8, first 2 shown]
	flat_store_short v[10:11], v54 nt
	flat_store_short v[10:11], v73 offset:128 nt
	flat_store_short v[10:11], v50 offset:256 nt
	;; [unrolled: 1-line block ×7, first 2 shown]
	flat_store_short v[8:9], v54 nt
	flat_store_short v[8:9], v73 offset:128 nt
	flat_store_short v[8:9], v50 offset:256 nt
	;; [unrolled: 1-line block ×7, first 2 shown]
	v_lshl_add_u64 v[10:11], v[10:11], 0, v[42:43]
	v_lshl_add_u64 v[8:9], v[8:9], 0, v[42:43]
.LBB18_1395:                            ;   in Loop: Header=BB18_1361 Depth=3
	s_or_b64 exec, exec, s[36:37]
	v_sub_u32_e32 v19, v19, v84
	v_lshl_add_u64 v[12:13], v[12:13], 0, v[42:43]
	v_lshl_add_u64 v[14:15], v[14:15], 0, v[42:43]
	v_cmp_lt_i32_e64 s[34:35], 0, v19
	s_and_saveexec_b64 s[24:25], s[34:35]
	s_cbranch_execz .LBB18_1397
; %bb.1396:                             ;   in Loop: Header=BB18_1361 Depth=3
	flat_load_ushort v54, v[12:13] nt
	flat_load_ushort v73, v[12:13] offset:128 nt
	flat_load_ushort v50, v[12:13] offset:256 nt
	;; [unrolled: 1-line block ×7, first 2 shown]
	flat_load_ushort v21, v[14:15] nt
	flat_load_ushort v22, v[14:15] offset:128 nt
	flat_load_ushort v23, v[14:15] offset:256 nt
	;; [unrolled: 1-line block ×7, first 2 shown]
	v_lshl_add_u64 v[12:13], v[12:13], 0, s[58:59]
	v_lshl_add_u64 v[14:15], v[14:15], 0, s[58:59]
.LBB18_1397:                            ;   in Loop: Header=BB18_1361 Depth=3
	s_or_b64 exec, exec, s[24:25]
	s_waitcnt vmcnt(0) lgkmcnt(0)
	v_lshlrev_b32_e32 v4, 16, v105
	v_lshlrev_b32_e32 v5, 16, v28
	v_max_f32_e32 v5, v5, v5
	v_max_f32_e32 v4, v4, v4
	v_min_f32_e32 v28, v4, v5
	v_max_f32_e32 v4, v4, v5
	v_cndmask_b32_e32 v4, v4, v28, vcc
	v_and_b32_e32 v5, 0x7f800000, v4
	v_cmp_ne_u32_e64 s[24:25], s96, v5
                                        ; implicit-def: $vgpr28
	s_and_saveexec_b64 s[36:37], s[24:25]
	s_xor_b64 s[24:25], exec, s[36:37]
; %bb.1398:                             ;   in Loop: Header=BB18_1361 Depth=3
	v_bfe_u32 v5, v4, 16, 1
	v_add3_u32 v28, v4, v5, s97
                                        ; implicit-def: $vgpr4
; %bb.1399:                             ;   in Loop: Header=BB18_1361 Depth=3
	s_andn2_saveexec_b64 s[36:37], s[24:25]
; %bb.1400:                             ;   in Loop: Header=BB18_1361 Depth=3
	v_or_b32_e32 v5, 0x10000, v4
	v_cmp_eq_u32_sdwa s[24:25], v4, v3 src0_sel:WORD_0 src1_sel:DWORD
	s_nop 1
	v_cndmask_b32_e64 v28, v5, v4, s[24:25]
; %bb.1401:                             ;   in Loop: Header=BB18_1361 Depth=3
	s_or_b64 exec, exec, s[36:37]
	v_lshlrev_b32_e32 v4, 16, v95
	v_lshlrev_b32_e32 v5, 16, v104
	v_max_f32_e32 v5, v5, v5
	v_max_f32_e32 v4, v4, v4
	v_min_f32_e32 v29, v4, v5
	v_max_f32_e32 v4, v4, v5
	v_cndmask_b32_e32 v4, v4, v29, vcc
	v_and_b32_e32 v5, 0x7f800000, v4
	v_cmp_ne_u32_e64 s[24:25], s96, v5
                                        ; implicit-def: $vgpr29
	s_and_saveexec_b64 s[36:37], s[24:25]
	s_xor_b64 s[24:25], exec, s[36:37]
; %bb.1402:                             ;   in Loop: Header=BB18_1361 Depth=3
	v_bfe_u32 v5, v4, 16, 1
	v_add3_u32 v29, v4, v5, s97
                                        ; implicit-def: $vgpr4
; %bb.1403:                             ;   in Loop: Header=BB18_1361 Depth=3
	s_andn2_saveexec_b64 s[36:37], s[24:25]
; %bb.1404:                             ;   in Loop: Header=BB18_1361 Depth=3
	v_or_b32_e32 v5, 0x10000, v4
	v_cmp_eq_u32_sdwa s[24:25], v4, v3 src0_sel:WORD_0 src1_sel:DWORD
	s_nop 1
	v_cndmask_b32_e64 v29, v5, v4, s[24:25]
; %bb.1405:                             ;   in Loop: Header=BB18_1361 Depth=3
	s_or_b64 exec, exec, s[36:37]
	v_lshlrev_b32_e32 v4, 16, v93
	v_lshlrev_b32_e32 v5, 16, v94
	v_max_f32_e32 v5, v5, v5
	v_max_f32_e32 v4, v4, v4
	v_min_f32_e32 v86, v4, v5
	v_max_f32_e32 v4, v4, v5
	v_cndmask_b32_e32 v4, v4, v86, vcc
	v_and_b32_e32 v5, 0x7f800000, v4
	v_cmp_ne_u32_e64 s[24:25], s96, v5
                                        ; implicit-def: $vgpr96
	s_and_saveexec_b64 s[36:37], s[24:25]
	s_xor_b64 s[24:25], exec, s[36:37]
; %bb.1406:                             ;   in Loop: Header=BB18_1361 Depth=3
	v_bfe_u32 v5, v4, 16, 1
	v_add3_u32 v96, v4, v5, s97
                                        ; implicit-def: $vgpr4
; %bb.1407:                             ;   in Loop: Header=BB18_1361 Depth=3
	s_andn2_saveexec_b64 s[36:37], s[24:25]
; %bb.1408:                             ;   in Loop: Header=BB18_1361 Depth=3
	v_or_b32_e32 v5, 0x10000, v4
	v_cmp_eq_u32_sdwa s[24:25], v4, v3 src0_sel:WORD_0 src1_sel:DWORD
	s_nop 1
	v_cndmask_b32_e64 v96, v5, v4, s[24:25]
; %bb.1409:                             ;   in Loop: Header=BB18_1361 Depth=3
	s_or_b64 exec, exec, s[36:37]
	v_lshlrev_b32_e32 v4, 16, v55
	v_lshlrev_b32_e32 v5, 16, v92
	v_max_f32_e32 v5, v5, v5
	v_max_f32_e32 v4, v4, v4
	v_min_f32_e32 v55, v4, v5
	v_max_f32_e32 v4, v4, v5
	v_cndmask_b32_e32 v4, v4, v55, vcc
	v_and_b32_e32 v5, 0x7f800000, v4
	v_cmp_ne_u32_e64 s[24:25], s96, v5
                                        ; implicit-def: $vgpr55
	s_and_saveexec_b64 s[36:37], s[24:25]
	s_xor_b64 s[24:25], exec, s[36:37]
; %bb.1410:                             ;   in Loop: Header=BB18_1361 Depth=3
	v_bfe_u32 v5, v4, 16, 1
	v_add3_u32 v55, v4, v5, s97
                                        ; implicit-def: $vgpr4
; %bb.1411:                             ;   in Loop: Header=BB18_1361 Depth=3
	s_andn2_saveexec_b64 s[36:37], s[24:25]
; %bb.1412:                             ;   in Loop: Header=BB18_1361 Depth=3
	v_or_b32_e32 v5, 0x10000, v4
	v_cmp_eq_u32_sdwa s[24:25], v4, v3 src0_sel:WORD_0 src1_sel:DWORD
	s_nop 1
	v_cndmask_b32_e64 v55, v5, v4, s[24:25]
; %bb.1413:                             ;   in Loop: Header=BB18_1361 Depth=3
	s_or_b64 exec, exec, s[36:37]
	v_lshlrev_b32_e32 v4, 16, v90
	v_lshlrev_b32_e32 v5, 16, v91
	v_max_f32_e32 v5, v5, v5
	v_max_f32_e32 v4, v4, v4
	v_min_f32_e32 v86, v4, v5
	v_max_f32_e32 v4, v4, v5
	v_cndmask_b32_e32 v5, v4, v86, vcc
	v_and_b32_e32 v4, 0x7f800000, v5
	v_cmp_ne_u32_e64 s[24:25], s96, v4
                                        ; implicit-def: $vgpr4
	s_and_saveexec_b64 s[36:37], s[24:25]
	s_xor_b64 s[24:25], exec, s[36:37]
; %bb.1414:                             ;   in Loop: Header=BB18_1361 Depth=3
	v_bfe_u32 v4, v5, 16, 1
	v_add3_u32 v4, v5, v4, s97
                                        ; implicit-def: $vgpr5
; %bb.1415:                             ;   in Loop: Header=BB18_1361 Depth=3
	s_andn2_saveexec_b64 s[36:37], s[24:25]
; %bb.1416:                             ;   in Loop: Header=BB18_1361 Depth=3
	v_or_b32_e32 v4, 0x10000, v5
	v_cmp_eq_u32_sdwa s[24:25], v5, v3 src0_sel:WORD_0 src1_sel:DWORD
	s_nop 1
	v_cndmask_b32_e64 v4, v4, v5, s[24:25]
; %bb.1417:                             ;   in Loop: Header=BB18_1361 Depth=3
	s_or_b64 exec, exec, s[36:37]
	v_lshlrev_b32_e32 v5, 16, v51
	v_lshlrev_b32_e32 v51, 16, v82
	v_max_f32_e32 v51, v51, v51
	v_max_f32_e32 v5, v5, v5
	v_min_f32_e32 v82, v5, v51
	v_max_f32_e32 v5, v5, v51
	v_cndmask_b32_e32 v51, v5, v82, vcc
	v_and_b32_e32 v5, 0x7f800000, v51
	v_cmp_ne_u32_e64 s[24:25], s96, v5
                                        ; implicit-def: $vgpr5
	s_and_saveexec_b64 s[36:37], s[24:25]
	s_xor_b64 s[24:25], exec, s[36:37]
; %bb.1418:                             ;   in Loop: Header=BB18_1361 Depth=3
	v_bfe_u32 v5, v51, 16, 1
	v_add3_u32 v5, v51, v5, s97
                                        ; implicit-def: $vgpr51
; %bb.1419:                             ;   in Loop: Header=BB18_1361 Depth=3
	s_andn2_saveexec_b64 s[36:37], s[24:25]
; %bb.1420:                             ;   in Loop: Header=BB18_1361 Depth=3
	v_or_b32_e32 v5, 0x10000, v51
	v_cmp_eq_u32_sdwa s[24:25], v51, v3 src0_sel:WORD_0 src1_sel:DWORD
	s_nop 1
	v_cndmask_b32_e64 v5, v5, v51, s[24:25]
; %bb.1421:                             ;   in Loop: Header=BB18_1361 Depth=3
	s_or_b64 exec, exec, s[36:37]
	v_lshlrev_b32_e32 v48, 16, v48
	v_lshlrev_b32_e32 v49, 16, v49
	v_max_f32_e32 v49, v49, v49
	v_max_f32_e32 v48, v48, v48
	v_min_f32_e32 v51, v48, v49
	v_max_f32_e32 v48, v48, v49
	v_cndmask_b32_e32 v49, v48, v51, vcc
	v_and_b32_e32 v48, 0x7f800000, v49
	v_cmp_ne_u32_e64 s[24:25], s96, v48
                                        ; implicit-def: $vgpr48
	s_and_saveexec_b64 s[36:37], s[24:25]
	s_xor_b64 s[24:25], exec, s[36:37]
; %bb.1422:                             ;   in Loop: Header=BB18_1361 Depth=3
	v_bfe_u32 v48, v49, 16, 1
	v_add3_u32 v48, v49, v48, s97
                                        ; implicit-def: $vgpr49
; %bb.1423:                             ;   in Loop: Header=BB18_1361 Depth=3
	s_andn2_saveexec_b64 s[36:37], s[24:25]
; %bb.1424:                             ;   in Loop: Header=BB18_1361 Depth=3
	v_or_b32_e32 v48, 0x10000, v49
	v_cmp_eq_u32_sdwa s[24:25], v49, v3 src0_sel:WORD_0 src1_sel:DWORD
	s_nop 1
	v_cndmask_b32_e64 v48, v48, v49, s[24:25]
; %bb.1425:                             ;   in Loop: Header=BB18_1361 Depth=3
	s_or_b64 exec, exec, s[36:37]
	v_lshlrev_b32_e32 v37, 16, v37
	v_lshlrev_b32_e32 v38, 16, v38
	v_max_f32_e32 v38, v38, v38
	v_max_f32_e32 v37, v37, v37
	v_min_f32_e32 v49, v37, v38
	v_max_f32_e32 v37, v37, v38
	v_cndmask_b32_e32 v38, v37, v49, vcc
	v_and_b32_e32 v37, 0x7f800000, v38
	v_cmp_ne_u32_e64 s[24:25], s96, v37
                                        ; implicit-def: $vgpr37
	s_and_saveexec_b64 s[36:37], s[24:25]
	s_xor_b64 s[24:25], exec, s[36:37]
; %bb.1426:                             ;   in Loop: Header=BB18_1361 Depth=3
	v_bfe_u32 v37, v38, 16, 1
	v_add3_u32 v37, v38, v37, s97
                                        ; implicit-def: $vgpr38
; %bb.1427:                             ;   in Loop: Header=BB18_1361 Depth=3
	s_andn2_saveexec_b64 s[36:37], s[24:25]
; %bb.1428:                             ;   in Loop: Header=BB18_1361 Depth=3
	v_or_b32_e32 v37, 0x10000, v38
	v_cmp_eq_u32_sdwa s[24:25], v38, v3 src0_sel:WORD_0 src1_sel:DWORD
	s_nop 1
	v_cndmask_b32_e64 v37, v37, v38, s[24:25]
; %bb.1429:                             ;   in Loop: Header=BB18_1361 Depth=3
	s_or_b64 exec, exec, s[36:37]
	v_lshrrev_b32_e32 v28, 16, v28
	v_lshrrev_b32_e32 v38, 16, v48
	v_lshrrev_b32_e32 v5, 16, v5
	v_lshrrev_b32_e32 v4, 16, v4
	v_lshrrev_b32_e32 v48, 16, v55
	v_lshrrev_b32_e32 v49, 16, v96
	v_lshrrev_b32_e32 v29, 16, v29
	v_lshrrev_b32_e32 v37, 16, v37
	flat_store_short v[10:11], v28 nt
	flat_store_short v[10:11], v29 offset:128 nt
	flat_store_short v[10:11], v49 offset:256 nt
	;; [unrolled: 1-line block ×7, first 2 shown]
	v_lshl_add_u64 v[10:11], v[10:11], 0, s[58:59]
	flat_store_short v[8:9], v28 nt
	flat_store_short v[8:9], v29 offset:128 nt
	flat_store_short v[8:9], v49 offset:256 nt
	;; [unrolled: 1-line block ×7, first 2 shown]
	v_lshl_add_u64 v[8:9], v[8:9], 0, s[58:59]
	s_and_saveexec_b64 s[24:25], s[34:35]
	s_cbranch_execz .LBB18_1360
; %bb.1430:                             ;   in Loop: Header=BB18_1361 Depth=3
	v_lshl_add_u64 v[10:11], v[10:11], 0, v[114:115]
	v_lshl_add_u64 v[8:9], v[8:9], 0, v[114:115]
	;; [unrolled: 1-line block ×4, first 2 shown]
	v_sub_u32_e32 v19, v19, v84
	s_branch .LBB18_1360
.LBB18_1431:                            ;   in Loop: Header=BB18_955 Depth=2
	s_or_b64 exec, exec, s[30:31]
	scratch_load_dwordx2 v[104:105], off, s33 offset:280 ; 8-byte Folded Reload
	v_lshlrev_b32_e32 v49, 16, v54
	v_lshlrev_b32_e32 v51, 16, v21
	;; [unrolled: 1-line block ×16, first 2 shown]
	s_and_b64 s[24:25], s[28:29], exec
.LBB18_1432:                            ;   in Loop: Header=BB18_955 Depth=2
	s_or_b64 exec, exec, s[26:27]
	s_and_saveexec_b64 s[26:27], s[24:25]
	s_cbranch_execz .LBB18_1466
; %bb.1433:                             ;   in Loop: Header=BB18_955 Depth=2
	s_and_b32 s24, s43, 0xff
	s_cmp_eq_u32 s24, 0
	v_max_f32_e32 v14, v51, v51
	v_max_f32_e32 v15, v49, v49
	v_min_f32_e32 v26, v15, v14
	v_max_f32_e32 v14, v15, v14
	s_cselect_b64 vcc, -1, 0
	v_cndmask_b32_e32 v15, v14, v26, vcc
	v_and_b32_e32 v14, 0x7f800000, v15
	v_cmp_ne_u32_e64 s[24:25], s96, v14
                                        ; implicit-def: $vgpr14
	s_and_saveexec_b64 s[28:29], s[24:25]
	s_xor_b64 s[24:25], exec, s[28:29]
; %bb.1434:                             ;   in Loop: Header=BB18_955 Depth=2
	v_bfe_u32 v14, v15, 16, 1
	v_add3_u32 v14, v15, v14, s97
                                        ; implicit-def: $vgpr15
; %bb.1435:                             ;   in Loop: Header=BB18_955 Depth=2
	s_andn2_saveexec_b64 s[28:29], s[24:25]
; %bb.1436:                             ;   in Loop: Header=BB18_955 Depth=2
	v_or_b32_e32 v14, 0x10000, v15
	v_cmp_eq_u32_sdwa s[24:25], v15, v3 src0_sel:WORD_0 src1_sel:DWORD
	s_nop 1
	v_cndmask_b32_e64 v14, v14, v15, s[24:25]
; %bb.1437:                             ;   in Loop: Header=BB18_955 Depth=2
	s_or_b64 exec, exec, s[28:29]
	v_max_f32_e32 v15, v48, v48
	v_max_f32_e32 v5, v5, v5
	v_min_f32_e32 v26, v5, v15
	v_max_f32_e32 v5, v5, v15
	v_cndmask_b32_e32 v5, v5, v26, vcc
	v_and_b32_e32 v15, 0x7f800000, v5
	v_cmp_ne_u32_e64 s[24:25], s96, v15
                                        ; implicit-def: $vgpr15
	s_and_saveexec_b64 s[28:29], s[24:25]
	s_xor_b64 s[24:25], exec, s[28:29]
; %bb.1438:                             ;   in Loop: Header=BB18_955 Depth=2
	v_bfe_u32 v15, v5, 16, 1
	v_add3_u32 v15, v5, v15, s97
                                        ; implicit-def: $vgpr5
; %bb.1439:                             ;   in Loop: Header=BB18_955 Depth=2
	s_andn2_saveexec_b64 s[28:29], s[24:25]
; %bb.1440:                             ;   in Loop: Header=BB18_955 Depth=2
	v_or_b32_e32 v15, 0x10000, v5
	v_cmp_eq_u32_sdwa s[24:25], v5, v3 src0_sel:WORD_0 src1_sel:DWORD
	s_nop 1
	v_cndmask_b32_e64 v15, v15, v5, s[24:25]
; %bb.1441:                             ;   in Loop: Header=BB18_955 Depth=2
	s_or_b64 exec, exec, s[28:29]
	v_max_f32_e32 v4, v4, v4
	v_max_f32_e32 v5, v38, v38
	v_min_f32_e32 v26, v5, v4
	v_max_f32_e32 v4, v5, v4
	v_cndmask_b32_e32 v4, v4, v26, vcc
	v_and_b32_e32 v5, 0x7f800000, v4
	v_cmp_ne_u32_e64 s[24:25], s96, v5
                                        ; implicit-def: $vgpr26
	s_and_saveexec_b64 s[28:29], s[24:25]
	s_xor_b64 s[24:25], exec, s[28:29]
; %bb.1442:                             ;   in Loop: Header=BB18_955 Depth=2
	v_bfe_u32 v5, v4, 16, 1
	v_add3_u32 v26, v4, v5, s97
                                        ; implicit-def: $vgpr4
; %bb.1443:                             ;   in Loop: Header=BB18_955 Depth=2
	s_andn2_saveexec_b64 s[28:29], s[24:25]
; %bb.1444:                             ;   in Loop: Header=BB18_955 Depth=2
	v_or_b32_e32 v5, 0x10000, v4
	v_cmp_eq_u32_sdwa s[24:25], v4, v3 src0_sel:WORD_0 src1_sel:DWORD
	s_nop 1
	v_cndmask_b32_e64 v26, v5, v4, s[24:25]
; %bb.1445:                             ;   in Loop: Header=BB18_955 Depth=2
	s_or_b64 exec, exec, s[28:29]
	v_max_f32_e32 v4, v37, v37
	v_max_f32_e32 v5, v29, v29
	v_min_f32_e32 v27, v5, v4
	v_max_f32_e32 v4, v5, v4
	v_cndmask_b32_e32 v4, v4, v27, vcc
	v_and_b32_e32 v5, 0x7f800000, v4
	v_cmp_ne_u32_e64 s[24:25], s96, v5
                                        ; implicit-def: $vgpr27
	s_and_saveexec_b64 s[28:29], s[24:25]
	s_xor_b64 s[24:25], exec, s[28:29]
; %bb.1446:                             ;   in Loop: Header=BB18_955 Depth=2
	v_bfe_u32 v5, v4, 16, 1
	v_add3_u32 v27, v4, v5, s97
                                        ; implicit-def: $vgpr4
; %bb.1447:                             ;   in Loop: Header=BB18_955 Depth=2
	s_andn2_saveexec_b64 s[28:29], s[24:25]
; %bb.1448:                             ;   in Loop: Header=BB18_955 Depth=2
	v_or_b32_e32 v5, 0x10000, v4
	v_cmp_eq_u32_sdwa s[24:25], v4, v3 src0_sel:WORD_0 src1_sel:DWORD
	s_nop 1
	v_cndmask_b32_e64 v27, v5, v4, s[24:25]
; %bb.1449:                             ;   in Loop: Header=BB18_955 Depth=2
	s_or_b64 exec, exec, s[28:29]
	v_max_f32_e32 v4, v25, v25
	v_max_f32_e32 v5, v28, v28
	v_min_f32_e32 v25, v5, v4
	v_max_f32_e32 v4, v5, v4
	v_cndmask_b32_e32 v5, v4, v25, vcc
	v_and_b32_e32 v4, 0x7f800000, v5
	v_cmp_ne_u32_e64 s[24:25], s96, v4
                                        ; implicit-def: $vgpr4
	s_and_saveexec_b64 s[28:29], s[24:25]
	s_xor_b64 s[24:25], exec, s[28:29]
; %bb.1450:                             ;   in Loop: Header=BB18_955 Depth=2
	v_bfe_u32 v4, v5, 16, 1
	v_add3_u32 v4, v5, v4, s97
                                        ; implicit-def: $vgpr5
; %bb.1451:                             ;   in Loop: Header=BB18_955 Depth=2
	s_andn2_saveexec_b64 s[28:29], s[24:25]
; %bb.1452:                             ;   in Loop: Header=BB18_955 Depth=2
	v_or_b32_e32 v4, 0x10000, v5
	v_cmp_eq_u32_sdwa s[24:25], v5, v3 src0_sel:WORD_0 src1_sel:DWORD
	s_nop 1
	v_cndmask_b32_e64 v4, v4, v5, s[24:25]
; %bb.1453:                             ;   in Loop: Header=BB18_955 Depth=2
	s_or_b64 exec, exec, s[28:29]
	v_max_f32_e32 v5, v24, v24
	v_max_f32_e32 v23, v23, v23
	v_min_f32_e32 v24, v23, v5
	v_max_f32_e32 v5, v23, v5
	v_cndmask_b32_e32 v23, v5, v24, vcc
	v_and_b32_e32 v5, 0x7f800000, v23
	v_cmp_ne_u32_e64 s[24:25], s96, v5
                                        ; implicit-def: $vgpr5
	s_and_saveexec_b64 s[28:29], s[24:25]
	s_xor_b64 s[24:25], exec, s[28:29]
; %bb.1454:                             ;   in Loop: Header=BB18_955 Depth=2
	v_bfe_u32 v5, v23, 16, 1
	v_add3_u32 v5, v23, v5, s97
                                        ; implicit-def: $vgpr23
; %bb.1455:                             ;   in Loop: Header=BB18_955 Depth=2
	s_andn2_saveexec_b64 s[28:29], s[24:25]
; %bb.1456:                             ;   in Loop: Header=BB18_955 Depth=2
	v_or_b32_e32 v5, 0x10000, v23
	v_cmp_eq_u32_sdwa s[24:25], v23, v3 src0_sel:WORD_0 src1_sel:DWORD
	s_nop 1
	v_cndmask_b32_e64 v5, v5, v23, s[24:25]
; %bb.1457:                             ;   in Loop: Header=BB18_955 Depth=2
	s_or_b64 exec, exec, s[28:29]
	v_max_f32_e32 v22, v22, v22
	v_max_f32_e32 v21, v21, v21
	v_min_f32_e32 v23, v21, v22
	v_max_f32_e32 v21, v21, v22
	v_cndmask_b32_e32 v22, v21, v23, vcc
	v_and_b32_e32 v21, 0x7f800000, v22
	v_cmp_ne_u32_e64 s[24:25], s96, v21
                                        ; implicit-def: $vgpr21
	s_and_saveexec_b64 s[28:29], s[24:25]
	s_xor_b64 s[24:25], exec, s[28:29]
; %bb.1458:                             ;   in Loop: Header=BB18_955 Depth=2
	v_bfe_u32 v21, v22, 16, 1
	v_add3_u32 v21, v22, v21, s97
                                        ; implicit-def: $vgpr22
; %bb.1459:                             ;   in Loop: Header=BB18_955 Depth=2
	s_andn2_saveexec_b64 s[28:29], s[24:25]
; %bb.1460:                             ;   in Loop: Header=BB18_955 Depth=2
	v_or_b32_e32 v21, 0x10000, v22
	v_cmp_eq_u32_sdwa s[24:25], v22, v3 src0_sel:WORD_0 src1_sel:DWORD
	s_nop 1
	v_cndmask_b32_e64 v21, v21, v22, s[24:25]
; %bb.1461:                             ;   in Loop: Header=BB18_955 Depth=2
	s_or_b64 exec, exec, s[28:29]
	v_max_f32_e32 v13, v13, v13
	v_max_f32_e32 v12, v12, v12
	v_min_f32_e32 v22, v12, v13
	v_max_f32_e32 v12, v12, v13
	v_cndmask_b32_e32 v13, v12, v22, vcc
	v_and_b32_e32 v12, 0x7f800000, v13
	v_cmp_ne_u32_e32 vcc, s96, v12
                                        ; implicit-def: $vgpr12
	s_and_saveexec_b64 s[24:25], vcc
	s_xor_b64 s[24:25], exec, s[24:25]
; %bb.1462:                             ;   in Loop: Header=BB18_955 Depth=2
	v_bfe_u32 v12, v13, 16, 1
	v_add3_u32 v12, v13, v12, s97
                                        ; implicit-def: $vgpr13
; %bb.1463:                             ;   in Loop: Header=BB18_955 Depth=2
	s_andn2_saveexec_b64 s[24:25], s[24:25]
; %bb.1464:                             ;   in Loop: Header=BB18_955 Depth=2
	v_or_b32_e32 v12, 0x10000, v13
	v_cmp_eq_u32_sdwa vcc, v13, v3 src0_sel:WORD_0 src1_sel:DWORD
	s_nop 1
	v_cndmask_b32_e32 v12, v12, v13, vcc
; %bb.1465:                             ;   in Loop: Header=BB18_955 Depth=2
	s_or_b64 exec, exec, s[24:25]
	v_lshrrev_b32_e32 v14, 16, v14
	v_lshrrev_b32_e32 v13, 16, v21
	;; [unrolled: 1-line block ×8, first 2 shown]
	flat_store_short v[10:11], v14 nt
	flat_store_short v[10:11], v15 offset:128 nt
	flat_store_short v[10:11], v22 offset:256 nt
	;; [unrolled: 1-line block ×7, first 2 shown]
	flat_store_short v[8:9], v14 nt
	flat_store_short v[8:9], v15 offset:128 nt
	flat_store_short v[8:9], v22 offset:256 nt
	;; [unrolled: 1-line block ×7, first 2 shown]
.LBB18_1466:                            ;   in Loop: Header=BB18_955 Depth=2
	s_or_b64 exec, exec, s[26:27]
	v_lshlrev_b32_e32 v4, 10, v20
	v_cmp_ne_u32_e32 vcc, v17, v4
	s_and_b64 exec, exec, vcc
	s_cbranch_execz .LBB18_1498
; %bb.1467:                             ;   in Loop: Header=BB18_955 Depth=2
	v_lshlrev_b32_e32 v5, 6, v19
	v_sub_u32_e32 v5, v18, v5
	v_ashrrev_i32_e32 v8, 31, v5
	v_lshrrev_b32_e32 v8, 26, v8
	v_add_u32_e32 v8, v5, v8
	v_and_b32_e32 v9, 0x7fffffc0, v8
	v_sub_u32_e32 v5, v5, v9
	v_lshlrev_b32_e32 v8, 1, v8
	v_and_b32_e32 v8, 0xffffff80, v8
	v_lshlrev_b32_e32 v5, 1, v5
	v_add3_u32 v4, v8, v5, v4
	v_sub_u32_e32 v17, v17, v4
	v_cmp_lt_i32_e32 vcc, 1, v17
	s_and_b64 exec, exec, vcc
	s_cbranch_execz .LBB18_1498
; %bb.1468:                             ;   in Loop: Header=BB18_955 Depth=2
	s_trap 2
	ds_read_b64 v[14:15], v0
	v_add_u32_e32 v4, v4, v16
	s_and_b32 s24, s43, 0xff
	v_ashrrev_i32_e32 v5, 31, v4
	s_cmp_eq_u32 s24, 0
	v_lshl_add_u64 v[8:9], v[78:79], 0, v[4:5]
	v_lshl_add_u64 v[10:11], v[88:89], 0, v[4:5]
	;; [unrolled: 1-line block ×3, first 2 shown]
	s_waitcnt lgkmcnt(0)
	v_lshl_add_u64 v[14:15], v[14:15], 0, v[4:5]
	s_mov_b64 s[36:37], 0
	s_mov_b64 s[30:31], 0
	s_cselect_b64 s[24:25], -1, 0
                                        ; implicit-def: $sgpr34_sgpr35
	s_branch .LBB18_1470
.LBB18_1469:                            ;   in Loop: Header=BB18_1470 Depth=3
	s_or_b64 exec, exec, s[26:27]
	v_cmp_gt_i32_e32 vcc, 2, v17
	s_or_b64 s[30:31], vcc, s[30:31]
	s_andn2_b64 s[26:27], s[34:35], exec
	s_and_b64 s[28:29], s[36:37], exec
	s_or_b64 s[34:35], s[26:27], s[28:29]
	s_andn2_b64 exec, exec, s[30:31]
	s_cbranch_execz .LBB18_1491
.LBB18_1470:                            ;   Parent Loop BB18_47 Depth=1
                                        ;     Parent Loop BB18_955 Depth=2
                                        ; =>    This Loop Header: Depth=3
                                        ;         Child Loop BB18_1471 Depth 4
                                        ;         Child Loop BB18_1478 Depth 4
	;; [unrolled: 1-line block ×4, first 2 shown]
	s_add_i32 s26, s33, 0xc0
	s_mov_b32 s43, s26
	s_mov_b64 s[38:39], -1
	s_mov_b64 s[48:49], 0
.LBB18_1471:                            ;   Parent Loop BB18_47 Depth=1
                                        ;     Parent Loop BB18_955 Depth=2
                                        ;       Parent Loop BB18_1470 Depth=3
                                        ; =>      This Inner Loop Header: Depth=4
	s_cmp_eq_u32 s48, 1
	s_cselect_b64 vcc, -1, 0
	v_cndmask_b32_e32 v5, v13, v15, vcc
	v_cndmask_b32_e32 v4, v12, v14, vcc
	flat_load_ushort v16, v[4:5] nt
	s_cmp_eq_u32 s48, 0
	v_lshl_add_u64 v[4:5], v[4:5], 0, s[60:61]
	s_cselect_b64 s[26:27], -1, 0
	s_and_b64 s[28:29], exec, s[38:39]
	v_cndmask_b32_e64 v13, v13, v5, s[26:27]
	v_cndmask_b32_e64 v12, v12, v4, s[26:27]
	s_add_i32 s26, s33, 0xe0
	s_mov_b64 s[48:49], 1
	s_mov_b64 s[38:39], 0
	v_cndmask_b32_e32 v15, v15, v5, vcc
	v_cndmask_b32_e32 v14, v14, v4, vcc
	s_mov_b64 vcc, s[28:29]
	s_waitcnt vmcnt(0) lgkmcnt(0)
	scratch_store_short off, v16, s43
	s_mov_b32 s43, s26
	s_cbranch_vccnz .LBB18_1471
; %bb.1472:                             ;   in Loop: Header=BB18_1470 Depth=3
	s_and_saveexec_b64 s[38:39], s[36:37]
	s_cbranch_execz .LBB18_1480
; %bb.1473:                             ;   in Loop: Header=BB18_1470 Depth=3
	scratch_load_ushort v4, off, s33 offset:184
	scratch_load_ushort v5, off, s33 offset:186
	s_waitcnt vmcnt(1)
	v_lshlrev_b32_e32 v4, 16, v4
	s_waitcnt vmcnt(0)
	v_lshlrev_b32_e32 v5, 16, v5
	v_max_f32_e32 v5, v5, v5
	v_max_f32_e32 v4, v4, v4
	v_min_f32_e32 v16, v4, v5
	v_max_f32_e32 v4, v4, v5
	v_cndmask_b32_e64 v4, v4, v16, s[24:25]
	v_and_b32_e32 v5, 0x7f800000, v4
	v_cmp_ne_u32_e32 vcc, s96, v5
                                        ; implicit-def: $vgpr5
	s_and_saveexec_b64 s[26:27], vcc
	s_xor_b64 s[26:27], exec, s[26:27]
; %bb.1474:                             ;   in Loop: Header=BB18_1470 Depth=3
	v_bfe_u32 v5, v4, 16, 1
	v_add3_u32 v5, v4, v5, s97
                                        ; implicit-def: $vgpr4
; %bb.1475:                             ;   in Loop: Header=BB18_1470 Depth=3
	s_andn2_saveexec_b64 s[26:27], s[26:27]
; %bb.1476:                             ;   in Loop: Header=BB18_1470 Depth=3
	v_or_b32_e32 v5, 0x10000, v4
	v_cmp_eq_u32_sdwa vcc, v4, v3 src0_sel:WORD_0 src1_sel:DWORD
	s_nop 1
	v_cndmask_b32_e32 v5, v5, v4, vcc
; %bb.1477:                             ;   in Loop: Header=BB18_1470 Depth=3
	s_or_b64 exec, exec, s[26:27]
	v_lshrrev_b32_e32 v4, 16, v5
	s_mov_b64 s[48:49], 0
	s_mov_b64 s[36:37], -1
	scratch_store_short off, v4, s33 offset:184
.LBB18_1478:                            ;   Parent Loop BB18_47 Depth=1
                                        ;     Parent Loop BB18_955 Depth=2
                                        ;       Parent Loop BB18_1470 Depth=3
                                        ; =>      This Inner Loop Header: Depth=4
	s_cmp_eq_u32 s48, 1
	s_cselect_b64 vcc, -1, 0
	v_cndmask_b32_e32 v19, v9, v11, vcc
	s_cmp_eq_u32 s48, 0
	v_cndmask_b32_e32 v18, v8, v10, vcc
	flat_store_short v[18:19], v4 nt
	v_lshl_add_u64 v[18:19], v[18:19], 0, s[60:61]
	s_cselect_b64 s[26:27], -1, 0
	s_and_b64 s[28:29], exec, s[36:37]
	s_mov_b64 s[48:49], 1
	s_mov_b64 s[36:37], 0
	v_cndmask_b32_e32 v11, v11, v19, vcc
	v_cndmask_b32_e32 v10, v10, v18, vcc
	v_cndmask_b32_e64 v9, v9, v19, s[26:27]
	v_cndmask_b32_e64 v8, v8, v18, s[26:27]
	s_mov_b64 vcc, s[28:29]
	s_cbranch_vccnz .LBB18_1478
; %bb.1479:                             ;   in Loop: Header=BB18_1470 Depth=3
	v_lshl_add_u64 v[8:9], v[8:9], 0, v[116:117]
	v_lshl_add_u64 v[10:11], v[10:11], 0, v[116:117]
.LBB18_1480:                            ;   in Loop: Header=BB18_1470 Depth=3
	s_or_b64 exec, exec, s[38:39]
	v_sub_u32_e32 v17, v17, v110
	v_lshl_add_u64 v[12:13], v[12:13], 0, v[116:117]
	v_lshl_add_u64 v[14:15], v[14:15], 0, v[116:117]
	v_cmp_lt_i32_e64 s[36:37], 1, v17
	s_and_saveexec_b64 s[38:39], s[36:37]
	s_cbranch_execz .LBB18_1483
; %bb.1481:                             ;   in Loop: Header=BB18_1470 Depth=3
	s_add_i32 s26, s33, 0xb8
	s_mov_b32 s43, s26
	s_mov_b64 s[50:51], 0
	s_mov_b64 s[48:49], -1
.LBB18_1482:                            ;   Parent Loop BB18_47 Depth=1
                                        ;     Parent Loop BB18_955 Depth=2
                                        ;       Parent Loop BB18_1470 Depth=3
                                        ; =>      This Inner Loop Header: Depth=4
	s_cmp_eq_u32 s50, 1
	s_cselect_b64 vcc, -1, 0
	v_cndmask_b32_e32 v5, v13, v15, vcc
	v_cndmask_b32_e32 v4, v12, v14, vcc
	flat_load_ushort v16, v[4:5] nt
	s_cmp_eq_u32 s50, 0
	v_lshl_add_u64 v[4:5], v[4:5], 0, s[60:61]
	s_cselect_b64 s[26:27], -1, 0
	s_and_b64 s[28:29], exec, s[48:49]
	v_cndmask_b32_e64 v13, v13, v5, s[26:27]
	v_cndmask_b32_e64 v12, v12, v4, s[26:27]
	s_add_i32 s26, s33, 0xba
	s_mov_b64 s[50:51], 1
	s_mov_b64 s[48:49], 0
	v_cndmask_b32_e32 v15, v15, v5, vcc
	v_cndmask_b32_e32 v14, v14, v4, vcc
	s_mov_b64 vcc, s[28:29]
	s_waitcnt vmcnt(0) lgkmcnt(0)
	scratch_store_short off, v16, s43
	s_mov_b32 s43, s26
	s_cbranch_vccnz .LBB18_1482
.LBB18_1483:                            ;   in Loop: Header=BB18_1470 Depth=3
	s_or_b64 exec, exec, s[38:39]
	scratch_load_ushort v4, off, s33 offset:192
	scratch_load_ushort v5, off, s33 offset:224
	s_waitcnt vmcnt(0)
	v_lshlrev_b32_e32 v4, 16, v4
	v_lshlrev_b32_e32 v5, 16, v5
	v_max_f32_e32 v5, v5, v5
	v_max_f32_e32 v4, v4, v4
	v_min_f32_e32 v16, v4, v5
	v_max_f32_e32 v4, v4, v5
	v_cndmask_b32_e64 v4, v4, v16, s[24:25]
	v_and_b32_e32 v5, 0x7f800000, v4
	v_cmp_ne_u32_e32 vcc, s96, v5
                                        ; implicit-def: $vgpr5
	s_and_saveexec_b64 s[26:27], vcc
	s_xor_b64 s[26:27], exec, s[26:27]
; %bb.1484:                             ;   in Loop: Header=BB18_1470 Depth=3
	v_bfe_u32 v5, v4, 16, 1
	v_add3_u32 v5, v4, v5, s97
                                        ; implicit-def: $vgpr4
; %bb.1485:                             ;   in Loop: Header=BB18_1470 Depth=3
	s_andn2_saveexec_b64 s[26:27], s[26:27]
; %bb.1486:                             ;   in Loop: Header=BB18_1470 Depth=3
	v_or_b32_e32 v5, 0x10000, v4
	v_cmp_eq_u32_sdwa vcc, v4, v3 src0_sel:WORD_0 src1_sel:DWORD
	s_nop 1
	v_cndmask_b32_e32 v5, v5, v4, vcc
; %bb.1487:                             ;   in Loop: Header=BB18_1470 Depth=3
	s_or_b64 exec, exec, s[26:27]
	v_lshrrev_b32_e32 v4, 16, v5
	s_mov_b64 s[48:49], 0
	s_mov_b64 s[38:39], -1
	scratch_store_short off, v4, s33 offset:192
.LBB18_1488:                            ;   Parent Loop BB18_47 Depth=1
                                        ;     Parent Loop BB18_955 Depth=2
                                        ;       Parent Loop BB18_1470 Depth=3
                                        ; =>      This Inner Loop Header: Depth=4
	s_cmp_eq_u32 s48, 1
	s_cselect_b64 vcc, -1, 0
	v_cndmask_b32_e32 v19, v9, v11, vcc
	s_cmp_eq_u32 s48, 0
	v_cndmask_b32_e32 v18, v8, v10, vcc
	flat_store_short v[18:19], v4 nt
	v_lshl_add_u64 v[18:19], v[18:19], 0, s[60:61]
	s_cselect_b64 s[26:27], -1, 0
	s_and_b64 s[28:29], exec, s[38:39]
	s_mov_b64 s[48:49], 1
	s_mov_b64 s[38:39], 0
	v_cndmask_b32_e32 v11, v11, v19, vcc
	v_cndmask_b32_e32 v10, v10, v18, vcc
	v_cndmask_b32_e64 v9, v9, v19, s[26:27]
	v_cndmask_b32_e64 v8, v8, v18, s[26:27]
	s_mov_b64 vcc, s[28:29]
	s_cbranch_vccnz .LBB18_1488
; %bb.1489:                             ;   in Loop: Header=BB18_1470 Depth=3
	s_and_saveexec_b64 s[26:27], s[36:37]
	s_cbranch_execz .LBB18_1469
; %bb.1490:                             ;   in Loop: Header=BB18_1470 Depth=3
	v_lshl_add_u64 v[8:9], v[8:9], 0, v[116:117]
	v_lshl_add_u64 v[10:11], v[10:11], 0, v[116:117]
	;; [unrolled: 1-line block ×4, first 2 shown]
	v_sub_u32_e32 v17, v17, v110
	s_branch .LBB18_1469
.LBB18_1491:                            ;   in Loop: Header=BB18_955 Depth=2
	s_or_b64 exec, exec, s[30:31]
	s_and_b64 exec, exec, s[34:35]
	s_cbranch_execz .LBB18_1498
; %bb.1492:                             ;   in Loop: Header=BB18_955 Depth=2
	scratch_load_ushort v4, off, s33 offset:184
	scratch_load_ushort v5, off, s33 offset:186
	s_waitcnt vmcnt(0)
	v_lshlrev_b32_e32 v4, 16, v4
	v_lshlrev_b32_e32 v5, 16, v5
	v_max_f32_e32 v5, v5, v5
	v_max_f32_e32 v4, v4, v4
	v_min_f32_e32 v12, v4, v5
	v_max_f32_e32 v4, v4, v5
	v_cndmask_b32_e64 v4, v4, v12, s[24:25]
	v_and_b32_e32 v5, 0x7f800000, v4
	v_cmp_ne_u32_e32 vcc, s96, v5
                                        ; implicit-def: $vgpr5
	s_and_saveexec_b64 s[24:25], vcc
	s_xor_b64 s[24:25], exec, s[24:25]
; %bb.1493:                             ;   in Loop: Header=BB18_955 Depth=2
	v_bfe_u32 v5, v4, 16, 1
	v_add3_u32 v5, v4, v5, s97
                                        ; implicit-def: $vgpr4
; %bb.1494:                             ;   in Loop: Header=BB18_955 Depth=2
	s_andn2_saveexec_b64 s[24:25], s[24:25]
; %bb.1495:                             ;   in Loop: Header=BB18_955 Depth=2
	v_or_b32_e32 v5, 0x10000, v4
	v_cmp_eq_u32_sdwa vcc, v4, v3 src0_sel:WORD_0 src1_sel:DWORD
	s_nop 1
	v_cndmask_b32_e32 v5, v5, v4, vcc
; %bb.1496:                             ;   in Loop: Header=BB18_955 Depth=2
	s_or_b64 exec, exec, s[24:25]
	v_lshrrev_b32_e32 v4, 16, v5
	s_mov_b64 s[30:31], 0
	s_mov_b64 s[28:29], -1
.LBB18_1497:                            ;   Parent Loop BB18_47 Depth=1
                                        ;     Parent Loop BB18_955 Depth=2
                                        ; =>    This Inner Loop Header: Depth=3
	s_cmp_eq_u32 s30, 1
	s_cselect_b64 vcc, -1, 0
	v_cndmask_b32_e32 v13, v9, v11, vcc
	s_cmp_eq_u32 s30, 0
	v_cndmask_b32_e32 v12, v8, v10, vcc
	flat_store_short v[12:13], v4 nt
	v_lshl_add_u64 v[12:13], v[12:13], 0, s[60:61]
	s_cselect_b64 s[24:25], -1, 0
	s_and_b64 s[26:27], exec, s[28:29]
	s_mov_b64 s[30:31], 1
	s_mov_b64 s[28:29], 0
	v_cndmask_b32_e32 v11, v11, v13, vcc
	v_cndmask_b32_e32 v10, v10, v12, vcc
	v_cndmask_b32_e64 v9, v9, v13, s[24:25]
	v_cndmask_b32_e64 v8, v8, v12, s[24:25]
	s_mov_b64 vcc, s[26:27]
	s_cbranch_vccnz .LBB18_1497
.LBB18_1498:                            ;   in Loop: Header=BB18_955 Depth=2
	s_or_b64 exec, exec, s[40:41]
	s_mov_b64 s[24:25], 0
.LBB18_1499:                            ;   in Loop: Header=BB18_955 Depth=2
	s_and_b64 vcc, exec, s[24:25]
	s_cbranch_vccz .LBB18_1641
; %bb.1500:                             ;   in Loop: Header=BB18_955 Depth=2
	s_mov_b64 s[24:25], -1
	s_and_saveexec_b64 s[26:27], s[18:19]
	s_cbranch_execz .LBB18_1502
; %bb.1501:                             ;   in Loop: Header=BB18_955 Depth=2
	ds_read_b32 v4, v0 offset:720
	s_waitcnt lgkmcnt(0)
	v_and_b32_e32 v4, 15, v4
	v_cmp_eq_u32_e32 vcc, 0, v4
	s_orn2_b64 s[24:25], vcc, exec
.LBB18_1502:                            ;   in Loop: Header=BB18_955 Depth=2
	s_or_b64 exec, exec, s[26:27]
	s_and_saveexec_b64 s[26:27], s[14:15]
	s_cbranch_execz .LBB18_1504
; %bb.1503:                             ;   in Loop: Header=BB18_955 Depth=2
	ds_read_b32 v4, v0 offset:784
	s_waitcnt lgkmcnt(0)
	v_and_b32_e32 v4, 15, v4
	v_cmp_eq_u32_e32 vcc, 0, v4
	s_and_b64 s[28:29], s[24:25], vcc
	s_andn2_b64 s[24:25], s[24:25], exec
	s_and_b64 s[28:29], s[28:29], exec
	s_or_b64 s[24:25], s[24:25], s[28:29]
.LBB18_1504:                            ;   in Loop: Header=BB18_955 Depth=2
	s_or_b64 exec, exec, s[26:27]
	s_xor_b64 s[24:25], s[24:25], -1
	v_cndmask_b32_e64 v4, 0, 1, s[24:25]
	s_mov_b64 s[26:27], -1
	v_cmp_ne_u32_e32 vcc, 0, v4
	s_cbranch_vccz .LBB18_1642
; %bb.1505:                             ;   in Loop: Header=BB18_955 Depth=2
	s_and_b32 s43, s42, 1
	s_mov_b64 s[30:31], -1
	v_mov_b32_e32 v14, 0
	s_cbranch_execnz .LBB18_1643
.LBB18_1506:                            ;   in Loop: Header=BB18_955 Depth=2
	v_ashrrev_i32_e32 v4, 31, v63
	v_lshrrev_b32_e32 v4, 21, v4
	v_add_u32_e32 v4, v63, v4
	v_ashrrev_i32_e32 v82, 11, v4
	v_sub_u32_e32 v73, v82, v108
	s_and_b32 s43, s42, 1
	v_lshl_add_u64 v[88:89], v[78:79], 0, v[102:103]
	v_cmp_lt_i32_e32 vcc, 0, v73
	s_mov_b64 s[24:25], 0
                                        ; implicit-def: $vgpr20_vgpr21
                                        ; implicit-def: $vgpr12_vgpr13
                                        ; implicit-def: $vgpr16_vgpr17
                                        ; implicit-def: $vgpr8_vgpr9
	s_and_saveexec_b64 s[26:27], vcc
	s_cbranch_execz .LBB18_1645
; %bb.1507:                             ;   in Loop: Header=BB18_955 Depth=2
	s_trap 2
	ds_read_b64 v[4:5], v0
	s_and_b32 s24, 0xffff, s43
	s_cmp_eq_u32 s24, 0
	v_lshl_add_u64 v[90:91], v[58:59], 0, v[102:103]
	s_mov_b64 s[34:35], 0
	s_waitcnt lgkmcnt(0)
	v_lshl_add_u64 v[92:93], v[4:5], 0, v[102:103]
	s_mov_b64 s[28:29], 0
	s_cselect_b64 vcc, -1, 0
                                        ; implicit-def: $sgpr40_sgpr41
                                        ; implicit-def: $vgpr20_vgpr21
                                        ; implicit-def: $vgpr12_vgpr13
                                        ; implicit-def: $vgpr16_vgpr17
                                        ; implicit-def: $vgpr8_vgpr9
	s_branch .LBB18_1509
.LBB18_1508:                            ;   in Loop: Header=BB18_1509 Depth=3
	s_or_b64 exec, exec, s[36:37]
	v_lshrrev_b32_e32 v4, 16, v4
	v_and_or_b32 v96, v5, s44, v4
	v_lshrrev_b32_e32 v4, 16, v26
	v_lshrrev_b32_e32 v33, 16, v48
	v_and_or_b32 v97, v27, s44, v4
	v_lshl_add_u64 v[4:5], v[90:91], 0, v[112:113]
	v_and_or_b32 v35, v37, s44, v33
	v_lshrrev_b32_e32 v33, 16, v54
	v_lshrrev_b32_e32 v28, 16, v28
	v_cndmask_b32_e64 v90, v90, v4, s[34:35]
	v_cndmask_b32_e64 v4, 0, v84, s[34:35]
	v_and_or_b32 v34, v36, s44, v33
	v_and_or_b32 v36, v29, s44, v28
	v_lshrrev_b32_e32 v28, 16, v38
	v_sub_u32_e32 v73, v73, v4
	v_and_or_b32 v37, v39, s44, v28
	v_lshrrev_b32_e32 v28, 16, v32
	v_cmp_gt_i32_e64 s[24:25], 1, v73
	v_and_or_b32 v95, v25, s44, v28
	v_lshrrev_b32_e32 v25, 16, v49
	s_or_b64 s[28:29], s[24:25], s[28:29]
	v_and_or_b32 v94, v24, s44, v25
	v_lshl_add_u64 v[24:25], v[92:93], 0, v[112:113]
	v_cndmask_b32_e64 v27, 0, v41, s[34:35]
	v_cndmask_b32_e64 v26, v122, v40, s[34:35]
	s_andn2_b64 s[24:25], s[40:41], exec
	s_and_b64 s[40:41], s[34:35], exec
	global_store_dwordx4 v[88:89], v[34:37], off
	global_store_dwordx4 v[88:89], v[94:97], off offset:1024
	v_lshl_add_u64 v[88:89], v[88:89], 0, v[26:27]
	v_cndmask_b32_e64 v91, v91, v5, s[34:35]
	v_cndmask_b32_e64 v93, v93, v25, s[34:35]
	;; [unrolled: 1-line block ×3, first 2 shown]
	s_or_b64 s[40:41], s[24:25], s[40:41]
	s_andn2_b64 exec, exec, s[28:29]
	s_cbranch_execz .LBB18_1644
.LBB18_1509:                            ;   Parent Loop BB18_47 Depth=1
                                        ;     Parent Loop BB18_955 Depth=2
                                        ; =>    This Inner Loop Header: Depth=3
	global_load_dwordx4 v[36:39], v[90:91], off nt
	global_load_dwordx4 v[24:27], v[90:91], off offset:1024 nt
	global_load_dwordx4 v[48:51], v[92:93], off nt
	global_load_dwordx4 v[32:35], v[92:93], off offset:1024 nt
	s_and_saveexec_b64 s[36:37], s[34:35]
	s_cbranch_execz .LBB18_1575
; %bb.1510:                             ;   in Loop: Header=BB18_1509 Depth=3
	v_lshlrev_b32_e32 v4, 16, v20
	v_lshlrev_b32_e32 v5, 16, v16
	v_max_f32_e32 v5, v5, v5
	v_max_f32_e32 v4, v4, v4
	v_min_f32_e32 v28, v4, v5
	v_max_f32_e32 v4, v4, v5
	v_cndmask_b32_e32 v4, v4, v28, vcc
	v_and_b32_e32 v5, 0x7f800000, v4
	v_cmp_ne_u32_e64 s[24:25], s96, v5
                                        ; implicit-def: $vgpr94
	s_and_saveexec_b64 s[34:35], s[24:25]
	s_xor_b64 s[24:25], exec, s[34:35]
; %bb.1511:                             ;   in Loop: Header=BB18_1509 Depth=3
	v_bfe_u32 v5, v4, 16, 1
	v_add3_u32 v94, v4, v5, s97
                                        ; implicit-def: $vgpr4
; %bb.1512:                             ;   in Loop: Header=BB18_1509 Depth=3
	s_andn2_saveexec_b64 s[34:35], s[24:25]
; %bb.1513:                             ;   in Loop: Header=BB18_1509 Depth=3
	v_or_b32_e32 v5, 0x10000, v4
	v_cmp_eq_u32_sdwa s[24:25], v4, v3 src0_sel:WORD_0 src1_sel:DWORD
	s_nop 1
	v_cndmask_b32_e64 v94, v5, v4, s[24:25]
; %bb.1514:                             ;   in Loop: Header=BB18_1509 Depth=3
	s_or_b64 exec, exec, s[34:35]
	v_and_b32_e32 v4, 0xffff0000, v20
	v_and_b32_e32 v5, 0xffff0000, v16
	v_max_f32_e32 v5, v5, v5
	v_max_f32_e32 v4, v4, v4
	v_min_f32_e32 v20, v4, v5
	v_max_f32_e32 v4, v4, v5
	v_cndmask_b32_e32 v4, v4, v20, vcc
	v_and_b32_e32 v5, 0x7f800000, v4
	v_cmp_ne_u32_e64 s[24:25], s96, v5
                                        ; implicit-def: $vgpr20
	s_and_saveexec_b64 s[34:35], s[24:25]
	s_xor_b64 s[24:25], exec, s[34:35]
; %bb.1515:                             ;   in Loop: Header=BB18_1509 Depth=3
	v_bfe_u32 v5, v4, 16, 1
	v_add3_u32 v20, v4, v5, s97
                                        ; implicit-def: $vgpr4
; %bb.1516:                             ;   in Loop: Header=BB18_1509 Depth=3
	s_andn2_saveexec_b64 s[34:35], s[24:25]
; %bb.1517:                             ;   in Loop: Header=BB18_1509 Depth=3
	v_or_b32_e32 v5, 0x10000, v4
	v_cmp_eq_u32_sdwa s[24:25], v4, v3 src0_sel:WORD_0 src1_sel:DWORD
	s_nop 1
	v_cndmask_b32_e64 v20, v5, v4, s[24:25]
; %bb.1518:                             ;   in Loop: Header=BB18_1509 Depth=3
	s_or_b64 exec, exec, s[34:35]
	v_lshlrev_b32_e32 v4, 16, v21
	v_lshlrev_b32_e32 v5, 16, v17
	v_max_f32_e32 v5, v5, v5
	v_max_f32_e32 v4, v4, v4
	v_min_f32_e32 v28, v4, v5
	v_max_f32_e32 v4, v4, v5
	v_cndmask_b32_e32 v4, v4, v28, vcc
	v_and_b32_e32 v5, 0x7f800000, v4
	v_cmp_ne_u32_e64 s[24:25], s96, v5
                                        ; implicit-def: $vgpr54
	s_and_saveexec_b64 s[34:35], s[24:25]
	s_xor_b64 s[24:25], exec, s[34:35]
; %bb.1519:                             ;   in Loop: Header=BB18_1509 Depth=3
	v_bfe_u32 v5, v4, 16, 1
	v_add3_u32 v54, v4, v5, s97
                                        ; implicit-def: $vgpr4
; %bb.1520:                             ;   in Loop: Header=BB18_1509 Depth=3
	s_andn2_saveexec_b64 s[34:35], s[24:25]
; %bb.1521:                             ;   in Loop: Header=BB18_1509 Depth=3
	v_or_b32_e32 v5, 0x10000, v4
	v_cmp_eq_u32_sdwa s[24:25], v4, v3 src0_sel:WORD_0 src1_sel:DWORD
	s_nop 1
	v_cndmask_b32_e64 v54, v5, v4, s[24:25]
; %bb.1522:                             ;   in Loop: Header=BB18_1509 Depth=3
	s_or_b64 exec, exec, s[34:35]
	v_and_b32_e32 v4, 0xffff0000, v21
	v_and_b32_e32 v5, 0xffff0000, v17
	v_max_f32_e32 v5, v5, v5
	v_max_f32_e32 v4, v4, v4
	v_min_f32_e32 v21, v4, v5
	v_max_f32_e32 v4, v4, v5
	v_cndmask_b32_e32 v4, v4, v21, vcc
	v_and_b32_e32 v5, 0x7f800000, v4
	v_cmp_ne_u32_e64 s[24:25], s96, v5
                                        ; implicit-def: $vgpr21
	s_and_saveexec_b64 s[34:35], s[24:25]
	s_xor_b64 s[24:25], exec, s[34:35]
; %bb.1523:                             ;   in Loop: Header=BB18_1509 Depth=3
	v_bfe_u32 v5, v4, 16, 1
	v_add3_u32 v21, v4, v5, s97
                                        ; implicit-def: $vgpr4
; %bb.1524:                             ;   in Loop: Header=BB18_1509 Depth=3
	s_andn2_saveexec_b64 s[34:35], s[24:25]
; %bb.1525:                             ;   in Loop: Header=BB18_1509 Depth=3
	v_or_b32_e32 v5, 0x10000, v4
	v_cmp_eq_u32_sdwa s[24:25], v4, v3 src0_sel:WORD_0 src1_sel:DWORD
	s_nop 1
	v_cndmask_b32_e64 v21, v5, v4, s[24:25]
; %bb.1526:                             ;   in Loop: Header=BB18_1509 Depth=3
	s_or_b64 exec, exec, s[34:35]
	v_lshlrev_b32_e32 v4, 16, v22
	v_lshlrev_b32_e32 v5, 16, v18
	v_max_f32_e32 v5, v5, v5
	v_max_f32_e32 v4, v4, v4
	v_min_f32_e32 v28, v4, v5
	v_max_f32_e32 v4, v4, v5
	v_cndmask_b32_e32 v4, v4, v28, vcc
	v_and_b32_e32 v5, 0x7f800000, v4
	v_cmp_ne_u32_e64 s[24:25], s96, v5
                                        ; implicit-def: $vgpr28
	s_and_saveexec_b64 s[34:35], s[24:25]
	s_xor_b64 s[24:25], exec, s[34:35]
; %bb.1527:                             ;   in Loop: Header=BB18_1509 Depth=3
	v_bfe_u32 v5, v4, 16, 1
	v_add3_u32 v28, v4, v5, s97
                                        ; implicit-def: $vgpr4
; %bb.1528:                             ;   in Loop: Header=BB18_1509 Depth=3
	s_andn2_saveexec_b64 s[34:35], s[24:25]
; %bb.1529:                             ;   in Loop: Header=BB18_1509 Depth=3
	v_or_b32_e32 v5, 0x10000, v4
	v_cmp_eq_u32_sdwa s[24:25], v4, v3 src0_sel:WORD_0 src1_sel:DWORD
	s_nop 1
	v_cndmask_b32_e64 v28, v5, v4, s[24:25]
; %bb.1530:                             ;   in Loop: Header=BB18_1509 Depth=3
	s_or_b64 exec, exec, s[34:35]
	v_and_b32_e32 v4, 0xffff0000, v22
	v_and_b32_e32 v5, 0xffff0000, v18
	v_max_f32_e32 v5, v5, v5
	v_max_f32_e32 v4, v4, v4
	v_min_f32_e32 v22, v4, v5
	v_max_f32_e32 v4, v4, v5
	v_cndmask_b32_e32 v4, v4, v22, vcc
	v_and_b32_e32 v5, 0x7f800000, v4
	v_cmp_ne_u32_e64 s[24:25], s96, v5
                                        ; implicit-def: $vgpr22
	s_and_saveexec_b64 s[34:35], s[24:25]
	s_xor_b64 s[24:25], exec, s[34:35]
; %bb.1531:                             ;   in Loop: Header=BB18_1509 Depth=3
	v_bfe_u32 v5, v4, 16, 1
	v_add3_u32 v22, v4, v5, s97
                                        ; implicit-def: $vgpr4
; %bb.1532:                             ;   in Loop: Header=BB18_1509 Depth=3
	s_andn2_saveexec_b64 s[34:35], s[24:25]
; %bb.1533:                             ;   in Loop: Header=BB18_1509 Depth=3
	v_or_b32_e32 v5, 0x10000, v4
	v_cmp_eq_u32_sdwa s[24:25], v4, v3 src0_sel:WORD_0 src1_sel:DWORD
	s_nop 1
	v_cndmask_b32_e64 v22, v5, v4, s[24:25]
; %bb.1534:                             ;   in Loop: Header=BB18_1509 Depth=3
	s_or_b64 exec, exec, s[34:35]
	v_lshlrev_b32_e32 v4, 16, v23
	v_lshlrev_b32_e32 v5, 16, v19
	v_max_f32_e32 v5, v5, v5
	v_max_f32_e32 v4, v4, v4
	v_min_f32_e32 v29, v4, v5
	v_max_f32_e32 v4, v4, v5
	v_cndmask_b32_e32 v4, v4, v29, vcc
	v_and_b32_e32 v5, 0x7f800000, v4
	v_cmp_ne_u32_e64 s[24:25], s96, v5
                                        ; implicit-def: $vgpr29
	s_and_saveexec_b64 s[34:35], s[24:25]
	s_xor_b64 s[24:25], exec, s[34:35]
; %bb.1535:                             ;   in Loop: Header=BB18_1509 Depth=3
	v_bfe_u32 v5, v4, 16, 1
	v_add3_u32 v29, v4, v5, s97
                                        ; implicit-def: $vgpr4
; %bb.1536:                             ;   in Loop: Header=BB18_1509 Depth=3
	s_andn2_saveexec_b64 s[34:35], s[24:25]
; %bb.1537:                             ;   in Loop: Header=BB18_1509 Depth=3
	v_or_b32_e32 v5, 0x10000, v4
	v_cmp_eq_u32_sdwa s[24:25], v4, v3 src0_sel:WORD_0 src1_sel:DWORD
	s_nop 1
	v_cndmask_b32_e64 v29, v5, v4, s[24:25]
; %bb.1538:                             ;   in Loop: Header=BB18_1509 Depth=3
	s_or_b64 exec, exec, s[34:35]
	v_and_b32_e32 v4, 0xffff0000, v23
	v_and_b32_e32 v5, 0xffff0000, v19
	v_max_f32_e32 v5, v5, v5
	v_max_f32_e32 v4, v4, v4
	v_min_f32_e32 v23, v4, v5
	v_max_f32_e32 v4, v4, v5
	v_cndmask_b32_e32 v4, v4, v23, vcc
	v_and_b32_e32 v5, 0x7f800000, v4
	v_cmp_ne_u32_e64 s[24:25], s96, v5
                                        ; implicit-def: $vgpr23
	s_and_saveexec_b64 s[34:35], s[24:25]
	s_xor_b64 s[24:25], exec, s[34:35]
; %bb.1539:                             ;   in Loop: Header=BB18_1509 Depth=3
	v_bfe_u32 v5, v4, 16, 1
	v_add3_u32 v23, v4, v5, s97
                                        ; implicit-def: $vgpr4
; %bb.1540:                             ;   in Loop: Header=BB18_1509 Depth=3
	s_andn2_saveexec_b64 s[34:35], s[24:25]
; %bb.1541:                             ;   in Loop: Header=BB18_1509 Depth=3
	v_or_b32_e32 v5, 0x10000, v4
	v_cmp_eq_u32_sdwa s[24:25], v4, v3 src0_sel:WORD_0 src1_sel:DWORD
	s_nop 1
	v_cndmask_b32_e64 v23, v5, v4, s[24:25]
; %bb.1542:                             ;   in Loop: Header=BB18_1509 Depth=3
	s_or_b64 exec, exec, s[34:35]
	v_lshlrev_b32_e32 v4, 16, v12
	v_lshlrev_b32_e32 v5, 16, v8
	v_max_f32_e32 v5, v5, v5
	v_max_f32_e32 v4, v4, v4
	v_min_f32_e32 v55, v4, v5
	v_max_f32_e32 v4, v4, v5
	v_cndmask_b32_e32 v4, v4, v55, vcc
	v_and_b32_e32 v5, 0x7f800000, v4
	v_cmp_ne_u32_e64 s[24:25], s96, v5
                                        ; implicit-def: $vgpr55
	s_and_saveexec_b64 s[34:35], s[24:25]
	s_xor_b64 s[24:25], exec, s[34:35]
; %bb.1543:                             ;   in Loop: Header=BB18_1509 Depth=3
	v_bfe_u32 v5, v4, 16, 1
	v_add3_u32 v55, v4, v5, s97
                                        ; implicit-def: $vgpr4
; %bb.1544:                             ;   in Loop: Header=BB18_1509 Depth=3
	s_andn2_saveexec_b64 s[34:35], s[24:25]
; %bb.1545:                             ;   in Loop: Header=BB18_1509 Depth=3
	v_or_b32_e32 v5, 0x10000, v4
	v_cmp_eq_u32_sdwa s[24:25], v4, v3 src0_sel:WORD_0 src1_sel:DWORD
	s_nop 1
	v_cndmask_b32_e64 v55, v5, v4, s[24:25]
; %bb.1546:                             ;   in Loop: Header=BB18_1509 Depth=3
	s_or_b64 exec, exec, s[34:35]
	v_and_b32_e32 v4, 0xffff0000, v12
	v_and_b32_e32 v5, 0xffff0000, v8
	v_max_f32_e32 v5, v5, v5
	v_max_f32_e32 v4, v4, v4
	v_min_f32_e32 v12, v4, v5
	v_max_f32_e32 v4, v4, v5
	v_cndmask_b32_e32 v4, v4, v12, vcc
	v_and_b32_e32 v5, 0x7f800000, v4
	v_cmp_ne_u32_e64 s[24:25], s96, v5
                                        ; implicit-def: $vgpr12
	s_and_saveexec_b64 s[34:35], s[24:25]
	s_xor_b64 s[24:25], exec, s[34:35]
; %bb.1547:                             ;   in Loop: Header=BB18_1509 Depth=3
	v_bfe_u32 v5, v4, 16, 1
	v_add3_u32 v12, v4, v5, s97
                                        ; implicit-def: $vgpr4
; %bb.1548:                             ;   in Loop: Header=BB18_1509 Depth=3
	s_andn2_saveexec_b64 s[34:35], s[24:25]
; %bb.1549:                             ;   in Loop: Header=BB18_1509 Depth=3
	v_or_b32_e32 v5, 0x10000, v4
	v_cmp_eq_u32_sdwa s[24:25], v4, v3 src0_sel:WORD_0 src1_sel:DWORD
	s_nop 1
	v_cndmask_b32_e64 v12, v5, v4, s[24:25]
; %bb.1550:                             ;   in Loop: Header=BB18_1509 Depth=3
	s_or_b64 exec, exec, s[34:35]
	v_lshlrev_b32_e32 v4, 16, v13
	v_lshlrev_b32_e32 v5, 16, v9
	v_max_f32_e32 v5, v5, v5
	v_max_f32_e32 v4, v4, v4
	v_min_f32_e32 v86, v4, v5
	v_max_f32_e32 v4, v4, v5
	v_cndmask_b32_e32 v4, v4, v86, vcc
	v_and_b32_e32 v5, 0x7f800000, v4
	v_cmp_ne_u32_e64 s[24:25], s96, v5
                                        ; implicit-def: $vgpr96
	s_and_saveexec_b64 s[34:35], s[24:25]
	s_xor_b64 s[24:25], exec, s[34:35]
; %bb.1551:                             ;   in Loop: Header=BB18_1509 Depth=3
	v_bfe_u32 v5, v4, 16, 1
	v_add3_u32 v96, v4, v5, s97
                                        ; implicit-def: $vgpr4
; %bb.1552:                             ;   in Loop: Header=BB18_1509 Depth=3
	s_andn2_saveexec_b64 s[34:35], s[24:25]
; %bb.1553:                             ;   in Loop: Header=BB18_1509 Depth=3
	v_or_b32_e32 v5, 0x10000, v4
	v_cmp_eq_u32_sdwa s[24:25], v4, v3 src0_sel:WORD_0 src1_sel:DWORD
	s_nop 1
	v_cndmask_b32_e64 v96, v5, v4, s[24:25]
; %bb.1554:                             ;   in Loop: Header=BB18_1509 Depth=3
	s_or_b64 exec, exec, s[34:35]
	v_and_b32_e32 v4, 0xffff0000, v13
	v_and_b32_e32 v5, 0xffff0000, v9
	v_max_f32_e32 v5, v5, v5
	v_max_f32_e32 v4, v4, v4
	v_min_f32_e32 v13, v4, v5
	v_max_f32_e32 v4, v4, v5
	v_cndmask_b32_e32 v4, v4, v13, vcc
	v_and_b32_e32 v5, 0x7f800000, v4
	v_cmp_ne_u32_e64 s[24:25], s96, v5
                                        ; implicit-def: $vgpr13
	s_and_saveexec_b64 s[34:35], s[24:25]
	s_xor_b64 s[24:25], exec, s[34:35]
; %bb.1555:                             ;   in Loop: Header=BB18_1509 Depth=3
	v_bfe_u32 v5, v4, 16, 1
	v_add3_u32 v13, v4, v5, s97
                                        ; implicit-def: $vgpr4
; %bb.1556:                             ;   in Loop: Header=BB18_1509 Depth=3
	s_andn2_saveexec_b64 s[34:35], s[24:25]
; %bb.1557:                             ;   in Loop: Header=BB18_1509 Depth=3
	v_or_b32_e32 v5, 0x10000, v4
	v_cmp_eq_u32_sdwa s[24:25], v4, v3 src0_sel:WORD_0 src1_sel:DWORD
	s_nop 1
	v_cndmask_b32_e64 v13, v5, v4, s[24:25]
; %bb.1558:                             ;   in Loop: Header=BB18_1509 Depth=3
	s_or_b64 exec, exec, s[34:35]
	v_lshlrev_b32_e32 v4, 16, v14
	v_lshlrev_b32_e32 v5, 16, v10
	v_max_f32_e32 v5, v5, v5
	v_max_f32_e32 v4, v4, v4
	v_min_f32_e32 v86, v4, v5
	v_max_f32_e32 v4, v4, v5
	v_cndmask_b32_e32 v4, v4, v86, vcc
	v_and_b32_e32 v5, 0x7f800000, v4
	v_cmp_ne_u32_e64 s[24:25], s96, v5
                                        ; implicit-def: $vgpr97
	s_and_saveexec_b64 s[34:35], s[24:25]
	s_xor_b64 s[24:25], exec, s[34:35]
; %bb.1559:                             ;   in Loop: Header=BB18_1509 Depth=3
	v_bfe_u32 v5, v4, 16, 1
	v_add3_u32 v97, v4, v5, s97
                                        ; implicit-def: $vgpr4
; %bb.1560:                             ;   in Loop: Header=BB18_1509 Depth=3
	s_andn2_saveexec_b64 s[34:35], s[24:25]
; %bb.1561:                             ;   in Loop: Header=BB18_1509 Depth=3
	v_or_b32_e32 v5, 0x10000, v4
	v_cmp_eq_u32_sdwa s[24:25], v4, v3 src0_sel:WORD_0 src1_sel:DWORD
	s_nop 1
	v_cndmask_b32_e64 v97, v5, v4, s[24:25]
; %bb.1562:                             ;   in Loop: Header=BB18_1509 Depth=3
	s_or_b64 exec, exec, s[34:35]
	v_and_b32_e32 v4, 0xffff0000, v14
	v_and_b32_e32 v5, 0xffff0000, v10
	v_max_f32_e32 v5, v5, v5
	v_max_f32_e32 v4, v4, v4
	v_min_f32_e32 v14, v4, v5
	v_max_f32_e32 v4, v4, v5
	v_cndmask_b32_e32 v5, v4, v14, vcc
	v_and_b32_e32 v4, 0x7f800000, v5
	v_cmp_ne_u32_e64 s[24:25], s96, v4
                                        ; implicit-def: $vgpr4
	s_and_saveexec_b64 s[34:35], s[24:25]
	s_xor_b64 s[24:25], exec, s[34:35]
; %bb.1563:                             ;   in Loop: Header=BB18_1509 Depth=3
	v_bfe_u32 v4, v5, 16, 1
	v_add3_u32 v4, v5, v4, s97
                                        ; implicit-def: $vgpr5
; %bb.1564:                             ;   in Loop: Header=BB18_1509 Depth=3
	s_andn2_saveexec_b64 s[34:35], s[24:25]
; %bb.1565:                             ;   in Loop: Header=BB18_1509 Depth=3
	v_or_b32_e32 v4, 0x10000, v5
	v_cmp_eq_u32_sdwa s[24:25], v5, v3 src0_sel:WORD_0 src1_sel:DWORD
	s_nop 1
	v_cndmask_b32_e64 v4, v4, v5, s[24:25]
; %bb.1566:                             ;   in Loop: Header=BB18_1509 Depth=3
	s_or_b64 exec, exec, s[34:35]
	v_lshlrev_b32_e32 v5, 16, v15
	v_lshlrev_b32_e32 v14, 16, v11
	v_max_f32_e32 v14, v14, v14
	v_max_f32_e32 v5, v5, v5
	v_min_f32_e32 v86, v5, v14
	v_max_f32_e32 v5, v5, v14
	v_cndmask_b32_e32 v14, v5, v86, vcc
	v_and_b32_e32 v5, 0x7f800000, v14
	v_cmp_ne_u32_e64 s[24:25], s96, v5
                                        ; implicit-def: $vgpr5
	s_and_saveexec_b64 s[34:35], s[24:25]
	s_xor_b64 s[24:25], exec, s[34:35]
; %bb.1567:                             ;   in Loop: Header=BB18_1509 Depth=3
	v_bfe_u32 v5, v14, 16, 1
	v_add3_u32 v5, v14, v5, s97
                                        ; implicit-def: $vgpr14
; %bb.1568:                             ;   in Loop: Header=BB18_1509 Depth=3
	s_andn2_saveexec_b64 s[34:35], s[24:25]
; %bb.1569:                             ;   in Loop: Header=BB18_1509 Depth=3
	v_or_b32_e32 v5, 0x10000, v14
	v_cmp_eq_u32_sdwa s[24:25], v14, v3 src0_sel:WORD_0 src1_sel:DWORD
	s_nop 1
	v_cndmask_b32_e64 v5, v5, v14, s[24:25]
; %bb.1570:                             ;   in Loop: Header=BB18_1509 Depth=3
	s_or_b64 exec, exec, s[34:35]
	v_and_b32_e32 v14, 0xffff0000, v15
	v_and_b32_e32 v15, 0xffff0000, v11
	v_max_f32_e32 v15, v15, v15
	v_max_f32_e32 v14, v14, v14
	v_min_f32_e32 v86, v14, v15
	v_max_f32_e32 v14, v14, v15
	v_cndmask_b32_e32 v14, v14, v86, vcc
	v_and_b32_e32 v15, 0x7f800000, v14
	v_cmp_ne_u32_e64 s[24:25], s96, v15
                                        ; implicit-def: $vgpr15
	s_and_saveexec_b64 s[34:35], s[24:25]
	s_xor_b64 s[24:25], exec, s[34:35]
; %bb.1571:                             ;   in Loop: Header=BB18_1509 Depth=3
	v_bfe_u32 v15, v14, 16, 1
	v_add3_u32 v15, v14, v15, s97
                                        ; implicit-def: $vgpr14
; %bb.1572:                             ;   in Loop: Header=BB18_1509 Depth=3
	s_andn2_saveexec_b64 s[34:35], s[24:25]
; %bb.1573:                             ;   in Loop: Header=BB18_1509 Depth=3
	v_or_b32_e32 v15, 0x10000, v14
	v_cmp_eq_u32_sdwa s[24:25], v14, v3 src0_sel:WORD_0 src1_sel:DWORD
	s_nop 1
	v_cndmask_b32_e64 v15, v15, v14, s[24:25]
; %bb.1574:                             ;   in Loop: Header=BB18_1509 Depth=3
	s_or_b64 exec, exec, s[34:35]
	v_lshrrev_b32_e32 v14, 16, v54
	v_and_or_b32 v21, v21, s44, v14
	v_lshrrev_b32_e32 v14, 16, v94
	v_and_or_b32 v20, v20, s44, v14
	;; [unrolled: 2-line block ×8, first 2 shown]
	global_store_dwordx4 v[88:89], v[20:23], off
	global_store_dwordx4 v[88:89], v[12:15], off offset:1024
	v_lshl_add_u64 v[88:89], v[88:89], 0, v[40:41]
.LBB18_1575:                            ;   in Loop: Header=BB18_1509 Depth=3
	s_or_b64 exec, exec, s[36:37]
	v_sub_u32_e32 v73, v73, v84
	v_lshl_add_u64 v[90:91], v[90:91], 0, v[40:41]
	v_lshl_add_u64 v[92:93], v[92:93], 0, v[40:41]
	v_cmp_lt_i32_e64 s[34:35], 0, v73
	s_and_saveexec_b64 s[24:25], s[34:35]
	s_cbranch_execz .LBB18_1577
; %bb.1576:                             ;   in Loop: Header=BB18_1509 Depth=3
	global_load_dwordx4 v[20:23], v[90:91], off nt
	global_load_dwordx4 v[12:15], v[90:91], off offset:1024 nt
	global_load_dwordx4 v[16:19], v[92:93], off nt
	global_load_dwordx4 v[8:11], v[92:93], off offset:1024 nt
	v_lshl_add_u64 v[90:91], v[90:91], 0, s[72:73]
	v_lshl_add_u64 v[92:93], v[92:93], 0, s[72:73]
.LBB18_1577:                            ;   in Loop: Header=BB18_1509 Depth=3
	s_or_b64 exec, exec, s[24:25]
	s_waitcnt vmcnt(0)
	v_lshlrev_b32_e32 v4, 16, v36
	v_lshlrev_b32_e32 v5, 16, v48
	v_max_f32_e32 v5, v5, v5
	v_max_f32_e32 v4, v4, v4
	v_min_f32_e32 v28, v4, v5
	v_max_f32_e32 v4, v4, v5
	v_cndmask_b32_e32 v4, v4, v28, vcc
	v_and_b32_e32 v5, 0x7f800000, v4
	v_cmp_ne_u32_e64 s[24:25], s96, v5
                                        ; implicit-def: $vgpr54
	s_and_saveexec_b64 s[36:37], s[24:25]
	s_xor_b64 s[24:25], exec, s[36:37]
; %bb.1578:                             ;   in Loop: Header=BB18_1509 Depth=3
	v_bfe_u32 v5, v4, 16, 1
	v_add3_u32 v54, v4, v5, s97
                                        ; implicit-def: $vgpr4
; %bb.1579:                             ;   in Loop: Header=BB18_1509 Depth=3
	s_andn2_saveexec_b64 s[36:37], s[24:25]
; %bb.1580:                             ;   in Loop: Header=BB18_1509 Depth=3
	v_or_b32_e32 v5, 0x10000, v4
	v_cmp_eq_u32_sdwa s[24:25], v4, v3 src0_sel:WORD_0 src1_sel:DWORD
	s_nop 1
	v_cndmask_b32_e64 v54, v5, v4, s[24:25]
; %bb.1581:                             ;   in Loop: Header=BB18_1509 Depth=3
	s_or_b64 exec, exec, s[36:37]
	v_and_b32_e32 v4, 0xffff0000, v36
	v_and_b32_e32 v5, 0xffff0000, v48
	v_max_f32_e32 v5, v5, v5
	v_max_f32_e32 v4, v4, v4
	v_min_f32_e32 v28, v4, v5
	v_max_f32_e32 v4, v4, v5
	v_cndmask_b32_e32 v4, v4, v28, vcc
	v_and_b32_e32 v5, 0x7f800000, v4
	v_cmp_ne_u32_e64 s[24:25], s96, v5
                                        ; implicit-def: $vgpr36
	s_and_saveexec_b64 s[36:37], s[24:25]
	s_xor_b64 s[24:25], exec, s[36:37]
; %bb.1582:                             ;   in Loop: Header=BB18_1509 Depth=3
	v_bfe_u32 v5, v4, 16, 1
	v_add3_u32 v36, v4, v5, s97
                                        ; implicit-def: $vgpr4
; %bb.1583:                             ;   in Loop: Header=BB18_1509 Depth=3
	s_andn2_saveexec_b64 s[36:37], s[24:25]
; %bb.1584:                             ;   in Loop: Header=BB18_1509 Depth=3
	v_or_b32_e32 v5, 0x10000, v4
	v_cmp_eq_u32_sdwa s[24:25], v4, v3 src0_sel:WORD_0 src1_sel:DWORD
	s_nop 1
	v_cndmask_b32_e64 v36, v5, v4, s[24:25]
; %bb.1585:                             ;   in Loop: Header=BB18_1509 Depth=3
	s_or_b64 exec, exec, s[36:37]
	v_lshlrev_b32_e32 v4, 16, v37
	v_lshlrev_b32_e32 v5, 16, v49
	v_max_f32_e32 v5, v5, v5
	v_max_f32_e32 v4, v4, v4
	v_min_f32_e32 v28, v4, v5
	v_max_f32_e32 v4, v4, v5
	v_cndmask_b32_e32 v4, v4, v28, vcc
	v_and_b32_e32 v5, 0x7f800000, v4
	v_cmp_ne_u32_e64 s[24:25], s96, v5
                                        ; implicit-def: $vgpr48
	s_and_saveexec_b64 s[36:37], s[24:25]
	s_xor_b64 s[24:25], exec, s[36:37]
; %bb.1586:                             ;   in Loop: Header=BB18_1509 Depth=3
	v_bfe_u32 v5, v4, 16, 1
	v_add3_u32 v48, v4, v5, s97
                                        ; implicit-def: $vgpr4
; %bb.1587:                             ;   in Loop: Header=BB18_1509 Depth=3
	s_andn2_saveexec_b64 s[36:37], s[24:25]
; %bb.1588:                             ;   in Loop: Header=BB18_1509 Depth=3
	v_or_b32_e32 v5, 0x10000, v4
	v_cmp_eq_u32_sdwa s[24:25], v4, v3 src0_sel:WORD_0 src1_sel:DWORD
	s_nop 1
	v_cndmask_b32_e64 v48, v5, v4, s[24:25]
; %bb.1589:                             ;   in Loop: Header=BB18_1509 Depth=3
	s_or_b64 exec, exec, s[36:37]
	v_and_b32_e32 v4, 0xffff0000, v37
	v_and_b32_e32 v5, 0xffff0000, v49
	v_max_f32_e32 v5, v5, v5
	v_max_f32_e32 v4, v4, v4
	v_min_f32_e32 v28, v4, v5
	v_max_f32_e32 v4, v4, v5
	v_cndmask_b32_e32 v4, v4, v28, vcc
	v_and_b32_e32 v5, 0x7f800000, v4
	v_cmp_ne_u32_e64 s[24:25], s96, v5
                                        ; implicit-def: $vgpr37
	s_and_saveexec_b64 s[36:37], s[24:25]
	s_xor_b64 s[24:25], exec, s[36:37]
; %bb.1590:                             ;   in Loop: Header=BB18_1509 Depth=3
	v_bfe_u32 v5, v4, 16, 1
	v_add3_u32 v37, v4, v5, s97
                                        ; implicit-def: $vgpr4
; %bb.1591:                             ;   in Loop: Header=BB18_1509 Depth=3
	s_andn2_saveexec_b64 s[36:37], s[24:25]
; %bb.1592:                             ;   in Loop: Header=BB18_1509 Depth=3
	v_or_b32_e32 v5, 0x10000, v4
	v_cmp_eq_u32_sdwa s[24:25], v4, v3 src0_sel:WORD_0 src1_sel:DWORD
	s_nop 1
	v_cndmask_b32_e64 v37, v5, v4, s[24:25]
; %bb.1593:                             ;   in Loop: Header=BB18_1509 Depth=3
	s_or_b64 exec, exec, s[36:37]
	v_lshlrev_b32_e32 v4, 16, v38
	v_lshlrev_b32_e32 v5, 16, v50
	v_max_f32_e32 v5, v5, v5
	v_max_f32_e32 v4, v4, v4
	v_min_f32_e32 v28, v4, v5
	v_max_f32_e32 v4, v4, v5
	v_cndmask_b32_e32 v4, v4, v28, vcc
	v_and_b32_e32 v5, 0x7f800000, v4
	v_cmp_ne_u32_e64 s[24:25], s96, v5
                                        ; implicit-def: $vgpr28
	s_and_saveexec_b64 s[36:37], s[24:25]
	s_xor_b64 s[24:25], exec, s[36:37]
; %bb.1594:                             ;   in Loop: Header=BB18_1509 Depth=3
	v_bfe_u32 v5, v4, 16, 1
	v_add3_u32 v28, v4, v5, s97
                                        ; implicit-def: $vgpr4
; %bb.1595:                             ;   in Loop: Header=BB18_1509 Depth=3
	s_andn2_saveexec_b64 s[36:37], s[24:25]
; %bb.1596:                             ;   in Loop: Header=BB18_1509 Depth=3
	v_or_b32_e32 v5, 0x10000, v4
	v_cmp_eq_u32_sdwa s[24:25], v4, v3 src0_sel:WORD_0 src1_sel:DWORD
	s_nop 1
	v_cndmask_b32_e64 v28, v5, v4, s[24:25]
; %bb.1597:                             ;   in Loop: Header=BB18_1509 Depth=3
	s_or_b64 exec, exec, s[36:37]
	v_and_b32_e32 v4, 0xffff0000, v38
	v_and_b32_e32 v5, 0xffff0000, v50
	v_max_f32_e32 v5, v5, v5
	v_max_f32_e32 v4, v4, v4
	v_min_f32_e32 v29, v4, v5
	v_max_f32_e32 v4, v4, v5
	v_cndmask_b32_e32 v4, v4, v29, vcc
	v_and_b32_e32 v5, 0x7f800000, v4
	v_cmp_ne_u32_e64 s[24:25], s96, v5
                                        ; implicit-def: $vgpr29
	s_and_saveexec_b64 s[36:37], s[24:25]
	s_xor_b64 s[24:25], exec, s[36:37]
; %bb.1598:                             ;   in Loop: Header=BB18_1509 Depth=3
	v_bfe_u32 v5, v4, 16, 1
	v_add3_u32 v29, v4, v5, s97
                                        ; implicit-def: $vgpr4
; %bb.1599:                             ;   in Loop: Header=BB18_1509 Depth=3
	s_andn2_saveexec_b64 s[36:37], s[24:25]
; %bb.1600:                             ;   in Loop: Header=BB18_1509 Depth=3
	v_or_b32_e32 v5, 0x10000, v4
	v_cmp_eq_u32_sdwa s[24:25], v4, v3 src0_sel:WORD_0 src1_sel:DWORD
	s_nop 1
	v_cndmask_b32_e64 v29, v5, v4, s[24:25]
; %bb.1601:                             ;   in Loop: Header=BB18_1509 Depth=3
	s_or_b64 exec, exec, s[36:37]
	v_lshlrev_b32_e32 v4, 16, v39
	v_lshlrev_b32_e32 v5, 16, v51
	v_max_f32_e32 v5, v5, v5
	v_max_f32_e32 v4, v4, v4
	v_min_f32_e32 v38, v4, v5
	v_max_f32_e32 v4, v4, v5
	v_cndmask_b32_e32 v4, v4, v38, vcc
	v_and_b32_e32 v5, 0x7f800000, v4
	v_cmp_ne_u32_e64 s[24:25], s96, v5
                                        ; implicit-def: $vgpr38
	s_and_saveexec_b64 s[36:37], s[24:25]
	s_xor_b64 s[24:25], exec, s[36:37]
; %bb.1602:                             ;   in Loop: Header=BB18_1509 Depth=3
	v_bfe_u32 v5, v4, 16, 1
	v_add3_u32 v38, v4, v5, s97
                                        ; implicit-def: $vgpr4
; %bb.1603:                             ;   in Loop: Header=BB18_1509 Depth=3
	s_andn2_saveexec_b64 s[36:37], s[24:25]
; %bb.1604:                             ;   in Loop: Header=BB18_1509 Depth=3
	v_or_b32_e32 v5, 0x10000, v4
	v_cmp_eq_u32_sdwa s[24:25], v4, v3 src0_sel:WORD_0 src1_sel:DWORD
	s_nop 1
	v_cndmask_b32_e64 v38, v5, v4, s[24:25]
; %bb.1605:                             ;   in Loop: Header=BB18_1509 Depth=3
	s_or_b64 exec, exec, s[36:37]
	v_and_b32_e32 v4, 0xffff0000, v39
	v_and_b32_e32 v5, 0xffff0000, v51
	v_max_f32_e32 v5, v5, v5
	v_max_f32_e32 v4, v4, v4
	v_min_f32_e32 v39, v4, v5
	v_max_f32_e32 v4, v4, v5
	v_cndmask_b32_e32 v4, v4, v39, vcc
	v_and_b32_e32 v5, 0x7f800000, v4
	v_cmp_ne_u32_e64 s[24:25], s96, v5
                                        ; implicit-def: $vgpr39
	s_and_saveexec_b64 s[36:37], s[24:25]
	s_xor_b64 s[24:25], exec, s[36:37]
; %bb.1606:                             ;   in Loop: Header=BB18_1509 Depth=3
	v_bfe_u32 v5, v4, 16, 1
	v_add3_u32 v39, v4, v5, s97
                                        ; implicit-def: $vgpr4
; %bb.1607:                             ;   in Loop: Header=BB18_1509 Depth=3
	s_andn2_saveexec_b64 s[36:37], s[24:25]
; %bb.1608:                             ;   in Loop: Header=BB18_1509 Depth=3
	v_or_b32_e32 v5, 0x10000, v4
	v_cmp_eq_u32_sdwa s[24:25], v4, v3 src0_sel:WORD_0 src1_sel:DWORD
	s_nop 1
	v_cndmask_b32_e64 v39, v5, v4, s[24:25]
; %bb.1609:                             ;   in Loop: Header=BB18_1509 Depth=3
	s_or_b64 exec, exec, s[36:37]
	v_lshlrev_b32_e32 v4, 16, v24
	v_lshlrev_b32_e32 v5, 16, v32
	v_max_f32_e32 v5, v5, v5
	v_max_f32_e32 v4, v4, v4
	v_min_f32_e32 v49, v4, v5
	v_max_f32_e32 v4, v4, v5
	v_cndmask_b32_e32 v4, v4, v49, vcc
	v_and_b32_e32 v5, 0x7f800000, v4
	v_cmp_ne_u32_e64 s[24:25], s96, v5
                                        ; implicit-def: $vgpr49
	s_and_saveexec_b64 s[36:37], s[24:25]
	s_xor_b64 s[24:25], exec, s[36:37]
; %bb.1610:                             ;   in Loop: Header=BB18_1509 Depth=3
	v_bfe_u32 v5, v4, 16, 1
	v_add3_u32 v49, v4, v5, s97
                                        ; implicit-def: $vgpr4
; %bb.1611:                             ;   in Loop: Header=BB18_1509 Depth=3
	s_andn2_saveexec_b64 s[36:37], s[24:25]
; %bb.1612:                             ;   in Loop: Header=BB18_1509 Depth=3
	v_or_b32_e32 v5, 0x10000, v4
	v_cmp_eq_u32_sdwa s[24:25], v4, v3 src0_sel:WORD_0 src1_sel:DWORD
	s_nop 1
	v_cndmask_b32_e64 v49, v5, v4, s[24:25]
; %bb.1613:                             ;   in Loop: Header=BB18_1509 Depth=3
	s_or_b64 exec, exec, s[36:37]
	v_and_b32_e32 v4, 0xffff0000, v24
	v_and_b32_e32 v5, 0xffff0000, v32
	v_max_f32_e32 v5, v5, v5
	v_max_f32_e32 v4, v4, v4
	v_min_f32_e32 v24, v4, v5
	v_max_f32_e32 v4, v4, v5
	v_cndmask_b32_e32 v4, v4, v24, vcc
	v_and_b32_e32 v5, 0x7f800000, v4
	v_cmp_ne_u32_e64 s[24:25], s96, v5
                                        ; implicit-def: $vgpr24
	s_and_saveexec_b64 s[36:37], s[24:25]
	s_xor_b64 s[24:25], exec, s[36:37]
; %bb.1614:                             ;   in Loop: Header=BB18_1509 Depth=3
	v_bfe_u32 v5, v4, 16, 1
	v_add3_u32 v24, v4, v5, s97
                                        ; implicit-def: $vgpr4
; %bb.1615:                             ;   in Loop: Header=BB18_1509 Depth=3
	s_andn2_saveexec_b64 s[36:37], s[24:25]
; %bb.1616:                             ;   in Loop: Header=BB18_1509 Depth=3
	v_or_b32_e32 v5, 0x10000, v4
	v_cmp_eq_u32_sdwa s[24:25], v4, v3 src0_sel:WORD_0 src1_sel:DWORD
	s_nop 1
	v_cndmask_b32_e64 v24, v5, v4, s[24:25]
; %bb.1617:                             ;   in Loop: Header=BB18_1509 Depth=3
	s_or_b64 exec, exec, s[36:37]
	v_lshlrev_b32_e32 v4, 16, v25
	v_lshlrev_b32_e32 v5, 16, v33
	v_max_f32_e32 v5, v5, v5
	v_max_f32_e32 v4, v4, v4
	v_min_f32_e32 v32, v4, v5
	v_max_f32_e32 v4, v4, v5
	v_cndmask_b32_e32 v4, v4, v32, vcc
	v_and_b32_e32 v5, 0x7f800000, v4
	v_cmp_ne_u32_e64 s[24:25], s96, v5
                                        ; implicit-def: $vgpr32
	s_and_saveexec_b64 s[36:37], s[24:25]
	s_xor_b64 s[24:25], exec, s[36:37]
; %bb.1618:                             ;   in Loop: Header=BB18_1509 Depth=3
	v_bfe_u32 v5, v4, 16, 1
	v_add3_u32 v32, v4, v5, s97
                                        ; implicit-def: $vgpr4
; %bb.1619:                             ;   in Loop: Header=BB18_1509 Depth=3
	s_andn2_saveexec_b64 s[36:37], s[24:25]
; %bb.1620:                             ;   in Loop: Header=BB18_1509 Depth=3
	v_or_b32_e32 v5, 0x10000, v4
	v_cmp_eq_u32_sdwa s[24:25], v4, v3 src0_sel:WORD_0 src1_sel:DWORD
	s_nop 1
	v_cndmask_b32_e64 v32, v5, v4, s[24:25]
; %bb.1621:                             ;   in Loop: Header=BB18_1509 Depth=3
	s_or_b64 exec, exec, s[36:37]
	v_and_b32_e32 v4, 0xffff0000, v25
	v_and_b32_e32 v5, 0xffff0000, v33
	v_max_f32_e32 v5, v5, v5
	v_max_f32_e32 v4, v4, v4
	v_min_f32_e32 v25, v4, v5
	v_max_f32_e32 v4, v4, v5
	v_cndmask_b32_e32 v4, v4, v25, vcc
	v_and_b32_e32 v5, 0x7f800000, v4
	v_cmp_ne_u32_e64 s[24:25], s96, v5
                                        ; implicit-def: $vgpr25
	s_and_saveexec_b64 s[36:37], s[24:25]
	s_xor_b64 s[24:25], exec, s[36:37]
; %bb.1622:                             ;   in Loop: Header=BB18_1509 Depth=3
	v_bfe_u32 v5, v4, 16, 1
	v_add3_u32 v25, v4, v5, s97
                                        ; implicit-def: $vgpr4
; %bb.1623:                             ;   in Loop: Header=BB18_1509 Depth=3
	s_andn2_saveexec_b64 s[36:37], s[24:25]
; %bb.1624:                             ;   in Loop: Header=BB18_1509 Depth=3
	v_or_b32_e32 v5, 0x10000, v4
	v_cmp_eq_u32_sdwa s[24:25], v4, v3 src0_sel:WORD_0 src1_sel:DWORD
	s_nop 1
	v_cndmask_b32_e64 v25, v5, v4, s[24:25]
; %bb.1625:                             ;   in Loop: Header=BB18_1509 Depth=3
	s_or_b64 exec, exec, s[36:37]
	v_lshlrev_b32_e32 v4, 16, v26
	v_lshlrev_b32_e32 v5, 16, v34
	v_max_f32_e32 v5, v5, v5
	v_max_f32_e32 v4, v4, v4
	v_min_f32_e32 v33, v4, v5
	v_max_f32_e32 v4, v4, v5
	v_cndmask_b32_e32 v5, v4, v33, vcc
	v_and_b32_e32 v4, 0x7f800000, v5
	v_cmp_ne_u32_e64 s[24:25], s96, v4
                                        ; implicit-def: $vgpr4
	s_and_saveexec_b64 s[36:37], s[24:25]
	s_xor_b64 s[24:25], exec, s[36:37]
; %bb.1626:                             ;   in Loop: Header=BB18_1509 Depth=3
	v_bfe_u32 v4, v5, 16, 1
	v_add3_u32 v4, v5, v4, s97
                                        ; implicit-def: $vgpr5
; %bb.1627:                             ;   in Loop: Header=BB18_1509 Depth=3
	s_andn2_saveexec_b64 s[36:37], s[24:25]
; %bb.1628:                             ;   in Loop: Header=BB18_1509 Depth=3
	v_or_b32_e32 v4, 0x10000, v5
	v_cmp_eq_u32_sdwa s[24:25], v5, v3 src0_sel:WORD_0 src1_sel:DWORD
	s_nop 1
	v_cndmask_b32_e64 v4, v4, v5, s[24:25]
; %bb.1629:                             ;   in Loop: Header=BB18_1509 Depth=3
	s_or_b64 exec, exec, s[36:37]
	v_and_b32_e32 v5, 0xffff0000, v26
	v_and_b32_e32 v26, 0xffff0000, v34
	v_max_f32_e32 v26, v26, v26
	v_max_f32_e32 v5, v5, v5
	v_min_f32_e32 v33, v5, v26
	v_max_f32_e32 v5, v5, v26
	v_cndmask_b32_e32 v26, v5, v33, vcc
	v_and_b32_e32 v5, 0x7f800000, v26
	v_cmp_ne_u32_e64 s[24:25], s96, v5
                                        ; implicit-def: $vgpr5
	s_and_saveexec_b64 s[36:37], s[24:25]
	s_xor_b64 s[24:25], exec, s[36:37]
; %bb.1630:                             ;   in Loop: Header=BB18_1509 Depth=3
	v_bfe_u32 v5, v26, 16, 1
	v_add3_u32 v5, v26, v5, s97
                                        ; implicit-def: $vgpr26
; %bb.1631:                             ;   in Loop: Header=BB18_1509 Depth=3
	s_andn2_saveexec_b64 s[36:37], s[24:25]
; %bb.1632:                             ;   in Loop: Header=BB18_1509 Depth=3
	v_or_b32_e32 v5, 0x10000, v26
	v_cmp_eq_u32_sdwa s[24:25], v26, v3 src0_sel:WORD_0 src1_sel:DWORD
	s_nop 1
	v_cndmask_b32_e64 v5, v5, v26, s[24:25]
; %bb.1633:                             ;   in Loop: Header=BB18_1509 Depth=3
	s_or_b64 exec, exec, s[36:37]
	v_lshlrev_b32_e32 v26, 16, v27
	v_lshlrev_b32_e32 v33, 16, v35
	v_max_f32_e32 v33, v33, v33
	v_max_f32_e32 v26, v26, v26
	v_min_f32_e32 v34, v26, v33
	v_max_f32_e32 v26, v26, v33
	v_cndmask_b32_e32 v33, v26, v34, vcc
	v_and_b32_e32 v26, 0x7f800000, v33
	v_cmp_ne_u32_e64 s[24:25], s96, v26
                                        ; implicit-def: $vgpr26
	s_and_saveexec_b64 s[36:37], s[24:25]
	s_xor_b64 s[24:25], exec, s[36:37]
; %bb.1634:                             ;   in Loop: Header=BB18_1509 Depth=3
	v_bfe_u32 v26, v33, 16, 1
	v_add3_u32 v26, v33, v26, s97
                                        ; implicit-def: $vgpr33
; %bb.1635:                             ;   in Loop: Header=BB18_1509 Depth=3
	s_andn2_saveexec_b64 s[36:37], s[24:25]
; %bb.1636:                             ;   in Loop: Header=BB18_1509 Depth=3
	v_or_b32_e32 v26, 0x10000, v33
	v_cmp_eq_u32_sdwa s[24:25], v33, v3 src0_sel:WORD_0 src1_sel:DWORD
	s_nop 1
	v_cndmask_b32_e64 v26, v26, v33, s[24:25]
; %bb.1637:                             ;   in Loop: Header=BB18_1509 Depth=3
	s_or_b64 exec, exec, s[36:37]
	v_and_b32_e32 v27, 0xffff0000, v27
	v_and_b32_e32 v33, 0xffff0000, v35
	v_max_f32_e32 v33, v33, v33
	v_max_f32_e32 v27, v27, v27
	v_min_f32_e32 v34, v27, v33
	v_max_f32_e32 v27, v27, v33
	v_cndmask_b32_e32 v33, v27, v34, vcc
	v_and_b32_e32 v27, 0x7f800000, v33
	v_cmp_ne_u32_e64 s[24:25], s96, v27
                                        ; implicit-def: $vgpr27
	s_and_saveexec_b64 s[36:37], s[24:25]
	s_xor_b64 s[24:25], exec, s[36:37]
; %bb.1638:                             ;   in Loop: Header=BB18_1509 Depth=3
	v_bfe_u32 v27, v33, 16, 1
	v_add3_u32 v27, v33, v27, s97
                                        ; implicit-def: $vgpr33
; %bb.1639:                             ;   in Loop: Header=BB18_1509 Depth=3
	s_andn2_saveexec_b64 s[36:37], s[24:25]
	s_cbranch_execz .LBB18_1508
; %bb.1640:                             ;   in Loop: Header=BB18_1509 Depth=3
	v_or_b32_e32 v27, 0x10000, v33
	v_cmp_eq_u32_sdwa s[24:25], v33, v3 src0_sel:WORD_0 src1_sel:DWORD
	s_nop 1
	v_cndmask_b32_e64 v27, v27, v33, s[24:25]
	s_branch .LBB18_1508
.LBB18_1641:                            ;   in Loop: Header=BB18_955 Depth=2
	v_cmp_lt_i32_e64 s[24:25], 0, v2
	s_and_saveexec_b64 s[26:27], s[4:5]
	s_cbranch_execnz .LBB18_1959
	s_branch .LBB18_1977
.LBB18_1642:                            ;   in Loop: Header=BB18_955 Depth=2
	s_mov_b64 s[30:31], 0
                                        ; implicit-def: $sgpr43
	s_andn2_b64 vcc, exec, s[26:27]
	v_mov_b32_e32 v14, 0
	s_cbranch_vccz .LBB18_1506
.LBB18_1643:                            ;   in Loop: Header=BB18_955 Depth=2
	v_mov_b32_e32 v4, v0
	v_mov_b32_e32 v15, v107
	s_and_saveexec_b64 s[40:41], s[30:31]
	s_cbranch_execnz .LBB18_1827
	s_branch .LBB18_1958
.LBB18_1644:                            ;   in Loop: Header=BB18_955 Depth=2
	s_or_b64 exec, exec, s[28:29]
	s_and_b64 s[24:25], s[40:41], exec
.LBB18_1645:                            ;   in Loop: Header=BB18_955 Depth=2
	s_or_b64 exec, exec, s[26:27]
	s_and_saveexec_b64 s[26:27], s[24:25]
	s_cbranch_execz .LBB18_1711
; %bb.1646:                             ;   in Loop: Header=BB18_955 Depth=2
	s_and_b32 s24, 0xffff, s43
	v_lshlrev_b32_e32 v4, 16, v20
	v_lshlrev_b32_e32 v5, 16, v16
	s_cmp_eq_u32 s24, 0
	v_max_f32_e32 v5, v5, v5
	v_max_f32_e32 v4, v4, v4
	v_min_f32_e32 v24, v4, v5
	v_max_f32_e32 v4, v4, v5
	s_cselect_b64 vcc, -1, 0
	v_cndmask_b32_e32 v4, v4, v24, vcc
	v_and_b32_e32 v5, 0x7f800000, v4
	v_cmp_ne_u32_e64 s[24:25], s96, v5
                                        ; implicit-def: $vgpr24
	s_and_saveexec_b64 s[28:29], s[24:25]
	s_xor_b64 s[24:25], exec, s[28:29]
; %bb.1647:                             ;   in Loop: Header=BB18_955 Depth=2
	v_bfe_u32 v5, v4, 16, 1
	v_add3_u32 v24, v4, v5, s97
                                        ; implicit-def: $vgpr4
; %bb.1648:                             ;   in Loop: Header=BB18_955 Depth=2
	s_andn2_saveexec_b64 s[28:29], s[24:25]
; %bb.1649:                             ;   in Loop: Header=BB18_955 Depth=2
	v_or_b32_e32 v5, 0x10000, v4
	v_cmp_eq_u32_sdwa s[24:25], v4, v3 src0_sel:WORD_0 src1_sel:DWORD
	s_nop 1
	v_cndmask_b32_e64 v24, v5, v4, s[24:25]
; %bb.1650:                             ;   in Loop: Header=BB18_955 Depth=2
	s_or_b64 exec, exec, s[28:29]
	v_and_b32_e32 v4, 0xffff0000, v20
	v_and_b32_e32 v5, 0xffff0000, v16
	v_max_f32_e32 v5, v5, v5
	v_max_f32_e32 v4, v4, v4
	v_min_f32_e32 v16, v4, v5
	v_max_f32_e32 v4, v4, v5
	v_cndmask_b32_e32 v4, v4, v16, vcc
	v_and_b32_e32 v5, 0x7f800000, v4
	v_cmp_ne_u32_e64 s[24:25], s96, v5
                                        ; implicit-def: $vgpr16
	s_and_saveexec_b64 s[28:29], s[24:25]
	s_xor_b64 s[24:25], exec, s[28:29]
; %bb.1651:                             ;   in Loop: Header=BB18_955 Depth=2
	v_bfe_u32 v5, v4, 16, 1
	v_add3_u32 v16, v4, v5, s97
                                        ; implicit-def: $vgpr4
; %bb.1652:                             ;   in Loop: Header=BB18_955 Depth=2
	s_andn2_saveexec_b64 s[28:29], s[24:25]
; %bb.1653:                             ;   in Loop: Header=BB18_955 Depth=2
	v_or_b32_e32 v5, 0x10000, v4
	v_cmp_eq_u32_sdwa s[24:25], v4, v3 src0_sel:WORD_0 src1_sel:DWORD
	s_nop 1
	v_cndmask_b32_e64 v16, v5, v4, s[24:25]
; %bb.1654:                             ;   in Loop: Header=BB18_955 Depth=2
	s_or_b64 exec, exec, s[28:29]
	v_lshlrev_b32_e32 v4, 16, v21
	v_lshlrev_b32_e32 v5, 16, v17
	v_max_f32_e32 v5, v5, v5
	v_max_f32_e32 v4, v4, v4
	v_min_f32_e32 v20, v4, v5
	v_max_f32_e32 v4, v4, v5
	v_cndmask_b32_e32 v4, v4, v20, vcc
	v_and_b32_e32 v5, 0x7f800000, v4
	v_cmp_ne_u32_e64 s[24:25], s96, v5
                                        ; implicit-def: $vgpr20
	s_and_saveexec_b64 s[28:29], s[24:25]
	s_xor_b64 s[24:25], exec, s[28:29]
; %bb.1655:                             ;   in Loop: Header=BB18_955 Depth=2
	v_bfe_u32 v5, v4, 16, 1
	v_add3_u32 v20, v4, v5, s97
                                        ; implicit-def: $vgpr4
; %bb.1656:                             ;   in Loop: Header=BB18_955 Depth=2
	s_andn2_saveexec_b64 s[28:29], s[24:25]
; %bb.1657:                             ;   in Loop: Header=BB18_955 Depth=2
	v_or_b32_e32 v5, 0x10000, v4
	v_cmp_eq_u32_sdwa s[24:25], v4, v3 src0_sel:WORD_0 src1_sel:DWORD
	s_nop 1
	v_cndmask_b32_e64 v20, v5, v4, s[24:25]
; %bb.1658:                             ;   in Loop: Header=BB18_955 Depth=2
	s_or_b64 exec, exec, s[28:29]
	v_and_b32_e32 v4, 0xffff0000, v21
	v_and_b32_e32 v5, 0xffff0000, v17
	v_max_f32_e32 v5, v5, v5
	v_max_f32_e32 v4, v4, v4
	v_min_f32_e32 v17, v4, v5
	v_max_f32_e32 v4, v4, v5
	v_cndmask_b32_e32 v4, v4, v17, vcc
	v_and_b32_e32 v5, 0x7f800000, v4
	v_cmp_ne_u32_e64 s[24:25], s96, v5
                                        ; implicit-def: $vgpr17
	s_and_saveexec_b64 s[28:29], s[24:25]
	s_xor_b64 s[24:25], exec, s[28:29]
; %bb.1659:                             ;   in Loop: Header=BB18_955 Depth=2
	v_bfe_u32 v5, v4, 16, 1
	v_add3_u32 v17, v4, v5, s97
                                        ; implicit-def: $vgpr4
; %bb.1660:                             ;   in Loop: Header=BB18_955 Depth=2
	s_andn2_saveexec_b64 s[28:29], s[24:25]
; %bb.1661:                             ;   in Loop: Header=BB18_955 Depth=2
	v_or_b32_e32 v5, 0x10000, v4
	v_cmp_eq_u32_sdwa s[24:25], v4, v3 src0_sel:WORD_0 src1_sel:DWORD
	s_nop 1
	v_cndmask_b32_e64 v17, v5, v4, s[24:25]
; %bb.1662:                             ;   in Loop: Header=BB18_955 Depth=2
	s_or_b64 exec, exec, s[28:29]
	v_lshlrev_b32_e32 v4, 16, v22
	v_lshlrev_b32_e32 v5, 16, v18
	v_max_f32_e32 v5, v5, v5
	v_max_f32_e32 v4, v4, v4
	v_min_f32_e32 v21, v4, v5
	v_max_f32_e32 v4, v4, v5
	v_cndmask_b32_e32 v4, v4, v21, vcc
	v_and_b32_e32 v5, 0x7f800000, v4
	v_cmp_ne_u32_e64 s[24:25], s96, v5
                                        ; implicit-def: $vgpr21
	s_and_saveexec_b64 s[28:29], s[24:25]
	s_xor_b64 s[24:25], exec, s[28:29]
; %bb.1663:                             ;   in Loop: Header=BB18_955 Depth=2
	v_bfe_u32 v5, v4, 16, 1
	v_add3_u32 v21, v4, v5, s97
                                        ; implicit-def: $vgpr4
; %bb.1664:                             ;   in Loop: Header=BB18_955 Depth=2
	s_andn2_saveexec_b64 s[28:29], s[24:25]
; %bb.1665:                             ;   in Loop: Header=BB18_955 Depth=2
	v_or_b32_e32 v5, 0x10000, v4
	v_cmp_eq_u32_sdwa s[24:25], v4, v3 src0_sel:WORD_0 src1_sel:DWORD
	s_nop 1
	v_cndmask_b32_e64 v21, v5, v4, s[24:25]
; %bb.1666:                             ;   in Loop: Header=BB18_955 Depth=2
	s_or_b64 exec, exec, s[28:29]
	v_and_b32_e32 v4, 0xffff0000, v22
	v_and_b32_e32 v5, 0xffff0000, v18
	v_max_f32_e32 v5, v5, v5
	v_max_f32_e32 v4, v4, v4
	v_min_f32_e32 v18, v4, v5
	v_max_f32_e32 v4, v4, v5
	v_cndmask_b32_e32 v4, v4, v18, vcc
	v_and_b32_e32 v5, 0x7f800000, v4
	v_cmp_ne_u32_e64 s[24:25], s96, v5
                                        ; implicit-def: $vgpr18
	s_and_saveexec_b64 s[28:29], s[24:25]
	s_xor_b64 s[24:25], exec, s[28:29]
; %bb.1667:                             ;   in Loop: Header=BB18_955 Depth=2
	v_bfe_u32 v5, v4, 16, 1
	v_add3_u32 v18, v4, v5, s97
                                        ; implicit-def: $vgpr4
; %bb.1668:                             ;   in Loop: Header=BB18_955 Depth=2
	s_andn2_saveexec_b64 s[28:29], s[24:25]
; %bb.1669:                             ;   in Loop: Header=BB18_955 Depth=2
	v_or_b32_e32 v5, 0x10000, v4
	v_cmp_eq_u32_sdwa s[24:25], v4, v3 src0_sel:WORD_0 src1_sel:DWORD
	s_nop 1
	v_cndmask_b32_e64 v18, v5, v4, s[24:25]
; %bb.1670:                             ;   in Loop: Header=BB18_955 Depth=2
	s_or_b64 exec, exec, s[28:29]
	v_lshlrev_b32_e32 v4, 16, v23
	v_lshlrev_b32_e32 v5, 16, v19
	v_max_f32_e32 v5, v5, v5
	v_max_f32_e32 v4, v4, v4
	v_min_f32_e32 v22, v4, v5
	v_max_f32_e32 v4, v4, v5
	v_cndmask_b32_e32 v4, v4, v22, vcc
	v_and_b32_e32 v5, 0x7f800000, v4
	v_cmp_ne_u32_e64 s[24:25], s96, v5
                                        ; implicit-def: $vgpr22
	s_and_saveexec_b64 s[28:29], s[24:25]
	s_xor_b64 s[24:25], exec, s[28:29]
; %bb.1671:                             ;   in Loop: Header=BB18_955 Depth=2
	v_bfe_u32 v5, v4, 16, 1
	v_add3_u32 v22, v4, v5, s97
                                        ; implicit-def: $vgpr4
; %bb.1672:                             ;   in Loop: Header=BB18_955 Depth=2
	s_andn2_saveexec_b64 s[28:29], s[24:25]
; %bb.1673:                             ;   in Loop: Header=BB18_955 Depth=2
	v_or_b32_e32 v5, 0x10000, v4
	v_cmp_eq_u32_sdwa s[24:25], v4, v3 src0_sel:WORD_0 src1_sel:DWORD
	s_nop 1
	v_cndmask_b32_e64 v22, v5, v4, s[24:25]
; %bb.1674:                             ;   in Loop: Header=BB18_955 Depth=2
	s_or_b64 exec, exec, s[28:29]
	v_and_b32_e32 v4, 0xffff0000, v23
	v_and_b32_e32 v5, 0xffff0000, v19
	v_max_f32_e32 v5, v5, v5
	v_max_f32_e32 v4, v4, v4
	v_min_f32_e32 v19, v4, v5
	v_max_f32_e32 v4, v4, v5
	v_cndmask_b32_e32 v4, v4, v19, vcc
	v_and_b32_e32 v5, 0x7f800000, v4
	v_cmp_ne_u32_e64 s[24:25], s96, v5
                                        ; implicit-def: $vgpr19
	s_and_saveexec_b64 s[28:29], s[24:25]
	s_xor_b64 s[24:25], exec, s[28:29]
; %bb.1675:                             ;   in Loop: Header=BB18_955 Depth=2
	v_bfe_u32 v5, v4, 16, 1
	v_add3_u32 v19, v4, v5, s97
                                        ; implicit-def: $vgpr4
; %bb.1676:                             ;   in Loop: Header=BB18_955 Depth=2
	s_andn2_saveexec_b64 s[28:29], s[24:25]
; %bb.1677:                             ;   in Loop: Header=BB18_955 Depth=2
	v_or_b32_e32 v5, 0x10000, v4
	v_cmp_eq_u32_sdwa s[24:25], v4, v3 src0_sel:WORD_0 src1_sel:DWORD
	s_nop 1
	v_cndmask_b32_e64 v19, v5, v4, s[24:25]
; %bb.1678:                             ;   in Loop: Header=BB18_955 Depth=2
	s_or_b64 exec, exec, s[28:29]
	v_lshlrev_b32_e32 v4, 16, v12
	v_lshlrev_b32_e32 v5, 16, v8
	v_max_f32_e32 v5, v5, v5
	v_max_f32_e32 v4, v4, v4
	v_min_f32_e32 v23, v4, v5
	v_max_f32_e32 v4, v4, v5
	v_cndmask_b32_e32 v4, v4, v23, vcc
	v_and_b32_e32 v5, 0x7f800000, v4
	v_cmp_ne_u32_e64 s[24:25], s96, v5
                                        ; implicit-def: $vgpr23
	s_and_saveexec_b64 s[28:29], s[24:25]
	s_xor_b64 s[24:25], exec, s[28:29]
; %bb.1679:                             ;   in Loop: Header=BB18_955 Depth=2
	v_bfe_u32 v5, v4, 16, 1
	v_add3_u32 v23, v4, v5, s97
                                        ; implicit-def: $vgpr4
; %bb.1680:                             ;   in Loop: Header=BB18_955 Depth=2
	s_andn2_saveexec_b64 s[28:29], s[24:25]
; %bb.1681:                             ;   in Loop: Header=BB18_955 Depth=2
	v_or_b32_e32 v5, 0x10000, v4
	v_cmp_eq_u32_sdwa s[24:25], v4, v3 src0_sel:WORD_0 src1_sel:DWORD
	s_nop 1
	v_cndmask_b32_e64 v23, v5, v4, s[24:25]
; %bb.1682:                             ;   in Loop: Header=BB18_955 Depth=2
	s_or_b64 exec, exec, s[28:29]
	v_and_b32_e32 v4, 0xffff0000, v12
	v_and_b32_e32 v5, 0xffff0000, v8
	v_max_f32_e32 v5, v5, v5
	v_max_f32_e32 v4, v4, v4
	v_min_f32_e32 v8, v4, v5
	v_max_f32_e32 v4, v4, v5
	v_cndmask_b32_e32 v4, v4, v8, vcc
	v_and_b32_e32 v5, 0x7f800000, v4
	v_cmp_ne_u32_e64 s[24:25], s96, v5
                                        ; implicit-def: $vgpr8
	s_and_saveexec_b64 s[28:29], s[24:25]
	s_xor_b64 s[24:25], exec, s[28:29]
; %bb.1683:                             ;   in Loop: Header=BB18_955 Depth=2
	v_bfe_u32 v5, v4, 16, 1
	v_add3_u32 v8, v4, v5, s97
                                        ; implicit-def: $vgpr4
; %bb.1684:                             ;   in Loop: Header=BB18_955 Depth=2
	s_andn2_saveexec_b64 s[28:29], s[24:25]
; %bb.1685:                             ;   in Loop: Header=BB18_955 Depth=2
	v_or_b32_e32 v5, 0x10000, v4
	v_cmp_eq_u32_sdwa s[24:25], v4, v3 src0_sel:WORD_0 src1_sel:DWORD
	s_nop 1
	v_cndmask_b32_e64 v8, v5, v4, s[24:25]
; %bb.1686:                             ;   in Loop: Header=BB18_955 Depth=2
	s_or_b64 exec, exec, s[28:29]
	v_lshlrev_b32_e32 v4, 16, v13
	v_lshlrev_b32_e32 v5, 16, v9
	v_max_f32_e32 v5, v5, v5
	v_max_f32_e32 v4, v4, v4
	v_min_f32_e32 v12, v4, v5
	v_max_f32_e32 v4, v4, v5
	v_cndmask_b32_e32 v4, v4, v12, vcc
	v_and_b32_e32 v5, 0x7f800000, v4
	v_cmp_ne_u32_e64 s[24:25], s96, v5
                                        ; implicit-def: $vgpr12
	s_and_saveexec_b64 s[28:29], s[24:25]
	s_xor_b64 s[24:25], exec, s[28:29]
; %bb.1687:                             ;   in Loop: Header=BB18_955 Depth=2
	v_bfe_u32 v5, v4, 16, 1
	v_add3_u32 v12, v4, v5, s97
                                        ; implicit-def: $vgpr4
; %bb.1688:                             ;   in Loop: Header=BB18_955 Depth=2
	s_andn2_saveexec_b64 s[28:29], s[24:25]
; %bb.1689:                             ;   in Loop: Header=BB18_955 Depth=2
	v_or_b32_e32 v5, 0x10000, v4
	v_cmp_eq_u32_sdwa s[24:25], v4, v3 src0_sel:WORD_0 src1_sel:DWORD
	s_nop 1
	v_cndmask_b32_e64 v12, v5, v4, s[24:25]
; %bb.1690:                             ;   in Loop: Header=BB18_955 Depth=2
	s_or_b64 exec, exec, s[28:29]
	v_and_b32_e32 v4, 0xffff0000, v13
	v_and_b32_e32 v5, 0xffff0000, v9
	v_max_f32_e32 v5, v5, v5
	v_max_f32_e32 v4, v4, v4
	v_min_f32_e32 v9, v4, v5
	v_max_f32_e32 v4, v4, v5
	v_cndmask_b32_e32 v4, v4, v9, vcc
	v_and_b32_e32 v5, 0x7f800000, v4
	v_cmp_ne_u32_e64 s[24:25], s96, v5
                                        ; implicit-def: $vgpr9
	s_and_saveexec_b64 s[28:29], s[24:25]
	s_xor_b64 s[24:25], exec, s[28:29]
; %bb.1691:                             ;   in Loop: Header=BB18_955 Depth=2
	v_bfe_u32 v5, v4, 16, 1
	v_add3_u32 v9, v4, v5, s97
                                        ; implicit-def: $vgpr4
; %bb.1692:                             ;   in Loop: Header=BB18_955 Depth=2
	s_andn2_saveexec_b64 s[28:29], s[24:25]
; %bb.1693:                             ;   in Loop: Header=BB18_955 Depth=2
	v_or_b32_e32 v5, 0x10000, v4
	v_cmp_eq_u32_sdwa s[24:25], v4, v3 src0_sel:WORD_0 src1_sel:DWORD
	s_nop 1
	v_cndmask_b32_e64 v9, v5, v4, s[24:25]
; %bb.1694:                             ;   in Loop: Header=BB18_955 Depth=2
	s_or_b64 exec, exec, s[28:29]
	v_lshlrev_b32_e32 v4, 16, v14
	v_lshlrev_b32_e32 v5, 16, v10
	v_max_f32_e32 v5, v5, v5
	v_max_f32_e32 v4, v4, v4
	v_min_f32_e32 v13, v4, v5
	v_max_f32_e32 v4, v4, v5
	v_cndmask_b32_e32 v5, v4, v13, vcc
	v_and_b32_e32 v4, 0x7f800000, v5
	v_cmp_ne_u32_e64 s[24:25], s96, v4
                                        ; implicit-def: $vgpr4
	s_and_saveexec_b64 s[28:29], s[24:25]
	s_xor_b64 s[24:25], exec, s[28:29]
; %bb.1695:                             ;   in Loop: Header=BB18_955 Depth=2
	v_bfe_u32 v4, v5, 16, 1
	v_add3_u32 v4, v5, v4, s97
                                        ; implicit-def: $vgpr5
; %bb.1696:                             ;   in Loop: Header=BB18_955 Depth=2
	s_andn2_saveexec_b64 s[28:29], s[24:25]
; %bb.1697:                             ;   in Loop: Header=BB18_955 Depth=2
	v_or_b32_e32 v4, 0x10000, v5
	v_cmp_eq_u32_sdwa s[24:25], v5, v3 src0_sel:WORD_0 src1_sel:DWORD
	s_nop 1
	v_cndmask_b32_e64 v4, v4, v5, s[24:25]
; %bb.1698:                             ;   in Loop: Header=BB18_955 Depth=2
	s_or_b64 exec, exec, s[28:29]
	v_and_b32_e32 v5, 0xffff0000, v14
	v_and_b32_e32 v10, 0xffff0000, v10
	v_max_f32_e32 v10, v10, v10
	v_max_f32_e32 v5, v5, v5
	v_min_f32_e32 v13, v5, v10
	v_max_f32_e32 v5, v5, v10
	v_cndmask_b32_e32 v10, v5, v13, vcc
	v_and_b32_e32 v5, 0x7f800000, v10
	v_cmp_ne_u32_e64 s[24:25], s96, v5
                                        ; implicit-def: $vgpr5
	s_and_saveexec_b64 s[28:29], s[24:25]
	s_xor_b64 s[24:25], exec, s[28:29]
; %bb.1699:                             ;   in Loop: Header=BB18_955 Depth=2
	v_bfe_u32 v5, v10, 16, 1
	v_add3_u32 v5, v10, v5, s97
                                        ; implicit-def: $vgpr10
; %bb.1700:                             ;   in Loop: Header=BB18_955 Depth=2
	s_andn2_saveexec_b64 s[28:29], s[24:25]
; %bb.1701:                             ;   in Loop: Header=BB18_955 Depth=2
	v_or_b32_e32 v5, 0x10000, v10
	v_cmp_eq_u32_sdwa s[24:25], v10, v3 src0_sel:WORD_0 src1_sel:DWORD
	s_nop 1
	v_cndmask_b32_e64 v5, v5, v10, s[24:25]
; %bb.1702:                             ;   in Loop: Header=BB18_955 Depth=2
	s_or_b64 exec, exec, s[28:29]
	v_lshlrev_b32_e32 v10, 16, v15
	v_lshlrev_b32_e32 v13, 16, v11
	v_max_f32_e32 v13, v13, v13
	v_max_f32_e32 v10, v10, v10
	v_min_f32_e32 v14, v10, v13
	v_max_f32_e32 v10, v10, v13
	v_cndmask_b32_e32 v13, v10, v14, vcc
	v_and_b32_e32 v10, 0x7f800000, v13
	v_cmp_ne_u32_e64 s[24:25], s96, v10
                                        ; implicit-def: $vgpr10
	s_and_saveexec_b64 s[28:29], s[24:25]
	s_xor_b64 s[24:25], exec, s[28:29]
; %bb.1703:                             ;   in Loop: Header=BB18_955 Depth=2
	v_bfe_u32 v10, v13, 16, 1
	v_add3_u32 v10, v13, v10, s97
                                        ; implicit-def: $vgpr13
; %bb.1704:                             ;   in Loop: Header=BB18_955 Depth=2
	s_andn2_saveexec_b64 s[28:29], s[24:25]
; %bb.1705:                             ;   in Loop: Header=BB18_955 Depth=2
	v_or_b32_e32 v10, 0x10000, v13
	v_cmp_eq_u32_sdwa s[24:25], v13, v3 src0_sel:WORD_0 src1_sel:DWORD
	s_nop 1
	v_cndmask_b32_e64 v10, v10, v13, s[24:25]
; %bb.1706:                             ;   in Loop: Header=BB18_955 Depth=2
	s_or_b64 exec, exec, s[28:29]
	v_and_b32_e32 v13, 0xffff0000, v15
	v_and_b32_e32 v11, 0xffff0000, v11
	v_max_f32_e32 v11, v11, v11
	v_max_f32_e32 v13, v13, v13
	v_min_f32_e32 v14, v13, v11
	v_max_f32_e32 v11, v13, v11
	v_cndmask_b32_e32 v13, v11, v14, vcc
	v_and_b32_e32 v11, 0x7f800000, v13
	v_cmp_ne_u32_e32 vcc, s96, v11
                                        ; implicit-def: $vgpr11
	s_and_saveexec_b64 s[24:25], vcc
	s_xor_b64 s[24:25], exec, s[24:25]
; %bb.1707:                             ;   in Loop: Header=BB18_955 Depth=2
	v_bfe_u32 v11, v13, 16, 1
	v_add3_u32 v11, v13, v11, s97
                                        ; implicit-def: $vgpr13
; %bb.1708:                             ;   in Loop: Header=BB18_955 Depth=2
	s_andn2_saveexec_b64 s[24:25], s[24:25]
; %bb.1709:                             ;   in Loop: Header=BB18_955 Depth=2
	v_or_b32_e32 v11, 0x10000, v13
	v_cmp_eq_u32_sdwa vcc, v13, v3 src0_sel:WORD_0 src1_sel:DWORD
	s_nop 1
	v_cndmask_b32_e32 v11, v11, v13, vcc
; %bb.1710:                             ;   in Loop: Header=BB18_955 Depth=2
	s_or_b64 exec, exec, s[24:25]
	v_lshrrev_b32_e32 v13, 16, v20
	v_and_or_b32 v15, v17, s44, v13
	v_lshrrev_b32_e32 v13, 16, v24
	v_and_or_b32 v14, v16, s44, v13
	;; [unrolled: 2-line block ×3, first 2 shown]
	v_lshrrev_b32_e32 v13, 16, v22
	v_lshrrev_b32_e32 v12, 16, v12
	;; [unrolled: 1-line block ×3, first 2 shown]
	v_and_or_b32 v17, v19, s44, v13
	v_and_or_b32 v19, v9, s44, v12
	v_lshrrev_b32_e32 v9, 16, v23
	v_and_or_b32 v20, v5, s44, v4
	v_lshrrev_b32_e32 v4, 16, v10
	v_and_or_b32 v18, v8, s44, v9
	v_and_or_b32 v21, v11, s44, v4
	global_store_dwordx4 v[88:89], v[14:17], off
	global_store_dwordx4 v[88:89], v[18:21], off offset:1024
.LBB18_1711:                            ;   in Loop: Header=BB18_955 Depth=2
	s_or_b64 exec, exec, s[26:27]
	v_lshlrev_b32_e32 v22, 11, v82
	v_cmp_ne_u32_e32 vcc, v63, v22
                                        ; implicit-def: $vgpr14
                                        ; implicit-def: $vgpr4
                                        ; implicit-def: $vgpr15
	s_and_saveexec_b64 s[34:35], vcc
	s_cbranch_execz .LBB18_1826
; %bb.1712:                             ;   in Loop: Header=BB18_955 Depth=2
	v_lshlrev_b32_e32 v5, 6, v73
	v_sub_u32_e32 v5, v107, v5
	v_ashrrev_i32_e32 v8, 31, v5
	v_lshrrev_b32_e32 v8, 26, v8
	v_add_u32_e32 v8, v5, v8
	v_ashrrev_i32_e32 v10, 6, v8
	v_and_b32_e32 v8, 0xffffffc0, v8
	v_sub_u32_e32 v23, v5, v8
	v_lshlrev_b32_e32 v5, 4, v23
	v_sub_u32_e32 v4, v63, v22
	v_lshl_add_u32 v5, v10, 10, v5
	v_add_u32_e32 v8, v5, v22
	v_sub_u32_e32 v27, v4, v5
	v_ashrrev_i32_e32 v5, 31, v4
	v_lshrrev_b32_e32 v5, 22, v5
	v_add_u32_e32 v5, v4, v5
	v_and_b32_e32 v24, 0xfffffc00, v5
	v_sub_u32_e32 v25, v4, v24
	v_ashrrev_i32_e32 v9, 10, v5
	v_cmp_lt_i32_e64 s[24:25], 15, v25
	s_mov_b64 s[26:27], 0
	s_nop 0
	v_addc_co_u32_e64 v4, vcc, 0, v9, s[24:25]
	v_ashrrev_i32_e32 v9, 31, v8
	v_sub_u32_e32 v26, v4, v10
	v_lshl_add_u64 v[16:17], v[8:9], 0, v[78:79]
	v_cmp_lt_i32_e32 vcc, 15, v27
	s_and_saveexec_b64 s[36:37], vcc
	s_cbranch_execz .LBB18_1789
; %bb.1713:                             ;   in Loop: Header=BB18_955 Depth=2
	s_trap 2
	ds_read_b64 v[4:5], v0
	s_and_b32 s26, 0xffff, s43
	s_cmp_eq_u32 s26, 0
	v_lshl_add_u64 v[18:19], v[8:9], 0, v[58:59]
	s_mov_b64 s[50:51], 0
	s_waitcnt lgkmcnt(0)
	v_lshl_add_u64 v[20:21], v[4:5], 0, v[8:9]
	s_mov_b64 s[38:39], 0
	s_cselect_b64 s[26:27], -1, 0
                                        ; implicit-def: $sgpr48_sgpr49
	s_branch .LBB18_1715
.LBB18_1714:                            ;   in Loop: Header=BB18_1715 Depth=3
	s_or_b64 exec, exec, s[28:29]
	v_cmp_gt_i32_e32 vcc, 16, v27
	s_or_b64 s[38:39], vcc, s[38:39]
	s_andn2_b64 s[28:29], s[48:49], exec
	s_and_b64 s[40:41], s[50:51], exec
	s_or_b64 s[48:49], s[28:29], s[40:41]
	s_andn2_b64 exec, exec, s[38:39]
	s_cbranch_execz .LBB18_1788
.LBB18_1715:                            ;   Parent Loop BB18_47 Depth=1
                                        ;     Parent Loop BB18_955 Depth=2
                                        ; =>    This Loop Header: Depth=3
                                        ;         Child Loop BB18_1716 Depth 4
                                        ;         Child Loop BB18_1753 Depth 4
	s_add_i32 s28, s33, 0xc0
	s_mov_b32 s42, s28
	s_mov_b64 s[52:53], -1
	s_mov_b64 s[54:55], 0
.LBB18_1716:                            ;   Parent Loop BB18_47 Depth=1
                                        ;     Parent Loop BB18_955 Depth=2
                                        ;       Parent Loop BB18_1715 Depth=3
                                        ; =>      This Inner Loop Header: Depth=4
	s_cmp_eq_u32 s54, 1
	s_cselect_b64 vcc, -1, 0
	v_cndmask_b32_e32 v5, v19, v21, vcc
	v_cndmask_b32_e32 v4, v18, v20, vcc
	global_load_dwordx4 v[8:11], v[4:5], off nt
	s_cmp_eq_u32 s54, 0
	v_lshl_add_u64 v[4:5], v[4:5], 0, s[58:59]
	s_cselect_b64 s[28:29], -1, 0
	s_and_b64 s[40:41], exec, s[52:53]
	s_mov_b64 s[54:55], 1
	s_mov_b64 s[52:53], 0
	v_cndmask_b32_e64 v19, v19, v5, s[28:29]
	v_cndmask_b32_e64 v18, v18, v4, s[28:29]
	v_cndmask_b32_e32 v21, v21, v5, vcc
	v_cndmask_b32_e32 v20, v20, v4, vcc
	s_mov_b64 vcc, s[40:41]
	s_waitcnt vmcnt(0)
	scratch_store_dwordx4 off, v[8:11], s42
	s_mov_b32 s42, s83
	s_cbranch_vccnz .LBB18_1716
; %bb.1717:                             ;   in Loop: Header=BB18_1715 Depth=3
	s_and_saveexec_b64 s[28:29], s[50:51]
	s_cbranch_execz .LBB18_1751
; %bb.1718:                             ;   in Loop: Header=BB18_1715 Depth=3
	scratch_load_dwordx4 v[8:11], off, s33 offset:224
	scratch_load_dwordx4 v[12:15], off, s33 offset:240
	s_waitcnt vmcnt(1)
	v_lshlrev_b32_e32 v4, 16, v8
	s_waitcnt vmcnt(0)
	v_lshlrev_b32_e32 v5, 16, v12
	v_max_f32_e32 v5, v5, v5
	v_max_f32_e32 v4, v4, v4
	v_min_f32_e32 v28, v4, v5
	v_max_f32_e32 v4, v4, v5
	v_cndmask_b32_e64 v4, v4, v28, s[26:27]
	v_and_b32_e32 v5, 0x7f800000, v4
	v_cmp_ne_u32_e32 vcc, s96, v5
                                        ; implicit-def: $vgpr28
	s_and_saveexec_b64 s[40:41], vcc
	s_xor_b64 s[40:41], exec, s[40:41]
; %bb.1719:                             ;   in Loop: Header=BB18_1715 Depth=3
	v_bfe_u32 v5, v4, 16, 1
	v_add3_u32 v28, v4, v5, s97
                                        ; implicit-def: $vgpr4
; %bb.1720:                             ;   in Loop: Header=BB18_1715 Depth=3
	s_andn2_saveexec_b64 s[40:41], s[40:41]
; %bb.1721:                             ;   in Loop: Header=BB18_1715 Depth=3
	v_or_b32_e32 v5, 0x10000, v4
	v_cmp_eq_u32_sdwa vcc, v4, v3 src0_sel:WORD_0 src1_sel:DWORD
	s_nop 1
	v_cndmask_b32_e32 v28, v5, v4, vcc
; %bb.1722:                             ;   in Loop: Header=BB18_1715 Depth=3
	s_or_b64 exec, exec, s[40:41]
	v_and_b32_e32 v4, 0xffff0000, v8
	v_and_b32_e32 v5, 0xffff0000, v12
	v_max_f32_e32 v5, v5, v5
	v_max_f32_e32 v4, v4, v4
	v_min_f32_e32 v8, v4, v5
	v_max_f32_e32 v4, v4, v5
	v_cndmask_b32_e64 v4, v4, v8, s[26:27]
	v_and_b32_e32 v5, 0x7f800000, v4
	v_cmp_ne_u32_e32 vcc, s96, v5
                                        ; implicit-def: $vgpr8
	s_and_saveexec_b64 s[40:41], vcc
	s_xor_b64 s[40:41], exec, s[40:41]
; %bb.1723:                             ;   in Loop: Header=BB18_1715 Depth=3
	v_bfe_u32 v5, v4, 16, 1
	v_add3_u32 v8, v4, v5, s97
                                        ; implicit-def: $vgpr4
; %bb.1724:                             ;   in Loop: Header=BB18_1715 Depth=3
	s_andn2_saveexec_b64 s[40:41], s[40:41]
; %bb.1725:                             ;   in Loop: Header=BB18_1715 Depth=3
	v_or_b32_e32 v5, 0x10000, v4
	v_cmp_eq_u32_sdwa vcc, v4, v3 src0_sel:WORD_0 src1_sel:DWORD
	s_nop 1
	v_cndmask_b32_e32 v8, v5, v4, vcc
; %bb.1726:                             ;   in Loop: Header=BB18_1715 Depth=3
	s_or_b64 exec, exec, s[40:41]
	v_lshlrev_b32_e32 v4, 16, v9
	v_lshlrev_b32_e32 v5, 16, v13
	v_max_f32_e32 v5, v5, v5
	v_max_f32_e32 v4, v4, v4
	v_min_f32_e32 v12, v4, v5
	v_max_f32_e32 v4, v4, v5
	v_cndmask_b32_e64 v4, v4, v12, s[26:27]
	v_and_b32_e32 v5, 0x7f800000, v4
	v_cmp_ne_u32_e32 vcc, s96, v5
                                        ; implicit-def: $vgpr12
	s_and_saveexec_b64 s[40:41], vcc
	s_xor_b64 s[40:41], exec, s[40:41]
; %bb.1727:                             ;   in Loop: Header=BB18_1715 Depth=3
	v_bfe_u32 v5, v4, 16, 1
	v_add3_u32 v12, v4, v5, s97
                                        ; implicit-def: $vgpr4
; %bb.1728:                             ;   in Loop: Header=BB18_1715 Depth=3
	s_andn2_saveexec_b64 s[40:41], s[40:41]
; %bb.1729:                             ;   in Loop: Header=BB18_1715 Depth=3
	v_or_b32_e32 v5, 0x10000, v4
	v_cmp_eq_u32_sdwa vcc, v4, v3 src0_sel:WORD_0 src1_sel:DWORD
	s_nop 1
	v_cndmask_b32_e32 v12, v5, v4, vcc
; %bb.1730:                             ;   in Loop: Header=BB18_1715 Depth=3
	s_or_b64 exec, exec, s[40:41]
	v_and_b32_e32 v4, 0xffff0000, v9
	v_and_b32_e32 v5, 0xffff0000, v13
	v_max_f32_e32 v5, v5, v5
	v_max_f32_e32 v4, v4, v4
	v_min_f32_e32 v9, v4, v5
	v_max_f32_e32 v4, v4, v5
	v_cndmask_b32_e64 v4, v4, v9, s[26:27]
	v_and_b32_e32 v5, 0x7f800000, v4
	v_cmp_ne_u32_e32 vcc, s96, v5
                                        ; implicit-def: $vgpr9
	s_and_saveexec_b64 s[40:41], vcc
	s_xor_b64 s[40:41], exec, s[40:41]
; %bb.1731:                             ;   in Loop: Header=BB18_1715 Depth=3
	v_bfe_u32 v5, v4, 16, 1
	v_add3_u32 v9, v4, v5, s97
                                        ; implicit-def: $vgpr4
; %bb.1732:                             ;   in Loop: Header=BB18_1715 Depth=3
	s_andn2_saveexec_b64 s[40:41], s[40:41]
; %bb.1733:                             ;   in Loop: Header=BB18_1715 Depth=3
	v_or_b32_e32 v5, 0x10000, v4
	v_cmp_eq_u32_sdwa vcc, v4, v3 src0_sel:WORD_0 src1_sel:DWORD
	s_nop 1
	v_cndmask_b32_e32 v9, v5, v4, vcc
; %bb.1734:                             ;   in Loop: Header=BB18_1715 Depth=3
	s_or_b64 exec, exec, s[40:41]
	v_lshlrev_b32_e32 v4, 16, v10
	v_lshlrev_b32_e32 v5, 16, v14
	v_max_f32_e32 v5, v5, v5
	v_max_f32_e32 v4, v4, v4
	v_min_f32_e32 v13, v4, v5
	v_max_f32_e32 v4, v4, v5
	v_cndmask_b32_e64 v5, v4, v13, s[26:27]
	v_and_b32_e32 v4, 0x7f800000, v5
	v_cmp_ne_u32_e32 vcc, s96, v4
                                        ; implicit-def: $vgpr4
	s_and_saveexec_b64 s[40:41], vcc
	s_xor_b64 s[40:41], exec, s[40:41]
; %bb.1735:                             ;   in Loop: Header=BB18_1715 Depth=3
	v_bfe_u32 v4, v5, 16, 1
	v_add3_u32 v4, v5, v4, s97
                                        ; implicit-def: $vgpr5
; %bb.1736:                             ;   in Loop: Header=BB18_1715 Depth=3
	s_andn2_saveexec_b64 s[40:41], s[40:41]
; %bb.1737:                             ;   in Loop: Header=BB18_1715 Depth=3
	v_or_b32_e32 v4, 0x10000, v5
	v_cmp_eq_u32_sdwa vcc, v5, v3 src0_sel:WORD_0 src1_sel:DWORD
	s_nop 1
	v_cndmask_b32_e32 v4, v4, v5, vcc
; %bb.1738:                             ;   in Loop: Header=BB18_1715 Depth=3
	s_or_b64 exec, exec, s[40:41]
	v_and_b32_e32 v5, 0xffff0000, v10
	v_and_b32_e32 v10, 0xffff0000, v14
	v_max_f32_e32 v10, v10, v10
	v_max_f32_e32 v5, v5, v5
	v_min_f32_e32 v13, v5, v10
	v_max_f32_e32 v5, v5, v10
	v_cndmask_b32_e64 v10, v5, v13, s[26:27]
	v_and_b32_e32 v5, 0x7f800000, v10
	v_cmp_ne_u32_e32 vcc, s96, v5
                                        ; implicit-def: $vgpr5
	s_and_saveexec_b64 s[40:41], vcc
	s_xor_b64 s[40:41], exec, s[40:41]
; %bb.1739:                             ;   in Loop: Header=BB18_1715 Depth=3
	v_bfe_u32 v5, v10, 16, 1
	v_add3_u32 v5, v10, v5, s97
                                        ; implicit-def: $vgpr10
; %bb.1740:                             ;   in Loop: Header=BB18_1715 Depth=3
	s_andn2_saveexec_b64 s[40:41], s[40:41]
; %bb.1741:                             ;   in Loop: Header=BB18_1715 Depth=3
	v_or_b32_e32 v5, 0x10000, v10
	v_cmp_eq_u32_sdwa vcc, v10, v3 src0_sel:WORD_0 src1_sel:DWORD
	s_nop 1
	v_cndmask_b32_e32 v5, v5, v10, vcc
; %bb.1742:                             ;   in Loop: Header=BB18_1715 Depth=3
	s_or_b64 exec, exec, s[40:41]
	v_lshlrev_b32_e32 v10, 16, v11
	v_lshlrev_b32_e32 v13, 16, v15
	v_max_f32_e32 v13, v13, v13
	v_max_f32_e32 v10, v10, v10
	v_min_f32_e32 v14, v10, v13
	v_max_f32_e32 v10, v10, v13
	v_cndmask_b32_e64 v13, v10, v14, s[26:27]
	v_and_b32_e32 v10, 0x7f800000, v13
	v_cmp_ne_u32_e32 vcc, s96, v10
                                        ; implicit-def: $vgpr10
	s_and_saveexec_b64 s[40:41], vcc
	s_xor_b64 s[40:41], exec, s[40:41]
; %bb.1743:                             ;   in Loop: Header=BB18_1715 Depth=3
	v_bfe_u32 v10, v13, 16, 1
	v_add3_u32 v10, v13, v10, s97
                                        ; implicit-def: $vgpr13
; %bb.1744:                             ;   in Loop: Header=BB18_1715 Depth=3
	s_andn2_saveexec_b64 s[40:41], s[40:41]
; %bb.1745:                             ;   in Loop: Header=BB18_1715 Depth=3
	v_or_b32_e32 v10, 0x10000, v13
	v_cmp_eq_u32_sdwa vcc, v13, v3 src0_sel:WORD_0 src1_sel:DWORD
	s_nop 1
	v_cndmask_b32_e32 v10, v10, v13, vcc
; %bb.1746:                             ;   in Loop: Header=BB18_1715 Depth=3
	s_or_b64 exec, exec, s[40:41]
	v_and_b32_e32 v11, 0xffff0000, v11
	v_and_b32_e32 v13, 0xffff0000, v15
	v_max_f32_e32 v13, v13, v13
	v_max_f32_e32 v11, v11, v11
	v_min_f32_e32 v14, v11, v13
	v_max_f32_e32 v11, v11, v13
	v_cndmask_b32_e64 v13, v11, v14, s[26:27]
	v_and_b32_e32 v11, 0x7f800000, v13
	v_cmp_ne_u32_e32 vcc, s96, v11
                                        ; implicit-def: $vgpr11
	s_and_saveexec_b64 s[40:41], vcc
	s_xor_b64 s[40:41], exec, s[40:41]
; %bb.1747:                             ;   in Loop: Header=BB18_1715 Depth=3
	v_bfe_u32 v11, v13, 16, 1
	v_add3_u32 v11, v13, v11, s97
                                        ; implicit-def: $vgpr13
; %bb.1748:                             ;   in Loop: Header=BB18_1715 Depth=3
	s_andn2_saveexec_b64 s[40:41], s[40:41]
; %bb.1749:                             ;   in Loop: Header=BB18_1715 Depth=3
	v_or_b32_e32 v11, 0x10000, v13
	v_cmp_eq_u32_sdwa vcc, v13, v3 src0_sel:WORD_0 src1_sel:DWORD
	s_nop 1
	v_cndmask_b32_e32 v11, v11, v13, vcc
; %bb.1750:                             ;   in Loop: Header=BB18_1715 Depth=3
	s_or_b64 exec, exec, s[40:41]
	v_lshrrev_b32_e32 v12, 16, v12
	v_lshrrev_b32_e32 v4, 16, v4
	v_and_or_b32 v13, v9, s44, v12
	v_lshrrev_b32_e32 v9, 16, v28
	v_and_or_b32 v14, v5, s44, v4
	;; [unrolled: 2-line block ×3, first 2 shown]
	v_and_or_b32 v15, v11, s44, v4
	scratch_store_dwordx4 off, v[12:15], s33 offset:224
	global_store_dwordx4 v[16:17], v[12:15], off
	v_lshl_add_u64 v[16:17], v[42:43], 0, v[16:17]
.LBB18_1751:                            ;   in Loop: Header=BB18_1715 Depth=3
	s_or_b64 exec, exec, s[28:29]
	v_sub_u32_e32 v27, v27, v109
	v_lshl_add_u64 v[18:19], v[18:19], 0, v[114:115]
	v_lshl_add_u64 v[20:21], v[20:21], 0, v[114:115]
	v_cmp_lt_i32_e64 s[50:51], 15, v27
	s_and_saveexec_b64 s[40:41], s[50:51]
	s_cbranch_execz .LBB18_1754
; %bb.1752:                             ;   in Loop: Header=BB18_1715 Depth=3
	s_add_i32 s28, s33, 0xe0
	s_mov_b32 s42, s28
	s_mov_b64 s[28:29], 0
	s_mov_b64 s[52:53], -1
.LBB18_1753:                            ;   Parent Loop BB18_47 Depth=1
                                        ;     Parent Loop BB18_955 Depth=2
                                        ;       Parent Loop BB18_1715 Depth=3
                                        ; =>      This Inner Loop Header: Depth=4
	s_cmp_eq_u32 s28, 1
	s_cselect_b64 vcc, -1, 0
	v_cndmask_b32_e32 v5, v19, v21, vcc
	v_cndmask_b32_e32 v4, v18, v20, vcc
	global_load_dwordx4 v[8:11], v[4:5], off nt
	s_cmp_eq_u32 s28, 0
	v_lshl_add_u64 v[4:5], v[4:5], 0, s[58:59]
	s_cselect_b64 s[28:29], -1, 0
	v_cndmask_b32_e64 v19, v19, v5, s[28:29]
	v_cndmask_b32_e64 v18, v18, v4, s[28:29]
	v_cndmask_b32_e32 v21, v21, v5, vcc
	v_cndmask_b32_e32 v20, v20, v4, vcc
	s_mov_b64 s[28:29], 1
	s_and_b64 vcc, exec, s[52:53]
	s_mov_b64 s[52:53], 0
	s_waitcnt vmcnt(0)
	scratch_store_dwordx4 off, v[8:11], s42
	s_mov_b32 s42, s82
	s_cbranch_vccnz .LBB18_1753
.LBB18_1754:                            ;   in Loop: Header=BB18_1715 Depth=3
	s_or_b64 exec, exec, s[40:41]
	scratch_load_dwordx4 v[8:11], off, s33 offset:192
	scratch_load_dwordx4 v[12:15], off, s33 offset:208
	s_waitcnt vmcnt(1)
	v_lshlrev_b32_e32 v4, 16, v8
	s_waitcnt vmcnt(0)
	v_lshlrev_b32_e32 v5, 16, v12
	v_max_f32_e32 v5, v5, v5
	v_max_f32_e32 v4, v4, v4
	v_min_f32_e32 v28, v4, v5
	v_max_f32_e32 v4, v4, v5
	v_cndmask_b32_e64 v4, v4, v28, s[26:27]
	v_and_b32_e32 v5, 0x7f800000, v4
	v_cmp_ne_u32_e32 vcc, s96, v5
                                        ; implicit-def: $vgpr28
	s_and_saveexec_b64 s[28:29], vcc
	s_xor_b64 s[28:29], exec, s[28:29]
; %bb.1755:                             ;   in Loop: Header=BB18_1715 Depth=3
	v_bfe_u32 v5, v4, 16, 1
	v_add3_u32 v28, v4, v5, s97
                                        ; implicit-def: $vgpr4
; %bb.1756:                             ;   in Loop: Header=BB18_1715 Depth=3
	s_andn2_saveexec_b64 s[28:29], s[28:29]
; %bb.1757:                             ;   in Loop: Header=BB18_1715 Depth=3
	v_or_b32_e32 v5, 0x10000, v4
	v_cmp_eq_u32_sdwa vcc, v4, v3 src0_sel:WORD_0 src1_sel:DWORD
	s_nop 1
	v_cndmask_b32_e32 v28, v5, v4, vcc
; %bb.1758:                             ;   in Loop: Header=BB18_1715 Depth=3
	s_or_b64 exec, exec, s[28:29]
	v_and_b32_e32 v4, 0xffff0000, v8
	v_and_b32_e32 v5, 0xffff0000, v12
	v_max_f32_e32 v5, v5, v5
	v_max_f32_e32 v4, v4, v4
	v_min_f32_e32 v8, v4, v5
	v_max_f32_e32 v4, v4, v5
	v_cndmask_b32_e64 v4, v4, v8, s[26:27]
	v_and_b32_e32 v5, 0x7f800000, v4
	v_cmp_ne_u32_e32 vcc, s96, v5
                                        ; implicit-def: $vgpr8
	s_and_saveexec_b64 s[28:29], vcc
	s_xor_b64 s[28:29], exec, s[28:29]
; %bb.1759:                             ;   in Loop: Header=BB18_1715 Depth=3
	v_bfe_u32 v5, v4, 16, 1
	v_add3_u32 v8, v4, v5, s97
                                        ; implicit-def: $vgpr4
; %bb.1760:                             ;   in Loop: Header=BB18_1715 Depth=3
	s_andn2_saveexec_b64 s[28:29], s[28:29]
; %bb.1761:                             ;   in Loop: Header=BB18_1715 Depth=3
	v_or_b32_e32 v5, 0x10000, v4
	v_cmp_eq_u32_sdwa vcc, v4, v3 src0_sel:WORD_0 src1_sel:DWORD
	s_nop 1
	v_cndmask_b32_e32 v8, v5, v4, vcc
; %bb.1762:                             ;   in Loop: Header=BB18_1715 Depth=3
	s_or_b64 exec, exec, s[28:29]
	v_lshlrev_b32_e32 v4, 16, v9
	v_lshlrev_b32_e32 v5, 16, v13
	v_max_f32_e32 v5, v5, v5
	v_max_f32_e32 v4, v4, v4
	v_min_f32_e32 v12, v4, v5
	v_max_f32_e32 v4, v4, v5
	v_cndmask_b32_e64 v4, v4, v12, s[26:27]
	v_and_b32_e32 v5, 0x7f800000, v4
	v_cmp_ne_u32_e32 vcc, s96, v5
                                        ; implicit-def: $vgpr12
	s_and_saveexec_b64 s[28:29], vcc
	s_xor_b64 s[28:29], exec, s[28:29]
; %bb.1763:                             ;   in Loop: Header=BB18_1715 Depth=3
	v_bfe_u32 v5, v4, 16, 1
	v_add3_u32 v12, v4, v5, s97
                                        ; implicit-def: $vgpr4
; %bb.1764:                             ;   in Loop: Header=BB18_1715 Depth=3
	s_andn2_saveexec_b64 s[28:29], s[28:29]
; %bb.1765:                             ;   in Loop: Header=BB18_1715 Depth=3
	v_or_b32_e32 v5, 0x10000, v4
	v_cmp_eq_u32_sdwa vcc, v4, v3 src0_sel:WORD_0 src1_sel:DWORD
	s_nop 1
	v_cndmask_b32_e32 v12, v5, v4, vcc
; %bb.1766:                             ;   in Loop: Header=BB18_1715 Depth=3
	s_or_b64 exec, exec, s[28:29]
	v_and_b32_e32 v4, 0xffff0000, v9
	v_and_b32_e32 v5, 0xffff0000, v13
	v_max_f32_e32 v5, v5, v5
	v_max_f32_e32 v4, v4, v4
	v_min_f32_e32 v9, v4, v5
	v_max_f32_e32 v4, v4, v5
	v_cndmask_b32_e64 v4, v4, v9, s[26:27]
	v_and_b32_e32 v5, 0x7f800000, v4
	v_cmp_ne_u32_e32 vcc, s96, v5
                                        ; implicit-def: $vgpr9
	s_and_saveexec_b64 s[28:29], vcc
	s_xor_b64 s[28:29], exec, s[28:29]
; %bb.1767:                             ;   in Loop: Header=BB18_1715 Depth=3
	v_bfe_u32 v5, v4, 16, 1
	v_add3_u32 v9, v4, v5, s97
                                        ; implicit-def: $vgpr4
; %bb.1768:                             ;   in Loop: Header=BB18_1715 Depth=3
	s_andn2_saveexec_b64 s[28:29], s[28:29]
; %bb.1769:                             ;   in Loop: Header=BB18_1715 Depth=3
	v_or_b32_e32 v5, 0x10000, v4
	v_cmp_eq_u32_sdwa vcc, v4, v3 src0_sel:WORD_0 src1_sel:DWORD
	s_nop 1
	v_cndmask_b32_e32 v9, v5, v4, vcc
; %bb.1770:                             ;   in Loop: Header=BB18_1715 Depth=3
	s_or_b64 exec, exec, s[28:29]
	v_lshlrev_b32_e32 v4, 16, v10
	v_lshlrev_b32_e32 v5, 16, v14
	v_max_f32_e32 v5, v5, v5
	v_max_f32_e32 v4, v4, v4
	v_min_f32_e32 v13, v4, v5
	v_max_f32_e32 v4, v4, v5
	v_cndmask_b32_e64 v5, v4, v13, s[26:27]
	v_and_b32_e32 v4, 0x7f800000, v5
	v_cmp_ne_u32_e32 vcc, s96, v4
                                        ; implicit-def: $vgpr4
	s_and_saveexec_b64 s[28:29], vcc
	s_xor_b64 s[28:29], exec, s[28:29]
; %bb.1771:                             ;   in Loop: Header=BB18_1715 Depth=3
	v_bfe_u32 v4, v5, 16, 1
	v_add3_u32 v4, v5, v4, s97
                                        ; implicit-def: $vgpr5
; %bb.1772:                             ;   in Loop: Header=BB18_1715 Depth=3
	s_andn2_saveexec_b64 s[28:29], s[28:29]
; %bb.1773:                             ;   in Loop: Header=BB18_1715 Depth=3
	v_or_b32_e32 v4, 0x10000, v5
	v_cmp_eq_u32_sdwa vcc, v5, v3 src0_sel:WORD_0 src1_sel:DWORD
	s_nop 1
	v_cndmask_b32_e32 v4, v4, v5, vcc
; %bb.1774:                             ;   in Loop: Header=BB18_1715 Depth=3
	s_or_b64 exec, exec, s[28:29]
	v_and_b32_e32 v5, 0xffff0000, v10
	v_and_b32_e32 v10, 0xffff0000, v14
	v_max_f32_e32 v10, v10, v10
	v_max_f32_e32 v5, v5, v5
	v_min_f32_e32 v13, v5, v10
	v_max_f32_e32 v5, v5, v10
	v_cndmask_b32_e64 v10, v5, v13, s[26:27]
	v_and_b32_e32 v5, 0x7f800000, v10
	v_cmp_ne_u32_e32 vcc, s96, v5
                                        ; implicit-def: $vgpr5
	s_and_saveexec_b64 s[28:29], vcc
	s_xor_b64 s[28:29], exec, s[28:29]
; %bb.1775:                             ;   in Loop: Header=BB18_1715 Depth=3
	v_bfe_u32 v5, v10, 16, 1
	v_add3_u32 v5, v10, v5, s97
                                        ; implicit-def: $vgpr10
; %bb.1776:                             ;   in Loop: Header=BB18_1715 Depth=3
	s_andn2_saveexec_b64 s[28:29], s[28:29]
; %bb.1777:                             ;   in Loop: Header=BB18_1715 Depth=3
	v_or_b32_e32 v5, 0x10000, v10
	v_cmp_eq_u32_sdwa vcc, v10, v3 src0_sel:WORD_0 src1_sel:DWORD
	s_nop 1
	v_cndmask_b32_e32 v5, v5, v10, vcc
; %bb.1778:                             ;   in Loop: Header=BB18_1715 Depth=3
	s_or_b64 exec, exec, s[28:29]
	v_lshlrev_b32_e32 v10, 16, v11
	v_lshlrev_b32_e32 v13, 16, v15
	v_max_f32_e32 v13, v13, v13
	v_max_f32_e32 v10, v10, v10
	v_min_f32_e32 v14, v10, v13
	v_max_f32_e32 v10, v10, v13
	v_cndmask_b32_e64 v13, v10, v14, s[26:27]
	v_and_b32_e32 v10, 0x7f800000, v13
	v_cmp_ne_u32_e32 vcc, s96, v10
                                        ; implicit-def: $vgpr10
	s_and_saveexec_b64 s[28:29], vcc
	s_xor_b64 s[28:29], exec, s[28:29]
; %bb.1779:                             ;   in Loop: Header=BB18_1715 Depth=3
	v_bfe_u32 v10, v13, 16, 1
	v_add3_u32 v10, v13, v10, s97
                                        ; implicit-def: $vgpr13
; %bb.1780:                             ;   in Loop: Header=BB18_1715 Depth=3
	s_andn2_saveexec_b64 s[28:29], s[28:29]
; %bb.1781:                             ;   in Loop: Header=BB18_1715 Depth=3
	v_or_b32_e32 v10, 0x10000, v13
	v_cmp_eq_u32_sdwa vcc, v13, v3 src0_sel:WORD_0 src1_sel:DWORD
	s_nop 1
	v_cndmask_b32_e32 v10, v10, v13, vcc
; %bb.1782:                             ;   in Loop: Header=BB18_1715 Depth=3
	s_or_b64 exec, exec, s[28:29]
	v_and_b32_e32 v11, 0xffff0000, v11
	v_and_b32_e32 v13, 0xffff0000, v15
	v_max_f32_e32 v13, v13, v13
	v_max_f32_e32 v11, v11, v11
	v_min_f32_e32 v14, v11, v13
	v_max_f32_e32 v11, v11, v13
	v_cndmask_b32_e64 v13, v11, v14, s[26:27]
	v_and_b32_e32 v11, 0x7f800000, v13
	v_cmp_ne_u32_e32 vcc, s96, v11
                                        ; implicit-def: $vgpr11
	s_and_saveexec_b64 s[28:29], vcc
	s_xor_b64 s[28:29], exec, s[28:29]
; %bb.1783:                             ;   in Loop: Header=BB18_1715 Depth=3
	v_bfe_u32 v11, v13, 16, 1
	v_add3_u32 v11, v13, v11, s97
                                        ; implicit-def: $vgpr13
; %bb.1784:                             ;   in Loop: Header=BB18_1715 Depth=3
	s_andn2_saveexec_b64 s[28:29], s[28:29]
; %bb.1785:                             ;   in Loop: Header=BB18_1715 Depth=3
	v_or_b32_e32 v11, 0x10000, v13
	v_cmp_eq_u32_sdwa vcc, v13, v3 src0_sel:WORD_0 src1_sel:DWORD
	s_nop 1
	v_cndmask_b32_e32 v11, v11, v13, vcc
; %bb.1786:                             ;   in Loop: Header=BB18_1715 Depth=3
	s_or_b64 exec, exec, s[28:29]
	v_lshrrev_b32_e32 v12, 16, v12
	v_lshrrev_b32_e32 v4, 16, v4
	v_and_or_b32 v13, v9, s44, v12
	v_lshrrev_b32_e32 v9, 16, v28
	v_and_or_b32 v14, v5, s44, v4
	;; [unrolled: 2-line block ×3, first 2 shown]
	v_and_or_b32 v15, v11, s44, v4
	v_sub_u32_e32 v26, v26, v84
	scratch_store_dwordx4 off, v[12:15], s33 offset:192
	global_store_dwordx4 v[16:17], v[12:15], off
	v_lshl_add_u64 v[16:17], v[16:17], 0, s[58:59]
	s_and_saveexec_b64 s[28:29], s[50:51]
	s_cbranch_execz .LBB18_1714
; %bb.1787:                             ;   in Loop: Header=BB18_1715 Depth=3
	v_lshl_add_u64 v[18:19], v[18:19], 0, v[114:115]
	v_lshl_add_u64 v[20:21], v[20:21], 0, v[114:115]
	;; [unrolled: 1-line block ×3, first 2 shown]
	v_sub_u32_e32 v27, v27, v109
	v_sub_u32_e32 v26, v26, v84
	s_branch .LBB18_1714
.LBB18_1788:                            ;   in Loop: Header=BB18_955 Depth=2
	s_or_b64 exec, exec, s[38:39]
	s_and_b64 s[26:27], s[48:49], exec
.LBB18_1789:                            ;   in Loop: Header=BB18_955 Depth=2
	s_or_b64 exec, exec, s[36:37]
	s_and_saveexec_b64 s[28:29], s[26:27]
	s_cbranch_execz .LBB18_1823
; %bb.1790:                             ;   in Loop: Header=BB18_955 Depth=2
	scratch_load_dwordx4 v[8:11], off, s33 offset:224
	scratch_load_dwordx4 v[12:15], off, s33 offset:240
	s_and_b32 s26, 0xffff, s43
	s_cmp_eq_u32 s26, 0
	s_cselect_b64 vcc, -1, 0
	s_waitcnt vmcnt(0)
	v_lshlrev_b32_e32 v4, 16, v8
	v_lshlrev_b32_e32 v5, 16, v12
	v_max_f32_e32 v5, v5, v5
	v_max_f32_e32 v4, v4, v4
	v_min_f32_e32 v18, v4, v5
	v_max_f32_e32 v4, v4, v5
	v_cndmask_b32_e32 v4, v4, v18, vcc
	v_and_b32_e32 v5, 0x7f800000, v4
	v_cmp_ne_u32_e64 s[26:27], s96, v5
                                        ; implicit-def: $vgpr18
	s_and_saveexec_b64 s[40:41], s[26:27]
	s_xor_b64 s[26:27], exec, s[40:41]
; %bb.1791:                             ;   in Loop: Header=BB18_955 Depth=2
	v_bfe_u32 v5, v4, 16, 1
	v_add3_u32 v18, v4, v5, s97
                                        ; implicit-def: $vgpr4
; %bb.1792:                             ;   in Loop: Header=BB18_955 Depth=2
	s_andn2_saveexec_b64 s[40:41], s[26:27]
; %bb.1793:                             ;   in Loop: Header=BB18_955 Depth=2
	v_or_b32_e32 v5, 0x10000, v4
	v_cmp_eq_u32_sdwa s[26:27], v4, v3 src0_sel:WORD_0 src1_sel:DWORD
	s_nop 1
	v_cndmask_b32_e64 v18, v5, v4, s[26:27]
; %bb.1794:                             ;   in Loop: Header=BB18_955 Depth=2
	s_or_b64 exec, exec, s[40:41]
	v_and_b32_e32 v4, 0xffff0000, v8
	v_and_b32_e32 v5, 0xffff0000, v12
	v_max_f32_e32 v5, v5, v5
	v_max_f32_e32 v4, v4, v4
	v_min_f32_e32 v8, v4, v5
	v_max_f32_e32 v4, v4, v5
	v_cndmask_b32_e32 v4, v4, v8, vcc
	v_and_b32_e32 v5, 0x7f800000, v4
	v_cmp_ne_u32_e64 s[26:27], s96, v5
                                        ; implicit-def: $vgpr8
	s_and_saveexec_b64 s[40:41], s[26:27]
	s_xor_b64 s[26:27], exec, s[40:41]
; %bb.1795:                             ;   in Loop: Header=BB18_955 Depth=2
	v_bfe_u32 v5, v4, 16, 1
	v_add3_u32 v8, v4, v5, s97
                                        ; implicit-def: $vgpr4
; %bb.1796:                             ;   in Loop: Header=BB18_955 Depth=2
	s_andn2_saveexec_b64 s[40:41], s[26:27]
; %bb.1797:                             ;   in Loop: Header=BB18_955 Depth=2
	v_or_b32_e32 v5, 0x10000, v4
	v_cmp_eq_u32_sdwa s[26:27], v4, v3 src0_sel:WORD_0 src1_sel:DWORD
	s_nop 1
	v_cndmask_b32_e64 v8, v5, v4, s[26:27]
; %bb.1798:                             ;   in Loop: Header=BB18_955 Depth=2
	s_or_b64 exec, exec, s[40:41]
	v_lshlrev_b32_e32 v4, 16, v9
	v_lshlrev_b32_e32 v5, 16, v13
	v_max_f32_e32 v5, v5, v5
	v_max_f32_e32 v4, v4, v4
	v_min_f32_e32 v12, v4, v5
	v_max_f32_e32 v4, v4, v5
	v_cndmask_b32_e32 v4, v4, v12, vcc
	v_and_b32_e32 v5, 0x7f800000, v4
	v_cmp_ne_u32_e64 s[26:27], s96, v5
                                        ; implicit-def: $vgpr12
	s_and_saveexec_b64 s[40:41], s[26:27]
	s_xor_b64 s[26:27], exec, s[40:41]
; %bb.1799:                             ;   in Loop: Header=BB18_955 Depth=2
	v_bfe_u32 v5, v4, 16, 1
	v_add3_u32 v12, v4, v5, s97
                                        ; implicit-def: $vgpr4
; %bb.1800:                             ;   in Loop: Header=BB18_955 Depth=2
	s_andn2_saveexec_b64 s[40:41], s[26:27]
; %bb.1801:                             ;   in Loop: Header=BB18_955 Depth=2
	v_or_b32_e32 v5, 0x10000, v4
	v_cmp_eq_u32_sdwa s[26:27], v4, v3 src0_sel:WORD_0 src1_sel:DWORD
	s_nop 1
	v_cndmask_b32_e64 v12, v5, v4, s[26:27]
; %bb.1802:                             ;   in Loop: Header=BB18_955 Depth=2
	s_or_b64 exec, exec, s[40:41]
	v_and_b32_e32 v4, 0xffff0000, v9
	v_and_b32_e32 v5, 0xffff0000, v13
	v_max_f32_e32 v5, v5, v5
	v_max_f32_e32 v4, v4, v4
	v_min_f32_e32 v9, v4, v5
	v_max_f32_e32 v4, v4, v5
	v_cndmask_b32_e32 v4, v4, v9, vcc
	v_and_b32_e32 v5, 0x7f800000, v4
	v_cmp_ne_u32_e64 s[26:27], s96, v5
                                        ; implicit-def: $vgpr9
	s_and_saveexec_b64 s[40:41], s[26:27]
	s_xor_b64 s[26:27], exec, s[40:41]
; %bb.1803:                             ;   in Loop: Header=BB18_955 Depth=2
	v_bfe_u32 v5, v4, 16, 1
	v_add3_u32 v9, v4, v5, s97
                                        ; implicit-def: $vgpr4
; %bb.1804:                             ;   in Loop: Header=BB18_955 Depth=2
	s_andn2_saveexec_b64 s[40:41], s[26:27]
; %bb.1805:                             ;   in Loop: Header=BB18_955 Depth=2
	v_or_b32_e32 v5, 0x10000, v4
	v_cmp_eq_u32_sdwa s[26:27], v4, v3 src0_sel:WORD_0 src1_sel:DWORD
	s_nop 1
	v_cndmask_b32_e64 v9, v5, v4, s[26:27]
; %bb.1806:                             ;   in Loop: Header=BB18_955 Depth=2
	s_or_b64 exec, exec, s[40:41]
	v_lshlrev_b32_e32 v4, 16, v10
	v_lshlrev_b32_e32 v5, 16, v14
	v_max_f32_e32 v5, v5, v5
	v_max_f32_e32 v4, v4, v4
	v_min_f32_e32 v13, v4, v5
	v_max_f32_e32 v4, v4, v5
	v_cndmask_b32_e32 v5, v4, v13, vcc
	v_and_b32_e32 v4, 0x7f800000, v5
	v_cmp_ne_u32_e64 s[26:27], s96, v4
                                        ; implicit-def: $vgpr4
	s_and_saveexec_b64 s[40:41], s[26:27]
	s_xor_b64 s[26:27], exec, s[40:41]
; %bb.1807:                             ;   in Loop: Header=BB18_955 Depth=2
	v_bfe_u32 v4, v5, 16, 1
	v_add3_u32 v4, v5, v4, s97
                                        ; implicit-def: $vgpr5
; %bb.1808:                             ;   in Loop: Header=BB18_955 Depth=2
	s_andn2_saveexec_b64 s[40:41], s[26:27]
; %bb.1809:                             ;   in Loop: Header=BB18_955 Depth=2
	v_or_b32_e32 v4, 0x10000, v5
	v_cmp_eq_u32_sdwa s[26:27], v5, v3 src0_sel:WORD_0 src1_sel:DWORD
	s_nop 1
	v_cndmask_b32_e64 v4, v4, v5, s[26:27]
; %bb.1810:                             ;   in Loop: Header=BB18_955 Depth=2
	s_or_b64 exec, exec, s[40:41]
	v_and_b32_e32 v5, 0xffff0000, v10
	v_and_b32_e32 v10, 0xffff0000, v14
	v_max_f32_e32 v10, v10, v10
	v_max_f32_e32 v5, v5, v5
	v_min_f32_e32 v13, v5, v10
	v_max_f32_e32 v5, v5, v10
	v_cndmask_b32_e32 v10, v5, v13, vcc
	v_and_b32_e32 v5, 0x7f800000, v10
	v_cmp_ne_u32_e64 s[26:27], s96, v5
                                        ; implicit-def: $vgpr5
	s_and_saveexec_b64 s[40:41], s[26:27]
	s_xor_b64 s[26:27], exec, s[40:41]
; %bb.1811:                             ;   in Loop: Header=BB18_955 Depth=2
	v_bfe_u32 v5, v10, 16, 1
	v_add3_u32 v5, v10, v5, s97
                                        ; implicit-def: $vgpr10
; %bb.1812:                             ;   in Loop: Header=BB18_955 Depth=2
	s_andn2_saveexec_b64 s[40:41], s[26:27]
; %bb.1813:                             ;   in Loop: Header=BB18_955 Depth=2
	v_or_b32_e32 v5, 0x10000, v10
	v_cmp_eq_u32_sdwa s[26:27], v10, v3 src0_sel:WORD_0 src1_sel:DWORD
	s_nop 1
	v_cndmask_b32_e64 v5, v5, v10, s[26:27]
; %bb.1814:                             ;   in Loop: Header=BB18_955 Depth=2
	s_or_b64 exec, exec, s[40:41]
	v_lshlrev_b32_e32 v10, 16, v11
	v_lshlrev_b32_e32 v13, 16, v15
	v_max_f32_e32 v13, v13, v13
	v_max_f32_e32 v10, v10, v10
	v_min_f32_e32 v14, v10, v13
	v_max_f32_e32 v10, v10, v13
	v_cndmask_b32_e32 v13, v10, v14, vcc
	v_and_b32_e32 v10, 0x7f800000, v13
	v_cmp_ne_u32_e64 s[26:27], s96, v10
                                        ; implicit-def: $vgpr10
	s_and_saveexec_b64 s[40:41], s[26:27]
	s_xor_b64 s[26:27], exec, s[40:41]
; %bb.1815:                             ;   in Loop: Header=BB18_955 Depth=2
	v_bfe_u32 v10, v13, 16, 1
	v_add3_u32 v10, v13, v10, s97
                                        ; implicit-def: $vgpr13
; %bb.1816:                             ;   in Loop: Header=BB18_955 Depth=2
	s_andn2_saveexec_b64 s[40:41], s[26:27]
; %bb.1817:                             ;   in Loop: Header=BB18_955 Depth=2
	v_or_b32_e32 v10, 0x10000, v13
	v_cmp_eq_u32_sdwa s[26:27], v13, v3 src0_sel:WORD_0 src1_sel:DWORD
	s_nop 1
	v_cndmask_b32_e64 v10, v10, v13, s[26:27]
; %bb.1818:                             ;   in Loop: Header=BB18_955 Depth=2
	s_or_b64 exec, exec, s[40:41]
	v_and_b32_e32 v11, 0xffff0000, v11
	v_and_b32_e32 v13, 0xffff0000, v15
	v_max_f32_e32 v13, v13, v13
	v_max_f32_e32 v11, v11, v11
	v_min_f32_e32 v14, v11, v13
	v_max_f32_e32 v11, v11, v13
	v_cndmask_b32_e32 v13, v11, v14, vcc
	v_and_b32_e32 v11, 0x7f800000, v13
	v_cmp_ne_u32_e32 vcc, s96, v11
                                        ; implicit-def: $vgpr11
	s_and_saveexec_b64 s[26:27], vcc
	s_xor_b64 s[26:27], exec, s[26:27]
; %bb.1819:                             ;   in Loop: Header=BB18_955 Depth=2
	v_bfe_u32 v11, v13, 16, 1
	v_add3_u32 v11, v13, v11, s97
                                        ; implicit-def: $vgpr13
; %bb.1820:                             ;   in Loop: Header=BB18_955 Depth=2
	s_andn2_saveexec_b64 s[26:27], s[26:27]
; %bb.1821:                             ;   in Loop: Header=BB18_955 Depth=2
	v_or_b32_e32 v11, 0x10000, v13
	v_cmp_eq_u32_sdwa vcc, v13, v3 src0_sel:WORD_0 src1_sel:DWORD
	s_nop 1
	v_cndmask_b32_e32 v11, v11, v13, vcc
; %bb.1822:                             ;   in Loop: Header=BB18_955 Depth=2
	s_or_b64 exec, exec, s[26:27]
	v_lshrrev_b32_e32 v12, 16, v12
	v_lshrrev_b32_e32 v4, 16, v4
	v_and_or_b32 v13, v9, s44, v12
	v_lshrrev_b32_e32 v9, 16, v18
	v_and_or_b32 v14, v5, s44, v4
	;; [unrolled: 2-line block ×3, first 2 shown]
	v_and_or_b32 v15, v11, s44, v4
	global_store_dwordx4 v[16:17], v[12:15], off
.LBB18_1823:                            ;   in Loop: Header=BB18_955 Depth=2
	s_or_b64 exec, exec, s[28:29]
	v_and_b32_e32 v5, 14, v63
	v_cndmask_b32_e64 v63, v25, v5, s[24:25]
	v_cmp_ne_u32_e32 vcc, 0, v63
	s_mov_b64 s[28:29], s[30:31]
                                        ; implicit-def: $vgpr14
                                        ; implicit-def: $vgpr4
                                        ; implicit-def: $vgpr15
	s_and_saveexec_b64 s[26:27], vcc
	s_cbranch_execz .LBB18_1825
; %bb.1824:                             ;   in Loop: Header=BB18_955 Depth=2
	v_sub_u32_e32 v4, v25, v5
	v_cndmask_b32_e64 v4, 0, v4, s[24:25]
	v_cmp_lt_i32_e32 vcc, 0, v26
	v_add3_u32 v14, v24, v22, v4
	s_or_b64 s[28:29], s[30:31], exec
	v_cndmask_b32_e32 v4, 0, v84, vcc
	v_sub_u32_e32 v4, v4, v26
	v_lshl_add_u32 v4, v4, 6, v23
	v_ashrrev_i32_e32 v5, 31, v4
	v_lshrrev_b32_e32 v5, 26, v5
	v_add_u32_e32 v5, v4, v5
	v_and_b32_e32 v5, 0xffffffc0, v5
	v_sub_u32_e32 v15, v4, v5
.LBB18_1825:                            ;   in Loop: Header=BB18_955 Depth=2
	s_or_b64 exec, exec, s[26:27]
	s_andn2_b64 s[24:25], s[30:31], exec
	s_and_b64 s[26:27], s[28:29], exec
	s_or_b64 s[30:31], s[24:25], s[26:27]
.LBB18_1826:                            ;   in Loop: Header=BB18_955 Depth=2
	s_or_b64 exec, exec, s[34:35]
	s_and_saveexec_b64 s[40:41], s[30:31]
	s_cbranch_execz .LBB18_1958
.LBB18_1827:                            ;   in Loop: Header=BB18_955 Depth=2
	v_ashrrev_i32_e32 v5, 31, v4
	v_lshrrev_b32_e32 v5, 26, v5
	v_add_u32_e32 v4, v4, v5
	v_ashrrev_i32_e32 v4, 6, v4
	v_lshlrev_b32_e32 v5, 10, v4
	v_lshlrev_b32_e32 v8, 1, v15
	v_add3_u32 v12, v14, v8, v5
	v_ashrrev_i32_e32 v5, 31, v63
	v_lshrrev_b32_e32 v5, 22, v5
	v_add_u32_e32 v5, v63, v5
	v_ashrrev_i32_e32 v16, 10, v5
	v_ashrrev_i32_e32 v13, 31, v12
	v_sub_u32_e32 v17, v16, v4
	v_lshl_add_u64 v[8:9], v[78:79], 0, v[12:13]
	v_cmp_lt_i32_e32 vcc, 0, v17
	v_mov_b32_e32 v37, 0
	s_mov_b64 s[24:25], 0
	v_mov_b32_e32 v34, 0
	v_mov_b32_e32 v4, 0
	;; [unrolled: 1-line block ×15, first 2 shown]
	s_and_saveexec_b64 s[26:27], vcc
	s_cbranch_execz .LBB18_1899
; %bb.1828:                             ;   in Loop: Header=BB18_955 Depth=2
	s_trap 2
	ds_read_b64 v[4:5], v0
	s_and_b32 s24, s43, 0xff
	s_cmp_eq_u32 s24, 0
	v_lshl_add_u64 v[10:11], v[12:13], 0, v[58:59]
	s_mov_b64 s[34:35], 0
	s_waitcnt lgkmcnt(0)
	v_lshl_add_u64 v[12:13], v[4:5], 0, v[12:13]
	s_mov_b64 s[30:31], 0
	s_cselect_b64 vcc, -1, 0
                                        ; implicit-def: $sgpr28_sgpr29
                                        ; implicit-def: $vgpr73
                                        ; implicit-def: $vgpr82
                                        ; implicit-def: $vgpr49
                                        ; implicit-def: $vgpr38
                                        ; implicit-def: $vgpr35
                                        ; implicit-def: $vgpr32
                                        ; implicit-def: $vgpr27
                                        ; implicit-def: $vgpr26
                                        ; implicit-def: $vgpr18
                                        ; implicit-def: $vgpr19
                                        ; implicit-def: $vgpr20
                                        ; implicit-def: $vgpr21
                                        ; implicit-def: $vgpr22
                                        ; implicit-def: $vgpr23
                                        ; implicit-def: $vgpr24
                                        ; implicit-def: $vgpr25
	s_branch .LBB18_1830
.LBB18_1829:                            ;   in Loop: Header=BB18_1830 Depth=3
	s_or_b64 exec, exec, s[36:37]
	flat_store_short_d16_hi v[8:9], v28 nt
	flat_store_short_d16_hi v[8:9], v29 offset:128 nt
	flat_store_short_d16_hi v[8:9], v96 offset:256 nt
	;; [unrolled: 1-line block ×7, first 2 shown]
	v_lshl_add_u64 v[4:5], v[10:11], 0, v[114:115]
	v_cndmask_b32_e64 v10, v10, v4, s[34:35]
	v_cndmask_b32_e64 v4, 0, v84, s[34:35]
	v_sub_u32_e32 v17, v17, v4
	v_cmp_gt_i32_e64 s[24:25], 1, v17
	s_or_b64 s[30:31], s[24:25], s[30:31]
	v_lshl_add_u64 v[28:29], v[12:13], 0, v[114:115]
	v_cndmask_b32_e64 v37, 0, v43, s[34:35]
	v_cndmask_b32_e64 v36, v123, v42, s[34:35]
	s_andn2_b64 s[24:25], s[28:29], exec
	s_and_b64 s[28:29], s[34:35], exec
	v_lshl_add_u64 v[8:9], v[8:9], 0, v[36:37]
	v_cndmask_b32_e64 v11, v11, v5, s[34:35]
	v_cndmask_b32_e64 v13, v13, v29, s[34:35]
	;; [unrolled: 1-line block ×3, first 2 shown]
	s_or_b64 s[28:29], s[24:25], s[28:29]
	s_andn2_b64 exec, exec, s[30:31]
	s_cbranch_execz .LBB18_1898
.LBB18_1830:                            ;   Parent Loop BB18_47 Depth=1
                                        ;     Parent Loop BB18_955 Depth=2
                                        ; =>    This Inner Loop Header: Depth=3
	flat_load_ushort v92, v[10:11] nt
	flat_load_ushort v90, v[10:11] offset:128 nt
	flat_load_ushort v88, v[10:11] offset:256 nt
	;; [unrolled: 1-line block ×7, first 2 shown]
	flat_load_ushort v93, v[12:13] nt
	flat_load_ushort v91, v[12:13] offset:128 nt
	flat_load_ushort v89, v[12:13] offset:256 nt
	;; [unrolled: 1-line block ×7, first 2 shown]
	s_and_saveexec_b64 s[36:37], s[34:35]
	s_cbranch_execz .LBB18_1864
; %bb.1831:                             ;   in Loop: Header=BB18_1830 Depth=3
	v_lshlrev_b32_e32 v4, 16, v73
	v_lshlrev_b32_e32 v5, 16, v18
	v_max_f32_e32 v5, v5, v5
	v_max_f32_e32 v4, v4, v4
	v_min_f32_e32 v28, v4, v5
	v_max_f32_e32 v4, v4, v5
	v_cndmask_b32_e32 v4, v4, v28, vcc
	v_and_b32_e32 v5, 0x7f800000, v4
	v_cmp_ne_u32_e64 s[24:25], s96, v5
                                        ; implicit-def: $vgpr28
	s_and_saveexec_b64 s[34:35], s[24:25]
	s_xor_b64 s[24:25], exec, s[34:35]
; %bb.1832:                             ;   in Loop: Header=BB18_1830 Depth=3
	v_bfe_u32 v5, v4, 16, 1
	v_add3_u32 v28, v4, v5, s97
                                        ; implicit-def: $vgpr4
; %bb.1833:                             ;   in Loop: Header=BB18_1830 Depth=3
	s_andn2_saveexec_b64 s[34:35], s[24:25]
; %bb.1834:                             ;   in Loop: Header=BB18_1830 Depth=3
	v_or_b32_e32 v5, 0x10000, v4
	v_cmp_eq_u32_sdwa s[24:25], v4, v3 src0_sel:WORD_0 src1_sel:DWORD
	s_nop 1
	v_cndmask_b32_e64 v28, v5, v4, s[24:25]
; %bb.1835:                             ;   in Loop: Header=BB18_1830 Depth=3
	s_or_b64 exec, exec, s[34:35]
	v_lshlrev_b32_e32 v4, 16, v82
	v_lshlrev_b32_e32 v5, 16, v19
	v_max_f32_e32 v5, v5, v5
	v_max_f32_e32 v4, v4, v4
	v_min_f32_e32 v29, v4, v5
	v_max_f32_e32 v4, v4, v5
	v_cndmask_b32_e32 v4, v4, v29, vcc
	v_and_b32_e32 v5, 0x7f800000, v4
	v_cmp_ne_u32_e64 s[24:25], s96, v5
                                        ; implicit-def: $vgpr29
	s_and_saveexec_b64 s[34:35], s[24:25]
	s_xor_b64 s[24:25], exec, s[34:35]
; %bb.1836:                             ;   in Loop: Header=BB18_1830 Depth=3
	v_bfe_u32 v5, v4, 16, 1
	v_add3_u32 v29, v4, v5, s97
                                        ; implicit-def: $vgpr4
; %bb.1837:                             ;   in Loop: Header=BB18_1830 Depth=3
	s_andn2_saveexec_b64 s[34:35], s[24:25]
; %bb.1838:                             ;   in Loop: Header=BB18_1830 Depth=3
	v_or_b32_e32 v5, 0x10000, v4
	v_cmp_eq_u32_sdwa s[24:25], v4, v3 src0_sel:WORD_0 src1_sel:DWORD
	s_nop 1
	v_cndmask_b32_e64 v29, v5, v4, s[24:25]
; %bb.1839:                             ;   in Loop: Header=BB18_1830 Depth=3
	s_or_b64 exec, exec, s[34:35]
	v_lshlrev_b32_e32 v4, 16, v49
	v_lshlrev_b32_e32 v5, 16, v20
	v_max_f32_e32 v5, v5, v5
	v_max_f32_e32 v4, v4, v4
	v_min_f32_e32 v49, v4, v5
	v_max_f32_e32 v4, v4, v5
	v_cndmask_b32_e32 v4, v4, v49, vcc
	v_and_b32_e32 v5, 0x7f800000, v4
	v_cmp_ne_u32_e64 s[24:25], s96, v5
                                        ; implicit-def: $vgpr49
	s_and_saveexec_b64 s[34:35], s[24:25]
	s_xor_b64 s[24:25], exec, s[34:35]
; %bb.1840:                             ;   in Loop: Header=BB18_1830 Depth=3
	v_bfe_u32 v5, v4, 16, 1
	v_add3_u32 v49, v4, v5, s97
                                        ; implicit-def: $vgpr4
; %bb.1841:                             ;   in Loop: Header=BB18_1830 Depth=3
	s_andn2_saveexec_b64 s[34:35], s[24:25]
; %bb.1842:                             ;   in Loop: Header=BB18_1830 Depth=3
	v_or_b32_e32 v5, 0x10000, v4
	v_cmp_eq_u32_sdwa s[24:25], v4, v3 src0_sel:WORD_0 src1_sel:DWORD
	s_nop 1
	v_cndmask_b32_e64 v49, v5, v4, s[24:25]
; %bb.1843:                             ;   in Loop: Header=BB18_1830 Depth=3
	s_or_b64 exec, exec, s[34:35]
	v_lshlrev_b32_e32 v4, 16, v38
	v_lshlrev_b32_e32 v5, 16, v21
	v_max_f32_e32 v5, v5, v5
	v_max_f32_e32 v4, v4, v4
	v_min_f32_e32 v38, v4, v5
	v_max_f32_e32 v4, v4, v5
	v_cndmask_b32_e32 v4, v4, v38, vcc
	v_and_b32_e32 v5, 0x7f800000, v4
	v_cmp_ne_u32_e64 s[24:25], s96, v5
                                        ; implicit-def: $vgpr38
	s_and_saveexec_b64 s[34:35], s[24:25]
	s_xor_b64 s[24:25], exec, s[34:35]
; %bb.1844:                             ;   in Loop: Header=BB18_1830 Depth=3
	v_bfe_u32 v5, v4, 16, 1
	v_add3_u32 v38, v4, v5, s97
                                        ; implicit-def: $vgpr4
; %bb.1845:                             ;   in Loop: Header=BB18_1830 Depth=3
	s_andn2_saveexec_b64 s[34:35], s[24:25]
; %bb.1846:                             ;   in Loop: Header=BB18_1830 Depth=3
	v_or_b32_e32 v5, 0x10000, v4
	v_cmp_eq_u32_sdwa s[24:25], v4, v3 src0_sel:WORD_0 src1_sel:DWORD
	s_nop 1
	v_cndmask_b32_e64 v38, v5, v4, s[24:25]
; %bb.1847:                             ;   in Loop: Header=BB18_1830 Depth=3
	s_or_b64 exec, exec, s[34:35]
	v_lshlrev_b32_e32 v4, 16, v35
	v_lshlrev_b32_e32 v5, 16, v22
	v_max_f32_e32 v5, v5, v5
	v_max_f32_e32 v4, v4, v4
	v_min_f32_e32 v35, v4, v5
	v_max_f32_e32 v4, v4, v5
	v_cndmask_b32_e32 v5, v4, v35, vcc
	v_and_b32_e32 v4, 0x7f800000, v5
	v_cmp_ne_u32_e64 s[24:25], s96, v4
                                        ; implicit-def: $vgpr4
	s_and_saveexec_b64 s[34:35], s[24:25]
	s_xor_b64 s[24:25], exec, s[34:35]
; %bb.1848:                             ;   in Loop: Header=BB18_1830 Depth=3
	v_bfe_u32 v4, v5, 16, 1
	v_add3_u32 v4, v5, v4, s97
                                        ; implicit-def: $vgpr5
; %bb.1849:                             ;   in Loop: Header=BB18_1830 Depth=3
	s_andn2_saveexec_b64 s[34:35], s[24:25]
; %bb.1850:                             ;   in Loop: Header=BB18_1830 Depth=3
	v_or_b32_e32 v4, 0x10000, v5
	v_cmp_eq_u32_sdwa s[24:25], v5, v3 src0_sel:WORD_0 src1_sel:DWORD
	s_nop 1
	v_cndmask_b32_e64 v4, v4, v5, s[24:25]
; %bb.1851:                             ;   in Loop: Header=BB18_1830 Depth=3
	s_or_b64 exec, exec, s[34:35]
	v_lshlrev_b32_e32 v5, 16, v32
	v_lshlrev_b32_e32 v32, 16, v23
	v_max_f32_e32 v32, v32, v32
	v_max_f32_e32 v5, v5, v5
	v_min_f32_e32 v35, v5, v32
	v_max_f32_e32 v5, v5, v32
	v_cndmask_b32_e32 v32, v5, v35, vcc
	v_and_b32_e32 v5, 0x7f800000, v32
	v_cmp_ne_u32_e64 s[24:25], s96, v5
                                        ; implicit-def: $vgpr5
	s_and_saveexec_b64 s[34:35], s[24:25]
	s_xor_b64 s[24:25], exec, s[34:35]
; %bb.1852:                             ;   in Loop: Header=BB18_1830 Depth=3
	v_bfe_u32 v5, v32, 16, 1
	v_add3_u32 v5, v32, v5, s97
                                        ; implicit-def: $vgpr32
; %bb.1853:                             ;   in Loop: Header=BB18_1830 Depth=3
	s_andn2_saveexec_b64 s[34:35], s[24:25]
; %bb.1854:                             ;   in Loop: Header=BB18_1830 Depth=3
	v_or_b32_e32 v5, 0x10000, v32
	v_cmp_eq_u32_sdwa s[24:25], v32, v3 src0_sel:WORD_0 src1_sel:DWORD
	s_nop 1
	v_cndmask_b32_e64 v5, v5, v32, s[24:25]
; %bb.1855:                             ;   in Loop: Header=BB18_1830 Depth=3
	s_or_b64 exec, exec, s[34:35]
	v_lshlrev_b32_e32 v27, 16, v27
	v_lshlrev_b32_e32 v32, 16, v24
	v_max_f32_e32 v32, v32, v32
	v_max_f32_e32 v27, v27, v27
	v_min_f32_e32 v35, v27, v32
	v_max_f32_e32 v27, v27, v32
	v_cndmask_b32_e32 v32, v27, v35, vcc
	v_and_b32_e32 v27, 0x7f800000, v32
	v_cmp_ne_u32_e64 s[24:25], s96, v27
                                        ; implicit-def: $vgpr27
	s_and_saveexec_b64 s[34:35], s[24:25]
	s_xor_b64 s[24:25], exec, s[34:35]
; %bb.1856:                             ;   in Loop: Header=BB18_1830 Depth=3
	v_bfe_u32 v27, v32, 16, 1
	v_add3_u32 v27, v32, v27, s97
                                        ; implicit-def: $vgpr32
; %bb.1857:                             ;   in Loop: Header=BB18_1830 Depth=3
	s_andn2_saveexec_b64 s[34:35], s[24:25]
; %bb.1858:                             ;   in Loop: Header=BB18_1830 Depth=3
	v_or_b32_e32 v27, 0x10000, v32
	v_cmp_eq_u32_sdwa s[24:25], v32, v3 src0_sel:WORD_0 src1_sel:DWORD
	s_nop 1
	v_cndmask_b32_e64 v27, v27, v32, s[24:25]
; %bb.1859:                             ;   in Loop: Header=BB18_1830 Depth=3
	s_or_b64 exec, exec, s[34:35]
	v_lshlrev_b32_e32 v26, 16, v26
	v_lshlrev_b32_e32 v32, 16, v25
	v_max_f32_e32 v32, v32, v32
	v_max_f32_e32 v26, v26, v26
	v_min_f32_e32 v35, v26, v32
	v_max_f32_e32 v26, v26, v32
	v_cndmask_b32_e32 v32, v26, v35, vcc
	v_and_b32_e32 v26, 0x7f800000, v32
	v_cmp_ne_u32_e64 s[24:25], s96, v26
                                        ; implicit-def: $vgpr26
	s_and_saveexec_b64 s[34:35], s[24:25]
	s_xor_b64 s[24:25], exec, s[34:35]
; %bb.1860:                             ;   in Loop: Header=BB18_1830 Depth=3
	v_bfe_u32 v26, v32, 16, 1
	v_add3_u32 v26, v32, v26, s97
                                        ; implicit-def: $vgpr32
; %bb.1861:                             ;   in Loop: Header=BB18_1830 Depth=3
	s_andn2_saveexec_b64 s[34:35], s[24:25]
; %bb.1862:                             ;   in Loop: Header=BB18_1830 Depth=3
	v_or_b32_e32 v26, 0x10000, v32
	v_cmp_eq_u32_sdwa s[24:25], v32, v3 src0_sel:WORD_0 src1_sel:DWORD
	s_nop 1
	v_cndmask_b32_e64 v26, v26, v32, s[24:25]
; %bb.1863:                             ;   in Loop: Header=BB18_1830 Depth=3
	s_or_b64 exec, exec, s[34:35]
	v_lshrrev_b32_e32 v73, 16, v28
	v_lshrrev_b32_e32 v27, 16, v27
	;; [unrolled: 1-line block ×8, first 2 shown]
	flat_store_short v[8:9], v73 nt
	flat_store_short v[8:9], v82 offset:128 nt
	flat_store_short v[8:9], v49 offset:256 nt
	;; [unrolled: 1-line block ×7, first 2 shown]
	v_lshl_add_u64 v[8:9], v[8:9], 0, v[42:43]
.LBB18_1864:                            ;   in Loop: Header=BB18_1830 Depth=3
	s_or_b64 exec, exec, s[36:37]
	v_sub_u32_e32 v17, v17, v84
	v_lshl_add_u64 v[10:11], v[10:11], 0, v[42:43]
	v_lshl_add_u64 v[12:13], v[12:13], 0, v[42:43]
	v_cmp_lt_i32_e64 s[34:35], 0, v17
	s_and_saveexec_b64 s[24:25], s[34:35]
	s_cbranch_execz .LBB18_1866
; %bb.1865:                             ;   in Loop: Header=BB18_1830 Depth=3
	flat_load_ushort v73, v[10:11] nt
	flat_load_ushort v82, v[10:11] offset:128 nt
	flat_load_ushort v49, v[10:11] offset:256 nt
	;; [unrolled: 1-line block ×7, first 2 shown]
	flat_load_ushort v18, v[12:13] nt
	flat_load_ushort v19, v[12:13] offset:128 nt
	flat_load_ushort v20, v[12:13] offset:256 nt
	;; [unrolled: 1-line block ×7, first 2 shown]
	v_lshl_add_u64 v[10:11], v[10:11], 0, s[58:59]
	v_lshl_add_u64 v[12:13], v[12:13], 0, s[58:59]
.LBB18_1866:                            ;   in Loop: Header=BB18_1830 Depth=3
	s_or_b64 exec, exec, s[24:25]
	s_waitcnt vmcnt(0) lgkmcnt(0)
	v_lshlrev_b32_e32 v4, 16, v92
	v_lshlrev_b32_e32 v5, 16, v93
	v_max_f32_e32 v5, v5, v5
	v_max_f32_e32 v4, v4, v4
	v_min_f32_e32 v28, v4, v5
	v_max_f32_e32 v4, v4, v5
	v_cndmask_b32_e32 v4, v4, v28, vcc
	v_and_b32_e32 v5, 0x7f800000, v4
	v_cmp_ne_u32_e64 s[24:25], s96, v5
                                        ; implicit-def: $vgpr28
	s_and_saveexec_b64 s[36:37], s[24:25]
	s_xor_b64 s[24:25], exec, s[36:37]
; %bb.1867:                             ;   in Loop: Header=BB18_1830 Depth=3
	v_bfe_u32 v5, v4, 16, 1
	v_add3_u32 v28, v4, v5, s97
                                        ; implicit-def: $vgpr4
; %bb.1868:                             ;   in Loop: Header=BB18_1830 Depth=3
	s_andn2_saveexec_b64 s[36:37], s[24:25]
; %bb.1869:                             ;   in Loop: Header=BB18_1830 Depth=3
	v_or_b32_e32 v5, 0x10000, v4
	v_cmp_eq_u32_sdwa s[24:25], v4, v3 src0_sel:WORD_0 src1_sel:DWORD
	s_nop 1
	v_cndmask_b32_e64 v28, v5, v4, s[24:25]
; %bb.1870:                             ;   in Loop: Header=BB18_1830 Depth=3
	s_or_b64 exec, exec, s[36:37]
	v_lshlrev_b32_e32 v4, 16, v90
	v_lshlrev_b32_e32 v5, 16, v91
	v_max_f32_e32 v5, v5, v5
	v_max_f32_e32 v4, v4, v4
	v_min_f32_e32 v29, v4, v5
	v_max_f32_e32 v4, v4, v5
	v_cndmask_b32_e32 v4, v4, v29, vcc
	v_and_b32_e32 v5, 0x7f800000, v4
	v_cmp_ne_u32_e64 s[24:25], s96, v5
                                        ; implicit-def: $vgpr29
	s_and_saveexec_b64 s[36:37], s[24:25]
	s_xor_b64 s[24:25], exec, s[36:37]
; %bb.1871:                             ;   in Loop: Header=BB18_1830 Depth=3
	v_bfe_u32 v5, v4, 16, 1
	v_add3_u32 v29, v4, v5, s97
                                        ; implicit-def: $vgpr4
; %bb.1872:                             ;   in Loop: Header=BB18_1830 Depth=3
	s_andn2_saveexec_b64 s[36:37], s[24:25]
; %bb.1873:                             ;   in Loop: Header=BB18_1830 Depth=3
	v_or_b32_e32 v5, 0x10000, v4
	v_cmp_eq_u32_sdwa s[24:25], v4, v3 src0_sel:WORD_0 src1_sel:DWORD
	s_nop 1
	v_cndmask_b32_e64 v29, v5, v4, s[24:25]
; %bb.1874:                             ;   in Loop: Header=BB18_1830 Depth=3
	s_or_b64 exec, exec, s[36:37]
	v_lshlrev_b32_e32 v4, 16, v88
	v_lshlrev_b32_e32 v5, 16, v89
	v_max_f32_e32 v5, v5, v5
	v_max_f32_e32 v4, v4, v4
	v_min_f32_e32 v86, v4, v5
	v_max_f32_e32 v4, v4, v5
	v_cndmask_b32_e32 v4, v4, v86, vcc
	v_and_b32_e32 v5, 0x7f800000, v4
	v_cmp_ne_u32_e64 s[24:25], s96, v5
                                        ; implicit-def: $vgpr96
	s_and_saveexec_b64 s[36:37], s[24:25]
	s_xor_b64 s[24:25], exec, s[36:37]
; %bb.1875:                             ;   in Loop: Header=BB18_1830 Depth=3
	v_bfe_u32 v5, v4, 16, 1
	v_add3_u32 v96, v4, v5, s97
                                        ; implicit-def: $vgpr4
; %bb.1876:                             ;   in Loop: Header=BB18_1830 Depth=3
	s_andn2_saveexec_b64 s[36:37], s[24:25]
; %bb.1877:                             ;   in Loop: Header=BB18_1830 Depth=3
	v_or_b32_e32 v5, 0x10000, v4
	v_cmp_eq_u32_sdwa s[24:25], v4, v3 src0_sel:WORD_0 src1_sel:DWORD
	s_nop 1
	v_cndmask_b32_e64 v96, v5, v4, s[24:25]
; %bb.1878:                             ;   in Loop: Header=BB18_1830 Depth=3
	s_or_b64 exec, exec, s[36:37]
	v_lshlrev_b32_e32 v4, 16, v54
	v_lshlrev_b32_e32 v5, 16, v55
	v_max_f32_e32 v5, v5, v5
	v_max_f32_e32 v4, v4, v4
	v_min_f32_e32 v54, v4, v5
	v_max_f32_e32 v4, v4, v5
	v_cndmask_b32_e32 v4, v4, v54, vcc
	v_and_b32_e32 v5, 0x7f800000, v4
	v_cmp_ne_u32_e64 s[24:25], s96, v5
                                        ; implicit-def: $vgpr54
	s_and_saveexec_b64 s[36:37], s[24:25]
	s_xor_b64 s[24:25], exec, s[36:37]
; %bb.1879:                             ;   in Loop: Header=BB18_1830 Depth=3
	v_bfe_u32 v5, v4, 16, 1
	v_add3_u32 v54, v4, v5, s97
                                        ; implicit-def: $vgpr4
; %bb.1880:                             ;   in Loop: Header=BB18_1830 Depth=3
	s_andn2_saveexec_b64 s[36:37], s[24:25]
; %bb.1881:                             ;   in Loop: Header=BB18_1830 Depth=3
	v_or_b32_e32 v5, 0x10000, v4
	v_cmp_eq_u32_sdwa s[24:25], v4, v3 src0_sel:WORD_0 src1_sel:DWORD
	s_nop 1
	v_cndmask_b32_e64 v54, v5, v4, s[24:25]
; %bb.1882:                             ;   in Loop: Header=BB18_1830 Depth=3
	s_or_b64 exec, exec, s[36:37]
	v_lshlrev_b32_e32 v4, 16, v50
	v_lshlrev_b32_e32 v5, 16, v51
	v_max_f32_e32 v5, v5, v5
	v_max_f32_e32 v4, v4, v4
	v_min_f32_e32 v50, v4, v5
	v_max_f32_e32 v4, v4, v5
	v_cndmask_b32_e32 v5, v4, v50, vcc
	v_and_b32_e32 v4, 0x7f800000, v5
	v_cmp_ne_u32_e64 s[24:25], s96, v4
                                        ; implicit-def: $vgpr4
	s_and_saveexec_b64 s[36:37], s[24:25]
	s_xor_b64 s[24:25], exec, s[36:37]
; %bb.1883:                             ;   in Loop: Header=BB18_1830 Depth=3
	v_bfe_u32 v4, v5, 16, 1
	v_add3_u32 v4, v5, v4, s97
                                        ; implicit-def: $vgpr5
; %bb.1884:                             ;   in Loop: Header=BB18_1830 Depth=3
	s_andn2_saveexec_b64 s[36:37], s[24:25]
; %bb.1885:                             ;   in Loop: Header=BB18_1830 Depth=3
	v_or_b32_e32 v4, 0x10000, v5
	v_cmp_eq_u32_sdwa s[24:25], v5, v3 src0_sel:WORD_0 src1_sel:DWORD
	s_nop 1
	v_cndmask_b32_e64 v4, v4, v5, s[24:25]
; %bb.1886:                             ;   in Loop: Header=BB18_1830 Depth=3
	s_or_b64 exec, exec, s[36:37]
	v_lshlrev_b32_e32 v5, 16, v39
	v_lshlrev_b32_e32 v39, 16, v48
	v_max_f32_e32 v39, v39, v39
	v_max_f32_e32 v5, v5, v5
	v_min_f32_e32 v48, v5, v39
	v_max_f32_e32 v5, v5, v39
	v_cndmask_b32_e32 v39, v5, v48, vcc
	v_and_b32_e32 v5, 0x7f800000, v39
	v_cmp_ne_u32_e64 s[24:25], s96, v5
                                        ; implicit-def: $vgpr5
	s_and_saveexec_b64 s[36:37], s[24:25]
	s_xor_b64 s[24:25], exec, s[36:37]
; %bb.1887:                             ;   in Loop: Header=BB18_1830 Depth=3
	v_bfe_u32 v5, v39, 16, 1
	v_add3_u32 v5, v39, v5, s97
                                        ; implicit-def: $vgpr39
; %bb.1888:                             ;   in Loop: Header=BB18_1830 Depth=3
	s_andn2_saveexec_b64 s[36:37], s[24:25]
; %bb.1889:                             ;   in Loop: Header=BB18_1830 Depth=3
	v_or_b32_e32 v5, 0x10000, v39
	v_cmp_eq_u32_sdwa s[24:25], v39, v3 src0_sel:WORD_0 src1_sel:DWORD
	s_nop 1
	v_cndmask_b32_e64 v5, v5, v39, s[24:25]
; %bb.1890:                             ;   in Loop: Header=BB18_1830 Depth=3
	s_or_b64 exec, exec, s[36:37]
	v_lshlrev_b32_e32 v36, 16, v36
	v_lshlrev_b32_e32 v37, 16, v37
	v_max_f32_e32 v37, v37, v37
	v_max_f32_e32 v36, v36, v36
	v_min_f32_e32 v39, v36, v37
	v_max_f32_e32 v36, v36, v37
	v_cndmask_b32_e32 v37, v36, v39, vcc
	v_and_b32_e32 v36, 0x7f800000, v37
	v_cmp_ne_u32_e64 s[24:25], s96, v36
                                        ; implicit-def: $vgpr36
	s_and_saveexec_b64 s[36:37], s[24:25]
	s_xor_b64 s[24:25], exec, s[36:37]
; %bb.1891:                             ;   in Loop: Header=BB18_1830 Depth=3
	v_bfe_u32 v36, v37, 16, 1
	v_add3_u32 v36, v37, v36, s97
                                        ; implicit-def: $vgpr37
; %bb.1892:                             ;   in Loop: Header=BB18_1830 Depth=3
	s_andn2_saveexec_b64 s[36:37], s[24:25]
; %bb.1893:                             ;   in Loop: Header=BB18_1830 Depth=3
	v_or_b32_e32 v36, 0x10000, v37
	v_cmp_eq_u32_sdwa s[24:25], v37, v3 src0_sel:WORD_0 src1_sel:DWORD
	s_nop 1
	v_cndmask_b32_e64 v36, v36, v37, s[24:25]
; %bb.1894:                             ;   in Loop: Header=BB18_1830 Depth=3
	s_or_b64 exec, exec, s[36:37]
	v_lshlrev_b32_e32 v33, 16, v33
	v_lshlrev_b32_e32 v34, 16, v34
	v_max_f32_e32 v34, v34, v34
	v_max_f32_e32 v33, v33, v33
	v_min_f32_e32 v37, v33, v34
	v_max_f32_e32 v33, v33, v34
	v_cndmask_b32_e32 v34, v33, v37, vcc
	v_and_b32_e32 v33, 0x7f800000, v34
	v_cmp_ne_u32_e64 s[24:25], s96, v33
                                        ; implicit-def: $vgpr33
	s_and_saveexec_b64 s[36:37], s[24:25]
	s_xor_b64 s[24:25], exec, s[36:37]
; %bb.1895:                             ;   in Loop: Header=BB18_1830 Depth=3
	v_bfe_u32 v33, v34, 16, 1
	v_add3_u32 v33, v34, v33, s97
                                        ; implicit-def: $vgpr34
; %bb.1896:                             ;   in Loop: Header=BB18_1830 Depth=3
	s_andn2_saveexec_b64 s[36:37], s[24:25]
	s_cbranch_execz .LBB18_1829
; %bb.1897:                             ;   in Loop: Header=BB18_1830 Depth=3
	v_or_b32_e32 v33, 0x10000, v34
	v_cmp_eq_u32_sdwa s[24:25], v34, v3 src0_sel:WORD_0 src1_sel:DWORD
	s_nop 1
	v_cndmask_b32_e64 v33, v33, v34, s[24:25]
	s_branch .LBB18_1829
.LBB18_1898:                            ;   in Loop: Header=BB18_955 Depth=2
	s_or_b64 exec, exec, s[30:31]
	v_lshlrev_b32_e32 v37, 16, v73
	v_lshlrev_b32_e32 v39, 16, v18
	;; [unrolled: 1-line block ×16, first 2 shown]
	s_and_b64 s[24:25], s[28:29], exec
.LBB18_1899:                            ;   in Loop: Header=BB18_955 Depth=2
	s_or_b64 exec, exec, s[26:27]
	s_and_saveexec_b64 s[26:27], s[24:25]
	s_cbranch_execz .LBB18_1933
; %bb.1900:                             ;   in Loop: Header=BB18_955 Depth=2
	s_and_b32 s24, s43, 0xff
	s_cmp_eq_u32 s24, 0
	v_max_f32_e32 v12, v39, v39
	v_max_f32_e32 v13, v37, v37
	v_min_f32_e32 v23, v13, v12
	v_max_f32_e32 v12, v13, v12
	s_cselect_b64 vcc, -1, 0
	v_cndmask_b32_e32 v13, v12, v23, vcc
	v_and_b32_e32 v12, 0x7f800000, v13
	v_cmp_ne_u32_e64 s[24:25], s96, v12
                                        ; implicit-def: $vgpr12
	s_and_saveexec_b64 s[28:29], s[24:25]
	s_xor_b64 s[24:25], exec, s[28:29]
; %bb.1901:                             ;   in Loop: Header=BB18_955 Depth=2
	v_bfe_u32 v12, v13, 16, 1
	v_add3_u32 v12, v13, v12, s97
                                        ; implicit-def: $vgpr13
; %bb.1902:                             ;   in Loop: Header=BB18_955 Depth=2
	s_andn2_saveexec_b64 s[28:29], s[24:25]
; %bb.1903:                             ;   in Loop: Header=BB18_955 Depth=2
	v_or_b32_e32 v12, 0x10000, v13
	v_cmp_eq_u32_sdwa s[24:25], v13, v3 src0_sel:WORD_0 src1_sel:DWORD
	s_nop 1
	v_cndmask_b32_e64 v12, v12, v13, s[24:25]
; %bb.1904:                             ;   in Loop: Header=BB18_955 Depth=2
	s_or_b64 exec, exec, s[28:29]
	v_max_f32_e32 v13, v36, v36
	v_max_f32_e32 v23, v34, v34
	v_min_f32_e32 v24, v23, v13
	v_max_f32_e32 v13, v23, v13
	v_cndmask_b32_e32 v23, v13, v24, vcc
	v_and_b32_e32 v13, 0x7f800000, v23
	v_cmp_ne_u32_e64 s[24:25], s96, v13
                                        ; implicit-def: $vgpr13
	s_and_saveexec_b64 s[28:29], s[24:25]
	s_xor_b64 s[24:25], exec, s[28:29]
; %bb.1905:                             ;   in Loop: Header=BB18_955 Depth=2
	v_bfe_u32 v13, v23, 16, 1
	v_add3_u32 v13, v23, v13, s97
                                        ; implicit-def: $vgpr23
; %bb.1906:                             ;   in Loop: Header=BB18_955 Depth=2
	s_andn2_saveexec_b64 s[28:29], s[24:25]
; %bb.1907:                             ;   in Loop: Header=BB18_955 Depth=2
	v_or_b32_e32 v13, 0x10000, v23
	v_cmp_eq_u32_sdwa s[24:25], v23, v3 src0_sel:WORD_0 src1_sel:DWORD
	s_nop 1
	v_cndmask_b32_e64 v13, v13, v23, s[24:25]
; %bb.1908:                             ;   in Loop: Header=BB18_955 Depth=2
	s_or_b64 exec, exec, s[28:29]
	v_max_f32_e32 v5, v5, v5
	v_max_f32_e32 v4, v4, v4
	v_min_f32_e32 v23, v4, v5
	v_max_f32_e32 v4, v4, v5
	v_cndmask_b32_e32 v4, v4, v23, vcc
	v_and_b32_e32 v5, 0x7f800000, v4
	v_cmp_ne_u32_e64 s[24:25], s96, v5
                                        ; implicit-def: $vgpr23
	s_and_saveexec_b64 s[28:29], s[24:25]
	s_xor_b64 s[24:25], exec, s[28:29]
; %bb.1909:                             ;   in Loop: Header=BB18_955 Depth=2
	v_bfe_u32 v5, v4, 16, 1
	v_add3_u32 v23, v4, v5, s97
                                        ; implicit-def: $vgpr4
; %bb.1910:                             ;   in Loop: Header=BB18_955 Depth=2
	s_andn2_saveexec_b64 s[28:29], s[24:25]
; %bb.1911:                             ;   in Loop: Header=BB18_955 Depth=2
	v_or_b32_e32 v5, 0x10000, v4
	v_cmp_eq_u32_sdwa s[24:25], v4, v3 src0_sel:WORD_0 src1_sel:DWORD
	s_nop 1
	v_cndmask_b32_e64 v23, v5, v4, s[24:25]
; %bb.1912:                             ;   in Loop: Header=BB18_955 Depth=2
	s_or_b64 exec, exec, s[28:29]
	v_max_f32_e32 v4, v33, v33
	v_max_f32_e32 v5, v29, v29
	v_min_f32_e32 v24, v5, v4
	v_max_f32_e32 v4, v5, v4
	v_cndmask_b32_e32 v4, v4, v24, vcc
	v_and_b32_e32 v5, 0x7f800000, v4
	v_cmp_ne_u32_e64 s[24:25], s96, v5
                                        ; implicit-def: $vgpr24
	s_and_saveexec_b64 s[28:29], s[24:25]
	s_xor_b64 s[24:25], exec, s[28:29]
; %bb.1913:                             ;   in Loop: Header=BB18_955 Depth=2
	v_bfe_u32 v5, v4, 16, 1
	v_add3_u32 v24, v4, v5, s97
                                        ; implicit-def: $vgpr4
; %bb.1914:                             ;   in Loop: Header=BB18_955 Depth=2
	s_andn2_saveexec_b64 s[28:29], s[24:25]
; %bb.1915:                             ;   in Loop: Header=BB18_955 Depth=2
	v_or_b32_e32 v5, 0x10000, v4
	v_cmp_eq_u32_sdwa s[24:25], v4, v3 src0_sel:WORD_0 src1_sel:DWORD
	s_nop 1
	v_cndmask_b32_e64 v24, v5, v4, s[24:25]
; %bb.1916:                             ;   in Loop: Header=BB18_955 Depth=2
	s_or_b64 exec, exec, s[28:29]
	v_max_f32_e32 v4, v22, v22
	v_max_f32_e32 v5, v28, v28
	v_min_f32_e32 v22, v5, v4
	v_max_f32_e32 v4, v5, v4
	v_cndmask_b32_e32 v5, v4, v22, vcc
	v_and_b32_e32 v4, 0x7f800000, v5
	v_cmp_ne_u32_e64 s[24:25], s96, v4
                                        ; implicit-def: $vgpr4
	s_and_saveexec_b64 s[28:29], s[24:25]
	s_xor_b64 s[24:25], exec, s[28:29]
; %bb.1917:                             ;   in Loop: Header=BB18_955 Depth=2
	v_bfe_u32 v4, v5, 16, 1
	v_add3_u32 v4, v5, v4, s97
                                        ; implicit-def: $vgpr5
; %bb.1918:                             ;   in Loop: Header=BB18_955 Depth=2
	s_andn2_saveexec_b64 s[28:29], s[24:25]
; %bb.1919:                             ;   in Loop: Header=BB18_955 Depth=2
	v_or_b32_e32 v4, 0x10000, v5
	v_cmp_eq_u32_sdwa s[24:25], v5, v3 src0_sel:WORD_0 src1_sel:DWORD
	s_nop 1
	v_cndmask_b32_e64 v4, v4, v5, s[24:25]
; %bb.1920:                             ;   in Loop: Header=BB18_955 Depth=2
	s_or_b64 exec, exec, s[28:29]
	v_max_f32_e32 v5, v21, v21
	v_max_f32_e32 v20, v20, v20
	v_min_f32_e32 v21, v20, v5
	v_max_f32_e32 v5, v20, v5
	v_cndmask_b32_e32 v20, v5, v21, vcc
	v_and_b32_e32 v5, 0x7f800000, v20
	v_cmp_ne_u32_e64 s[24:25], s96, v5
                                        ; implicit-def: $vgpr5
	s_and_saveexec_b64 s[28:29], s[24:25]
	s_xor_b64 s[24:25], exec, s[28:29]
; %bb.1921:                             ;   in Loop: Header=BB18_955 Depth=2
	v_bfe_u32 v5, v20, 16, 1
	v_add3_u32 v5, v20, v5, s97
                                        ; implicit-def: $vgpr20
; %bb.1922:                             ;   in Loop: Header=BB18_955 Depth=2
	s_andn2_saveexec_b64 s[28:29], s[24:25]
; %bb.1923:                             ;   in Loop: Header=BB18_955 Depth=2
	v_or_b32_e32 v5, 0x10000, v20
	v_cmp_eq_u32_sdwa s[24:25], v20, v3 src0_sel:WORD_0 src1_sel:DWORD
	s_nop 1
	v_cndmask_b32_e64 v5, v5, v20, s[24:25]
; %bb.1924:                             ;   in Loop: Header=BB18_955 Depth=2
	s_or_b64 exec, exec, s[28:29]
	v_max_f32_e32 v19, v19, v19
	v_max_f32_e32 v18, v18, v18
	v_min_f32_e32 v20, v18, v19
	v_max_f32_e32 v18, v18, v19
	v_cndmask_b32_e32 v19, v18, v20, vcc
	v_and_b32_e32 v18, 0x7f800000, v19
	v_cmp_ne_u32_e64 s[24:25], s96, v18
                                        ; implicit-def: $vgpr18
	s_and_saveexec_b64 s[28:29], s[24:25]
	s_xor_b64 s[24:25], exec, s[28:29]
; %bb.1925:                             ;   in Loop: Header=BB18_955 Depth=2
	v_bfe_u32 v18, v19, 16, 1
	v_add3_u32 v18, v19, v18, s97
                                        ; implicit-def: $vgpr19
; %bb.1926:                             ;   in Loop: Header=BB18_955 Depth=2
	s_andn2_saveexec_b64 s[28:29], s[24:25]
; %bb.1927:                             ;   in Loop: Header=BB18_955 Depth=2
	v_or_b32_e32 v18, 0x10000, v19
	v_cmp_eq_u32_sdwa s[24:25], v19, v3 src0_sel:WORD_0 src1_sel:DWORD
	s_nop 1
	v_cndmask_b32_e64 v18, v18, v19, s[24:25]
; %bb.1928:                             ;   in Loop: Header=BB18_955 Depth=2
	s_or_b64 exec, exec, s[28:29]
	v_max_f32_e32 v11, v11, v11
	v_max_f32_e32 v10, v10, v10
	v_min_f32_e32 v19, v10, v11
	v_max_f32_e32 v10, v10, v11
	v_cndmask_b32_e32 v11, v10, v19, vcc
	v_and_b32_e32 v10, 0x7f800000, v11
	v_cmp_ne_u32_e32 vcc, s96, v10
                                        ; implicit-def: $vgpr10
	s_and_saveexec_b64 s[24:25], vcc
	s_xor_b64 s[24:25], exec, s[24:25]
; %bb.1929:                             ;   in Loop: Header=BB18_955 Depth=2
	v_bfe_u32 v10, v11, 16, 1
	v_add3_u32 v10, v11, v10, s97
                                        ; implicit-def: $vgpr11
; %bb.1930:                             ;   in Loop: Header=BB18_955 Depth=2
	s_andn2_saveexec_b64 s[24:25], s[24:25]
; %bb.1931:                             ;   in Loop: Header=BB18_955 Depth=2
	v_or_b32_e32 v10, 0x10000, v11
	v_cmp_eq_u32_sdwa vcc, v11, v3 src0_sel:WORD_0 src1_sel:DWORD
	s_nop 1
	v_cndmask_b32_e32 v10, v10, v11, vcc
; %bb.1932:                             ;   in Loop: Header=BB18_955 Depth=2
	s_or_b64 exec, exec, s[24:25]
	flat_store_short_d16_hi v[8:9], v12 nt
	flat_store_short_d16_hi v[8:9], v13 offset:128 nt
	flat_store_short_d16_hi v[8:9], v23 offset:256 nt
	;; [unrolled: 1-line block ×7, first 2 shown]
.LBB18_1933:                            ;   in Loop: Header=BB18_955 Depth=2
	s_or_b64 exec, exec, s[26:27]
	v_lshlrev_b32_e32 v4, 10, v16
	v_cmp_ne_u32_e32 vcc, v63, v4
	s_and_b64 exec, exec, vcc
	s_cbranch_execz .LBB18_1958
; %bb.1934:                             ;   in Loop: Header=BB18_955 Depth=2
	v_lshlrev_b32_e32 v5, 6, v17
	v_sub_u32_e32 v5, v15, v5
	v_ashrrev_i32_e32 v8, 31, v5
	v_lshrrev_b32_e32 v8, 26, v8
	v_add_u32_e32 v8, v5, v8
	v_and_b32_e32 v9, 0x7fffffc0, v8
	v_sub_u32_e32 v5, v5, v9
	v_lshlrev_b32_e32 v8, 1, v8
	v_and_b32_e32 v8, 0xffffff80, v8
	v_lshlrev_b32_e32 v5, 1, v5
	v_add3_u32 v4, v8, v5, v4
	v_sub_u32_e32 v15, v63, v4
	v_cmp_lt_i32_e32 vcc, 1, v15
	s_and_b64 exec, exec, vcc
	s_cbranch_execz .LBB18_1958
; %bb.1935:                             ;   in Loop: Header=BB18_955 Depth=2
	s_trap 2
	ds_read_b64 v[10:11], v0
	v_add_u32_e32 v4, v4, v14
	s_and_b32 s24, s43, 0xff
	v_ashrrev_i32_e32 v5, 31, v4
	s_cmp_eq_u32 s24, 0
	v_lshl_add_u64 v[8:9], v[78:79], 0, v[4:5]
	v_lshl_add_u64 v[12:13], v[4:5], 0, v[58:59]
	s_waitcnt lgkmcnt(0)
	v_lshl_add_u64 v[10:11], v[10:11], 0, v[4:5]
	s_mov_b64 s[36:37], 0
	s_mov_b64 s[30:31], 0
	s_cselect_b64 s[24:25], -1, 0
                                        ; implicit-def: $sgpr34_sgpr35
	s_branch .LBB18_1937
.LBB18_1936:                            ;   in Loop: Header=BB18_1937 Depth=3
	s_or_b64 exec, exec, s[26:27]
	v_lshrrev_b32_e32 v5, 16, v14
	scratch_store_short off, v5, s33 offset:192
	flat_store_short v[8:9], v5 nt
	v_lshl_add_u64 v[14:15], v[12:13], 0, v[116:117]
	v_cndmask_b32_e64 v5, 0, v110, s[36:37]
	v_cndmask_b32_e64 v13, v13, v15, s[36:37]
	v_sub_u32_e32 v15, v4, v5
	v_cmp_gt_i32_e32 vcc, 2, v15
	s_or_b64 s[30:31], vcc, s[30:31]
	v_lshl_add_u64 v[16:17], v[10:11], 0, v[116:117]
	v_cndmask_b32_e64 v19, 0, v45, s[36:37]
	v_cndmask_b32_e64 v18, v124, v44, s[36:37]
	s_andn2_b64 s[26:27], s[34:35], exec
	s_and_b64 s[28:29], s[36:37], exec
	v_lshl_add_u64 v[8:9], v[8:9], 0, v[18:19]
	v_cndmask_b32_e64 v11, v11, v17, s[36:37]
	v_cndmask_b32_e64 v10, v10, v16, s[36:37]
	;; [unrolled: 1-line block ×3, first 2 shown]
	s_or_b64 s[34:35], s[26:27], s[28:29]
	s_andn2_b64 exec, exec, s[30:31]
	s_cbranch_execz .LBB18_1952
.LBB18_1937:                            ;   Parent Loop BB18_47 Depth=1
                                        ;     Parent Loop BB18_955 Depth=2
                                        ; =>    This Loop Header: Depth=3
                                        ;         Child Loop BB18_1938 Depth 4
                                        ;         Child Loop BB18_1947 Depth 4
	s_add_i32 s26, s33, 0xc0
	s_mov_b32 s42, s26
	s_mov_b64 s[38:39], -1
	s_mov_b64 s[48:49], 0
.LBB18_1938:                            ;   Parent Loop BB18_47 Depth=1
                                        ;     Parent Loop BB18_955 Depth=2
                                        ;       Parent Loop BB18_1937 Depth=3
                                        ; =>      This Inner Loop Header: Depth=4
	s_cmp_eq_u32 s48, 1
	s_cselect_b64 vcc, -1, 0
	v_cndmask_b32_e32 v5, v13, v11, vcc
	v_cndmask_b32_e32 v4, v12, v10, vcc
	flat_load_ushort v14, v[4:5] nt
	s_cmp_eq_u32 s48, 0
	v_lshl_add_u64 v[4:5], v[4:5], 0, s[60:61]
	s_cselect_b64 s[26:27], -1, 0
	s_and_b64 s[28:29], exec, s[38:39]
	v_cndmask_b32_e64 v13, v13, v5, s[26:27]
	v_cndmask_b32_e64 v12, v12, v4, s[26:27]
	s_add_i32 s26, s33, 0xe0
	s_mov_b64 s[48:49], 1
	s_mov_b64 s[38:39], 0
	v_cndmask_b32_e32 v11, v11, v5, vcc
	v_cndmask_b32_e32 v10, v10, v4, vcc
	s_mov_b64 vcc, s[28:29]
	s_waitcnt vmcnt(0) lgkmcnt(0)
	scratch_store_short off, v14, s42
	s_mov_b32 s42, s26
	s_cbranch_vccnz .LBB18_1938
; %bb.1939:                             ;   in Loop: Header=BB18_1937 Depth=3
	s_and_saveexec_b64 s[26:27], s[36:37]
	s_cbranch_execz .LBB18_1945
; %bb.1940:                             ;   in Loop: Header=BB18_1937 Depth=3
	scratch_load_ushort v4, off, s33 offset:184
	scratch_load_ushort v5, off, s33 offset:186
	s_waitcnt vmcnt(1)
	v_lshlrev_b32_e32 v4, 16, v4
	s_waitcnt vmcnt(0)
	v_lshlrev_b32_e32 v5, 16, v5
	v_max_f32_e32 v5, v5, v5
	v_max_f32_e32 v4, v4, v4
	v_min_f32_e32 v14, v4, v5
	v_max_f32_e32 v4, v4, v5
	v_cndmask_b32_e64 v4, v4, v14, s[24:25]
	v_and_b32_e32 v5, 0x7f800000, v4
	v_cmp_ne_u32_e32 vcc, s96, v5
                                        ; implicit-def: $vgpr5
	s_and_saveexec_b64 s[28:29], vcc
	s_xor_b64 s[28:29], exec, s[28:29]
; %bb.1941:                             ;   in Loop: Header=BB18_1937 Depth=3
	v_bfe_u32 v5, v4, 16, 1
	v_add3_u32 v5, v4, v5, s97
                                        ; implicit-def: $vgpr4
; %bb.1942:                             ;   in Loop: Header=BB18_1937 Depth=3
	s_andn2_saveexec_b64 s[28:29], s[28:29]
; %bb.1943:                             ;   in Loop: Header=BB18_1937 Depth=3
	v_or_b32_e32 v5, 0x10000, v4
	v_cmp_eq_u32_sdwa vcc, v4, v3 src0_sel:WORD_0 src1_sel:DWORD
	s_nop 1
	v_cndmask_b32_e32 v5, v5, v4, vcc
; %bb.1944:                             ;   in Loop: Header=BB18_1937 Depth=3
	s_or_b64 exec, exec, s[28:29]
	v_lshrrev_b32_e32 v4, 16, v5
	scratch_store_short off, v4, s33 offset:184
	flat_store_short v[8:9], v4 nt
	v_lshl_add_u64 v[8:9], v[8:9], 0, v[44:45]
.LBB18_1945:                            ;   in Loop: Header=BB18_1937 Depth=3
	s_or_b64 exec, exec, s[26:27]
	v_sub_u32_e32 v4, v15, v110
	v_lshl_add_u64 v[12:13], v[12:13], 0, v[116:117]
	v_lshl_add_u64 v[10:11], v[10:11], 0, v[116:117]
	v_cmp_lt_i32_e64 s[36:37], 1, v4
	s_and_saveexec_b64 s[38:39], s[36:37]
	s_cbranch_execz .LBB18_1948
; %bb.1946:                             ;   in Loop: Header=BB18_1937 Depth=3
	s_add_i32 s26, s33, 0xb8
	s_mov_b32 s42, s26
	s_mov_b64 s[50:51], 0
	s_mov_b64 s[48:49], -1
.LBB18_1947:                            ;   Parent Loop BB18_47 Depth=1
                                        ;     Parent Loop BB18_955 Depth=2
                                        ;       Parent Loop BB18_1937 Depth=3
                                        ; =>      This Inner Loop Header: Depth=4
	s_cmp_eq_u32 s50, 1
	s_cselect_b64 vcc, -1, 0
	v_cndmask_b32_e32 v15, v13, v11, vcc
	v_cndmask_b32_e32 v14, v12, v10, vcc
	flat_load_ushort v5, v[14:15] nt
	s_cmp_eq_u32 s50, 0
	v_lshl_add_u64 v[14:15], v[14:15], 0, s[60:61]
	s_cselect_b64 s[26:27], -1, 0
	s_and_b64 s[28:29], exec, s[48:49]
	v_cndmask_b32_e64 v13, v13, v15, s[26:27]
	v_cndmask_b32_e64 v12, v12, v14, s[26:27]
	s_add_i32 s26, s33, 0xba
	s_mov_b64 s[50:51], 1
	s_mov_b64 s[48:49], 0
	v_cndmask_b32_e32 v11, v11, v15, vcc
	v_cndmask_b32_e32 v10, v10, v14, vcc
	s_mov_b64 vcc, s[28:29]
	s_waitcnt vmcnt(0) lgkmcnt(0)
	scratch_store_short off, v5, s42
	s_mov_b32 s42, s26
	s_cbranch_vccnz .LBB18_1947
.LBB18_1948:                            ;   in Loop: Header=BB18_1937 Depth=3
	s_or_b64 exec, exec, s[38:39]
	scratch_load_ushort v5, off, s33 offset:192
	scratch_load_ushort v14, off, s33 offset:224
	s_waitcnt vmcnt(0)
	v_lshlrev_b32_e32 v5, 16, v5
	v_lshlrev_b32_e32 v14, 16, v14
	v_max_f32_e32 v14, v14, v14
	v_max_f32_e32 v5, v5, v5
	v_min_f32_e32 v15, v5, v14
	v_max_f32_e32 v5, v5, v14
	v_cndmask_b32_e64 v5, v5, v15, s[24:25]
	v_and_b32_e32 v14, 0x7f800000, v5
	v_cmp_ne_u32_e32 vcc, s96, v14
                                        ; implicit-def: $vgpr14
	s_and_saveexec_b64 s[26:27], vcc
	s_xor_b64 s[26:27], exec, s[26:27]
; %bb.1949:                             ;   in Loop: Header=BB18_1937 Depth=3
	v_bfe_u32 v14, v5, 16, 1
	v_add3_u32 v14, v5, v14, s97
                                        ; implicit-def: $vgpr5
; %bb.1950:                             ;   in Loop: Header=BB18_1937 Depth=3
	s_andn2_saveexec_b64 s[26:27], s[26:27]
	s_cbranch_execz .LBB18_1936
; %bb.1951:                             ;   in Loop: Header=BB18_1937 Depth=3
	v_or_b32_e32 v14, 0x10000, v5
	v_cmp_eq_u32_sdwa vcc, v5, v3 src0_sel:WORD_0 src1_sel:DWORD
	s_nop 1
	v_cndmask_b32_e32 v14, v14, v5, vcc
	s_branch .LBB18_1936
.LBB18_1952:                            ;   in Loop: Header=BB18_955 Depth=2
	s_or_b64 exec, exec, s[30:31]
	s_and_b64 exec, exec, s[34:35]
	s_cbranch_execz .LBB18_1958
; %bb.1953:                             ;   in Loop: Header=BB18_955 Depth=2
	scratch_load_ushort v4, off, s33 offset:184
	scratch_load_ushort v5, off, s33 offset:186
	s_waitcnt vmcnt(0)
	v_lshlrev_b32_e32 v4, 16, v4
	v_lshlrev_b32_e32 v5, 16, v5
	v_max_f32_e32 v5, v5, v5
	v_max_f32_e32 v4, v4, v4
	v_min_f32_e32 v10, v4, v5
	v_max_f32_e32 v4, v4, v5
	v_cndmask_b32_e64 v4, v4, v10, s[24:25]
	v_and_b32_e32 v5, 0x7f800000, v4
	v_cmp_ne_u32_e32 vcc, s96, v5
                                        ; implicit-def: $vgpr5
	s_and_saveexec_b64 s[24:25], vcc
	s_xor_b64 s[24:25], exec, s[24:25]
; %bb.1954:                             ;   in Loop: Header=BB18_955 Depth=2
	v_bfe_u32 v5, v4, 16, 1
	v_add3_u32 v5, v4, v5, s97
                                        ; implicit-def: $vgpr4
; %bb.1955:                             ;   in Loop: Header=BB18_955 Depth=2
	s_andn2_saveexec_b64 s[24:25], s[24:25]
; %bb.1956:                             ;   in Loop: Header=BB18_955 Depth=2
	v_or_b32_e32 v5, 0x10000, v4
	v_cmp_eq_u32_sdwa vcc, v4, v3 src0_sel:WORD_0 src1_sel:DWORD
	s_nop 1
	v_cndmask_b32_e32 v5, v5, v4, vcc
; %bb.1957:                             ;   in Loop: Header=BB18_955 Depth=2
	s_or_b64 exec, exec, s[24:25]
	flat_store_short_d16_hi v[8:9], v5 nt
.LBB18_1958:                            ;   in Loop: Header=BB18_955 Depth=2
	s_or_b64 exec, exec, s[40:41]
	v_cmp_lt_i32_e64 s[24:25], 0, v2
	s_and_saveexec_b64 s[26:27], s[4:5]
	s_cbranch_execz .LBB18_1977
.LBB18_1959:                            ;   in Loop: Header=BB18_955 Depth=2
	s_and_saveexec_b64 s[28:29], s[46:47]
	s_xor_b64 s[28:29], exec, s[28:29]
	s_cbranch_execz .LBB18_1974
; %bb.1960:                             ;   in Loop: Header=BB18_955 Depth=2
	s_and_saveexec_b64 s[40:41], s[12:13]
	s_cbranch_execz .LBB18_1973
; %bb.1961:                             ;   in Loop: Header=BB18_955 Depth=2
	s_mov_b64 s[34:35], exec
	v_mbcnt_lo_u32_b32 v2, s34, 0
	v_mbcnt_hi_u32_b32 v2, s35, v2
	v_cmp_eq_u32_e32 vcc, 0, v2
	s_waitcnt lgkmcnt(0)
	s_and_saveexec_b64 s[30:31], vcc
	s_cbranch_execz .LBB18_1963
; %bb.1962:                             ;   in Loop: Header=BB18_955 Depth=2
	s_bcnt1_i32_b64 s42, s[34:35]
	v_mov_b32_e32 v2, s42
	ds_add_u64 v0, v[2:3]
	s_trap 2
.LBB18_1963:                            ;   in Loop: Header=BB18_955 Depth=2
	s_or_b64 exec, exec, s[30:31]
	s_trap 2
	ds_read_b64 v[4:5], v0
	s_waitcnt lgkmcnt(0)
	v_lshl_add_u64 v[70:71], v[70:71], 0, v[84:85]
	v_cmp_lt_u64_e32 vcc, v[4:5], v[70:71]
	s_and_saveexec_b64 s[30:31], vcc
	s_cbranch_execz .LBB18_1972
; %bb.1964:                             ;   in Loop: Header=BB18_955 Depth=2
	s_mov_b32 s42, 0
	s_mov_b64 s[34:35], 0
                                        ; implicit-def: $sgpr36_sgpr37
                                        ; implicit-def: $sgpr38_sgpr39
	s_branch .LBB18_1966
.LBB18_1965:                            ;   in Loop: Header=BB18_1966 Depth=3
	s_or_b64 exec, exec, s[50:51]
	s_and_b64 vcc, exec, vcc
	s_or_b64 s[34:35], vcc, s[34:35]
	s_andn2_b64 vcc, s[36:37], exec
	s_and_b64 s[36:37], s[38:39], exec
	s_or_b64 s[36:37], vcc, s[36:37]
	s_andn2_b64 exec, exec, s[34:35]
	s_cbranch_execz .LBB18_1970
.LBB18_1966:                            ;   Parent Loop BB18_47 Depth=1
                                        ;     Parent Loop BB18_955 Depth=2
                                        ; =>    This Inner Loop Header: Depth=3
	s_add_i32 s42, s42, 1
	s_cmpk_lg_i32 s42, 0x2710
	s_cselect_b64 s[48:49], -1, 0
	s_and_b64 vcc, exec, s[48:49]
	s_cbranch_vccz .LBB18_1968
; %bb.1967:                             ;   in Loop: Header=BB18_1966 Depth=3
	s_mov_b64 vcc, -1
	s_or_b64 s[38:39], s[38:39], exec
	s_and_saveexec_b64 s[50:51], s[48:49]
	s_cbranch_execz .LBB18_1965
	s_branch .LBB18_1969
.LBB18_1968:                            ;   in Loop: Header=BB18_1966 Depth=3
	s_trap 2
	ds_read_b64 v[4:5], v0
	s_andn2_b64 s[48:49], s[48:49], exec
	s_mov_b32 s42, 0
	s_waitcnt vmcnt(0) lgkmcnt(0)
	flat_load_dword v2, v[4:5] sc0 sc1
	s_waitcnt vmcnt(0) lgkmcnt(0)
	buffer_inv sc0 sc1
	v_cmp_eq_u32_e32 vcc, 0, v2
	s_and_b64 vcc, vcc, exec
	s_or_b64 s[48:49], s[48:49], vcc
	s_mov_b64 vcc, -1
	s_or_b64 s[38:39], s[38:39], exec
	s_and_saveexec_b64 s[50:51], s[48:49]
	s_cbranch_execz .LBB18_1965
.LBB18_1969:                            ;   in Loop: Header=BB18_1966 Depth=3
	s_sleep 1
	s_trap 2
	ds_read_b64 v[4:5], v0
	s_waitcnt lgkmcnt(0)
	s_andn2_b64 s[38:39], s[38:39], exec
	v_cmp_ge_u64_e32 vcc, v[4:5], v[70:71]
	s_orn2_b64 vcc, vcc, exec
	s_branch .LBB18_1965
.LBB18_1970:                            ;   in Loop: Header=BB18_955 Depth=2
	s_or_b64 exec, exec, s[34:35]
	s_and_saveexec_b64 s[42:43], s[36:37]
	s_xor_b64 s[42:43], exec, s[42:43]
	s_cbranch_execz .LBB18_1972
; %bb.1971:                             ;   in Loop: Header=BB18_955 Depth=2
	ds_write_b32 v0, v111
	s_trap 2
.LBB18_1972:                            ;   in Loop: Header=BB18_955 Depth=2
	s_or_b64 exec, exec, s[30:31]
	;;#ASMSTART
	s_wakeup
	;;#ASMEND
.LBB18_1973:                            ;   in Loop: Header=BB18_955 Depth=2
	s_or_b64 exec, exec, s[40:41]
.LBB18_1974:                            ;   in Loop: Header=BB18_955 Depth=2
	s_andn2_saveexec_b64 s[28:29], s[28:29]
	s_cbranch_execz .LBB18_1976
; %bb.1975:                             ;   in Loop: Header=BB18_955 Depth=2
	s_waitcnt lgkmcnt(0)
	s_barrier
.LBB18_1976:                            ;   in Loop: Header=BB18_955 Depth=2
	s_or_b64 exec, exec, s[28:29]
.LBB18_1977:                            ;   in Loop: Header=BB18_955 Depth=2
	s_or_b64 exec, exec, s[26:27]
	v_and_b32_e32 v8, 16, v106
	s_and_saveexec_b64 s[26:27], s[20:21]
	s_xor_b64 s[26:27], exec, s[26:27]
	s_cbranch_execz .LBB18_1981
; %bb.1978:                             ;   in Loop: Header=BB18_955 Depth=2
	v_and_b32_e32 v2, 16, v106
	v_cmp_ne_u32_e32 vcc, 0, v2
	v_and_b32_e32 v8, 16, v106
	s_and_b64 s[28:29], vcc, s[24:25]
	s_and_saveexec_b64 s[24:25], s[28:29]
	s_cbranch_execz .LBB18_1980
; %bb.1979:                             ;   in Loop: Header=BB18_955 Depth=2
	v_mov_b32_e32 v8, 1
	buffer_wbl2 sc1
	s_waitcnt vmcnt(0) lgkmcnt(0)
	buffer_inv sc1
.LBB18_1980:                            ;   in Loop: Header=BB18_955 Depth=2
	s_or_b64 exec, exec, s[24:25]
.LBB18_1981:                            ;   in Loop: Header=BB18_955 Depth=2
	s_andn2_saveexec_b64 s[24:25], s[26:27]
	s_cbranch_execz .LBB18_2000
; %bb.1982:                             ;   in Loop: Header=BB18_955 Depth=2
	s_and_saveexec_b64 s[26:27], s[46:47]
	s_xor_b64 s[26:27], exec, s[26:27]
	s_cbranch_execz .LBB18_1997
; %bb.1983:                             ;   in Loop: Header=BB18_955 Depth=2
	s_and_saveexec_b64 s[28:29], s[12:13]
	s_cbranch_execz .LBB18_1996
; %bb.1984:                             ;   in Loop: Header=BB18_955 Depth=2
	s_mov_b64 s[30:31], exec
	v_mbcnt_lo_u32_b32 v2, s30, 0
	v_mbcnt_hi_u32_b32 v2, s31, v2
	v_cmp_eq_u32_e32 vcc, 0, v2
	;;#ASMSTART
	s_waitcnt lgkmcnt(0) vmcnt(0)
	;;#ASMEND
	s_and_saveexec_b64 s[40:41], vcc
	s_cbranch_execz .LBB18_1986
; %bb.1985:                             ;   in Loop: Header=BB18_955 Depth=2
	s_bcnt1_i32_b64 s42, s[30:31]
	v_mov_b32_e32 v2, s42
	s_waitcnt lgkmcnt(0)
	ds_add_u64 v0, v[2:3]
	s_trap 2
.LBB18_1986:                            ;   in Loop: Header=BB18_955 Depth=2
	s_or_b64 exec, exec, s[40:41]
	s_trap 2
	ds_read_b64 v[4:5], v0
	s_waitcnt lgkmcnt(0)
	v_lshl_add_u64 v[70:71], v[70:71], 0, v[84:85]
	v_cmp_lt_u64_e32 vcc, v[4:5], v[70:71]
	s_and_saveexec_b64 s[40:41], vcc
	s_cbranch_execz .LBB18_1995
; %bb.1987:                             ;   in Loop: Header=BB18_955 Depth=2
	s_mov_b32 s42, 0
	s_mov_b64 s[30:31], 0
                                        ; implicit-def: $sgpr34_sgpr35
                                        ; implicit-def: $sgpr36_sgpr37
	s_branch .LBB18_1989
.LBB18_1988:                            ;   in Loop: Header=BB18_1989 Depth=3
	s_or_b64 exec, exec, s[48:49]
	s_and_b64 vcc, exec, vcc
	s_or_b64 s[30:31], vcc, s[30:31]
	s_andn2_b64 vcc, s[34:35], exec
	s_and_b64 s[34:35], s[36:37], exec
	s_or_b64 s[34:35], vcc, s[34:35]
	s_andn2_b64 exec, exec, s[30:31]
	s_cbranch_execz .LBB18_1993
.LBB18_1989:                            ;   Parent Loop BB18_47 Depth=1
                                        ;     Parent Loop BB18_955 Depth=2
                                        ; =>    This Inner Loop Header: Depth=3
	s_add_i32 s42, s42, 1
	s_cmpk_lg_i32 s42, 0x2710
	s_cselect_b64 s[38:39], -1, 0
	s_and_b64 vcc, exec, s[38:39]
	s_cbranch_vccz .LBB18_1991
; %bb.1990:                             ;   in Loop: Header=BB18_1989 Depth=3
	s_mov_b64 vcc, -1
	s_or_b64 s[36:37], s[36:37], exec
	s_and_saveexec_b64 s[48:49], s[38:39]
	s_cbranch_execz .LBB18_1988
	s_branch .LBB18_1992
.LBB18_1991:                            ;   in Loop: Header=BB18_1989 Depth=3
	s_trap 2
	ds_read_b64 v[4:5], v0
	s_andn2_b64 s[38:39], s[38:39], exec
	s_mov_b32 s42, 0
	s_waitcnt vmcnt(0) lgkmcnt(0)
	flat_load_dword v2, v[4:5] sc0 sc1
	s_waitcnt vmcnt(0) lgkmcnt(0)
	buffer_inv sc0 sc1
	v_cmp_eq_u32_e32 vcc, 0, v2
	s_and_b64 vcc, vcc, exec
	s_or_b64 s[38:39], s[38:39], vcc
	s_mov_b64 vcc, -1
	s_or_b64 s[36:37], s[36:37], exec
	s_and_saveexec_b64 s[48:49], s[38:39]
	s_cbranch_execz .LBB18_1988
.LBB18_1992:                            ;   in Loop: Header=BB18_1989 Depth=3
	s_sleep 1
	s_trap 2
	ds_read_b64 v[4:5], v0
	s_waitcnt lgkmcnt(0)
	s_andn2_b64 s[36:37], s[36:37], exec
	v_cmp_ge_u64_e32 vcc, v[4:5], v[70:71]
	s_orn2_b64 vcc, vcc, exec
	s_branch .LBB18_1988
.LBB18_1993:                            ;   in Loop: Header=BB18_955 Depth=2
	s_or_b64 exec, exec, s[30:31]
	s_and_saveexec_b64 s[42:43], s[34:35]
	s_xor_b64 s[42:43], exec, s[42:43]
	s_cbranch_execz .LBB18_1995
; %bb.1994:                             ;   in Loop: Header=BB18_955 Depth=2
	ds_write_b32 v0, v111
	s_trap 2
.LBB18_1995:                            ;   in Loop: Header=BB18_955 Depth=2
	s_or_b64 exec, exec, s[40:41]
	;;#ASMSTART
	s_wakeup
	;;#ASMEND
.LBB18_1996:                            ;   in Loop: Header=BB18_955 Depth=2
	s_or_b64 exec, exec, s[28:29]
.LBB18_1997:                            ;   in Loop: Header=BB18_955 Depth=2
	s_andn2_saveexec_b64 s[26:27], s[26:27]
	s_cbranch_execz .LBB18_1999
; %bb.1998:                             ;   in Loop: Header=BB18_955 Depth=2
	;;#ASMSTART
	s_waitcnt lgkmcnt(0) vmcnt(0)
	;;#ASMEND
	s_barrier
.LBB18_1999:                            ;   in Loop: Header=BB18_955 Depth=2
	s_or_b64 exec, exec, s[26:27]
.LBB18_2000:                            ;   in Loop: Header=BB18_955 Depth=2
	s_or_b64 exec, exec, s[24:25]
	v_cmp_ne_u32_e32 vcc, 0, v8
	s_xor_b64 s[24:25], s[6:7], -1
	s_and_b64 s[26:27], vcc, s[24:25]
	s_and_saveexec_b64 s[24:25], s[26:27]
	s_cbranch_execz .LBB18_2002
; %bb.2001:                             ;   in Loop: Header=BB18_955 Depth=2
	flat_store_dword v[68:69], v111 sc0 sc1
.LBB18_2002:                            ;   in Loop: Header=BB18_955 Depth=2
	s_or_b64 exec, exec, s[24:25]
	v_and_b32_e32 v2, 48, v106
	v_cmp_ne_u32_e32 vcc, 0, v2
	s_and_saveexec_b64 s[24:25], vcc
	s_cbranch_execz .LBB18_954
; %bb.2003:                             ;   in Loop: Header=BB18_955 Depth=2
	v_lshl_add_u64 v[56:57], v[56:57], 0, 2
	flat_store_dwordx2 v[64:65], v[56:57] sc0 sc1
	s_branch .LBB18_954
.LBB18_2004:                            ;   in Loop: Header=BB18_47 Depth=1
	s_or_b64 exec, exec, s[90:91]
	v_cmp_gt_i32_e32 vcc, 2, v2
	s_and_saveexec_b64 s[26:27], vcc
	s_cbranch_execz .LBB18_2080
.LBB18_2005:                            ;   in Loop: Header=BB18_47 Depth=1
	v_cmp_eq_u32_e64 s[40:41], 0, v2
	s_mov_b64 s[28:29], 0
	s_branch .LBB18_2007
.LBB18_2006:                            ;   in Loop: Header=BB18_2007 Depth=2
	s_or_b64 exec, exec, s[24:25]
	v_add_u32_e32 v72, v62, v72
	s_mov_b64 s[40:41], 0
	s_andn2_b64 exec, exec, s[28:29]
	s_cbranch_execz .LBB18_2081
.LBB18_2007:                            ;   Parent Loop BB18_47 Depth=1
                                        ; =>  This Loop Header: Depth=2
                                        ;       Child Loop BB18_2013 Depth 3
                                        ;       Child Loop BB18_2041 Depth 3
	;; [unrolled: 1-line block ×3, first 2 shown]
	v_sub_u32_e32 v2, v53, v72
	v_min_i32_e32 v62, v62, v2
	v_and_b32_e32 v2, 12, v106
	v_cmp_ne_u32_e32 vcc, 0, v2
	s_and_saveexec_b64 s[90:91], vcc
	s_cbranch_execz .LBB18_2033
; %bb.2008:                             ;   in Loop: Header=BB18_2007 Depth=2
	v_and_b32_e32 v2, 8, v106
	s_waitcnt vmcnt(0) lgkmcnt(0)
	v_lshl_add_u64 v[4:5], v[80:81], 0, v[2:3]
	v_lshl_add_u64 v[8:9], v[56:57], 0, 2
	v_cmp_lt_u64_e32 vcc, v[4:5], v[8:9]
	s_and_saveexec_b64 s[92:93], vcc
	s_cbranch_execz .LBB18_2020
; %bb.2009:                             ;   in Loop: Header=BB18_2007 Depth=2
	v_and_b32_e32 v4, 64, v106
	s_mov_b32 s42, 0
	v_cmp_eq_u32_e32 vcc, 0, v4
	s_mov_b64 s[94:95], 0
                                        ; implicit-def: $sgpr30_sgpr31
                                        ; implicit-def: $sgpr34_sgpr35
                                        ; implicit-def: $sgpr36_sgpr37
	s_branch .LBB18_2013
.LBB18_2010:                            ;   in Loop: Header=BB18_2013 Depth=3
	s_waitcnt vmcnt(0) lgkmcnt(0)
	v_lshl_add_u64 v[10:11], v[80:81], 0, v[2:3]
	v_cmp_ge_u64_e64 s[24:25], v[10:11], v[8:9]
	s_or_b64 s[50:51], s[50:51], exec
	s_orn2_b64 s[48:49], s[24:25], exec
.LBB18_2011:                            ;   in Loop: Header=BB18_2013 Depth=3
	s_or_b64 exec, exec, s[54:55]
	s_andn2_b64 s[24:25], s[36:37], exec
	s_and_b64 s[36:37], s[50:51], exec
	s_or_b64 s[36:37], s[24:25], s[36:37]
	s_andn2_b64 s[24:25], s[34:35], exec
	s_and_b64 s[34:35], s[48:49], exec
	s_or_b64 s[34:35], s[24:25], s[34:35]
.LBB18_2012:                            ;   in Loop: Header=BB18_2013 Depth=3
	s_or_b64 exec, exec, s[38:39]
	s_and_b64 s[24:25], exec, s[34:35]
	s_or_b64 s[94:95], s[24:25], s[94:95]
	s_andn2_b64 s[24:25], s[30:31], exec
	s_and_b64 s[30:31], s[36:37], exec
	s_or_b64 s[30:31], s[24:25], s[30:31]
	s_andn2_b64 exec, exec, s[94:95]
	s_cbranch_execz .LBB18_2017
.LBB18_2013:                            ;   Parent Loop BB18_47 Depth=1
                                        ;     Parent Loop BB18_2007 Depth=2
                                        ; =>    This Inner Loop Header: Depth=3
	s_sleep 1
	s_waitcnt vmcnt(0) lgkmcnt(0)
	flat_load_dwordx2 v[80:81], v[64:65] sc0 sc1
	s_or_b64 s[36:37], s[36:37], exec
	s_or_b64 s[34:35], s[34:35], exec
                                        ; implicit-def: $vgpr4
	s_and_saveexec_b64 s[38:39], vcc
	s_cbranch_execz .LBB18_2012
; %bb.2014:                             ;   in Loop: Header=BB18_2013 Depth=3
	s_cmpk_lt_i32 s42, 0x270f
	s_cselect_b64 s[52:53], -1, 0
	s_cmpk_gt_i32 s42, 0x270e
	s_mov_b64 s[48:49], -1
	s_cbranch_scc0 .LBB18_2016
; %bb.2015:                             ;   in Loop: Header=BB18_2013 Depth=3
	s_trap 2
	ds_read_b64 v[4:5], v0
	s_andn2_b64 s[52:53], s[52:53], exec
	s_mov_b32 s42, 0
	s_mov_b64 s[50:51], 0
	s_waitcnt vmcnt(0) lgkmcnt(0)
	flat_load_dword v4, v[4:5] sc0 sc1
	s_waitcnt vmcnt(0) lgkmcnt(0)
	buffer_inv sc0 sc1
	v_cmp_eq_u32_e64 s[24:25], 0, v4
	s_and_b64 s[24:25], s[24:25], exec
	s_or_b64 s[52:53], s[52:53], s[24:25]
	s_and_saveexec_b64 s[54:55], s[52:53]
	s_cbranch_execz .LBB18_2011
	s_branch .LBB18_2010
.LBB18_2016:                            ;   in Loop: Header=BB18_2013 Depth=3
	s_add_i32 s42, s42, 1
	s_mov_b64 s[50:51], -1
                                        ; implicit-def: $vgpr4
	s_and_saveexec_b64 s[54:55], s[52:53]
	s_cbranch_execz .LBB18_2011
	s_branch .LBB18_2010
.LBB18_2017:                            ;   in Loop: Header=BB18_2007 Depth=2
	s_or_b64 exec, exec, s[94:95]
	s_xor_b64 s[24:25], s[30:31], -1
	s_and_saveexec_b64 s[42:43], s[24:25]
	s_xor_b64 s[24:25], exec, s[42:43]
	s_cbranch_execz .LBB18_2019
; %bb.2018:                             ;   in Loop: Header=BB18_2007 Depth=2
	v_or_b32_e32 v106, 64, v106
	s_waitcnt lgkmcnt(0)
	ds_write_b32 v0, v4
	s_trap 2
.LBB18_2019:                            ;   in Loop: Header=BB18_2007 Depth=2
	s_or_b64 exec, exec, s[24:25]
.LBB18_2020:                            ;   in Loop: Header=BB18_2007 Depth=2
	s_or_b64 exec, exec, s[92:93]
	v_and_b32_e32 v4, 0x108, v106
	v_cmp_ne_u32_e32 vcc, s87, v4
	v_and_b32_e32 v10, 7, v56
	;;#ASMSTART
	s_wakeup
	;;#ASMEND
	s_and_saveexec_b64 s[24:25], vcc
	s_xor_b64 s[24:25], exec, s[24:25]
                                        ; implicit-def: $vgpr11
; %bb.2021:                             ;   in Loop: Header=BB18_2007 Depth=2
	v_mov_b32_e32 v11, v3
; %bb.2022:                             ;   in Loop: Header=BB18_2007 Depth=2
	s_andn2_saveexec_b64 s[24:25], s[24:25]
	s_cbranch_execz .LBB18_2024
; %bb.2023:                             ;   in Loop: Header=BB18_2007 Depth=2
	v_ashrrev_i32_e32 v63, 31, v62
	v_mov_b32_e32 v11, v3
	v_mad_u64_u32 v[4:5], s[42:43], v10, 24, v[6:7]
	v_lshlrev_b64 v[12:13], 1, v[62:63]
	flat_store_dwordx2 v[4:5], v[12:13] offset:8
.LBB18_2024:                            ;   in Loop: Header=BB18_2007 Depth=2
	s_or_b64 exec, exec, s[24:25]
	v_and_b32_e32 v4, 0x100, v106
	v_cmp_ne_u32_e32 vcc, 0, v4
	s_mov_b64 s[24:25], -1
                                        ; implicit-def: $vgpr12_vgpr13
	s_and_saveexec_b64 s[92:93], vcc
	s_cbranch_execz .LBB18_2028
; %bb.2025:                             ;   in Loop: Header=BB18_2007 Depth=2
	v_mad_u64_u32 v[14:15], s[24:25], v10, 24, v[6:7]
	v_mov_b32_e32 v4, v15
	v_mad_u64_u32 v[4:5], s[24:25], v11, 24, v[4:5]
	v_mov_b32_e32 v15, v4
	flat_load_dword v4, v[14:15]
                                        ; implicit-def: $vgpr12_vgpr13
	s_waitcnt vmcnt(0) lgkmcnt(0)
	v_cmp_ne_u32_e32 vcc, 1, v4
	v_cmp_eq_u32_e64 s[24:25], 1, v4
	s_and_saveexec_b64 s[94:95], s[24:25]
	s_cbranch_execz .LBB18_2027
; %bb.2026:                             ;   in Loop: Header=BB18_2007 Depth=2
	flat_load_dword v4, v[14:15] offset:4 sc0 sc1
	s_waitcnt vmcnt(0) lgkmcnt(0)
	v_ashrrev_i32_e32 v5, 31, v4
	v_lshrrev_b64 v[12:13], 1, v[4:5]
.LBB18_2027:                            ;   in Loop: Header=BB18_2007 Depth=2
	s_or_b64 exec, exec, s[94:95]
	s_orn2_b64 s[24:25], vcc, exec
.LBB18_2028:                            ;   in Loop: Header=BB18_2007 Depth=2
	s_or_b64 exec, exec, s[92:93]
	s_and_saveexec_b64 s[92:93], s[24:25]
; %bb.2029:                             ;   in Loop: Header=BB18_2007 Depth=2
	v_mul_lo_u32 v4, v11, v30
	v_mul_lo_u32 v5, v10, v83
	v_mad_u64_u32 v[12:13], s[24:25], v10, v30, 0
	v_add3_u32 v13, v13, v5, v4
; %bb.2030:                             ;   in Loop: Header=BB18_2007 Depth=2
	s_or_b64 exec, exec, s[92:93]
	v_cmp_eq_u32_e32 vcc, 0, v2
	v_lshl_add_u64 v[4:5], v[12:13], 1, v[66:67]
	s_nop 0
	v_cndmask_b32_e32 v2, v125, v121, vcc
	v_add_u32_e32 v2, v0, v2
	ds_write_b64 v2, v[4:5] offset:584
	v_and_b32_e32 v2, 0x2000, v106
	v_cmp_ne_u32_e32 vcc, 0, v2
	s_and_saveexec_b64 s[24:25], vcc
	s_cbranch_execz .LBB18_2032
; %bb.2031:                             ;   in Loop: Header=BB18_2007 Depth=2
	ds_read_b64 v[4:5], v0 offset:872
	s_waitcnt lgkmcnt(0)
	v_lshl_add_u64 v[4:5], v[4:5], 0, 1
	ds_write_b64 v0, v[4:5] offset:872
.LBB18_2032:                            ;   in Loop: Header=BB18_2007 Depth=2
	s_or_b64 exec, exec, s[24:25]
	v_mov_b64_e32 v[56:57], v[8:9]
.LBB18_2033:                            ;   in Loop: Header=BB18_2007 Depth=2
	s_or_b64 exec, exec, s[90:91]
	s_xor_b64 s[24:25], s[40:41], -1
	s_and_b64 s[24:25], exec, s[24:25]
	s_or_b64 s[28:29], s[24:25], s[28:29]
	s_and_saveexec_b64 s[24:25], s[4:5]
	s_cbranch_execz .LBB18_2052
; %bb.2034:                             ;   in Loop: Header=BB18_2007 Depth=2
	s_and_saveexec_b64 s[40:41], s[46:47]
	s_xor_b64 s[40:41], exec, s[40:41]
	s_cbranch_execz .LBB18_2049
; %bb.2035:                             ;   in Loop: Header=BB18_2007 Depth=2
	s_and_saveexec_b64 s[90:91], s[12:13]
	s_cbranch_execz .LBB18_2048
; %bb.2036:                             ;   in Loop: Header=BB18_2007 Depth=2
	s_mov_b64 s[94:95], exec
	v_mbcnt_lo_u32_b32 v2, s94, 0
	v_mbcnt_hi_u32_b32 v2, s95, v2
	v_cmp_eq_u32_e32 vcc, 0, v2
	s_waitcnt lgkmcnt(0)
	s_and_saveexec_b64 s[92:93], vcc
	s_cbranch_execz .LBB18_2038
; %bb.2037:                             ;   in Loop: Header=BB18_2007 Depth=2
	s_bcnt1_i32_b64 s42, s[94:95]
	v_mov_b32_e32 v2, s42
	ds_add_u64 v0, v[2:3]
	s_trap 2
.LBB18_2038:                            ;   in Loop: Header=BB18_2007 Depth=2
	s_or_b64 exec, exec, s[92:93]
	s_trap 2
	ds_read_b64 v[4:5], v0
	s_waitcnt lgkmcnt(0)
	v_lshl_add_u64 v[70:71], v[70:71], 0, v[84:85]
	v_cmp_lt_u64_e32 vcc, v[4:5], v[70:71]
	s_and_saveexec_b64 s[92:93], vcc
	s_cbranch_execz .LBB18_2047
; %bb.2039:                             ;   in Loop: Header=BB18_2007 Depth=2
	s_mov_b32 s42, 0
	s_mov_b64 s[94:95], 0
                                        ; implicit-def: $sgpr30_sgpr31
                                        ; implicit-def: $sgpr34_sgpr35
	s_branch .LBB18_2041
.LBB18_2040:                            ;   in Loop: Header=BB18_2041 Depth=3
	s_or_b64 exec, exec, s[38:39]
	s_and_b64 vcc, exec, vcc
	s_or_b64 s[94:95], vcc, s[94:95]
	s_andn2_b64 vcc, s[30:31], exec
	s_and_b64 s[30:31], s[34:35], exec
	s_or_b64 s[30:31], vcc, s[30:31]
	s_andn2_b64 exec, exec, s[94:95]
	s_cbranch_execz .LBB18_2045
.LBB18_2041:                            ;   Parent Loop BB18_47 Depth=1
                                        ;     Parent Loop BB18_2007 Depth=2
                                        ; =>    This Inner Loop Header: Depth=3
	s_add_i32 s42, s42, 1
	s_cmpk_lg_i32 s42, 0x2710
	s_cselect_b64 s[36:37], -1, 0
	s_and_b64 vcc, exec, s[36:37]
	s_cbranch_vccz .LBB18_2043
; %bb.2042:                             ;   in Loop: Header=BB18_2041 Depth=3
	s_mov_b64 vcc, -1
	s_or_b64 s[34:35], s[34:35], exec
	s_and_saveexec_b64 s[38:39], s[36:37]
	s_cbranch_execz .LBB18_2040
	s_branch .LBB18_2044
.LBB18_2043:                            ;   in Loop: Header=BB18_2041 Depth=3
	s_trap 2
	ds_read_b64 v[4:5], v0
	s_andn2_b64 s[36:37], s[36:37], exec
	s_mov_b32 s42, 0
	s_waitcnt vmcnt(0) lgkmcnt(0)
	flat_load_dword v2, v[4:5] sc0 sc1
	s_waitcnt vmcnt(0) lgkmcnt(0)
	buffer_inv sc0 sc1
	v_cmp_eq_u32_e32 vcc, 0, v2
	s_and_b64 vcc, vcc, exec
	s_or_b64 s[36:37], s[36:37], vcc
	s_mov_b64 vcc, -1
	s_or_b64 s[34:35], s[34:35], exec
	s_and_saveexec_b64 s[38:39], s[36:37]
	s_cbranch_execz .LBB18_2040
.LBB18_2044:                            ;   in Loop: Header=BB18_2041 Depth=3
	s_sleep 1
	s_trap 2
	ds_read_b64 v[4:5], v0
	s_waitcnt lgkmcnt(0)
	s_andn2_b64 s[34:35], s[34:35], exec
	v_cmp_ge_u64_e32 vcc, v[4:5], v[70:71]
	s_orn2_b64 vcc, vcc, exec
	s_branch .LBB18_2040
.LBB18_2045:                            ;   in Loop: Header=BB18_2007 Depth=2
	s_or_b64 exec, exec, s[94:95]
	s_and_saveexec_b64 s[42:43], s[30:31]
	s_xor_b64 s[42:43], exec, s[42:43]
	s_cbranch_execz .LBB18_2047
; %bb.2046:                             ;   in Loop: Header=BB18_2007 Depth=2
	ds_write_b32 v0, v111
	s_trap 2
.LBB18_2047:                            ;   in Loop: Header=BB18_2007 Depth=2
	s_or_b64 exec, exec, s[92:93]
	;;#ASMSTART
	s_wakeup
	;;#ASMEND
.LBB18_2048:                            ;   in Loop: Header=BB18_2007 Depth=2
	s_or_b64 exec, exec, s[90:91]
.LBB18_2049:                            ;   in Loop: Header=BB18_2007 Depth=2
	s_andn2_saveexec_b64 s[40:41], s[40:41]
	s_cbranch_execz .LBB18_2051
; %bb.2050:                             ;   in Loop: Header=BB18_2007 Depth=2
	s_waitcnt lgkmcnt(0)
	s_barrier
.LBB18_2051:                            ;   in Loop: Header=BB18_2007 Depth=2
	s_or_b64 exec, exec, s[40:41]
.LBB18_2052:                            ;   in Loop: Header=BB18_2007 Depth=2
	s_or_b64 exec, exec, s[24:25]
	v_and_b32_e32 v8, 16, v106
	s_and_saveexec_b64 s[24:25], s[20:21]
	s_xor_b64 s[24:25], exec, s[24:25]
	s_cbranch_execz .LBB18_2056
; %bb.2053:                             ;   in Loop: Header=BB18_2007 Depth=2
	s_trap 2
	ds_read_b32 v2, v0
	v_cmp_lt_i32_e32 vcc, 0, v62
	v_and_b32_e32 v4, 16, v106
	v_and_b32_e32 v8, 16, v106
	s_waitcnt lgkmcnt(0)
	v_readfirstlane_b32 s40, v2
	s_cmp_eq_u32 s40, 0
	s_cselect_b64 s[40:41], -1, 0
	s_and_b64 s[40:41], vcc, s[40:41]
	v_cmp_ne_u32_e32 vcc, 0, v4
	s_and_b64 s[42:43], vcc, s[40:41]
	s_and_saveexec_b64 s[40:41], s[42:43]
	s_cbranch_execz .LBB18_2055
; %bb.2054:                             ;   in Loop: Header=BB18_2007 Depth=2
	v_mov_b32_e32 v8, 1
	buffer_wbl2 sc1
	s_waitcnt vmcnt(0)
	buffer_inv sc1
.LBB18_2055:                            ;   in Loop: Header=BB18_2007 Depth=2
	s_or_b64 exec, exec, s[40:41]
.LBB18_2056:                            ;   in Loop: Header=BB18_2007 Depth=2
	s_andn2_saveexec_b64 s[24:25], s[24:25]
	s_cbranch_execz .LBB18_2075
; %bb.2057:                             ;   in Loop: Header=BB18_2007 Depth=2
	s_and_saveexec_b64 s[40:41], s[46:47]
	s_xor_b64 s[40:41], exec, s[40:41]
	s_cbranch_execz .LBB18_2072
; %bb.2058:                             ;   in Loop: Header=BB18_2007 Depth=2
	s_and_saveexec_b64 s[90:91], s[12:13]
	s_cbranch_execz .LBB18_2071
; %bb.2059:                             ;   in Loop: Header=BB18_2007 Depth=2
	s_mov_b64 s[94:95], exec
	v_mbcnt_lo_u32_b32 v2, s94, 0
	v_mbcnt_hi_u32_b32 v2, s95, v2
	v_cmp_eq_u32_e32 vcc, 0, v2
	;;#ASMSTART
	s_waitcnt lgkmcnt(0) vmcnt(0)
	;;#ASMEND
	s_and_saveexec_b64 s[92:93], vcc
	s_cbranch_execz .LBB18_2061
; %bb.2060:                             ;   in Loop: Header=BB18_2007 Depth=2
	s_bcnt1_i32_b64 s42, s[94:95]
	v_mov_b32_e32 v2, s42
	s_waitcnt lgkmcnt(0)
	ds_add_u64 v0, v[2:3]
	s_trap 2
.LBB18_2061:                            ;   in Loop: Header=BB18_2007 Depth=2
	s_or_b64 exec, exec, s[92:93]
	s_trap 2
	ds_read_b64 v[4:5], v0
	s_waitcnt lgkmcnt(0)
	v_lshl_add_u64 v[70:71], v[70:71], 0, v[84:85]
	v_cmp_lt_u64_e32 vcc, v[4:5], v[70:71]
	s_and_saveexec_b64 s[92:93], vcc
	s_cbranch_execz .LBB18_2070
; %bb.2062:                             ;   in Loop: Header=BB18_2007 Depth=2
	s_mov_b32 s42, 0
	s_mov_b64 s[94:95], 0
                                        ; implicit-def: $sgpr30_sgpr31
                                        ; implicit-def: $sgpr34_sgpr35
	s_branch .LBB18_2064
.LBB18_2063:                            ;   in Loop: Header=BB18_2064 Depth=3
	s_or_b64 exec, exec, s[38:39]
	s_and_b64 vcc, exec, vcc
	s_or_b64 s[94:95], vcc, s[94:95]
	s_andn2_b64 vcc, s[30:31], exec
	s_and_b64 s[30:31], s[34:35], exec
	s_or_b64 s[30:31], vcc, s[30:31]
	s_andn2_b64 exec, exec, s[94:95]
	s_cbranch_execz .LBB18_2068
.LBB18_2064:                            ;   Parent Loop BB18_47 Depth=1
                                        ;     Parent Loop BB18_2007 Depth=2
                                        ; =>    This Inner Loop Header: Depth=3
	s_add_i32 s42, s42, 1
	s_cmpk_lg_i32 s42, 0x2710
	s_cselect_b64 s[36:37], -1, 0
	s_and_b64 vcc, exec, s[36:37]
	s_cbranch_vccz .LBB18_2066
; %bb.2065:                             ;   in Loop: Header=BB18_2064 Depth=3
	s_mov_b64 vcc, -1
	s_or_b64 s[34:35], s[34:35], exec
	s_and_saveexec_b64 s[38:39], s[36:37]
	s_cbranch_execz .LBB18_2063
	s_branch .LBB18_2067
.LBB18_2066:                            ;   in Loop: Header=BB18_2064 Depth=3
	s_trap 2
	ds_read_b64 v[4:5], v0
	s_andn2_b64 s[36:37], s[36:37], exec
	s_mov_b32 s42, 0
	s_waitcnt vmcnt(0) lgkmcnt(0)
	flat_load_dword v2, v[4:5] sc0 sc1
	s_waitcnt vmcnt(0) lgkmcnt(0)
	buffer_inv sc0 sc1
	v_cmp_eq_u32_e32 vcc, 0, v2
	s_and_b64 vcc, vcc, exec
	s_or_b64 s[36:37], s[36:37], vcc
	s_mov_b64 vcc, -1
	s_or_b64 s[34:35], s[34:35], exec
	s_and_saveexec_b64 s[38:39], s[36:37]
	s_cbranch_execz .LBB18_2063
.LBB18_2067:                            ;   in Loop: Header=BB18_2064 Depth=3
	s_sleep 1
	s_trap 2
	ds_read_b64 v[4:5], v0
	s_waitcnt lgkmcnt(0)
	s_andn2_b64 s[34:35], s[34:35], exec
	v_cmp_ge_u64_e32 vcc, v[4:5], v[70:71]
	s_orn2_b64 vcc, vcc, exec
	s_branch .LBB18_2063
.LBB18_2068:                            ;   in Loop: Header=BB18_2007 Depth=2
	s_or_b64 exec, exec, s[94:95]
	s_and_saveexec_b64 s[42:43], s[30:31]
	s_xor_b64 s[42:43], exec, s[42:43]
	s_cbranch_execz .LBB18_2070
; %bb.2069:                             ;   in Loop: Header=BB18_2007 Depth=2
	ds_write_b32 v0, v111
	s_trap 2
.LBB18_2070:                            ;   in Loop: Header=BB18_2007 Depth=2
	s_or_b64 exec, exec, s[92:93]
	;;#ASMSTART
	s_wakeup
	;;#ASMEND
.LBB18_2071:                            ;   in Loop: Header=BB18_2007 Depth=2
	s_or_b64 exec, exec, s[90:91]
.LBB18_2072:                            ;   in Loop: Header=BB18_2007 Depth=2
	s_andn2_saveexec_b64 s[40:41], s[40:41]
	s_cbranch_execz .LBB18_2074
; %bb.2073:                             ;   in Loop: Header=BB18_2007 Depth=2
	;;#ASMSTART
	s_waitcnt lgkmcnt(0) vmcnt(0)
	;;#ASMEND
	s_barrier
.LBB18_2074:                            ;   in Loop: Header=BB18_2007 Depth=2
	s_or_b64 exec, exec, s[40:41]
.LBB18_2075:                            ;   in Loop: Header=BB18_2007 Depth=2
	s_or_b64 exec, exec, s[24:25]
	v_cmp_ne_u32_e32 vcc, 0, v8
	s_xor_b64 s[24:25], s[6:7], -1
	s_and_b64 s[40:41], vcc, s[24:25]
	s_and_saveexec_b64 s[24:25], s[40:41]
	s_cbranch_execz .LBB18_2077
; %bb.2076:                             ;   in Loop: Header=BB18_2007 Depth=2
	flat_store_dword v[68:69], v111 sc0 sc1
.LBB18_2077:                            ;   in Loop: Header=BB18_2007 Depth=2
	s_or_b64 exec, exec, s[24:25]
	v_and_b32_e32 v2, 48, v106
	v_cmp_ne_u32_e32 vcc, 0, v2
	s_and_saveexec_b64 s[24:25], vcc
	s_cbranch_execz .LBB18_2006
; %bb.2078:                             ;   in Loop: Header=BB18_2007 Depth=2
	v_lshl_add_u64 v[56:57], v[56:57], 0, 2
	flat_store_dwordx2 v[64:65], v[56:57] sc0 sc1
	s_branch .LBB18_2006
.LBB18_2079:                            ;   in Loop: Header=BB18_47 Depth=1
	s_or_b64 exec, exec, s[92:93]
	s_or_b64 exec, exec, s[90:91]
	v_cmp_gt_i32_e32 vcc, 2, v2
	s_and_saveexec_b64 s[26:27], vcc
	s_cbranch_execnz .LBB18_2005
.LBB18_2080:                            ;   in Loop: Header=BB18_47 Depth=1
	s_or_b64 exec, exec, s[26:27]
	s_and_b64 vcc, exec, s[22:23]
	s_cbranch_vccz .LBB18_2082
	s_branch .LBB18_2404
.LBB18_2081:                            ;   in Loop: Header=BB18_47 Depth=1
	s_or_b64 exec, exec, s[28:29]
	s_or_b64 exec, exec, s[26:27]
	s_and_b64 vcc, exec, s[22:23]
	s_cbranch_vccnz .LBB18_2404
.LBB18_2082:                            ;   in Loop: Header=BB18_47 Depth=1
	s_mov_b32 s42, 1
.LBB18_2083:                            ;   Parent Loop BB18_47 Depth=1
                                        ; =>  This Loop Header: Depth=2
                                        ;       Child Loop BB18_2086 Depth 3
                                        ;         Child Loop BB18_2094 Depth 4
                                        ;         Child Loop BB18_2122 Depth 4
	;; [unrolled: 1-line block ×5, first 2 shown]
                                        ;           Child Loop BB18_2184 Depth 5
                                        ;           Child Loop BB18_2189 Depth 5
                                        ;         Child Loop BB18_2195 Depth 4
                                        ;         Child Loop BB18_2203 Depth 4
	;; [unrolled: 1-line block ×3, first 2 shown]
                                        ;           Child Loop BB18_2215 Depth 5
                                        ;           Child Loop BB18_2220 Depth 5
                                        ;         Child Loop BB18_2224 Depth 4
                                        ;         Child Loop BB18_2236 Depth 4
	;; [unrolled: 1-line block ×7, first 2 shown]
                                        ;       Child Loop BB18_2328 Depth 3
                                        ;         Child Loop BB18_2334 Depth 4
                                        ;         Child Loop BB18_2362 Depth 4
	;; [unrolled: 1-line block ×3, first 2 shown]
	s_sub_i32 s22, s66, s42
	s_cmp_ge_i32 s22, s64
	s_cselect_b32 s23, s64, 0
	s_sub_i32 s22, s22, s23
	s_ashr_i32 s23, s22, 31
	v_mul_lo_u32 v2, v46, s23
	v_mul_lo_u32 v4, v47, s22
	v_mad_u64_u32 v[8:9], s[22:23], v46, s22, 0
	v_add3_u32 v9, v9, v2, v4
	scratch_load_dwordx2 v[4:5], off, s33 offset:256 ; 8-byte Folded Reload
	v_mov_b32_e32 v72, 0
	s_waitcnt vmcnt(0)
	v_sub_co_u32_e32 v4, vcc, v4, v8
	s_nop 1
	v_subb_co_u32_e32 v5, vcc, v5, v9, vcc
	v_cmp_lt_i64_e32 vcc, v[46:47], v[4:5]
	s_nop 1
	v_cndmask_b32_e32 v2, v4, v46, vcc
	v_max_i32_e32 v53, 0, v2
	v_add_u32_e32 v4, 31, v53
	v_ashrrev_i32_e32 v5, 31, v4
	v_lshrrev_b32_e32 v5, 27, v5
	v_add_u32_e32 v4, v4, v5
	v_ashrrev_i32_e32 v4, 5, v4
	v_lshlrev_b32_e32 v4, 4, v4
	v_cmp_lt_i32_e32 vcc, 0, v2
	v_max_i32_e32 v62, s69, v4
	s_and_b64 s[22:23], s[88:89], vcc
	v_mov_b32_e32 v2, 0
	s_and_saveexec_b64 s[28:29], s[22:23]
	s_cbranch_execz .LBB18_2325
; %bb.2084:                             ;   in Loop: Header=BB18_2083 Depth=2
	v_lshl_add_u64 v[4:5], v[8:9], 0, v[60:61]
	s_mov_b32 s43, 1
	s_mov_b64 s[90:91], -1
	v_mov_b32_e32 v72, 0
	s_mov_b64 s[40:41], 0
	v_lshlrev_b64 v[74:75], 1, v[4:5]
	s_branch .LBB18_2086
.LBB18_2085:                            ;   in Loop: Header=BB18_2086 Depth=3
	s_or_b64 exec, exec, s[22:23]
	v_add_u32_e32 v72, v62, v72
	v_cmp_ge_i32_e32 vcc, v72, v53
	s_xor_b64 s[22:23], s[90:91], -1
	s_or_b64 s[22:23], s[22:23], vcc
	s_and_b64 s[22:23], exec, s[22:23]
	s_or_b64 s[40:41], s[22:23], s[40:41]
	s_mov_b64 s[90:91], 0
	v_mov_b32_e32 v2, s43
	s_mov_b32 s43, 2
	s_andn2_b64 exec, exec, s[40:41]
	s_cbranch_execz .LBB18_2400
.LBB18_2086:                            ;   Parent Loop BB18_47 Depth=1
                                        ;     Parent Loop BB18_2083 Depth=2
                                        ; =>    This Loop Header: Depth=3
                                        ;         Child Loop BB18_2094 Depth 4
                                        ;         Child Loop BB18_2122 Depth 4
	;; [unrolled: 1-line block ×5, first 2 shown]
                                        ;           Child Loop BB18_2184 Depth 5
                                        ;           Child Loop BB18_2189 Depth 5
                                        ;         Child Loop BB18_2195 Depth 4
                                        ;         Child Loop BB18_2203 Depth 4
	;; [unrolled: 1-line block ×3, first 2 shown]
                                        ;           Child Loop BB18_2215 Depth 5
                                        ;           Child Loop BB18_2220 Depth 5
                                        ;         Child Loop BB18_2224 Depth 4
                                        ;         Child Loop BB18_2236 Depth 4
	;; [unrolled: 1-line block ×7, first 2 shown]
	s_and_saveexec_b64 s[22:23], s[0:1]
	s_cbranch_execz .LBB18_2088
; %bb.2087:                             ;   in Loop: Header=BB18_2086 Depth=3
	s_trap 2
	ds_read_b128 v[8:11], v0
	v_ashrrev_i32_e32 v73, 31, v72
	v_lshlrev_b64 v[4:5], 1, v[72:73]
	s_waitcnt lgkmcnt(0)
	v_lshl_add_u64 v[8:9], v[8:9], 0, v[74:75]
	v_lshl_add_u64 v[12:13], v[10:11], 0, v[74:75]
	;; [unrolled: 1-line block ×4, first 2 shown]
	v_cmp_ne_u64_e32 vcc, 0, v[10:11]
	ds_write_b64 v0, v[8:9]
	s_nop 0
	v_cndmask_b32_e32 v5, 0, v5, vcc
	v_cndmask_b32_e32 v4, 0, v4, vcc
	ds_write_b64 v0, v[4:5]
.LBB18_2088:                            ;   in Loop: Header=BB18_2086 Depth=3
	s_or_b64 exec, exec, s[22:23]
	v_sub_u32_e32 v2, v53, v72
	v_min_i32_e32 v62, v62, v2
	v_and_b32_e32 v2, 12, v106
	v_cmp_ne_u32_e32 vcc, 0, v2
	s_and_saveexec_b64 s[24:25], vcc
	s_cbranch_execz .LBB18_2114
; %bb.2089:                             ;   in Loop: Header=BB18_2086 Depth=3
	v_and_b32_e32 v2, 8, v106
	s_waitcnt vmcnt(0) lgkmcnt(0)
	v_lshl_add_u64 v[4:5], v[80:81], 0, v[2:3]
	v_lshl_add_u64 v[8:9], v[56:57], 0, 2
	v_cmp_lt_u64_e32 vcc, v[4:5], v[8:9]
	s_and_saveexec_b64 s[26:27], vcc
	s_cbranch_execz .LBB18_2101
; %bb.2090:                             ;   in Loop: Header=BB18_2086 Depth=3
	v_and_b32_e32 v4, 64, v106
	s_mov_b32 s45, 0
	v_cmp_eq_u32_e32 vcc, 0, v4
	s_mov_b64 s[92:93], 0
                                        ; implicit-def: $sgpr94_sgpr95
                                        ; implicit-def: $sgpr30_sgpr31
                                        ; implicit-def: $sgpr34_sgpr35
	s_branch .LBB18_2094
.LBB18_2091:                            ;   in Loop: Header=BB18_2094 Depth=4
	s_waitcnt vmcnt(0) lgkmcnt(0)
	v_lshl_add_u64 v[10:11], v[80:81], 0, v[2:3]
	v_cmp_ge_u64_e64 s[22:23], v[10:11], v[8:9]
	s_or_b64 s[48:49], s[48:49], exec
	s_orn2_b64 s[38:39], s[22:23], exec
.LBB18_2092:                            ;   in Loop: Header=BB18_2094 Depth=4
	s_or_b64 exec, exec, s[52:53]
	s_andn2_b64 s[22:23], s[34:35], exec
	s_and_b64 s[34:35], s[48:49], exec
	s_or_b64 s[34:35], s[22:23], s[34:35]
	s_andn2_b64 s[22:23], s[30:31], exec
	s_and_b64 s[30:31], s[38:39], exec
	s_or_b64 s[30:31], s[22:23], s[30:31]
.LBB18_2093:                            ;   in Loop: Header=BB18_2094 Depth=4
	s_or_b64 exec, exec, s[36:37]
	s_and_b64 s[22:23], exec, s[30:31]
	s_or_b64 s[92:93], s[22:23], s[92:93]
	s_andn2_b64 s[22:23], s[94:95], exec
	s_and_b64 s[94:95], s[34:35], exec
	s_or_b64 s[94:95], s[22:23], s[94:95]
	s_andn2_b64 exec, exec, s[92:93]
	s_cbranch_execz .LBB18_2098
.LBB18_2094:                            ;   Parent Loop BB18_47 Depth=1
                                        ;     Parent Loop BB18_2083 Depth=2
                                        ;       Parent Loop BB18_2086 Depth=3
                                        ; =>      This Inner Loop Header: Depth=4
	s_sleep 1
	s_waitcnt vmcnt(0) lgkmcnt(0)
	flat_load_dwordx2 v[80:81], v[64:65] sc0 sc1
	s_or_b64 s[34:35], s[34:35], exec
	s_or_b64 s[30:31], s[30:31], exec
                                        ; implicit-def: $vgpr4
	s_and_saveexec_b64 s[36:37], vcc
	s_cbranch_execz .LBB18_2093
; %bb.2095:                             ;   in Loop: Header=BB18_2094 Depth=4
	s_cmpk_lt_i32 s45, 0x270f
	s_cselect_b64 s[50:51], -1, 0
	s_cmpk_gt_i32 s45, 0x270e
	s_mov_b64 s[38:39], -1
	s_cbranch_scc0 .LBB18_2097
; %bb.2096:                             ;   in Loop: Header=BB18_2094 Depth=4
	s_trap 2
	ds_read_b64 v[4:5], v0
	s_andn2_b64 s[50:51], s[50:51], exec
	s_mov_b32 s45, 0
	s_mov_b64 s[48:49], 0
	s_waitcnt vmcnt(0) lgkmcnt(0)
	flat_load_dword v4, v[4:5] sc0 sc1
	s_waitcnt vmcnt(0) lgkmcnt(0)
	buffer_inv sc0 sc1
	v_cmp_eq_u32_e64 s[22:23], 0, v4
	s_and_b64 s[22:23], s[22:23], exec
	s_or_b64 s[50:51], s[50:51], s[22:23]
	s_and_saveexec_b64 s[52:53], s[50:51]
	s_cbranch_execz .LBB18_2092
	s_branch .LBB18_2091
.LBB18_2097:                            ;   in Loop: Header=BB18_2094 Depth=4
	s_add_i32 s45, s45, 1
	s_mov_b64 s[48:49], -1
                                        ; implicit-def: $vgpr4
	s_and_saveexec_b64 s[52:53], s[50:51]
	s_cbranch_execz .LBB18_2092
	s_branch .LBB18_2091
.LBB18_2098:                            ;   in Loop: Header=BB18_2086 Depth=3
	s_or_b64 exec, exec, s[92:93]
	s_xor_b64 s[22:23], s[94:95], -1
	s_and_saveexec_b64 s[92:93], s[22:23]
	s_xor_b64 s[22:23], exec, s[92:93]
	s_cbranch_execz .LBB18_2100
; %bb.2099:                             ;   in Loop: Header=BB18_2086 Depth=3
	v_or_b32_e32 v106, 64, v106
	s_waitcnt lgkmcnt(0)
	ds_write_b32 v0, v4
	s_trap 2
.LBB18_2100:                            ;   in Loop: Header=BB18_2086 Depth=3
	s_or_b64 exec, exec, s[22:23]
.LBB18_2101:                            ;   in Loop: Header=BB18_2086 Depth=3
	s_or_b64 exec, exec, s[26:27]
	v_and_b32_e32 v4, 0x108, v106
	v_cmp_ne_u32_e32 vcc, s87, v4
	;;#ASMSTART
	s_wakeup
	;;#ASMEND
                                        ; implicit-def: $vgpr10_vgpr11
	s_and_saveexec_b64 s[22:23], vcc
	s_xor_b64 s[22:23], exec, s[22:23]
; %bb.2102:                             ;   in Loop: Header=BB18_2086 Depth=3
	v_and_b32_e32 v10, 7, v56
	v_mov_b32_e32 v11, v3
                                        ; implicit-def: $vgpr56_vgpr57
; %bb.2103:                             ;   in Loop: Header=BB18_2086 Depth=3
	s_andn2_saveexec_b64 s[22:23], s[22:23]
	s_cbranch_execz .LBB18_2105
; %bb.2104:                             ;   in Loop: Header=BB18_2086 Depth=3
	v_and_b32_e32 v10, 7, v56
	v_ashrrev_i32_e32 v63, 31, v62
	v_mov_b32_e32 v11, v3
	v_mad_u64_u32 v[4:5], s[26:27], v10, 24, v[6:7]
	v_lshlrev_b64 v[12:13], 1, v[62:63]
	flat_store_dwordx2 v[4:5], v[12:13] offset:8
.LBB18_2105:                            ;   in Loop: Header=BB18_2086 Depth=3
	s_or_b64 exec, exec, s[22:23]
	v_and_b32_e32 v4, 0x100, v106
	v_cmp_ne_u32_e32 vcc, 0, v4
	s_mov_b64 s[22:23], -1
                                        ; implicit-def: $vgpr12_vgpr13
	s_and_saveexec_b64 s[26:27], vcc
	s_cbranch_execz .LBB18_2109
; %bb.2106:                             ;   in Loop: Header=BB18_2086 Depth=3
	v_mad_u64_u32 v[14:15], s[22:23], v10, 24, v[6:7]
	v_mov_b32_e32 v4, v15
	v_mad_u64_u32 v[4:5], s[22:23], v11, 24, v[4:5]
	v_mov_b32_e32 v15, v4
	flat_load_dword v4, v[14:15]
                                        ; implicit-def: $vgpr12_vgpr13
	s_waitcnt vmcnt(0) lgkmcnt(0)
	v_cmp_ne_u32_e32 vcc, 1, v4
	v_cmp_eq_u32_e64 s[22:23], 1, v4
	s_and_saveexec_b64 s[92:93], s[22:23]
	s_cbranch_execz .LBB18_2108
; %bb.2107:                             ;   in Loop: Header=BB18_2086 Depth=3
	flat_load_dword v4, v[14:15] offset:4 sc0 sc1
	s_waitcnt vmcnt(0) lgkmcnt(0)
	v_ashrrev_i32_e32 v5, 31, v4
	v_lshrrev_b64 v[12:13], 1, v[4:5]
.LBB18_2108:                            ;   in Loop: Header=BB18_2086 Depth=3
	s_or_b64 exec, exec, s[92:93]
	s_orn2_b64 s[22:23], vcc, exec
.LBB18_2109:                            ;   in Loop: Header=BB18_2086 Depth=3
	s_or_b64 exec, exec, s[26:27]
	s_and_saveexec_b64 s[26:27], s[22:23]
; %bb.2110:                             ;   in Loop: Header=BB18_2086 Depth=3
	v_mul_lo_u32 v4, v11, v30
	v_mul_lo_u32 v5, v10, v83
	v_mad_u64_u32 v[12:13], s[22:23], v10, v30, 0
	v_add3_u32 v13, v13, v5, v4
; %bb.2111:                             ;   in Loop: Header=BB18_2086 Depth=3
	s_or_b64 exec, exec, s[26:27]
	v_cmp_eq_u32_e32 vcc, 0, v2
	v_lshl_add_u64 v[4:5], v[12:13], 1, v[66:67]
	s_nop 0
	v_cndmask_b32_e32 v2, v125, v52, vcc
	v_add_u32_e32 v2, v0, v2
	ds_write_b64 v2, v[4:5] offset:584
	v_and_b32_e32 v2, 0x2000, v106
	v_cmp_ne_u32_e32 vcc, 0, v2
	s_and_saveexec_b64 s[22:23], vcc
	s_cbranch_execz .LBB18_2113
; %bb.2112:                             ;   in Loop: Header=BB18_2086 Depth=3
	ds_read_b64 v[4:5], v0 offset:872
	s_waitcnt lgkmcnt(0)
	v_lshl_add_u64 v[4:5], v[4:5], 0, 1
	ds_write_b64 v0, v[4:5] offset:872
.LBB18_2113:                            ;   in Loop: Header=BB18_2086 Depth=3
	s_or_b64 exec, exec, s[22:23]
	v_mov_b64_e32 v[56:57], v[8:9]
.LBB18_2114:                            ;   in Loop: Header=BB18_2086 Depth=3
	s_or_b64 exec, exec, s[24:25]
	s_and_saveexec_b64 s[22:23], s[4:5]
	s_cbranch_execz .LBB18_2133
; %bb.2115:                             ;   in Loop: Header=BB18_2086 Depth=3
	s_and_saveexec_b64 s[24:25], s[46:47]
	s_xor_b64 s[24:25], exec, s[24:25]
	s_cbranch_execz .LBB18_2130
; %bb.2116:                             ;   in Loop: Header=BB18_2086 Depth=3
	s_and_saveexec_b64 s[26:27], s[12:13]
	s_cbranch_execz .LBB18_2129
; %bb.2117:                             ;   in Loop: Header=BB18_2086 Depth=3
	s_mov_b64 s[94:95], exec
	v_mbcnt_lo_u32_b32 v2, s94, 0
	v_mbcnt_hi_u32_b32 v2, s95, v2
	v_cmp_eq_u32_e32 vcc, 0, v2
	s_waitcnt lgkmcnt(0)
	s_and_saveexec_b64 s[92:93], vcc
	s_cbranch_execz .LBB18_2119
; %bb.2118:                             ;   in Loop: Header=BB18_2086 Depth=3
	s_bcnt1_i32_b64 s45, s[94:95]
	v_mov_b32_e32 v2, s45
	ds_add_u64 v0, v[2:3]
	s_trap 2
.LBB18_2119:                            ;   in Loop: Header=BB18_2086 Depth=3
	s_or_b64 exec, exec, s[92:93]
	s_trap 2
	ds_read_b64 v[4:5], v0
	s_waitcnt lgkmcnt(0)
	v_lshl_add_u64 v[70:71], v[70:71], 0, v[84:85]
	v_cmp_lt_u64_e32 vcc, v[4:5], v[70:71]
	s_and_saveexec_b64 s[92:93], vcc
	s_cbranch_execz .LBB18_2128
; %bb.2120:                             ;   in Loop: Header=BB18_2086 Depth=3
	s_mov_b32 s45, 0
	s_mov_b64 s[94:95], 0
                                        ; implicit-def: $sgpr30_sgpr31
                                        ; implicit-def: $sgpr34_sgpr35
	s_branch .LBB18_2122
.LBB18_2121:                            ;   in Loop: Header=BB18_2122 Depth=4
	s_or_b64 exec, exec, s[38:39]
	s_and_b64 vcc, exec, vcc
	s_or_b64 s[94:95], vcc, s[94:95]
	s_andn2_b64 vcc, s[30:31], exec
	s_and_b64 s[30:31], s[34:35], exec
	s_or_b64 s[30:31], vcc, s[30:31]
	s_andn2_b64 exec, exec, s[94:95]
	s_cbranch_execz .LBB18_2126
.LBB18_2122:                            ;   Parent Loop BB18_47 Depth=1
                                        ;     Parent Loop BB18_2083 Depth=2
                                        ;       Parent Loop BB18_2086 Depth=3
                                        ; =>      This Inner Loop Header: Depth=4
	s_add_i32 s45, s45, 1
	s_cmpk_lg_i32 s45, 0x2710
	s_cselect_b64 s[36:37], -1, 0
	s_and_b64 vcc, exec, s[36:37]
	s_cbranch_vccz .LBB18_2124
; %bb.2123:                             ;   in Loop: Header=BB18_2122 Depth=4
	s_mov_b64 vcc, -1
	s_or_b64 s[34:35], s[34:35], exec
	s_and_saveexec_b64 s[38:39], s[36:37]
	s_cbranch_execz .LBB18_2121
	s_branch .LBB18_2125
.LBB18_2124:                            ;   in Loop: Header=BB18_2122 Depth=4
	s_trap 2
	ds_read_b64 v[4:5], v0
	s_andn2_b64 s[36:37], s[36:37], exec
	s_mov_b32 s45, 0
	s_waitcnt vmcnt(0) lgkmcnt(0)
	flat_load_dword v2, v[4:5] sc0 sc1
	s_waitcnt vmcnt(0) lgkmcnt(0)
	buffer_inv sc0 sc1
	v_cmp_eq_u32_e32 vcc, 0, v2
	s_and_b64 vcc, vcc, exec
	s_or_b64 s[36:37], s[36:37], vcc
	s_mov_b64 vcc, -1
	s_or_b64 s[34:35], s[34:35], exec
	s_and_saveexec_b64 s[38:39], s[36:37]
	s_cbranch_execz .LBB18_2121
.LBB18_2125:                            ;   in Loop: Header=BB18_2122 Depth=4
	s_sleep 1
	s_trap 2
	ds_read_b64 v[4:5], v0
	s_waitcnt lgkmcnt(0)
	s_andn2_b64 s[34:35], s[34:35], exec
	v_cmp_ge_u64_e32 vcc, v[4:5], v[70:71]
	s_orn2_b64 vcc, vcc, exec
	s_branch .LBB18_2121
.LBB18_2126:                            ;   in Loop: Header=BB18_2086 Depth=3
	s_or_b64 exec, exec, s[94:95]
	s_and_saveexec_b64 s[94:95], s[30:31]
	s_xor_b64 s[94:95], exec, s[94:95]
	s_cbranch_execz .LBB18_2128
; %bb.2127:                             ;   in Loop: Header=BB18_2086 Depth=3
	ds_write_b32 v0, v111
	s_trap 2
.LBB18_2128:                            ;   in Loop: Header=BB18_2086 Depth=3
	s_or_b64 exec, exec, s[92:93]
	;;#ASMSTART
	s_wakeup
	;;#ASMEND
.LBB18_2129:                            ;   in Loop: Header=BB18_2086 Depth=3
	s_or_b64 exec, exec, s[26:27]
.LBB18_2130:                            ;   in Loop: Header=BB18_2086 Depth=3
	s_andn2_saveexec_b64 s[24:25], s[24:25]
	s_cbranch_execz .LBB18_2132
; %bb.2131:                             ;   in Loop: Header=BB18_2086 Depth=3
	s_waitcnt lgkmcnt(0)
	s_barrier
.LBB18_2132:                            ;   in Loop: Header=BB18_2086 Depth=3
	s_or_b64 exec, exec, s[24:25]
.LBB18_2133:                            ;   in Loop: Header=BB18_2086 Depth=3
	s_or_b64 exec, exec, s[22:23]
	s_trap 2
	ds_read_b32 v8, v0
	v_and_b32_e32 v2, 0x4000, v106
	v_cmp_ne_u32_e32 vcc, 0, v2
	s_xor_b64 s[22:23], s[2:3], -1
	s_and_b64 s[24:25], s[22:23], vcc
	s_and_saveexec_b64 s[22:23], s[24:25]
	s_cbranch_execz .LBB18_2152
; %bb.2134:                             ;   in Loop: Header=BB18_2086 Depth=3
	s_and_saveexec_b64 s[24:25], s[46:47]
	s_xor_b64 s[24:25], exec, s[24:25]
	s_cbranch_execz .LBB18_2149
; %bb.2135:                             ;   in Loop: Header=BB18_2086 Depth=3
	s_and_saveexec_b64 s[26:27], s[12:13]
	s_cbranch_execz .LBB18_2148
; %bb.2136:                             ;   in Loop: Header=BB18_2086 Depth=3
	s_mov_b64 s[94:95], exec
	v_mbcnt_lo_u32_b32 v2, s94, 0
	v_mbcnt_hi_u32_b32 v2, s95, v2
	v_cmp_eq_u32_e32 vcc, 0, v2
	s_waitcnt lgkmcnt(0)
	s_and_saveexec_b64 s[92:93], vcc
	s_cbranch_execz .LBB18_2138
; %bb.2137:                             ;   in Loop: Header=BB18_2086 Depth=3
	s_bcnt1_i32_b64 s45, s[94:95]
	v_mov_b32_e32 v2, s45
	ds_add_u64 v0, v[2:3]
	s_trap 2
.LBB18_2138:                            ;   in Loop: Header=BB18_2086 Depth=3
	s_or_b64 exec, exec, s[92:93]
	s_trap 2
	ds_read_b64 v[4:5], v0
	s_waitcnt lgkmcnt(0)
	v_lshl_add_u64 v[70:71], v[70:71], 0, v[84:85]
	v_cmp_lt_u64_e32 vcc, v[4:5], v[70:71]
	s_and_saveexec_b64 s[92:93], vcc
	s_cbranch_execz .LBB18_2147
; %bb.2139:                             ;   in Loop: Header=BB18_2086 Depth=3
	s_mov_b32 s45, 0
	s_mov_b64 s[94:95], 0
                                        ; implicit-def: $sgpr30_sgpr31
                                        ; implicit-def: $sgpr34_sgpr35
	s_branch .LBB18_2141
.LBB18_2140:                            ;   in Loop: Header=BB18_2141 Depth=4
	s_or_b64 exec, exec, s[38:39]
	s_and_b64 vcc, exec, vcc
	s_or_b64 s[94:95], vcc, s[94:95]
	s_andn2_b64 vcc, s[30:31], exec
	s_and_b64 s[30:31], s[34:35], exec
	s_or_b64 s[30:31], vcc, s[30:31]
	s_andn2_b64 exec, exec, s[94:95]
	s_cbranch_execz .LBB18_2145
.LBB18_2141:                            ;   Parent Loop BB18_47 Depth=1
                                        ;     Parent Loop BB18_2083 Depth=2
                                        ;       Parent Loop BB18_2086 Depth=3
                                        ; =>      This Inner Loop Header: Depth=4
	s_add_i32 s45, s45, 1
	s_cmpk_lg_i32 s45, 0x2710
	s_cselect_b64 s[36:37], -1, 0
	s_and_b64 vcc, exec, s[36:37]
	s_cbranch_vccz .LBB18_2143
; %bb.2142:                             ;   in Loop: Header=BB18_2141 Depth=4
	s_mov_b64 vcc, -1
	s_or_b64 s[34:35], s[34:35], exec
	s_and_saveexec_b64 s[38:39], s[36:37]
	s_cbranch_execz .LBB18_2140
	s_branch .LBB18_2144
.LBB18_2143:                            ;   in Loop: Header=BB18_2141 Depth=4
	s_trap 2
	ds_read_b64 v[4:5], v0
	s_andn2_b64 s[36:37], s[36:37], exec
	s_mov_b32 s45, 0
	s_waitcnt vmcnt(0) lgkmcnt(0)
	flat_load_dword v2, v[4:5] sc0 sc1
	s_waitcnt vmcnt(0) lgkmcnt(0)
	buffer_inv sc0 sc1
	v_cmp_eq_u32_e32 vcc, 0, v2
	s_and_b64 vcc, vcc, exec
	s_or_b64 s[36:37], s[36:37], vcc
	s_mov_b64 vcc, -1
	s_or_b64 s[34:35], s[34:35], exec
	s_and_saveexec_b64 s[38:39], s[36:37]
	s_cbranch_execz .LBB18_2140
.LBB18_2144:                            ;   in Loop: Header=BB18_2141 Depth=4
	s_sleep 1
	s_trap 2
	ds_read_b64 v[4:5], v0
	s_waitcnt lgkmcnt(0)
	s_andn2_b64 s[34:35], s[34:35], exec
	v_cmp_ge_u64_e32 vcc, v[4:5], v[70:71]
	s_orn2_b64 vcc, vcc, exec
	s_branch .LBB18_2140
.LBB18_2145:                            ;   in Loop: Header=BB18_2086 Depth=3
	s_or_b64 exec, exec, s[94:95]
	s_and_saveexec_b64 s[94:95], s[30:31]
	s_xor_b64 s[94:95], exec, s[94:95]
	s_cbranch_execz .LBB18_2147
; %bb.2146:                             ;   in Loop: Header=BB18_2086 Depth=3
	ds_write_b32 v0, v111
	s_trap 2
.LBB18_2147:                            ;   in Loop: Header=BB18_2086 Depth=3
	s_or_b64 exec, exec, s[92:93]
	;;#ASMSTART
	s_wakeup
	;;#ASMEND
.LBB18_2148:                            ;   in Loop: Header=BB18_2086 Depth=3
	s_or_b64 exec, exec, s[26:27]
.LBB18_2149:                            ;   in Loop: Header=BB18_2086 Depth=3
	s_andn2_saveexec_b64 s[24:25], s[24:25]
	s_cbranch_execz .LBB18_2151
; %bb.2150:                             ;   in Loop: Header=BB18_2086 Depth=3
	s_waitcnt lgkmcnt(0)
	s_barrier
.LBB18_2151:                            ;   in Loop: Header=BB18_2086 Depth=3
	s_or_b64 exec, exec, s[24:25]
.LBB18_2152:                            ;   in Loop: Header=BB18_2086 Depth=3
	s_or_b64 exec, exec, s[22:23]
	s_trap 2
	ds_read_b64 v[76:77], v0
	s_waitcnt lgkmcnt(0)
	v_cmp_eq_u64_e32 vcc, 0, v[76:77]
	s_cbranch_vccnz .LBB18_2168
; %bb.2153:                             ;   in Loop: Header=BB18_2086 Depth=3
	s_trap 2
	ds_read_b64 v[78:79], v0
	s_waitcnt lgkmcnt(0)
	v_cmp_eq_u64_e32 vcc, 0, v[78:79]
	s_cbranch_vccnz .LBB18_2168
; %bb.2154:                             ;   in Loop: Header=BB18_2086 Depth=3
	s_trap 2
	ds_read_b64 v[24:25], v0
	v_cmp_eq_u32_e32 vcc, 0, v8
	s_mov_b64 s[22:23], -1
	s_nop 0
	v_cndmask_b32_e32 v2, 0, v62, vcc
	s_waitcnt lgkmcnt(0)
	v_cmp_ne_u64_e32 vcc, 0, v[24:25]
	v_lshlrev_b32_e32 v82, 1, v2
	s_cbranch_vccz .LBB18_2226
; %bb.2155:                             ;   in Loop: Header=BB18_2086 Depth=3
	s_and_saveexec_b64 s[24:25], s[16:17]
	s_cbranch_execz .LBB18_2157
; %bb.2156:                             ;   in Loop: Header=BB18_2086 Depth=3
	ds_read_b32 v4, v0 offset:720
	s_waitcnt lgkmcnt(0)
	v_and_b32_e32 v4, 15, v4
	v_cmp_eq_u32_e32 vcc, 0, v4
	s_orn2_b64 s[22:23], vcc, exec
.LBB18_2157:                            ;   in Loop: Header=BB18_2086 Depth=3
	s_or_b64 exec, exec, s[24:25]
	s_and_saveexec_b64 s[24:25], s[18:19]
	s_cbranch_execz .LBB18_2159
; %bb.2158:                             ;   in Loop: Header=BB18_2086 Depth=3
	ds_read_b32 v4, v0 offset:784
	s_waitcnt lgkmcnt(0)
	v_and_b32_e32 v4, 15, v4
	v_cmp_eq_u32_e32 vcc, 0, v4
	s_and_b64 s[26:27], s[22:23], vcc
	s_andn2_b64 s[22:23], s[22:23], exec
	s_and_b64 s[26:27], s[26:27], exec
	s_or_b64 s[22:23], s[22:23], s[26:27]
.LBB18_2159:                            ;   in Loop: Header=BB18_2086 Depth=3
	s_or_b64 exec, exec, s[24:25]
	s_xor_b64 s[22:23], s[22:23], -1
	v_cndmask_b32_e64 v4, 0, 1, s[22:23]
	s_mov_b64 s[24:25], -1
	v_cmp_ne_u32_e32 vcc, 0, v4
	s_cbranch_vccz .LBB18_2173
; %bb.2160:                             ;   in Loop: Header=BB18_2086 Depth=3
	s_mov_b64 s[92:93], -1
	v_mov_b32_e32 v16, 0
	s_cbranch_execnz .LBB18_2174
.LBB18_2161:                            ;   in Loop: Header=BB18_2086 Depth=3
	v_ashrrev_i32_e32 v4, 31, v82
	v_lshrrev_b32_e32 v4, 21, v4
	v_add_u32_e32 v4, v82, v4
	v_ashrrev_i32_e32 v28, 11, v4
	v_sub_u32_e32 v4, v28, v108
	v_lshl_add_u64 v[26:27], v[78:79], 0, v[102:103]
	v_lshl_add_u64 v[32:33], v[24:25], 0, v[102:103]
	v_cmp_lt_i32_e32 vcc, 0, v4
	s_mov_b64 s[24:25], 0
                                        ; implicit-def: $vgpr8_vgpr9
                                        ; implicit-def: $vgpr12_vgpr13
	s_and_saveexec_b64 s[22:23], vcc
	s_cbranch_execz .LBB18_2176
; %bb.2162:                             ;   in Loop: Header=BB18_2086 Depth=3
	v_lshl_add_u64 v[34:35], v[76:77], 0, v[102:103]
	s_mov_b64 s[94:95], 0
                                        ; implicit-def: $sgpr26_sgpr27
                                        ; implicit-def: $vgpr8_vgpr9
                                        ; implicit-def: $vgpr12_vgpr13
	s_branch .LBB18_2164
.LBB18_2163:                            ;   in Loop: Header=BB18_2164 Depth=4
	s_or_b64 exec, exec, vcc
	v_sub_u32_e32 v4, v4, v5
	v_cmp_gt_i32_e32 vcc, 1, v4
	s_waitcnt vmcnt(0)
	global_store_dwordx4 v[26:27], v[16:19], off
	global_store_dwordx4 v[26:27], v[20:23], off offset:1024
	v_lshl_add_u64 v[26:27], v[26:27], 0, s[72:73]
	global_store_dwordx4 v[32:33], v[16:19], off
	global_store_dwordx4 v[32:33], v[20:23], off offset:1024
	s_or_b64 s[24:25], vcc, s[24:25]
	v_lshl_add_u64 v[16:17], v[32:33], 0, s[72:73]
	v_lshl_add_u64 v[18:19], v[26:27], 0, v[112:113]
	;; [unrolled: 1-line block ×3, first 2 shown]
	s_andn2_b64 s[26:27], s[26:27], exec
	s_and_b64 vcc, s[94:95], exec
	v_lshl_add_u64 v[34:35], v[34:35], 0, v[36:37]
	v_cndmask_b32_e64 v27, v27, v19, s[94:95]
	v_cndmask_b32_e64 v26, v26, v18, s[94:95]
	v_cndmask_b32_e64 v33, v17, v21, s[94:95]
	v_cndmask_b32_e64 v32, v16, v20, s[94:95]
	s_or_b64 s[26:27], s[26:27], vcc
	s_andn2_b64 exec, exec, s[24:25]
	s_cbranch_execz .LBB18_2175
.LBB18_2164:                            ;   Parent Loop BB18_47 Depth=1
                                        ;     Parent Loop BB18_2083 Depth=2
                                        ;       Parent Loop BB18_2086 Depth=3
                                        ; =>      This Inner Loop Header: Depth=4
	global_load_dwordx4 v[16:19], v[34:35], off nt
	global_load_dwordx4 v[20:23], v[34:35], off offset:1024 nt
	s_and_saveexec_b64 vcc, s[94:95]
	s_cbranch_execz .LBB18_2166
; %bb.2165:                             ;   in Loop: Header=BB18_2164 Depth=4
	global_store_dwordx4 v[26:27], v[8:11], off
	global_store_dwordx4 v[26:27], v[12:15], off offset:1024
	global_store_dwordx4 v[32:33], v[8:11], off
	global_store_dwordx4 v[32:33], v[12:15], off offset:1024
	v_lshl_add_u64 v[26:27], v[26:27], 0, v[40:41]
	v_lshl_add_u64 v[32:33], v[32:33], 0, v[40:41]
.LBB18_2166:                            ;   in Loop: Header=BB18_2164 Depth=4
	s_or_b64 exec, exec, vcc
	v_sub_u32_e32 v4, v4, v84
	v_lshl_add_u64 v[34:35], v[34:35], 0, v[40:41]
	v_mov_b32_e32 v5, 0
	v_cmp_lt_i32_e64 s[94:95], 0, v4
	v_mov_b64_e32 v[36:37], 0
	s_and_saveexec_b64 vcc, s[94:95]
	s_cbranch_execz .LBB18_2163
; %bb.2167:                             ;   in Loop: Header=BB18_2164 Depth=4
	global_load_dwordx4 v[8:11], v[34:35], off nt
	global_load_dwordx4 v[12:15], v[34:35], off offset:1024 nt
	v_lshl_add_u64 v[34:35], v[34:35], 0, s[72:73]
	v_mov_b32_e32 v5, v84
	v_mov_b64_e32 v[36:37], v[112:113]
	s_branch .LBB18_2163
.LBB18_2168:                            ;   in Loop: Header=BB18_2086 Depth=3
	s_mov_b64 s[22:23], 0
	s_and_saveexec_b64 s[24:25], s[4:5]
	s_cbranch_execnz .LBB18_2284
.LBB18_2169:                            ;   in Loop: Header=BB18_2086 Depth=3
	s_or_b64 exec, exec, s[24:25]
                                        ; implicit-def: $vgpr2
	s_and_saveexec_b64 s[24:25], s[20:21]
	s_xor_b64 s[24:25], exec, s[24:25]
	s_cbranch_execz .LBB18_2302
.LBB18_2170:                            ;   in Loop: Header=BB18_2086 Depth=3
	v_and_b32_e32 v4, 16, v106
	v_cmp_ne_u32_e32 vcc, 0, v4
	v_and_b32_e32 v2, 16, v106
	s_and_b64 s[26:27], vcc, s[22:23]
	s_and_saveexec_b64 s[22:23], s[26:27]
	s_cbranch_execz .LBB18_2172
; %bb.2171:                             ;   in Loop: Header=BB18_2086 Depth=3
	v_mov_b32_e32 v2, 1
	buffer_wbl2 sc1
	s_waitcnt vmcnt(0) lgkmcnt(0)
	buffer_inv sc1
.LBB18_2172:                            ;   in Loop: Header=BB18_2086 Depth=3
	s_or_b64 exec, exec, s[22:23]
	s_andn2_saveexec_b64 s[22:23], s[24:25]
	s_cbranch_execz .LBB18_2321
	s_branch .LBB18_2303
.LBB18_2173:                            ;   in Loop: Header=BB18_2086 Depth=3
	s_mov_b64 s[92:93], 0
	s_andn2_b64 vcc, exec, s[24:25]
	v_mov_b32_e32 v16, 0
	s_cbranch_vccz .LBB18_2161
.LBB18_2174:                            ;   in Loop: Header=BB18_2086 Depth=3
	v_mov_b32_e32 v17, v82
	v_mov_b32_e32 v5, v0
	;; [unrolled: 1-line block ×3, first 2 shown]
	s_and_saveexec_b64 s[26:27], s[92:93]
	s_cbranch_execnz .LBB18_2200
	s_branch .LBB18_2225
.LBB18_2175:                            ;   in Loop: Header=BB18_2086 Depth=3
	s_or_b64 exec, exec, s[24:25]
	s_and_b64 s[24:25], s[26:27], exec
.LBB18_2176:                            ;   in Loop: Header=BB18_2086 Depth=3
	s_or_b64 exec, exec, s[22:23]
	s_and_saveexec_b64 s[22:23], s[24:25]
	s_cbranch_execz .LBB18_2178
; %bb.2177:                             ;   in Loop: Header=BB18_2086 Depth=3
	global_store_dwordx4 v[26:27], v[8:11], off
	global_store_dwordx4 v[26:27], v[12:15], off offset:1024
	global_store_dwordx4 v[32:33], v[8:11], off
	global_store_dwordx4 v[32:33], v[12:15], off offset:1024
.LBB18_2178:                            ;   in Loop: Header=BB18_2086 Depth=3
	s_or_b64 exec, exec, s[22:23]
	v_lshlrev_b32_e32 v22, 11, v28
	v_cmp_ne_u32_e32 vcc, v82, v22
                                        ; implicit-def: $vgpr17
                                        ; implicit-def: $vgpr16
                                        ; implicit-def: $vgpr5
                                        ; implicit-def: $vgpr18
	s_and_saveexec_b64 s[94:95], vcc
	s_cbranch_execz .LBB18_2199
; %bb.2179:                             ;   in Loop: Header=BB18_2086 Depth=3
	v_lshlrev_b32_e32 v4, 6, v4
	v_sub_u32_e32 v4, v107, v4
	v_ashrrev_i32_e32 v8, 31, v4
	v_lshrrev_b32_e32 v8, 26, v8
	v_add_u32_e32 v8, v4, v8
	v_ashrrev_i32_e32 v9, 6, v8
	v_and_b32_e32 v8, 0xffffffc0, v8
	v_sub_u32_e32 v23, v4, v8
	v_lshlrev_b32_e32 v4, 4, v23
	v_sub_u32_e32 v5, v82, v22
	v_lshl_add_u32 v4, v9, 10, v4
	v_add_u32_e32 v10, v4, v22
	v_sub_u32_e32 v29, v5, v4
	v_ashrrev_i32_e32 v4, 31, v5
	v_lshrrev_b32_e32 v4, 22, v4
	v_add_u32_e32 v4, v5, v4
	v_and_b32_e32 v26, 0xfffffc00, v4
	v_sub_u32_e32 v27, v5, v26
	v_ashrrev_i32_e32 v8, 10, v4
	v_cmp_lt_i32_e64 s[22:23], 15, v27
	v_ashrrev_i32_e32 v11, 31, v10
	v_lshl_add_u64 v[16:17], v[10:11], 0, v[78:79]
	v_addc_co_u32_e64 v4, vcc, 0, v8, s[22:23]
	v_lshl_add_u64 v[18:19], v[10:11], 0, v[24:25]
	v_sub_u32_e32 v28, v4, v9
	v_cmp_lt_i32_e32 vcc, 15, v29
	s_mov_b64 s[24:25], 0
                                        ; implicit-def: $vgpr8_vgpr9
	s_and_saveexec_b64 s[30:31], vcc
	s_cbranch_execz .LBB18_2193
; %bb.2180:                             ;   in Loop: Header=BB18_2086 Depth=3
	v_lshl_add_u64 v[20:21], v[10:11], 0, v[76:77]
	s_mov_b64 s[38:39], 0
	s_mov_b64 s[34:35], 0
                                        ; implicit-def: $sgpr36_sgpr37
                                        ; implicit-def: $vgpr8_vgpr9
	s_branch .LBB18_2182
.LBB18_2181:                            ;   in Loop: Header=BB18_2182 Depth=4
	s_or_b64 exec, exec, s[24:25]
	v_cmp_gt_i32_e32 vcc, 16, v29
	s_or_b64 s[34:35], vcc, s[34:35]
	s_andn2_b64 s[24:25], s[36:37], exec
	s_and_b64 s[26:27], s[38:39], exec
	s_or_b64 s[36:37], s[24:25], s[26:27]
	s_andn2_b64 exec, exec, s[34:35]
	s_cbranch_execz .LBB18_2192
.LBB18_2182:                            ;   Parent Loop BB18_47 Depth=1
                                        ;     Parent Loop BB18_2083 Depth=2
                                        ;       Parent Loop BB18_2086 Depth=3
                                        ; =>      This Loop Header: Depth=4
                                        ;           Child Loop BB18_2184 Depth 5
                                        ;           Child Loop BB18_2189 Depth 5
	global_load_dwordx4 v[12:15], v[20:21], off nt
	s_and_saveexec_b64 s[48:49], s[38:39]
	s_cbranch_execz .LBB18_2186
; %bb.2183:                             ;   in Loop: Header=BB18_2182 Depth=4
	s_mov_b64 s[50:51], 0
	s_mov_b64 s[38:39], -1
.LBB18_2184:                            ;   Parent Loop BB18_47 Depth=1
                                        ;     Parent Loop BB18_2083 Depth=2
                                        ;       Parent Loop BB18_2086 Depth=3
                                        ;         Parent Loop BB18_2182 Depth=4
                                        ; =>        This Inner Loop Header: Depth=5
	s_cmp_eq_u32 s50, 1
	s_cselect_b64 vcc, -1, 0
	v_cndmask_b32_e32 v5, v17, v19, vcc
	s_cmp_eq_u32 s50, 0
	v_cndmask_b32_e32 v4, v16, v18, vcc
	global_store_dwordx4 v[4:5], v[8:11], off
	v_lshl_add_u64 v[4:5], v[4:5], 0, s[58:59]
	s_cselect_b64 s[24:25], -1, 0
	s_and_b64 s[26:27], exec, s[38:39]
	s_mov_b64 s[50:51], 1
	s_mov_b64 s[38:39], 0
	v_cndmask_b32_e32 v19, v19, v5, vcc
	v_cndmask_b32_e32 v18, v18, v4, vcc
	v_cndmask_b32_e64 v17, v17, v5, s[24:25]
	v_cndmask_b32_e64 v16, v16, v4, s[24:25]
	s_mov_b64 vcc, s[26:27]
	s_cbranch_vccnz .LBB18_2184
; %bb.2185:                             ;   in Loop: Header=BB18_2182 Depth=4
	v_lshl_add_u64 v[16:17], v[16:17], 0, v[114:115]
	v_lshl_add_u64 v[18:19], v[18:19], 0, v[114:115]
.LBB18_2186:                            ;   in Loop: Header=BB18_2182 Depth=4
	s_or_b64 exec, exec, s[48:49]
	v_sub_u32_e32 v29, v29, v109
	v_lshl_add_u64 v[20:21], v[42:43], 0, v[20:21]
	v_cmp_lt_i32_e64 s[38:39], 15, v29
	s_and_saveexec_b64 s[24:25], s[38:39]
	s_cbranch_execz .LBB18_2188
; %bb.2187:                             ;   in Loop: Header=BB18_2182 Depth=4
	global_load_dwordx4 v[8:11], v[20:21], off nt
	v_lshl_add_u64 v[20:21], v[20:21], 0, s[58:59]
.LBB18_2188:                            ;   in Loop: Header=BB18_2182 Depth=4
	s_or_b64 exec, exec, s[24:25]
	s_mov_b64 s[50:51], 0
	s_mov_b64 s[48:49], -1
	s_waitcnt vmcnt(0)
.LBB18_2189:                            ;   Parent Loop BB18_47 Depth=1
                                        ;     Parent Loop BB18_2083 Depth=2
                                        ;       Parent Loop BB18_2086 Depth=3
                                        ;         Parent Loop BB18_2182 Depth=4
                                        ; =>        This Inner Loop Header: Depth=5
	s_cmp_eq_u32 s50, 1
	s_cselect_b64 vcc, -1, 0
	v_cndmask_b32_e32 v5, v17, v19, vcc
	s_cmp_eq_u32 s50, 0
	v_cndmask_b32_e32 v4, v16, v18, vcc
	global_store_dwordx4 v[4:5], v[12:15], off
	v_lshl_add_u64 v[4:5], v[4:5], 0, s[58:59]
	s_cselect_b64 s[24:25], -1, 0
	s_and_b64 s[26:27], exec, s[48:49]
	s_mov_b64 s[50:51], 1
	s_mov_b64 s[48:49], 0
	v_cndmask_b32_e32 v19, v19, v5, vcc
	v_cndmask_b32_e32 v18, v18, v4, vcc
	v_cndmask_b32_e64 v17, v17, v5, s[24:25]
	v_cndmask_b32_e64 v16, v16, v4, s[24:25]
	s_mov_b64 vcc, s[26:27]
	s_cbranch_vccnz .LBB18_2189
; %bb.2190:                             ;   in Loop: Header=BB18_2182 Depth=4
	v_sub_u32_e32 v28, v28, v84
	s_and_saveexec_b64 s[24:25], s[38:39]
	s_cbranch_execz .LBB18_2181
; %bb.2191:                             ;   in Loop: Header=BB18_2182 Depth=4
	v_lshl_add_u64 v[16:17], v[16:17], 0, v[114:115]
	v_lshl_add_u64 v[18:19], v[18:19], 0, v[114:115]
	;; [unrolled: 1-line block ×3, first 2 shown]
	v_sub_u32_e32 v29, v29, v109
	v_sub_u32_e32 v28, v28, v84
	s_branch .LBB18_2181
.LBB18_2192:                            ;   in Loop: Header=BB18_2086 Depth=3
	s_or_b64 exec, exec, s[34:35]
	s_and_b64 s[24:25], s[36:37], exec
.LBB18_2193:                            ;   in Loop: Header=BB18_2086 Depth=3
	s_or_b64 exec, exec, s[30:31]
	s_and_saveexec_b64 s[30:31], s[24:25]
	s_cbranch_execz .LBB18_2196
; %bb.2194:                             ;   in Loop: Header=BB18_2086 Depth=3
	s_mov_b64 s[36:37], 0
	s_mov_b64 s[34:35], -1
.LBB18_2195:                            ;   Parent Loop BB18_47 Depth=1
                                        ;     Parent Loop BB18_2083 Depth=2
                                        ;       Parent Loop BB18_2086 Depth=3
                                        ; =>      This Inner Loop Header: Depth=4
	s_cmp_eq_u32 s36, 1
	s_cselect_b64 vcc, -1, 0
	v_cndmask_b32_e32 v5, v17, v19, vcc
	s_cmp_eq_u32 s36, 0
	v_cndmask_b32_e32 v4, v16, v18, vcc
	global_store_dwordx4 v[4:5], v[8:11], off
	v_lshl_add_u64 v[4:5], v[4:5], 0, s[58:59]
	s_cselect_b64 s[24:25], -1, 0
	s_and_b64 s[26:27], exec, s[34:35]
	s_mov_b64 s[36:37], 1
	s_mov_b64 s[34:35], 0
	v_cndmask_b32_e32 v19, v19, v5, vcc
	v_cndmask_b32_e32 v18, v18, v4, vcc
	v_cndmask_b32_e64 v17, v17, v5, s[24:25]
	v_cndmask_b32_e64 v16, v16, v4, s[24:25]
	s_mov_b64 vcc, s[26:27]
	s_cbranch_vccnz .LBB18_2195
.LBB18_2196:                            ;   in Loop: Header=BB18_2086 Depth=3
	s_or_b64 exec, exec, s[30:31]
	v_and_b32_e32 v4, 14, v82
	v_cndmask_b32_e64 v17, v27, v4, s[22:23]
	v_cmp_ne_u32_e32 vcc, 0, v17
	s_mov_b64 s[24:25], s[92:93]
                                        ; implicit-def: $vgpr16
                                        ; implicit-def: $vgpr5
                                        ; implicit-def: $vgpr18
	s_and_saveexec_b64 s[26:27], vcc
	s_cbranch_execz .LBB18_2198
; %bb.2197:                             ;   in Loop: Header=BB18_2086 Depth=3
	v_sub_u32_e32 v4, v27, v4
	v_cndmask_b32_e64 v4, 0, v4, s[22:23]
	v_cmp_lt_i32_e32 vcc, 0, v28
	v_add3_u32 v16, v26, v22, v4
	s_or_b64 s[24:25], s[92:93], exec
	v_cndmask_b32_e32 v4, 0, v84, vcc
	v_sub_u32_e32 v4, v4, v28
	v_lshl_add_u32 v5, v4, 6, v23
	v_ashrrev_i32_e32 v4, 31, v5
	v_lshrrev_b32_e32 v4, 26, v4
	v_add_u32_e32 v4, v5, v4
	v_and_b32_e32 v4, 0xffffffc0, v4
	v_sub_u32_e32 v18, v5, v4
.LBB18_2198:                            ;   in Loop: Header=BB18_2086 Depth=3
	s_or_b64 exec, exec, s[26:27]
	s_andn2_b64 s[22:23], s[92:93], exec
	s_and_b64 s[24:25], s[24:25], exec
	s_or_b64 s[92:93], s[22:23], s[24:25]
.LBB18_2199:                            ;   in Loop: Header=BB18_2086 Depth=3
	s_or_b64 exec, exec, s[94:95]
	s_and_saveexec_b64 s[26:27], s[92:93]
	s_cbranch_execz .LBB18_2225
.LBB18_2200:                            ;   in Loop: Header=BB18_2086 Depth=3
	v_ashrrev_i32_e32 v4, 31, v5
	v_lshrrev_b32_e32 v4, 26, v4
	v_add_u32_e32 v4, v5, v4
	v_ashrrev_i32_e32 v4, 6, v4
	v_lshlrev_b32_e32 v5, 10, v4
	v_lshlrev_b32_e32 v8, 1, v18
	v_add3_u32 v12, v16, v8, v5
	v_ashrrev_i32_e32 v5, 31, v17
	v_lshrrev_b32_e32 v5, 22, v5
	v_add_u32_e32 v5, v17, v5
	v_ashrrev_i32_e32 v19, 10, v5
	v_ashrrev_i32_e32 v13, 31, v12
	v_sub_u32_e32 v14, v19, v4
	v_lshl_add_u64 v[10:11], v[78:79], 0, v[12:13]
	v_lshl_add_u64 v[8:9], v[24:25], 0, v[12:13]
	v_cmp_lt_i32_e32 vcc, 0, v14
	s_mov_b64 s[24:25], 0
                                        ; implicit-def: $vgpr20
                                        ; implicit-def: $vgpr21
                                        ; implicit-def: $vgpr22
                                        ; implicit-def: $vgpr23
                                        ; implicit-def: $vgpr26
                                        ; implicit-def: $vgpr27
                                        ; implicit-def: $vgpr28
                                        ; implicit-def: $vgpr29
	s_and_saveexec_b64 s[22:23], vcc
	s_cbranch_execz .LBB18_2208
; %bb.2201:                             ;   in Loop: Header=BB18_2086 Depth=3
	v_lshl_add_u64 v[12:13], v[12:13], 0, v[76:77]
	s_mov_b64 s[94:95], 0
                                        ; implicit-def: $sgpr92_sgpr93
                                        ; implicit-def: $vgpr20
                                        ; implicit-def: $vgpr21
                                        ; implicit-def: $vgpr22
                                        ; implicit-def: $vgpr23
                                        ; implicit-def: $vgpr26
                                        ; implicit-def: $vgpr27
                                        ; implicit-def: $vgpr28
                                        ; implicit-def: $vgpr29
	s_branch .LBB18_2203
.LBB18_2202:                            ;   in Loop: Header=BB18_2203 Depth=4
	s_or_b64 exec, exec, vcc
	v_lshl_add_u64 v[12:13], v[12:13], 0, v[14:15]
	v_sub_u32_e32 v14, v38, v39
	v_cmp_gt_i32_e32 vcc, 1, v14
	s_waitcnt vmcnt(0) lgkmcnt(0)
	flat_store_short v[10:11], v4 nt
	flat_store_short v[10:11], v5 offset:128 nt
	flat_store_short v[10:11], v32 offset:256 nt
	;; [unrolled: 1-line block ×7, first 2 shown]
	v_lshl_add_u64 v[10:11], v[10:11], 0, s[58:59]
	flat_store_short v[8:9], v4 nt
	flat_store_short v[8:9], v5 offset:128 nt
	flat_store_short v[8:9], v32 offset:256 nt
	flat_store_short v[8:9], v33 offset:384 nt
	flat_store_short v[8:9], v34 offset:512 nt
	flat_store_short v[8:9], v35 offset:640 nt
	flat_store_short v[8:9], v36 offset:768 nt
	flat_store_short v[8:9], v37 offset:896 nt
	v_lshl_add_u64 v[4:5], v[8:9], 0, s[58:59]
	s_or_b64 s[24:25], vcc, s[24:25]
	v_lshl_add_u64 v[8:9], v[10:11], 0, v[114:115]
	v_lshl_add_u64 v[32:33], v[4:5], 0, v[114:115]
	s_andn2_b64 s[92:93], s[92:93], exec
	s_and_b64 vcc, s[94:95], exec
	v_cndmask_b32_e64 v11, v11, v9, s[94:95]
	v_cndmask_b32_e64 v10, v10, v8, s[94:95]
	;; [unrolled: 1-line block ×4, first 2 shown]
	s_or_b64 s[92:93], s[92:93], vcc
	s_andn2_b64 exec, exec, s[24:25]
	s_cbranch_execz .LBB18_2207
.LBB18_2203:                            ;   Parent Loop BB18_47 Depth=1
                                        ;     Parent Loop BB18_2083 Depth=2
                                        ;       Parent Loop BB18_2086 Depth=3
                                        ; =>      This Inner Loop Header: Depth=4
	flat_load_ushort v4, v[12:13] nt
	flat_load_ushort v5, v[12:13] offset:128 nt
	flat_load_ushort v32, v[12:13] offset:256 nt
	;; [unrolled: 1-line block ×7, first 2 shown]
	s_and_saveexec_b64 vcc, s[94:95]
	s_cbranch_execz .LBB18_2205
; %bb.2204:                             ;   in Loop: Header=BB18_2203 Depth=4
	flat_store_short v[10:11], v20 nt
	flat_store_short v[10:11], v21 offset:128 nt
	flat_store_short v[10:11], v22 offset:256 nt
	;; [unrolled: 1-line block ×7, first 2 shown]
	flat_store_short v[8:9], v20 nt
	flat_store_short v[8:9], v21 offset:128 nt
	flat_store_short v[8:9], v22 offset:256 nt
	;; [unrolled: 1-line block ×7, first 2 shown]
	v_lshl_add_u64 v[10:11], v[10:11], 0, v[42:43]
	v_lshl_add_u64 v[8:9], v[8:9], 0, v[42:43]
.LBB18_2205:                            ;   in Loop: Header=BB18_2203 Depth=4
	s_or_b64 exec, exec, vcc
	v_sub_u32_e32 v38, v14, v84
	v_lshl_add_u64 v[12:13], v[12:13], 0, v[42:43]
	v_mov_b32_e32 v39, 0
	v_cmp_lt_i32_e64 s[94:95], 0, v38
	v_mov_b64_e32 v[14:15], 0
	s_and_saveexec_b64 vcc, s[94:95]
	s_cbranch_execz .LBB18_2202
; %bb.2206:                             ;   in Loop: Header=BB18_2203 Depth=4
	flat_load_ushort v20, v[12:13] nt
	flat_load_ushort v21, v[12:13] offset:128 nt
	flat_load_ushort v22, v[12:13] offset:256 nt
	;; [unrolled: 1-line block ×7, first 2 shown]
	v_lshl_add_u64 v[12:13], v[12:13], 0, s[58:59]
	v_mov_b32_e32 v39, v84
	v_mov_b64_e32 v[14:15], v[114:115]
	s_branch .LBB18_2202
.LBB18_2207:                            ;   in Loop: Header=BB18_2086 Depth=3
	s_or_b64 exec, exec, s[24:25]
	s_and_b64 s[24:25], s[92:93], exec
.LBB18_2208:                            ;   in Loop: Header=BB18_2086 Depth=3
	s_or_b64 exec, exec, s[22:23]
	s_and_saveexec_b64 s[22:23], s[24:25]
	s_cbranch_execz .LBB18_2210
; %bb.2209:                             ;   in Loop: Header=BB18_2086 Depth=3
	flat_store_short v[10:11], v20 nt
	flat_store_short v[10:11], v21 offset:128 nt
	flat_store_short v[10:11], v22 offset:256 nt
	;; [unrolled: 1-line block ×7, first 2 shown]
	flat_store_short v[8:9], v20 nt
	flat_store_short v[8:9], v21 offset:128 nt
	flat_store_short v[8:9], v22 offset:256 nt
	;; [unrolled: 1-line block ×7, first 2 shown]
.LBB18_2210:                            ;   in Loop: Header=BB18_2086 Depth=3
	s_or_b64 exec, exec, s[22:23]
	v_lshlrev_b32_e32 v4, 10, v19
	v_cmp_ne_u32_e32 vcc, v17, v4
	s_and_b64 exec, exec, vcc
	s_cbranch_execz .LBB18_2225
; %bb.2211:                             ;   in Loop: Header=BB18_2086 Depth=3
	v_lshlrev_b32_e32 v5, 6, v14
	v_sub_u32_e32 v5, v18, v5
	v_ashrrev_i32_e32 v8, 31, v5
	v_lshrrev_b32_e32 v8, 26, v8
	v_add_u32_e32 v8, v5, v8
	v_and_b32_e32 v9, 0x7fffffc0, v8
	v_sub_u32_e32 v5, v5, v9
	v_lshlrev_b32_e32 v8, 1, v8
	v_and_b32_e32 v8, 0xffffff80, v8
	v_lshlrev_b32_e32 v5, 1, v5
	v_add3_u32 v4, v8, v5, v4
	v_sub_u32_e32 v5, v17, v4
	v_cmp_lt_i32_e32 vcc, 1, v5
	s_and_b64 exec, exec, vcc
	s_cbranch_execz .LBB18_2225
; %bb.2212:                             ;   in Loop: Header=BB18_2086 Depth=3
	v_add_u32_e32 v12, v4, v16
	v_ashrrev_i32_e32 v13, 31, v12
	v_lshl_add_u64 v[8:9], v[78:79], 0, v[12:13]
	v_lshl_add_u64 v[10:11], v[24:25], 0, v[12:13]
	;; [unrolled: 1-line block ×3, first 2 shown]
	s_mov_b64 s[30:31], 0
	s_mov_b64 s[92:93], 0
                                        ; implicit-def: $sgpr94_sgpr95
                                        ; implicit-def: $vgpr18
.LBB18_2213:                            ;   Parent Loop BB18_47 Depth=1
                                        ;     Parent Loop BB18_2083 Depth=2
                                        ;       Parent Loop BB18_2086 Depth=3
                                        ; =>      This Loop Header: Depth=4
                                        ;           Child Loop BB18_2215 Depth 5
                                        ;           Child Loop BB18_2220 Depth 5
	flat_load_ushort v4, v[12:13] nt
	s_and_saveexec_b64 s[34:35], s[30:31]
	s_cbranch_execz .LBB18_2217
; %bb.2214:                             ;   in Loop: Header=BB18_2213 Depth=4
	s_mov_b64 s[36:37], 0
	s_mov_b64 s[30:31], -1
.LBB18_2215:                            ;   Parent Loop BB18_47 Depth=1
                                        ;     Parent Loop BB18_2083 Depth=2
                                        ;       Parent Loop BB18_2086 Depth=3
                                        ;         Parent Loop BB18_2213 Depth=4
                                        ; =>        This Inner Loop Header: Depth=5
	s_cmp_eq_u32 s36, 1
	s_cselect_b64 vcc, -1, 0
	v_cndmask_b32_e32 v15, v9, v11, vcc
	s_cmp_eq_u32 s36, 0
	v_cndmask_b32_e32 v14, v8, v10, vcc
	flat_store_short v[14:15], v18 nt
	v_lshl_add_u64 v[14:15], v[14:15], 0, s[60:61]
	s_cselect_b64 s[22:23], -1, 0
	s_and_b64 s[24:25], exec, s[30:31]
	s_mov_b64 s[36:37], 1
	s_mov_b64 s[30:31], 0
	v_cndmask_b32_e32 v11, v11, v15, vcc
	v_cndmask_b32_e32 v10, v10, v14, vcc
	v_cndmask_b32_e64 v9, v9, v15, s[22:23]
	v_cndmask_b32_e64 v8, v8, v14, s[22:23]
	s_mov_b64 vcc, s[24:25]
	s_cbranch_vccnz .LBB18_2215
; %bb.2216:                             ;   in Loop: Header=BB18_2213 Depth=4
	v_lshl_add_u64 v[8:9], v[8:9], 0, v[116:117]
	v_lshl_add_u64 v[10:11], v[10:11], 0, v[116:117]
.LBB18_2217:                            ;   in Loop: Header=BB18_2213 Depth=4
	s_or_b64 exec, exec, s[34:35]
	v_sub_u32_e32 v5, v5, v110
	v_lshl_add_u64 v[12:13], v[44:45], 0, v[12:13]
	v_cmp_lt_i32_e64 s[30:31], 1, v5
	s_and_saveexec_b64 s[22:23], s[30:31]
	s_cbranch_execz .LBB18_2219
; %bb.2218:                             ;   in Loop: Header=BB18_2213 Depth=4
	flat_load_ushort v18, v[12:13] nt
	v_lshl_add_u64 v[12:13], v[12:13], 0, s[60:61]
.LBB18_2219:                            ;   in Loop: Header=BB18_2213 Depth=4
	s_or_b64 exec, exec, s[22:23]
	s_mov_b64 s[36:37], 0
	s_mov_b64 s[34:35], -1
	s_waitcnt vmcnt(0)
.LBB18_2220:                            ;   Parent Loop BB18_47 Depth=1
                                        ;     Parent Loop BB18_2083 Depth=2
                                        ;       Parent Loop BB18_2086 Depth=3
                                        ;         Parent Loop BB18_2213 Depth=4
                                        ; =>        This Inner Loop Header: Depth=5
	s_cmp_eq_u32 s36, 1
	s_cselect_b64 vcc, -1, 0
	v_cndmask_b32_e32 v15, v9, v11, vcc
	s_cmp_eq_u32 s36, 0
	v_cndmask_b32_e32 v14, v8, v10, vcc
	s_waitcnt lgkmcnt(0)
	flat_store_short v[14:15], v4 nt
	v_lshl_add_u64 v[14:15], v[14:15], 0, s[60:61]
	s_cselect_b64 s[22:23], -1, 0
	s_and_b64 s[24:25], exec, s[34:35]
	s_mov_b64 s[36:37], 1
	s_mov_b64 s[34:35], 0
	v_cndmask_b32_e32 v11, v11, v15, vcc
	v_cndmask_b32_e32 v10, v10, v14, vcc
	v_cndmask_b32_e64 v9, v9, v15, s[22:23]
	v_cndmask_b32_e64 v8, v8, v14, s[22:23]
	s_mov_b64 vcc, s[24:25]
	s_cbranch_vccnz .LBB18_2220
; %bb.2221:                             ;   in Loop: Header=BB18_2213 Depth=4
	v_cndmask_b32_e64 v4, 0, v110, s[30:31]
	v_sub_u32_e32 v5, v5, v4
	v_cmp_gt_i32_e32 vcc, 2, v5
	s_or_b64 s[92:93], vcc, s[92:93]
	v_lshl_add_u64 v[14:15], v[8:9], 0, v[116:117]
	v_lshl_add_u64 v[16:17], v[10:11], 0, v[116:117]
	v_cndmask_b32_e64 v21, 0, v117, s[30:31]
	v_cndmask_b32_e64 v20, 0, v116, s[30:31]
	s_andn2_b64 s[22:23], s[94:95], exec
	s_and_b64 s[24:25], s[30:31], exec
	v_lshl_add_u64 v[12:13], v[12:13], 0, v[20:21]
	v_cndmask_b32_e64 v11, v11, v17, s[30:31]
	v_cndmask_b32_e64 v10, v10, v16, s[30:31]
	;; [unrolled: 1-line block ×4, first 2 shown]
	s_or_b64 s[94:95], s[22:23], s[24:25]
	s_andn2_b64 exec, exec, s[92:93]
	s_cbranch_execnz .LBB18_2213
; %bb.2222:                             ;   in Loop: Header=BB18_2086 Depth=3
	s_or_b64 exec, exec, s[92:93]
	s_and_b64 exec, exec, s[94:95]
	s_cbranch_execz .LBB18_2225
; %bb.2223:                             ;   in Loop: Header=BB18_2086 Depth=3
	s_mov_b64 s[94:95], 0
	s_mov_b64 s[92:93], -1
.LBB18_2224:                            ;   Parent Loop BB18_47 Depth=1
                                        ;     Parent Loop BB18_2083 Depth=2
                                        ;       Parent Loop BB18_2086 Depth=3
                                        ; =>      This Inner Loop Header: Depth=4
	s_cmp_eq_u32 s94, 1
	s_cselect_b64 vcc, -1, 0
	v_cndmask_b32_e32 v5, v15, v17, vcc
	s_cmp_eq_u32 s94, 0
	v_cndmask_b32_e32 v4, v14, v16, vcc
	flat_store_short v[4:5], v18 nt
	v_lshl_add_u64 v[4:5], v[4:5], 0, s[60:61]
	s_cselect_b64 s[22:23], -1, 0
	s_and_b64 s[24:25], exec, s[92:93]
	s_mov_b64 s[94:95], 1
	s_mov_b64 s[92:93], 0
	v_cndmask_b32_e64 v15, v15, v5, s[22:23]
	v_cndmask_b32_e64 v14, v14, v4, s[22:23]
	v_cndmask_b32_e32 v17, v17, v5, vcc
	v_cndmask_b32_e32 v16, v16, v4, vcc
	s_mov_b64 vcc, s[24:25]
	s_cbranch_vccnz .LBB18_2224
.LBB18_2225:                            ;   in Loop: Header=BB18_2086 Depth=3
	s_or_b64 exec, exec, s[26:27]
	s_mov_b64 s[22:23], 0
.LBB18_2226:                            ;   in Loop: Header=BB18_2086 Depth=3
	s_and_b64 vcc, exec, s[22:23]
	s_cbranch_vccz .LBB18_2240
; %bb.2227:                             ;   in Loop: Header=BB18_2086 Depth=3
	s_mov_b64 s[22:23], -1
	s_and_saveexec_b64 s[24:25], s[16:17]
	s_cbranch_execz .LBB18_2229
; %bb.2228:                             ;   in Loop: Header=BB18_2086 Depth=3
	ds_read_b32 v4, v0 offset:720
	s_waitcnt lgkmcnt(0)
	v_and_b32_e32 v4, 15, v4
	v_cmp_eq_u32_e32 vcc, 0, v4
	s_orn2_b64 s[22:23], vcc, exec
.LBB18_2229:                            ;   in Loop: Header=BB18_2086 Depth=3
	s_or_b64 exec, exec, s[24:25]
	s_and_saveexec_b64 s[24:25], s[14:15]
	s_cbranch_execz .LBB18_2231
; %bb.2230:                             ;   in Loop: Header=BB18_2086 Depth=3
	ds_read_b32 v4, v0 offset:784
	s_waitcnt lgkmcnt(0)
	v_and_b32_e32 v4, 15, v4
	v_cmp_eq_u32_e32 vcc, 0, v4
	s_and_b64 s[26:27], s[22:23], vcc
	s_andn2_b64 s[22:23], s[22:23], exec
	s_and_b64 s[26:27], s[26:27], exec
	s_or_b64 s[22:23], s[22:23], s[26:27]
.LBB18_2231:                            ;   in Loop: Header=BB18_2086 Depth=3
	s_or_b64 exec, exec, s[24:25]
	s_xor_b64 s[22:23], s[22:23], -1
	v_cndmask_b32_e64 v4, 0, 1, s[22:23]
	s_mov_b64 s[26:27], -1
	v_cmp_ne_u32_e32 vcc, 0, v4
	s_cbranch_vccz .LBB18_2241
; %bb.2232:                             ;   in Loop: Header=BB18_2086 Depth=3
	s_mov_b64 s[24:25], -1
	v_mov_b32_e32 v14, 0
	s_cbranch_execnz .LBB18_2242
.LBB18_2233:                            ;   in Loop: Header=BB18_2086 Depth=3
	v_ashrrev_i32_e32 v4, 31, v82
	v_lshrrev_b32_e32 v4, 20, v4
	v_add_u32_e32 v4, v82, v4
	v_ashrrev_i32_e32 v28, 12, v4
	v_sub_u32_e32 v29, v28, v108
	v_lshl_add_u64 v[88:89], v[78:79], 0, v[104:105]
	v_cmp_lt_i32_e32 vcc, 0, v29
	s_mov_b64 s[26:27], 0
                                        ; implicit-def: $vgpr8_vgpr9
                                        ; implicit-def: $vgpr12_vgpr13
                                        ; implicit-def: $vgpr16_vgpr17
                                        ; implicit-def: $vgpr20_vgpr21
	s_and_saveexec_b64 s[22:23], vcc
	s_cbranch_execz .LBB18_2244
; %bb.2234:                             ;   in Loop: Header=BB18_2086 Depth=3
	v_lshl_add_u64 v[90:91], v[76:77], 0, v[104:105]
	s_mov_b64 s[94:95], 0
                                        ; implicit-def: $sgpr92_sgpr93
                                        ; implicit-def: $vgpr8_vgpr9
                                        ; implicit-def: $vgpr12_vgpr13
                                        ; implicit-def: $vgpr16_vgpr17
                                        ; implicit-def: $vgpr20_vgpr21
	s_branch .LBB18_2236
.LBB18_2235:                            ;   in Loop: Header=BB18_2236 Depth=4
	s_or_b64 exec, exec, vcc
	v_sub_u32_e32 v29, v4, v5
	v_cmp_gt_i32_e32 vcc, 1, v29
	s_or_b64 s[26:27], vcc, s[26:27]
	s_waitcnt vmcnt(0)
	global_store_dwordx4 v[88:89], v[24:27], off
	global_store_dwordx4 v[88:89], v[32:35], off offset:1024
	global_store_dwordx4 v[88:89], v[36:39], off offset:2048
	;; [unrolled: 1-line block ×3, first 2 shown]
	v_lshl_add_u64 v[24:25], v[88:89], 0, v[92:93]
	s_andn2_b64 s[92:93], s[92:93], exec
	s_and_b64 vcc, s[94:95], exec
	v_lshl_add_u64 v[88:89], v[24:25], 0, s[56:57]
	v_lshl_add_u64 v[90:91], v[90:91], 0, v[92:93]
	s_or_b64 s[92:93], s[92:93], vcc
	s_andn2_b64 exec, exec, s[26:27]
	s_cbranch_execz .LBB18_2243
.LBB18_2236:                            ;   Parent Loop BB18_47 Depth=1
                                        ;     Parent Loop BB18_2083 Depth=2
                                        ;       Parent Loop BB18_2086 Depth=3
                                        ; =>      This Inner Loop Header: Depth=4
	global_load_dwordx4 v[24:27], v[90:91], off nt
	global_load_dwordx4 v[32:35], v[90:91], off offset:1024 nt
	global_load_dwordx4 v[36:39], v[90:91], off offset:2048 nt
	;; [unrolled: 1-line block ×3, first 2 shown]
	s_and_saveexec_b64 vcc, s[94:95]
	s_cbranch_execz .LBB18_2238
; %bb.2237:                             ;   in Loop: Header=BB18_2236 Depth=4
	global_store_dwordx4 v[88:89], v[8:11], off
	global_store_dwordx4 v[88:89], v[12:15], off offset:1024
	global_store_dwordx4 v[88:89], v[16:19], off offset:2048
	;; [unrolled: 1-line block ×3, first 2 shown]
	v_lshl_add_u64 v[88:89], v[88:89], 0, v[118:119]
.LBB18_2238:                            ;   in Loop: Header=BB18_2236 Depth=4
	s_or_b64 exec, exec, vcc
	v_sub_u32_e32 v4, v29, v84
	v_lshl_add_u64 v[90:91], v[90:91], 0, v[118:119]
	v_mov_b32_e32 v5, 0
	v_cmp_lt_i32_e64 s[94:95], 0, v4
	v_mov_b64_e32 v[92:93], 0
	s_and_saveexec_b64 vcc, s[94:95]
	s_cbranch_execz .LBB18_2235
; %bb.2239:                             ;   in Loop: Header=BB18_2236 Depth=4
	global_load_dwordx4 v[8:11], v[90:91], off nt
	global_load_dwordx4 v[12:15], v[90:91], off offset:1024 nt
	global_load_dwordx4 v[16:19], v[90:91], off offset:2048 nt
	;; [unrolled: 1-line block ×3, first 2 shown]
	v_lshl_add_u64 v[90:91], v[90:91], 0, s[56:57]
	v_mov_b32_e32 v5, v84
	v_mov_b64_e32 v[92:93], v[100:101]
	s_branch .LBB18_2235
.LBB18_2240:                            ;   in Loop: Header=BB18_2086 Depth=3
	v_cmp_lt_i32_e64 s[22:23], 0, v2
	s_and_saveexec_b64 s[24:25], s[4:5]
	s_cbranch_execnz .LBB18_2284
	s_branch .LBB18_2169
.LBB18_2241:                            ;   in Loop: Header=BB18_2086 Depth=3
	s_mov_b64 s[24:25], 0
	s_andn2_b64 vcc, exec, s[26:27]
	v_mov_b32_e32 v14, 0
	s_cbranch_vccz .LBB18_2233
.LBB18_2242:                            ;   in Loop: Header=BB18_2086 Depth=3
	v_mov_b32_e32 v4, v0
	v_mov_b32_e32 v15, v107
	s_and_saveexec_b64 s[22:23], s[24:25]
	s_cbranch_execnz .LBB18_2263
	s_branch .LBB18_2283
.LBB18_2243:                            ;   in Loop: Header=BB18_2086 Depth=3
	s_or_b64 exec, exec, s[26:27]
	s_and_b64 s[26:27], s[92:93], exec
.LBB18_2244:                            ;   in Loop: Header=BB18_2086 Depth=3
	s_or_b64 exec, exec, s[22:23]
	s_and_saveexec_b64 s[22:23], s[26:27]
	s_cbranch_execz .LBB18_2246
; %bb.2245:                             ;   in Loop: Header=BB18_2086 Depth=3
	global_store_dwordx4 v[88:89], v[8:11], off
	global_store_dwordx4 v[88:89], v[12:15], off offset:1024
	global_store_dwordx4 v[88:89], v[16:19], off offset:2048
	;; [unrolled: 1-line block ×3, first 2 shown]
.LBB18_2246:                            ;   in Loop: Header=BB18_2086 Depth=3
	s_or_b64 exec, exec, s[22:23]
	s_nop 0
	v_lshlrev_b32_e32 v20, 12, v28
	v_cmp_ne_u32_e32 vcc, v82, v20
                                        ; implicit-def: $vgpr14
                                        ; implicit-def: $vgpr4
                                        ; implicit-def: $vgpr15
	s_and_saveexec_b64 s[26:27], vcc
	s_cbranch_execz .LBB18_2262
; %bb.2247:                             ;   in Loop: Header=BB18_2086 Depth=3
	v_lshlrev_b32_e32 v4, 6, v29
	v_sub_u32_e32 v4, v107, v4
	v_ashrrev_i32_e32 v8, 31, v4
	v_lshrrev_b32_e32 v8, 26, v8
	v_add_u32_e32 v8, v4, v8
	v_sub_u32_e32 v5, v82, v20
	v_ashrrev_i32_e32 v9, 6, v8
	v_and_b32_e32 v8, 0xffffffc0, v8
	v_sub_u32_e32 v21, v4, v8
	v_ashrrev_i32_e32 v8, 31, v5
	v_lshrrev_b32_e32 v8, 22, v8
	v_add_u32_e32 v8, v5, v8
	v_lshlrev_b32_e32 v4, 4, v21
	v_and_b32_e32 v22, 0xfffffc00, v8
	v_lshl_add_u32 v4, v9, 10, v4
	v_sub_u32_e32 v24, v5, v22
	v_add_u32_e32 v10, v4, v20
	v_ashrrev_i32_e32 v11, 10, v8
	v_cmp_lt_i32_e32 vcc, 15, v24
	v_sub_u32_e32 v4, v5, v4
	s_mov_b64 s[94:95], 0
	v_addc_co_u32_e64 v5, s[22:23], 0, v11, vcc
	v_ashrrev_i32_e32 v11, 31, v10
	v_sub_u32_e32 v23, v5, v9
	v_lshl_add_u64 v[16:17], v[10:11], 0, v[78:79]
	v_cmp_lt_i32_e64 s[22:23], 15, v4
                                        ; implicit-def: $vgpr8_vgpr9
	s_and_saveexec_b64 s[92:93], s[22:23]
	s_cbranch_execz .LBB18_2257
; %bb.2248:                             ;   in Loop: Header=BB18_2086 Depth=3
	v_lshl_add_u64 v[18:19], v[10:11], 0, v[76:77]
	s_mov_b64 s[34:35], 0
                                        ; implicit-def: $sgpr30_sgpr31
                                        ; implicit-def: $vgpr8_vgpr9
	s_branch .LBB18_2250
.LBB18_2249:                            ;   in Loop: Header=BB18_2250 Depth=4
	s_or_b64 exec, exec, s[22:23]
	v_cmp_gt_i32_e64 s[22:23], 16, v4
	s_or_b64 s[94:95], s[22:23], s[94:95]
	s_andn2_b64 s[22:23], s[30:31], exec
	s_and_b64 s[30:31], s[34:35], exec
	s_or_b64 s[30:31], s[22:23], s[30:31]
	s_andn2_b64 exec, exec, s[94:95]
	s_cbranch_execz .LBB18_2256
.LBB18_2250:                            ;   Parent Loop BB18_47 Depth=1
                                        ;     Parent Loop BB18_2083 Depth=2
                                        ;       Parent Loop BB18_2086 Depth=3
                                        ; =>      This Inner Loop Header: Depth=4
	global_load_dwordx4 v[12:15], v[18:19], off nt
	s_and_saveexec_b64 s[22:23], s[34:35]
	s_cbranch_execz .LBB18_2252
; %bb.2251:                             ;   in Loop: Header=BB18_2250 Depth=4
	v_lshl_add_u64 v[26:27], v[16:17], 0, v[42:43]
	global_store_dwordx4 v[16:17], v[8:11], off
	v_mov_b64_e32 v[16:17], v[26:27]
.LBB18_2252:                            ;   in Loop: Header=BB18_2250 Depth=4
	s_or_b64 exec, exec, s[22:23]
	v_sub_u32_e32 v4, v4, v109
	v_lshl_add_u64 v[18:19], v[18:19], 0, v[42:43]
	v_cmp_lt_i32_e64 s[34:35], 15, v4
	s_and_saveexec_b64 s[22:23], s[34:35]
	s_cbranch_execz .LBB18_2254
; %bb.2253:                             ;   in Loop: Header=BB18_2250 Depth=4
	global_load_dwordx4 v[8:11], v[18:19], off nt
	v_lshl_add_u64 v[18:19], v[18:19], 0, s[58:59]
.LBB18_2254:                            ;   in Loop: Header=BB18_2250 Depth=4
	s_or_b64 exec, exec, s[22:23]
	v_sub_u32_e32 v23, v23, v84
	s_waitcnt vmcnt(0)
	global_store_dwordx4 v[16:17], v[12:15], off
	v_lshl_add_u64 v[16:17], v[16:17], 0, s[58:59]
	s_and_saveexec_b64 s[22:23], s[34:35]
	s_cbranch_execz .LBB18_2249
; %bb.2255:                             ;   in Loop: Header=BB18_2250 Depth=4
	v_sub_u32_e32 v23, v23, v84
	v_sub_u32_e32 v4, v4, v109
	v_lshl_add_u64 v[18:19], v[18:19], 0, v[114:115]
	v_lshl_add_u64 v[16:17], v[16:17], 0, v[114:115]
	s_branch .LBB18_2249
.LBB18_2256:                            ;   in Loop: Header=BB18_2086 Depth=3
	s_or_b64 exec, exec, s[94:95]
	s_and_b64 s[94:95], s[30:31], exec
.LBB18_2257:                            ;   in Loop: Header=BB18_2086 Depth=3
	s_or_b64 exec, exec, s[92:93]
	s_and_saveexec_b64 s[22:23], s[94:95]
	s_cbranch_execz .LBB18_2259
; %bb.2258:                             ;   in Loop: Header=BB18_2086 Depth=3
	global_store_dwordx4 v[16:17], v[8:11], off
.LBB18_2259:                            ;   in Loop: Header=BB18_2086 Depth=3
	s_or_b64 exec, exec, s[22:23]
	v_and_b32_e32 v5, 14, v82
	v_cndmask_b32_e32 v82, v24, v5, vcc
	v_cmp_ne_u32_e64 s[22:23], 0, v82
	s_mov_b64 s[94:95], s[24:25]
                                        ; implicit-def: $vgpr14
                                        ; implicit-def: $vgpr4
                                        ; implicit-def: $vgpr15
	s_and_saveexec_b64 s[92:93], s[22:23]
	s_cbranch_execz .LBB18_2261
; %bb.2260:                             ;   in Loop: Header=BB18_2086 Depth=3
	v_sub_u32_e32 v4, v24, v5
	v_cndmask_b32_e32 v4, 0, v4, vcc
	v_cmp_lt_i32_e32 vcc, 0, v23
	v_add3_u32 v14, v22, v20, v4
	s_or_b64 s[94:95], s[24:25], exec
	v_cndmask_b32_e32 v4, 0, v84, vcc
	v_sub_u32_e32 v4, v4, v23
	v_lshl_add_u32 v4, v4, 6, v21
	v_ashrrev_i32_e32 v5, 31, v4
	v_lshrrev_b32_e32 v5, 26, v5
	v_add_u32_e32 v5, v4, v5
	v_and_b32_e32 v5, 0xffffffc0, v5
	v_sub_u32_e32 v15, v4, v5
.LBB18_2261:                            ;   in Loop: Header=BB18_2086 Depth=3
	s_or_b64 exec, exec, s[92:93]
	s_andn2_b64 s[22:23], s[24:25], exec
	s_and_b64 s[24:25], s[94:95], exec
	s_or_b64 s[24:25], s[22:23], s[24:25]
.LBB18_2262:                            ;   in Loop: Header=BB18_2086 Depth=3
	s_or_b64 exec, exec, s[26:27]
	s_and_saveexec_b64 s[22:23], s[24:25]
	s_cbranch_execz .LBB18_2283
.LBB18_2263:                            ;   in Loop: Header=BB18_2086 Depth=3
	v_ashrrev_i32_e32 v5, 31, v4
	v_lshrrev_b32_e32 v5, 26, v5
	v_add_u32_e32 v4, v4, v5
	v_ashrrev_i32_e32 v4, 6, v4
	v_lshlrev_b32_e32 v5, 10, v4
	v_lshlrev_b32_e32 v8, 1, v15
	v_add3_u32 v10, v14, v8, v5
	v_ashrrev_i32_e32 v5, 31, v82
	v_lshrrev_b32_e32 v5, 22, v5
	v_add_u32_e32 v5, v82, v5
	v_ashrrev_i32_e32 v16, 10, v5
	v_sub_u32_e32 v4, v16, v4
	v_ashrrev_i32_e32 v11, 31, v10
	v_lshl_add_u64 v[8:9], v[78:79], 0, v[10:11]
	v_cmp_lt_i32_e32 vcc, 0, v4
	s_mov_b64 s[26:27], 0
                                        ; implicit-def: $vgpr17
                                        ; implicit-def: $vgpr18
                                        ; implicit-def: $vgpr19
                                        ; implicit-def: $vgpr20
                                        ; implicit-def: $vgpr21
                                        ; implicit-def: $vgpr22
                                        ; implicit-def: $vgpr23
                                        ; implicit-def: $vgpr24
	s_and_saveexec_b64 s[24:25], vcc
	s_cbranch_execz .LBB18_2271
; %bb.2264:                             ;   in Loop: Header=BB18_2086 Depth=3
	v_lshl_add_u64 v[10:11], v[10:11], 0, v[76:77]
	s_mov_b64 s[94:95], 0
                                        ; implicit-def: $sgpr92_sgpr93
                                        ; implicit-def: $vgpr17
                                        ; implicit-def: $vgpr18
                                        ; implicit-def: $vgpr19
                                        ; implicit-def: $vgpr20
                                        ; implicit-def: $vgpr21
                                        ; implicit-def: $vgpr22
                                        ; implicit-def: $vgpr23
                                        ; implicit-def: $vgpr24
	s_branch .LBB18_2266
.LBB18_2265:                            ;   in Loop: Header=BB18_2266 Depth=4
	s_or_b64 exec, exec, vcc
	v_sub_u32_e32 v4, v4, v34
	v_cmp_gt_i32_e32 vcc, 1, v4
	s_or_b64 s[26:27], vcc, s[26:27]
	s_waitcnt vmcnt(0) lgkmcnt(0)
	flat_store_short v[8:9], v5 nt
	flat_store_short v[8:9], v25 offset:128 nt
	flat_store_short v[8:9], v26 offset:256 nt
	;; [unrolled: 1-line block ×7, first 2 shown]
	v_lshl_add_u64 v[8:9], v[8:9], 0, v[12:13]
	s_andn2_b64 s[92:93], s[92:93], exec
	s_and_b64 vcc, s[94:95], exec
	v_lshl_add_u64 v[8:9], v[8:9], 0, s[58:59]
	v_lshl_add_u64 v[10:11], v[10:11], 0, v[12:13]
	s_or_b64 s[92:93], s[92:93], vcc
	s_andn2_b64 exec, exec, s[26:27]
	s_cbranch_execz .LBB18_2270
.LBB18_2266:                            ;   Parent Loop BB18_47 Depth=1
                                        ;     Parent Loop BB18_2083 Depth=2
                                        ;       Parent Loop BB18_2086 Depth=3
                                        ; =>      This Inner Loop Header: Depth=4
	flat_load_ushort v5, v[10:11] nt
	flat_load_ushort v25, v[10:11] offset:128 nt
	flat_load_ushort v26, v[10:11] offset:256 nt
	;; [unrolled: 1-line block ×7, first 2 shown]
	s_and_saveexec_b64 vcc, s[94:95]
	s_cbranch_execz .LBB18_2268
; %bb.2267:                             ;   in Loop: Header=BB18_2266 Depth=4
	flat_store_short v[8:9], v17 nt
	flat_store_short v[8:9], v18 offset:128 nt
	flat_store_short v[8:9], v19 offset:256 nt
	;; [unrolled: 1-line block ×7, first 2 shown]
	v_lshl_add_u64 v[8:9], v[8:9], 0, v[42:43]
.LBB18_2268:                            ;   in Loop: Header=BB18_2266 Depth=4
	s_or_b64 exec, exec, vcc
	v_sub_u32_e32 v4, v4, v84
	v_lshl_add_u64 v[10:11], v[10:11], 0, v[42:43]
	v_mov_b32_e32 v34, 0
	v_cmp_lt_i32_e64 s[94:95], 0, v4
	v_mov_b64_e32 v[12:13], 0
	s_and_saveexec_b64 vcc, s[94:95]
	s_cbranch_execz .LBB18_2265
; %bb.2269:                             ;   in Loop: Header=BB18_2266 Depth=4
	flat_load_ushort v17, v[10:11] nt
	flat_load_ushort v18, v[10:11] offset:128 nt
	flat_load_ushort v19, v[10:11] offset:256 nt
	flat_load_ushort v20, v[10:11] offset:384 nt
	flat_load_ushort v21, v[10:11] offset:512 nt
	flat_load_ushort v22, v[10:11] offset:640 nt
	flat_load_ushort v23, v[10:11] offset:768 nt
	flat_load_ushort v24, v[10:11] offset:896 nt
	v_lshl_add_u64 v[10:11], v[10:11], 0, s[58:59]
	v_mov_b32_e32 v34, v84
	v_mov_b64_e32 v[12:13], v[114:115]
	s_branch .LBB18_2265
.LBB18_2270:                            ;   in Loop: Header=BB18_2086 Depth=3
	s_or_b64 exec, exec, s[26:27]
	s_and_b64 s[26:27], s[92:93], exec
.LBB18_2271:                            ;   in Loop: Header=BB18_2086 Depth=3
	s_or_b64 exec, exec, s[24:25]
	s_and_saveexec_b64 s[24:25], s[26:27]
	s_cbranch_execz .LBB18_2273
; %bb.2272:                             ;   in Loop: Header=BB18_2086 Depth=3
	flat_store_short v[8:9], v17 nt
	flat_store_short v[8:9], v18 offset:128 nt
	flat_store_short v[8:9], v19 offset:256 nt
	;; [unrolled: 1-line block ×7, first 2 shown]
.LBB18_2273:                            ;   in Loop: Header=BB18_2086 Depth=3
	s_or_b64 exec, exec, s[24:25]
	v_lshlrev_b32_e32 v5, 10, v16
	v_cmp_ne_u32_e32 vcc, v82, v5
	s_and_b64 exec, exec, vcc
	s_cbranch_execz .LBB18_2283
; %bb.2274:                             ;   in Loop: Header=BB18_2086 Depth=3
	v_lshlrev_b32_e32 v4, 6, v4
	v_sub_u32_e32 v4, v15, v4
	v_ashrrev_i32_e32 v8, 31, v4
	v_lshrrev_b32_e32 v8, 26, v8
	v_add_u32_e32 v8, v4, v8
	v_and_b32_e32 v9, 0x7fffffc0, v8
	v_sub_u32_e32 v4, v4, v9
	v_lshlrev_b32_e32 v8, 1, v8
	v_and_b32_e32 v8, 0xffffff80, v8
	v_lshlrev_b32_e32 v4, 1, v4
	v_add3_u32 v4, v8, v4, v5
	v_sub_u32_e32 v5, v82, v4
	v_cmp_lt_i32_e32 vcc, 1, v5
	s_and_b64 exec, exec, vcc
	s_cbranch_execz .LBB18_2283
; %bb.2275:                             ;   in Loop: Header=BB18_2086 Depth=3
	v_add_u32_e32 v10, v4, v14
	v_ashrrev_i32_e32 v11, 31, v10
	v_lshl_add_u64 v[8:9], v[78:79], 0, v[10:11]
	v_lshl_add_u64 v[10:11], v[10:11], 0, v[76:77]
	s_mov_b64 s[92:93], 0
	s_mov_b64 s[24:25], 0
                                        ; implicit-def: $sgpr26_sgpr27
                                        ; implicit-def: $vgpr4
	s_branch .LBB18_2277
.LBB18_2276:                            ;   in Loop: Header=BB18_2277 Depth=4
	s_or_b64 exec, exec, s[94:95]
	v_sub_u32_e32 v5, v5, v15
	v_cmp_gt_i32_e32 vcc, 2, v5
	s_or_b64 s[24:25], vcc, s[24:25]
	s_waitcnt vmcnt(0) lgkmcnt(0)
	flat_store_short v[8:9], v14 nt
	v_lshl_add_u64 v[8:9], v[8:9], 0, v[12:13]
	s_andn2_b64 s[26:27], s[26:27], exec
	s_and_b64 s[94:95], s[92:93], exec
	v_lshl_add_u64 v[10:11], v[10:11], 0, v[12:13]
	v_lshl_add_u64 v[8:9], v[8:9], 0, s[60:61]
	s_or_b64 s[26:27], s[26:27], s[94:95]
	s_andn2_b64 exec, exec, s[24:25]
	s_cbranch_execz .LBB18_2281
.LBB18_2277:                            ;   Parent Loop BB18_47 Depth=1
                                        ;     Parent Loop BB18_2083 Depth=2
                                        ;       Parent Loop BB18_2086 Depth=3
                                        ; =>      This Inner Loop Header: Depth=4
	flat_load_ushort v14, v[10:11] nt
	s_and_saveexec_b64 s[94:95], s[92:93]
	s_cbranch_execz .LBB18_2279
; %bb.2278:                             ;   in Loop: Header=BB18_2277 Depth=4
	v_lshl_add_u64 v[12:13], v[8:9], 0, v[44:45]
	flat_store_short v[8:9], v4 nt
	v_mov_b64_e32 v[8:9], v[12:13]
.LBB18_2279:                            ;   in Loop: Header=BB18_2277 Depth=4
	s_or_b64 exec, exec, s[94:95]
	v_sub_u32_e32 v5, v5, v110
	v_lshl_add_u64 v[10:11], v[10:11], 0, v[44:45]
	v_cmp_lt_i32_e64 s[92:93], 1, v5
	v_mov_b64_e32 v[12:13], 0
	v_mov_b32_e32 v15, 0
	s_and_saveexec_b64 s[94:95], s[92:93]
	s_cbranch_execz .LBB18_2276
; %bb.2280:                             ;   in Loop: Header=BB18_2277 Depth=4
	flat_load_ushort v4, v[10:11] nt
	v_lshl_add_u64 v[10:11], v[10:11], 0, s[60:61]
	v_mov_b32_e32 v15, v110
	v_mov_b64_e32 v[12:13], v[116:117]
	s_branch .LBB18_2276
.LBB18_2281:                            ;   in Loop: Header=BB18_2086 Depth=3
	s_or_b64 exec, exec, s[24:25]
	s_and_b64 exec, exec, s[26:27]
	s_cbranch_execz .LBB18_2283
; %bb.2282:                             ;   in Loop: Header=BB18_2086 Depth=3
	flat_store_short v[8:9], v4 nt
.LBB18_2283:                            ;   in Loop: Header=BB18_2086 Depth=3
	s_or_b64 exec, exec, s[22:23]
	v_cmp_lt_i32_e64 s[22:23], 0, v2
	s_and_saveexec_b64 s[24:25], s[4:5]
	s_cbranch_execz .LBB18_2169
.LBB18_2284:                            ;   in Loop: Header=BB18_2086 Depth=3
	s_and_saveexec_b64 s[26:27], s[46:47]
	s_xor_b64 s[26:27], exec, s[26:27]
	s_cbranch_execz .LBB18_2299
; %bb.2285:                             ;   in Loop: Header=BB18_2086 Depth=3
	s_and_saveexec_b64 s[92:93], s[12:13]
	s_cbranch_execz .LBB18_2298
; %bb.2286:                             ;   in Loop: Header=BB18_2086 Depth=3
	s_mov_b64 s[30:31], exec
	v_mbcnt_lo_u32_b32 v2, s30, 0
	v_mbcnt_hi_u32_b32 v2, s31, v2
	v_cmp_eq_u32_e32 vcc, 0, v2
	s_waitcnt lgkmcnt(0)
	s_and_saveexec_b64 s[94:95], vcc
	s_cbranch_execz .LBB18_2288
; %bb.2287:                             ;   in Loop: Header=BB18_2086 Depth=3
	s_bcnt1_i32_b64 s45, s[30:31]
	v_mov_b32_e32 v2, s45
	ds_add_u64 v0, v[2:3]
	s_trap 2
.LBB18_2288:                            ;   in Loop: Header=BB18_2086 Depth=3
	s_or_b64 exec, exec, s[94:95]
	s_trap 2
	ds_read_b64 v[4:5], v0
	s_waitcnt lgkmcnt(0)
	v_lshl_add_u64 v[70:71], v[70:71], 0, v[84:85]
	v_cmp_lt_u64_e32 vcc, v[4:5], v[70:71]
	s_and_saveexec_b64 s[94:95], vcc
	s_cbranch_execz .LBB18_2297
; %bb.2289:                             ;   in Loop: Header=BB18_2086 Depth=3
	s_mov_b32 s45, 0
	s_mov_b64 s[30:31], 0
                                        ; implicit-def: $sgpr34_sgpr35
                                        ; implicit-def: $sgpr36_sgpr37
	s_branch .LBB18_2291
.LBB18_2290:                            ;   in Loop: Header=BB18_2291 Depth=4
	s_or_b64 exec, exec, s[48:49]
	s_and_b64 vcc, exec, vcc
	s_or_b64 s[30:31], vcc, s[30:31]
	s_andn2_b64 vcc, s[34:35], exec
	s_and_b64 s[34:35], s[36:37], exec
	s_or_b64 s[34:35], vcc, s[34:35]
	s_andn2_b64 exec, exec, s[30:31]
	s_cbranch_execz .LBB18_2295
.LBB18_2291:                            ;   Parent Loop BB18_47 Depth=1
                                        ;     Parent Loop BB18_2083 Depth=2
                                        ;       Parent Loop BB18_2086 Depth=3
                                        ; =>      This Inner Loop Header: Depth=4
	s_add_i32 s45, s45, 1
	s_cmpk_lg_i32 s45, 0x2710
	s_cselect_b64 s[38:39], -1, 0
	s_and_b64 vcc, exec, s[38:39]
	s_cbranch_vccz .LBB18_2293
; %bb.2292:                             ;   in Loop: Header=BB18_2291 Depth=4
	s_mov_b64 vcc, -1
	s_or_b64 s[36:37], s[36:37], exec
	s_and_saveexec_b64 s[48:49], s[38:39]
	s_cbranch_execz .LBB18_2290
	s_branch .LBB18_2294
.LBB18_2293:                            ;   in Loop: Header=BB18_2291 Depth=4
	s_trap 2
	ds_read_b64 v[4:5], v0
	s_andn2_b64 s[38:39], s[38:39], exec
	s_mov_b32 s45, 0
	s_waitcnt vmcnt(0) lgkmcnt(0)
	flat_load_dword v2, v[4:5] sc0 sc1
	s_waitcnt vmcnt(0) lgkmcnt(0)
	buffer_inv sc0 sc1
	v_cmp_eq_u32_e32 vcc, 0, v2
	s_and_b64 vcc, vcc, exec
	s_or_b64 s[38:39], s[38:39], vcc
	s_mov_b64 vcc, -1
	s_or_b64 s[36:37], s[36:37], exec
	s_and_saveexec_b64 s[48:49], s[38:39]
	s_cbranch_execz .LBB18_2290
.LBB18_2294:                            ;   in Loop: Header=BB18_2291 Depth=4
	s_sleep 1
	s_trap 2
	ds_read_b64 v[4:5], v0
	s_waitcnt lgkmcnt(0)
	s_andn2_b64 s[36:37], s[36:37], exec
	v_cmp_ge_u64_e32 vcc, v[4:5], v[70:71]
	s_orn2_b64 vcc, vcc, exec
	s_branch .LBB18_2290
.LBB18_2295:                            ;   in Loop: Header=BB18_2086 Depth=3
	s_or_b64 exec, exec, s[30:31]
	s_and_saveexec_b64 vcc, s[34:35]
	s_xor_b64 vcc, exec, vcc
	s_cbranch_execz .LBB18_2297
; %bb.2296:                             ;   in Loop: Header=BB18_2086 Depth=3
	ds_write_b32 v0, v111
	s_trap 2
.LBB18_2297:                            ;   in Loop: Header=BB18_2086 Depth=3
	s_or_b64 exec, exec, s[94:95]
	;;#ASMSTART
	s_wakeup
	;;#ASMEND
.LBB18_2298:                            ;   in Loop: Header=BB18_2086 Depth=3
	s_or_b64 exec, exec, s[92:93]
.LBB18_2299:                            ;   in Loop: Header=BB18_2086 Depth=3
	s_andn2_saveexec_b64 s[26:27], s[26:27]
	s_cbranch_execz .LBB18_2301
; %bb.2300:                             ;   in Loop: Header=BB18_2086 Depth=3
	s_waitcnt lgkmcnt(0)
	s_barrier
.LBB18_2301:                            ;   in Loop: Header=BB18_2086 Depth=3
	s_or_b64 exec, exec, s[26:27]
	s_or_b64 exec, exec, s[24:25]
                                        ; implicit-def: $vgpr2
	s_and_saveexec_b64 s[24:25], s[20:21]
	s_xor_b64 s[24:25], exec, s[24:25]
	s_cbranch_execnz .LBB18_2170
.LBB18_2302:                            ;   in Loop: Header=BB18_2086 Depth=3
	s_andn2_saveexec_b64 s[22:23], s[24:25]
	s_cbranch_execz .LBB18_2321
.LBB18_2303:                            ;   in Loop: Header=BB18_2086 Depth=3
	s_and_saveexec_b64 s[24:25], s[46:47]
	s_xor_b64 s[24:25], exec, s[24:25]
	s_cbranch_execz .LBB18_2318
; %bb.2304:                             ;   in Loop: Header=BB18_2086 Depth=3
	s_and_saveexec_b64 s[26:27], s[12:13]
	s_cbranch_execz .LBB18_2317
; %bb.2305:                             ;   in Loop: Header=BB18_2086 Depth=3
	s_mov_b64 s[94:95], exec
	v_mbcnt_lo_u32_b32 v2, s94, 0
	v_mbcnt_hi_u32_b32 v2, s95, v2
	v_cmp_eq_u32_e32 vcc, 0, v2
	;;#ASMSTART
	s_waitcnt lgkmcnt(0) vmcnt(0)
	;;#ASMEND
	s_and_saveexec_b64 s[92:93], vcc
	s_cbranch_execz .LBB18_2307
; %bb.2306:                             ;   in Loop: Header=BB18_2086 Depth=3
	s_bcnt1_i32_b64 s45, s[94:95]
	v_mov_b32_e32 v2, s45
	s_waitcnt lgkmcnt(0)
	ds_add_u64 v0, v[2:3]
	s_trap 2
.LBB18_2307:                            ;   in Loop: Header=BB18_2086 Depth=3
	s_or_b64 exec, exec, s[92:93]
	s_trap 2
	ds_read_b64 v[4:5], v0
	s_waitcnt lgkmcnt(0)
	v_lshl_add_u64 v[70:71], v[70:71], 0, v[84:85]
	v_cmp_lt_u64_e32 vcc, v[4:5], v[70:71]
	s_and_saveexec_b64 s[92:93], vcc
	s_cbranch_execz .LBB18_2316
; %bb.2308:                             ;   in Loop: Header=BB18_2086 Depth=3
	s_mov_b32 s45, 0
	s_mov_b64 s[94:95], 0
                                        ; implicit-def: $sgpr30_sgpr31
                                        ; implicit-def: $sgpr34_sgpr35
	s_branch .LBB18_2310
.LBB18_2309:                            ;   in Loop: Header=BB18_2310 Depth=4
	s_or_b64 exec, exec, s[38:39]
	s_and_b64 vcc, exec, vcc
	s_or_b64 s[94:95], vcc, s[94:95]
	s_andn2_b64 vcc, s[30:31], exec
	s_and_b64 s[30:31], s[34:35], exec
	s_or_b64 s[30:31], vcc, s[30:31]
	s_andn2_b64 exec, exec, s[94:95]
	s_cbranch_execz .LBB18_2314
.LBB18_2310:                            ;   Parent Loop BB18_47 Depth=1
                                        ;     Parent Loop BB18_2083 Depth=2
                                        ;       Parent Loop BB18_2086 Depth=3
                                        ; =>      This Inner Loop Header: Depth=4
	s_add_i32 s45, s45, 1
	s_cmpk_lg_i32 s45, 0x2710
	s_cselect_b64 s[36:37], -1, 0
	s_and_b64 vcc, exec, s[36:37]
	s_cbranch_vccz .LBB18_2312
; %bb.2311:                             ;   in Loop: Header=BB18_2310 Depth=4
	s_mov_b64 vcc, -1
	s_or_b64 s[34:35], s[34:35], exec
	s_and_saveexec_b64 s[38:39], s[36:37]
	s_cbranch_execz .LBB18_2309
	s_branch .LBB18_2313
.LBB18_2312:                            ;   in Loop: Header=BB18_2310 Depth=4
	s_trap 2
	ds_read_b64 v[4:5], v0
	s_andn2_b64 s[36:37], s[36:37], exec
	s_mov_b32 s45, 0
	s_waitcnt vmcnt(0) lgkmcnt(0)
	flat_load_dword v2, v[4:5] sc0 sc1
	s_waitcnt vmcnt(0) lgkmcnt(0)
	buffer_inv sc0 sc1
	v_cmp_eq_u32_e32 vcc, 0, v2
	s_and_b64 vcc, vcc, exec
	s_or_b64 s[36:37], s[36:37], vcc
	s_mov_b64 vcc, -1
	s_or_b64 s[34:35], s[34:35], exec
	s_and_saveexec_b64 s[38:39], s[36:37]
	s_cbranch_execz .LBB18_2309
.LBB18_2313:                            ;   in Loop: Header=BB18_2310 Depth=4
	s_sleep 1
	s_trap 2
	ds_read_b64 v[4:5], v0
	s_waitcnt lgkmcnt(0)
	s_andn2_b64 s[34:35], s[34:35], exec
	v_cmp_ge_u64_e32 vcc, v[4:5], v[70:71]
	s_orn2_b64 vcc, vcc, exec
	s_branch .LBB18_2309
.LBB18_2314:                            ;   in Loop: Header=BB18_2086 Depth=3
	s_or_b64 exec, exec, s[94:95]
	s_and_saveexec_b64 s[94:95], s[30:31]
	s_xor_b64 s[94:95], exec, s[94:95]
	s_cbranch_execz .LBB18_2316
; %bb.2315:                             ;   in Loop: Header=BB18_2086 Depth=3
	ds_write_b32 v0, v111
	s_trap 2
.LBB18_2316:                            ;   in Loop: Header=BB18_2086 Depth=3
	s_or_b64 exec, exec, s[92:93]
	;;#ASMSTART
	s_wakeup
	;;#ASMEND
.LBB18_2317:                            ;   in Loop: Header=BB18_2086 Depth=3
	s_or_b64 exec, exec, s[26:27]
.LBB18_2318:                            ;   in Loop: Header=BB18_2086 Depth=3
	s_andn2_saveexec_b64 s[24:25], s[24:25]
	s_cbranch_execz .LBB18_2320
; %bb.2319:                             ;   in Loop: Header=BB18_2086 Depth=3
	;;#ASMSTART
	s_waitcnt lgkmcnt(0) vmcnt(0)
	;;#ASMEND
	s_barrier
.LBB18_2320:                            ;   in Loop: Header=BB18_2086 Depth=3
	s_or_b64 exec, exec, s[24:25]
	v_and_b32_e32 v2, 16, v106
.LBB18_2321:                            ;   in Loop: Header=BB18_2086 Depth=3
	s_or_b64 exec, exec, s[22:23]
	v_cmp_ne_u32_e32 vcc, 0, v2
	s_xor_b64 s[22:23], s[6:7], -1
	s_and_b64 s[24:25], vcc, s[22:23]
	s_and_saveexec_b64 s[22:23], s[24:25]
	s_cbranch_execz .LBB18_2323
; %bb.2322:                             ;   in Loop: Header=BB18_2086 Depth=3
	flat_store_dword v[68:69], v111 sc0 sc1
.LBB18_2323:                            ;   in Loop: Header=BB18_2086 Depth=3
	s_or_b64 exec, exec, s[22:23]
	v_and_b32_e32 v2, 48, v106
	v_cmp_ne_u32_e32 vcc, 0, v2
	s_and_saveexec_b64 s[22:23], vcc
	s_cbranch_execz .LBB18_2085
; %bb.2324:                             ;   in Loop: Header=BB18_2086 Depth=3
	v_lshl_add_u64 v[56:57], v[56:57], 0, 2
	flat_store_dwordx2 v[64:65], v[56:57] sc0 sc1
	s_branch .LBB18_2085
.LBB18_2325:                            ;   in Loop: Header=BB18_2083 Depth=2
	s_or_b64 exec, exec, s[28:29]
	v_cmp_gt_i32_e32 vcc, 2, v2
	s_and_saveexec_b64 s[24:25], vcc
	s_cbranch_execz .LBB18_2401
.LBB18_2326:                            ;   in Loop: Header=BB18_2083 Depth=2
	v_cmp_eq_u32_e64 s[28:29], 0, v2
	s_mov_b64 s[26:27], 0
	s_branch .LBB18_2328
.LBB18_2327:                            ;   in Loop: Header=BB18_2328 Depth=3
	s_or_b64 exec, exec, s[22:23]
	v_add_u32_e32 v72, v62, v72
	s_mov_b64 s[28:29], 0
	s_andn2_b64 exec, exec, s[26:27]
	s_cbranch_execz .LBB18_2402
.LBB18_2328:                            ;   Parent Loop BB18_47 Depth=1
                                        ;     Parent Loop BB18_2083 Depth=2
                                        ; =>    This Loop Header: Depth=3
                                        ;         Child Loop BB18_2334 Depth 4
                                        ;         Child Loop BB18_2362 Depth 4
	;; [unrolled: 1-line block ×3, first 2 shown]
	v_sub_u32_e32 v2, v53, v72
	v_min_i32_e32 v62, v62, v2
	v_and_b32_e32 v2, 12, v106
	v_cmp_ne_u32_e32 vcc, 0, v2
	s_and_saveexec_b64 s[40:41], vcc
	s_cbranch_execz .LBB18_2354
; %bb.2329:                             ;   in Loop: Header=BB18_2328 Depth=3
	v_and_b32_e32 v2, 8, v106
	s_waitcnt vmcnt(0) lgkmcnt(0)
	v_lshl_add_u64 v[4:5], v[80:81], 0, v[2:3]
	v_lshl_add_u64 v[8:9], v[56:57], 0, 2
	v_cmp_lt_u64_e32 vcc, v[4:5], v[8:9]
	s_and_saveexec_b64 s[90:91], vcc
	s_cbranch_execz .LBB18_2341
; %bb.2330:                             ;   in Loop: Header=BB18_2328 Depth=3
	v_and_b32_e32 v4, 64, v106
	s_mov_b32 s43, 0
	v_cmp_eq_u32_e32 vcc, 0, v4
	s_mov_b64 s[92:93], 0
                                        ; implicit-def: $sgpr94_sgpr95
                                        ; implicit-def: $sgpr30_sgpr31
                                        ; implicit-def: $sgpr34_sgpr35
	s_branch .LBB18_2334
.LBB18_2331:                            ;   in Loop: Header=BB18_2334 Depth=4
	s_waitcnt vmcnt(0) lgkmcnt(0)
	v_lshl_add_u64 v[10:11], v[80:81], 0, v[2:3]
	v_cmp_ge_u64_e64 s[22:23], v[10:11], v[8:9]
	s_or_b64 s[48:49], s[48:49], exec
	s_orn2_b64 s[38:39], s[22:23], exec
.LBB18_2332:                            ;   in Loop: Header=BB18_2334 Depth=4
	s_or_b64 exec, exec, s[52:53]
	s_andn2_b64 s[22:23], s[34:35], exec
	s_and_b64 s[34:35], s[48:49], exec
	s_or_b64 s[34:35], s[22:23], s[34:35]
	s_andn2_b64 s[22:23], s[30:31], exec
	s_and_b64 s[30:31], s[38:39], exec
	s_or_b64 s[30:31], s[22:23], s[30:31]
.LBB18_2333:                            ;   in Loop: Header=BB18_2334 Depth=4
	s_or_b64 exec, exec, s[36:37]
	s_and_b64 s[22:23], exec, s[30:31]
	s_or_b64 s[92:93], s[22:23], s[92:93]
	s_andn2_b64 s[22:23], s[94:95], exec
	s_and_b64 s[94:95], s[34:35], exec
	s_or_b64 s[94:95], s[22:23], s[94:95]
	s_andn2_b64 exec, exec, s[92:93]
	s_cbranch_execz .LBB18_2338
.LBB18_2334:                            ;   Parent Loop BB18_47 Depth=1
                                        ;     Parent Loop BB18_2083 Depth=2
                                        ;       Parent Loop BB18_2328 Depth=3
                                        ; =>      This Inner Loop Header: Depth=4
	s_sleep 1
	s_waitcnt vmcnt(0) lgkmcnt(0)
	flat_load_dwordx2 v[80:81], v[64:65] sc0 sc1
	s_or_b64 s[34:35], s[34:35], exec
	s_or_b64 s[30:31], s[30:31], exec
                                        ; implicit-def: $vgpr4
	s_and_saveexec_b64 s[36:37], vcc
	s_cbranch_execz .LBB18_2333
; %bb.2335:                             ;   in Loop: Header=BB18_2334 Depth=4
	s_cmpk_lt_i32 s43, 0x270f
	s_cselect_b64 s[50:51], -1, 0
	s_cmpk_gt_i32 s43, 0x270e
	s_mov_b64 s[38:39], -1
	s_cbranch_scc0 .LBB18_2337
; %bb.2336:                             ;   in Loop: Header=BB18_2334 Depth=4
	s_trap 2
	ds_read_b64 v[4:5], v0
	s_andn2_b64 s[50:51], s[50:51], exec
	s_mov_b32 s43, 0
	s_mov_b64 s[48:49], 0
	s_waitcnt vmcnt(0) lgkmcnt(0)
	flat_load_dword v4, v[4:5] sc0 sc1
	s_waitcnt vmcnt(0) lgkmcnt(0)
	buffer_inv sc0 sc1
	v_cmp_eq_u32_e64 s[22:23], 0, v4
	s_and_b64 s[22:23], s[22:23], exec
	s_or_b64 s[50:51], s[50:51], s[22:23]
	s_and_saveexec_b64 s[52:53], s[50:51]
	s_cbranch_execz .LBB18_2332
	s_branch .LBB18_2331
.LBB18_2337:                            ;   in Loop: Header=BB18_2334 Depth=4
	s_add_i32 s43, s43, 1
	s_mov_b64 s[48:49], -1
                                        ; implicit-def: $vgpr4
	s_and_saveexec_b64 s[52:53], s[50:51]
	s_cbranch_execz .LBB18_2332
	s_branch .LBB18_2331
.LBB18_2338:                            ;   in Loop: Header=BB18_2328 Depth=3
	s_or_b64 exec, exec, s[92:93]
	s_xor_b64 s[22:23], s[94:95], -1
	s_and_saveexec_b64 s[92:93], s[22:23]
	s_xor_b64 s[22:23], exec, s[92:93]
	s_cbranch_execz .LBB18_2340
; %bb.2339:                             ;   in Loop: Header=BB18_2328 Depth=3
	v_or_b32_e32 v106, 64, v106
	s_waitcnt lgkmcnt(0)
	ds_write_b32 v0, v4
	s_trap 2
.LBB18_2340:                            ;   in Loop: Header=BB18_2328 Depth=3
	s_or_b64 exec, exec, s[22:23]
.LBB18_2341:                            ;   in Loop: Header=BB18_2328 Depth=3
	s_or_b64 exec, exec, s[90:91]
	v_and_b32_e32 v4, 0x108, v106
	v_cmp_ne_u32_e32 vcc, s87, v4
	;;#ASMSTART
	s_wakeup
	;;#ASMEND
                                        ; implicit-def: $vgpr10_vgpr11
	s_and_saveexec_b64 s[22:23], vcc
	s_xor_b64 s[22:23], exec, s[22:23]
; %bb.2342:                             ;   in Loop: Header=BB18_2328 Depth=3
	v_and_b32_e32 v10, 7, v56
	v_mov_b32_e32 v11, v3
                                        ; implicit-def: $vgpr56_vgpr57
; %bb.2343:                             ;   in Loop: Header=BB18_2328 Depth=3
	s_andn2_saveexec_b64 s[22:23], s[22:23]
	s_cbranch_execz .LBB18_2345
; %bb.2344:                             ;   in Loop: Header=BB18_2328 Depth=3
	v_and_b32_e32 v10, 7, v56
	v_ashrrev_i32_e32 v63, 31, v62
	v_mov_b32_e32 v11, v3
	v_mad_u64_u32 v[4:5], s[90:91], v10, 24, v[6:7]
	v_lshlrev_b64 v[12:13], 1, v[62:63]
	flat_store_dwordx2 v[4:5], v[12:13] offset:8
.LBB18_2345:                            ;   in Loop: Header=BB18_2328 Depth=3
	s_or_b64 exec, exec, s[22:23]
	v_and_b32_e32 v4, 0x100, v106
	v_cmp_ne_u32_e32 vcc, 0, v4
	s_mov_b64 s[22:23], -1
                                        ; implicit-def: $vgpr12_vgpr13
	s_and_saveexec_b64 s[90:91], vcc
	s_cbranch_execz .LBB18_2349
; %bb.2346:                             ;   in Loop: Header=BB18_2328 Depth=3
	v_mad_u64_u32 v[14:15], s[22:23], v10, 24, v[6:7]
	v_mov_b32_e32 v4, v15
	v_mad_u64_u32 v[4:5], s[22:23], v11, 24, v[4:5]
	v_mov_b32_e32 v15, v4
	flat_load_dword v4, v[14:15]
                                        ; implicit-def: $vgpr12_vgpr13
	s_waitcnt vmcnt(0) lgkmcnt(0)
	v_cmp_ne_u32_e32 vcc, 1, v4
	v_cmp_eq_u32_e64 s[22:23], 1, v4
	s_and_saveexec_b64 s[92:93], s[22:23]
	s_cbranch_execz .LBB18_2348
; %bb.2347:                             ;   in Loop: Header=BB18_2328 Depth=3
	flat_load_dword v4, v[14:15] offset:4 sc0 sc1
	s_waitcnt vmcnt(0) lgkmcnt(0)
	v_ashrrev_i32_e32 v5, 31, v4
	v_lshrrev_b64 v[12:13], 1, v[4:5]
.LBB18_2348:                            ;   in Loop: Header=BB18_2328 Depth=3
	s_or_b64 exec, exec, s[92:93]
	s_orn2_b64 s[22:23], vcc, exec
.LBB18_2349:                            ;   in Loop: Header=BB18_2328 Depth=3
	s_or_b64 exec, exec, s[90:91]
	s_and_saveexec_b64 s[90:91], s[22:23]
; %bb.2350:                             ;   in Loop: Header=BB18_2328 Depth=3
	v_mul_lo_u32 v4, v11, v30
	v_mul_lo_u32 v5, v10, v83
	v_mad_u64_u32 v[12:13], s[22:23], v10, v30, 0
	v_add3_u32 v13, v13, v5, v4
; %bb.2351:                             ;   in Loop: Header=BB18_2328 Depth=3
	s_or_b64 exec, exec, s[90:91]
	v_cmp_eq_u32_e32 vcc, 0, v2
	v_lshl_add_u64 v[4:5], v[12:13], 1, v[66:67]
	s_nop 0
	v_cndmask_b32_e32 v2, v125, v52, vcc
	v_add_u32_e32 v2, v0, v2
	ds_write_b64 v2, v[4:5] offset:584
	v_and_b32_e32 v2, 0x2000, v106
	v_cmp_ne_u32_e32 vcc, 0, v2
	s_and_saveexec_b64 s[22:23], vcc
	s_cbranch_execz .LBB18_2353
; %bb.2352:                             ;   in Loop: Header=BB18_2328 Depth=3
	ds_read_b64 v[4:5], v0 offset:872
	s_waitcnt lgkmcnt(0)
	v_lshl_add_u64 v[4:5], v[4:5], 0, 1
	ds_write_b64 v0, v[4:5] offset:872
.LBB18_2353:                            ;   in Loop: Header=BB18_2328 Depth=3
	s_or_b64 exec, exec, s[22:23]
	v_mov_b64_e32 v[56:57], v[8:9]
.LBB18_2354:                            ;   in Loop: Header=BB18_2328 Depth=3
	s_or_b64 exec, exec, s[40:41]
	s_xor_b64 s[22:23], s[28:29], -1
	s_and_b64 s[22:23], exec, s[22:23]
	s_or_b64 s[26:27], s[22:23], s[26:27]
	s_and_saveexec_b64 s[22:23], s[4:5]
	s_cbranch_execz .LBB18_2373
; %bb.2355:                             ;   in Loop: Header=BB18_2328 Depth=3
	s_and_saveexec_b64 s[28:29], s[46:47]
	s_xor_b64 s[28:29], exec, s[28:29]
	s_cbranch_execz .LBB18_2370
; %bb.2356:                             ;   in Loop: Header=BB18_2328 Depth=3
	s_and_saveexec_b64 s[40:41], s[12:13]
	s_cbranch_execz .LBB18_2369
; %bb.2357:                             ;   in Loop: Header=BB18_2328 Depth=3
	s_mov_b64 s[92:93], exec
	v_mbcnt_lo_u32_b32 v2, s92, 0
	v_mbcnt_hi_u32_b32 v2, s93, v2
	v_cmp_eq_u32_e32 vcc, 0, v2
	s_waitcnt lgkmcnt(0)
	s_and_saveexec_b64 s[90:91], vcc
	s_cbranch_execz .LBB18_2359
; %bb.2358:                             ;   in Loop: Header=BB18_2328 Depth=3
	s_bcnt1_i32_b64 s43, s[92:93]
	v_mov_b32_e32 v2, s43
	ds_add_u64 v0, v[2:3]
	s_trap 2
.LBB18_2359:                            ;   in Loop: Header=BB18_2328 Depth=3
	s_or_b64 exec, exec, s[90:91]
	s_trap 2
	ds_read_b64 v[4:5], v0
	s_waitcnt lgkmcnt(0)
	v_lshl_add_u64 v[70:71], v[70:71], 0, v[84:85]
	v_cmp_lt_u64_e32 vcc, v[4:5], v[70:71]
	s_and_saveexec_b64 s[90:91], vcc
	s_cbranch_execz .LBB18_2368
; %bb.2360:                             ;   in Loop: Header=BB18_2328 Depth=3
	s_mov_b32 s43, 0
	s_mov_b64 s[92:93], 0
                                        ; implicit-def: $sgpr94_sgpr95
                                        ; implicit-def: $sgpr30_sgpr31
	s_branch .LBB18_2362
.LBB18_2361:                            ;   in Loop: Header=BB18_2362 Depth=4
	s_or_b64 exec, exec, s[36:37]
	s_and_b64 vcc, exec, vcc
	s_or_b64 s[92:93], vcc, s[92:93]
	s_andn2_b64 s[94:95], s[94:95], exec
	s_and_b64 vcc, s[30:31], exec
	s_or_b64 s[94:95], s[94:95], vcc
	s_andn2_b64 exec, exec, s[92:93]
	s_cbranch_execz .LBB18_2366
.LBB18_2362:                            ;   Parent Loop BB18_47 Depth=1
                                        ;     Parent Loop BB18_2083 Depth=2
                                        ;       Parent Loop BB18_2328 Depth=3
                                        ; =>      This Inner Loop Header: Depth=4
	s_add_i32 s43, s43, 1
	s_cmpk_lg_i32 s43, 0x2710
	s_cselect_b64 s[34:35], -1, 0
	s_and_b64 vcc, exec, s[34:35]
	s_cbranch_vccz .LBB18_2364
; %bb.2363:                             ;   in Loop: Header=BB18_2362 Depth=4
	s_mov_b64 vcc, -1
	s_or_b64 s[30:31], s[30:31], exec
	s_and_saveexec_b64 s[36:37], s[34:35]
	s_cbranch_execz .LBB18_2361
	s_branch .LBB18_2365
.LBB18_2364:                            ;   in Loop: Header=BB18_2362 Depth=4
	s_trap 2
	ds_read_b64 v[4:5], v0
	s_andn2_b64 s[34:35], s[34:35], exec
	s_mov_b32 s43, 0
	s_waitcnt vmcnt(0) lgkmcnt(0)
	flat_load_dword v2, v[4:5] sc0 sc1
	s_waitcnt vmcnt(0) lgkmcnt(0)
	buffer_inv sc0 sc1
	v_cmp_eq_u32_e32 vcc, 0, v2
	s_and_b64 vcc, vcc, exec
	s_or_b64 s[34:35], s[34:35], vcc
	s_mov_b64 vcc, -1
	s_or_b64 s[30:31], s[30:31], exec
	s_and_saveexec_b64 s[36:37], s[34:35]
	s_cbranch_execz .LBB18_2361
.LBB18_2365:                            ;   in Loop: Header=BB18_2362 Depth=4
	s_sleep 1
	s_trap 2
	ds_read_b64 v[4:5], v0
	s_waitcnt lgkmcnt(0)
	s_andn2_b64 s[30:31], s[30:31], exec
	v_cmp_ge_u64_e32 vcc, v[4:5], v[70:71]
	s_orn2_b64 vcc, vcc, exec
	s_branch .LBB18_2361
.LBB18_2366:                            ;   in Loop: Header=BB18_2328 Depth=3
	s_or_b64 exec, exec, s[92:93]
	s_and_saveexec_b64 s[92:93], s[94:95]
	s_xor_b64 s[92:93], exec, s[92:93]
	s_cbranch_execz .LBB18_2368
; %bb.2367:                             ;   in Loop: Header=BB18_2328 Depth=3
	ds_write_b32 v0, v111
	s_trap 2
.LBB18_2368:                            ;   in Loop: Header=BB18_2328 Depth=3
	s_or_b64 exec, exec, s[90:91]
	;;#ASMSTART
	s_wakeup
	;;#ASMEND
.LBB18_2369:                            ;   in Loop: Header=BB18_2328 Depth=3
	s_or_b64 exec, exec, s[40:41]
.LBB18_2370:                            ;   in Loop: Header=BB18_2328 Depth=3
	s_andn2_saveexec_b64 s[28:29], s[28:29]
	s_cbranch_execz .LBB18_2372
; %bb.2371:                             ;   in Loop: Header=BB18_2328 Depth=3
	s_waitcnt lgkmcnt(0)
	s_barrier
.LBB18_2372:                            ;   in Loop: Header=BB18_2328 Depth=3
	s_or_b64 exec, exec, s[28:29]
.LBB18_2373:                            ;   in Loop: Header=BB18_2328 Depth=3
	s_or_b64 exec, exec, s[22:23]
                                        ; implicit-def: $vgpr2
	s_and_saveexec_b64 s[22:23], s[20:21]
	s_xor_b64 s[22:23], exec, s[22:23]
	s_cbranch_execz .LBB18_2377
; %bb.2374:                             ;   in Loop: Header=BB18_2328 Depth=3
	s_trap 2
	ds_read_b32 v4, v0
	v_cmp_lt_i32_e32 vcc, 0, v62
	v_and_b32_e32 v5, 16, v106
	v_and_b32_e32 v2, 16, v106
	s_waitcnt lgkmcnt(0)
	v_readfirstlane_b32 s28, v4
	s_cmp_eq_u32 s28, 0
	s_cselect_b64 s[28:29], -1, 0
	s_and_b64 s[28:29], vcc, s[28:29]
	v_cmp_ne_u32_e32 vcc, 0, v5
	s_and_b64 s[40:41], vcc, s[28:29]
	s_and_saveexec_b64 s[28:29], s[40:41]
	s_cbranch_execz .LBB18_2376
; %bb.2375:                             ;   in Loop: Header=BB18_2328 Depth=3
	v_mov_b32_e32 v2, 1
	buffer_wbl2 sc1
	s_waitcnt vmcnt(0)
	buffer_inv sc1
.LBB18_2376:                            ;   in Loop: Header=BB18_2328 Depth=3
	s_or_b64 exec, exec, s[28:29]
	s_andn2_saveexec_b64 s[22:23], s[22:23]
	s_cbranch_execz .LBB18_2396
	s_branch .LBB18_2378
.LBB18_2377:                            ;   in Loop: Header=BB18_2328 Depth=3
	s_andn2_saveexec_b64 s[22:23], s[22:23]
	s_cbranch_execz .LBB18_2396
.LBB18_2378:                            ;   in Loop: Header=BB18_2328 Depth=3
	s_and_saveexec_b64 s[28:29], s[46:47]
	s_xor_b64 s[28:29], exec, s[28:29]
	s_cbranch_execz .LBB18_2393
; %bb.2379:                             ;   in Loop: Header=BB18_2328 Depth=3
	s_and_saveexec_b64 s[40:41], s[12:13]
	s_cbranch_execz .LBB18_2392
; %bb.2380:                             ;   in Loop: Header=BB18_2328 Depth=3
	s_mov_b64 s[92:93], exec
	v_mbcnt_lo_u32_b32 v2, s92, 0
	v_mbcnt_hi_u32_b32 v2, s93, v2
	v_cmp_eq_u32_e32 vcc, 0, v2
	;;#ASMSTART
	s_waitcnt lgkmcnt(0) vmcnt(0)
	;;#ASMEND
	s_and_saveexec_b64 s[90:91], vcc
	s_cbranch_execz .LBB18_2382
; %bb.2381:                             ;   in Loop: Header=BB18_2328 Depth=3
	s_bcnt1_i32_b64 s43, s[92:93]
	v_mov_b32_e32 v2, s43
	s_waitcnt lgkmcnt(0)
	ds_add_u64 v0, v[2:3]
	s_trap 2
.LBB18_2382:                            ;   in Loop: Header=BB18_2328 Depth=3
	s_or_b64 exec, exec, s[90:91]
	s_trap 2
	ds_read_b64 v[4:5], v0
	s_waitcnt lgkmcnt(0)
	v_lshl_add_u64 v[70:71], v[70:71], 0, v[84:85]
	v_cmp_lt_u64_e32 vcc, v[4:5], v[70:71]
	s_and_saveexec_b64 s[90:91], vcc
	s_cbranch_execz .LBB18_2391
; %bb.2383:                             ;   in Loop: Header=BB18_2328 Depth=3
	s_mov_b32 s43, 0
	s_mov_b64 s[92:93], 0
                                        ; implicit-def: $sgpr94_sgpr95
                                        ; implicit-def: $sgpr30_sgpr31
	s_branch .LBB18_2385
.LBB18_2384:                            ;   in Loop: Header=BB18_2385 Depth=4
	s_or_b64 exec, exec, s[36:37]
	s_and_b64 vcc, exec, vcc
	s_or_b64 s[92:93], vcc, s[92:93]
	s_andn2_b64 s[94:95], s[94:95], exec
	s_and_b64 vcc, s[30:31], exec
	s_or_b64 s[94:95], s[94:95], vcc
	s_andn2_b64 exec, exec, s[92:93]
	s_cbranch_execz .LBB18_2389
.LBB18_2385:                            ;   Parent Loop BB18_47 Depth=1
                                        ;     Parent Loop BB18_2083 Depth=2
                                        ;       Parent Loop BB18_2328 Depth=3
                                        ; =>      This Inner Loop Header: Depth=4
	s_add_i32 s43, s43, 1
	s_cmpk_lg_i32 s43, 0x2710
	s_cselect_b64 s[34:35], -1, 0
	s_and_b64 vcc, exec, s[34:35]
	s_cbranch_vccz .LBB18_2387
; %bb.2386:                             ;   in Loop: Header=BB18_2385 Depth=4
	s_mov_b64 vcc, -1
	s_or_b64 s[30:31], s[30:31], exec
	s_and_saveexec_b64 s[36:37], s[34:35]
	s_cbranch_execz .LBB18_2384
	s_branch .LBB18_2388
.LBB18_2387:                            ;   in Loop: Header=BB18_2385 Depth=4
	s_trap 2
	ds_read_b64 v[4:5], v0
	s_andn2_b64 s[34:35], s[34:35], exec
	s_mov_b32 s43, 0
	s_waitcnt vmcnt(0) lgkmcnt(0)
	flat_load_dword v2, v[4:5] sc0 sc1
	s_waitcnt vmcnt(0) lgkmcnt(0)
	buffer_inv sc0 sc1
	v_cmp_eq_u32_e32 vcc, 0, v2
	s_and_b64 vcc, vcc, exec
	s_or_b64 s[34:35], s[34:35], vcc
	s_mov_b64 vcc, -1
	s_or_b64 s[30:31], s[30:31], exec
	s_and_saveexec_b64 s[36:37], s[34:35]
	s_cbranch_execz .LBB18_2384
.LBB18_2388:                            ;   in Loop: Header=BB18_2385 Depth=4
	s_sleep 1
	s_trap 2
	ds_read_b64 v[4:5], v0
	s_waitcnt lgkmcnt(0)
	s_andn2_b64 s[30:31], s[30:31], exec
	v_cmp_ge_u64_e32 vcc, v[4:5], v[70:71]
	s_orn2_b64 vcc, vcc, exec
	s_branch .LBB18_2384
.LBB18_2389:                            ;   in Loop: Header=BB18_2328 Depth=3
	s_or_b64 exec, exec, s[92:93]
	s_and_saveexec_b64 s[92:93], s[94:95]
	s_xor_b64 s[92:93], exec, s[92:93]
	s_cbranch_execz .LBB18_2391
; %bb.2390:                             ;   in Loop: Header=BB18_2328 Depth=3
	ds_write_b32 v0, v111
	s_trap 2
.LBB18_2391:                            ;   in Loop: Header=BB18_2328 Depth=3
	s_or_b64 exec, exec, s[90:91]
	;;#ASMSTART
	s_wakeup
	;;#ASMEND
.LBB18_2392:                            ;   in Loop: Header=BB18_2328 Depth=3
	s_or_b64 exec, exec, s[40:41]
.LBB18_2393:                            ;   in Loop: Header=BB18_2328 Depth=3
	s_andn2_saveexec_b64 s[28:29], s[28:29]
	s_cbranch_execz .LBB18_2395
; %bb.2394:                             ;   in Loop: Header=BB18_2328 Depth=3
	;;#ASMSTART
	s_waitcnt lgkmcnt(0) vmcnt(0)
	;;#ASMEND
	s_barrier
.LBB18_2395:                            ;   in Loop: Header=BB18_2328 Depth=3
	s_or_b64 exec, exec, s[28:29]
	v_and_b32_e32 v2, 16, v106
.LBB18_2396:                            ;   in Loop: Header=BB18_2328 Depth=3
	s_or_b64 exec, exec, s[22:23]
	v_cmp_ne_u32_e32 vcc, 0, v2
	s_xor_b64 s[22:23], s[6:7], -1
	s_and_b64 s[28:29], vcc, s[22:23]
	s_and_saveexec_b64 s[22:23], s[28:29]
	s_cbranch_execz .LBB18_2398
; %bb.2397:                             ;   in Loop: Header=BB18_2328 Depth=3
	flat_store_dword v[68:69], v111 sc0 sc1
.LBB18_2398:                            ;   in Loop: Header=BB18_2328 Depth=3
	s_or_b64 exec, exec, s[22:23]
	v_and_b32_e32 v2, 48, v106
	v_cmp_ne_u32_e32 vcc, 0, v2
	s_and_saveexec_b64 s[22:23], vcc
	s_cbranch_execz .LBB18_2327
; %bb.2399:                             ;   in Loop: Header=BB18_2328 Depth=3
	v_lshl_add_u64 v[56:57], v[56:57], 0, 2
	flat_store_dwordx2 v[64:65], v[56:57] sc0 sc1
	s_branch .LBB18_2327
.LBB18_2400:                            ;   in Loop: Header=BB18_2083 Depth=2
	s_or_b64 exec, exec, s[40:41]
	s_or_b64 exec, exec, s[28:29]
	v_cmp_gt_i32_e32 vcc, 2, v2
	s_and_saveexec_b64 s[24:25], vcc
	s_cbranch_execnz .LBB18_2326
.LBB18_2401:                            ;   in Loop: Header=BB18_2083 Depth=2
	s_or_b64 exec, exec, s[24:25]
	s_add_i32 s22, s42, 1
	s_cmp_eq_u32 s42, s84
	s_cbranch_scc0 .LBB18_2403
	s_branch .LBB18_2404
.LBB18_2402:                            ;   in Loop: Header=BB18_2083 Depth=2
	s_or_b64 exec, exec, s[26:27]
	s_or_b64 exec, exec, s[24:25]
	s_add_i32 s22, s42, 1
	s_cmp_eq_u32 s42, s84
	s_cbranch_scc1 .LBB18_2404
.LBB18_2403:                            ;   in Loop: Header=BB18_2083 Depth=2
	s_mov_b32 s42, s22
	s_branch .LBB18_2083
.LBB18_2404:                            ;   in Loop: Header=BB18_47 Depth=1
	v_mul_lo_u32 v2, v47, s85
	v_mul_lo_u32 v4, v46, s86
	v_mad_u64_u32 v[8:9], s[22:23], v46, s85, 0
	v_add3_u32 v9, v9, v4, v2
	scratch_load_dwordx2 v[4:5], off, s33 offset:256 ; 8-byte Folded Reload
	v_mov_b32_e32 v2, 0
	v_mov_b32_e32 v58, 0
	s_waitcnt vmcnt(0)
	v_sub_co_u32_e32 v4, vcc, v4, v8
	s_nop 1
	v_subb_co_u32_e32 v5, vcc, v5, v9, vcc
	v_cmp_lt_i64_e32 vcc, v[46:47], v[4:5]
	s_nop 1
	v_cndmask_b32_e32 v4, v4, v46, vcc
	v_max_i32_e32 v53, 0, v4
	v_add_u32_e32 v5, 31, v53
	v_ashrrev_i32_e32 v10, 31, v5
	v_lshrrev_b32_e32 v10, 27, v10
	v_add_u32_e32 v5, v5, v10
	v_ashrrev_i32_e32 v5, 5, v5
	v_lshlrev_b32_e32 v5, 4, v5
	v_cmp_lt_i32_e32 vcc, 0, v4
	v_max_i32_e32 v88, s69, v5
	s_and_b64 s[22:23], s[88:89], vcc
	s_and_saveexec_b64 s[24:25], s[22:23]
	s_cbranch_execz .LBB18_2573
; %bb.2405:                             ;   in Loop: Header=BB18_47 Depth=1
	v_lshl_add_u64 v[4:5], v[8:9], 0, v[60:61]
	s_mov_b32 s42, 1
	s_mov_b64 s[28:29], -1
	v_mov_b32_e32 v58, 0
	s_mov_b64 s[26:27], 0
	v_lshlrev_b64 v[60:61], 1, v[4:5]
	s_branch .LBB18_2407
.LBB18_2406:                            ;   in Loop: Header=BB18_2407 Depth=2
	s_or_b64 exec, exec, s[22:23]
	v_add_u32_e32 v58, v88, v58
	v_cmp_ge_i32_e32 vcc, v58, v53
	s_xor_b64 s[22:23], s[28:29], -1
	s_or_b64 s[22:23], s[22:23], vcc
	s_and_b64 s[22:23], exec, s[22:23]
	s_or_b64 s[26:27], s[22:23], s[26:27]
	s_mov_b64 s[28:29], 0
	v_mov_b32_e32 v2, s42
	s_mov_b32 s42, 2
	s_andn2_b64 exec, exec, s[26:27]
	s_cbranch_execz .LBB18_2572
.LBB18_2407:                            ;   Parent Loop BB18_47 Depth=1
                                        ; =>  This Loop Header: Depth=2
                                        ;       Child Loop BB18_2415 Depth 3
                                        ;       Child Loop BB18_2439 Depth 3
	;; [unrolled: 1-line block ×9, first 2 shown]
	s_and_saveexec_b64 s[22:23], s[0:1]
	s_cbranch_execz .LBB18_2409
; %bb.2408:                             ;   in Loop: Header=BB18_2407 Depth=2
	s_trap 2
	ds_read_b128 v[8:11], v0
	v_ashrrev_i32_e32 v59, 31, v58
	v_lshlrev_b64 v[4:5], 1, v[58:59]
	s_waitcnt lgkmcnt(0)
	v_lshl_add_u64 v[8:9], v[8:9], 0, v[60:61]
	v_lshl_add_u64 v[12:13], v[10:11], 0, v[60:61]
	;; [unrolled: 1-line block ×4, first 2 shown]
	v_cmp_ne_u64_e32 vcc, 0, v[10:11]
	ds_write_b64 v0, v[8:9]
	s_nop 0
	v_cndmask_b32_e32 v5, 0, v5, vcc
	v_cndmask_b32_e32 v4, 0, v4, vcc
	ds_write_b64 v0, v[4:5]
.LBB18_2409:                            ;   in Loop: Header=BB18_2407 Depth=2
	s_or_b64 exec, exec, s[22:23]
	v_and_b32_e32 v2, 4, v106
	v_cmp_ne_u32_e32 vcc, 0, v2
	s_and_saveexec_b64 s[40:41], vcc
	s_cbranch_execz .LBB18_2431
; %bb.2410:                             ;   in Loop: Header=BB18_2407 Depth=2
	v_lshl_add_u64 v[8:9], v[56:57], 0, 2
	s_waitcnt vmcnt(0) lgkmcnt(0)
	v_cmp_lt_u64_e32 vcc, v[80:81], v[8:9]
	s_and_saveexec_b64 s[90:91], vcc
	s_cbranch_execz .LBB18_2422
; %bb.2411:                             ;   in Loop: Header=BB18_2407 Depth=2
	v_and_b32_e32 v2, 64, v106
	s_mov_b32 s43, 0
	v_cmp_eq_u32_e32 vcc, 0, v2
	s_mov_b64 s[92:93], 0
                                        ; implicit-def: $sgpr94_sgpr95
                                        ; implicit-def: $sgpr30_sgpr31
                                        ; implicit-def: $sgpr34_sgpr35
	s_branch .LBB18_2415
.LBB18_2412:                            ;   in Loop: Header=BB18_2415 Depth=3
	s_waitcnt vmcnt(0) lgkmcnt(0)
	v_cmp_ge_u64_e64 s[22:23], v[80:81], v[8:9]
	s_or_b64 s[48:49], s[48:49], exec
	s_orn2_b64 s[38:39], s[22:23], exec
.LBB18_2413:                            ;   in Loop: Header=BB18_2415 Depth=3
	s_or_b64 exec, exec, s[52:53]
	s_andn2_b64 s[22:23], s[34:35], exec
	s_and_b64 s[34:35], s[48:49], exec
	s_or_b64 s[34:35], s[22:23], s[34:35]
	s_andn2_b64 s[22:23], s[30:31], exec
	s_and_b64 s[30:31], s[38:39], exec
	s_or_b64 s[30:31], s[22:23], s[30:31]
.LBB18_2414:                            ;   in Loop: Header=BB18_2415 Depth=3
	s_or_b64 exec, exec, s[36:37]
	s_and_b64 s[22:23], exec, s[30:31]
	s_or_b64 s[92:93], s[22:23], s[92:93]
	s_andn2_b64 s[22:23], s[94:95], exec
	s_and_b64 s[94:95], s[34:35], exec
	s_or_b64 s[94:95], s[22:23], s[94:95]
	s_andn2_b64 exec, exec, s[92:93]
	s_cbranch_execz .LBB18_2419
.LBB18_2415:                            ;   Parent Loop BB18_47 Depth=1
                                        ;     Parent Loop BB18_2407 Depth=2
                                        ; =>    This Inner Loop Header: Depth=3
	s_sleep 1
	s_waitcnt vmcnt(0) lgkmcnt(0)
	flat_load_dwordx2 v[80:81], v[64:65] sc0 sc1
	s_or_b64 s[34:35], s[34:35], exec
	s_or_b64 s[30:31], s[30:31], exec
                                        ; implicit-def: $vgpr2
	s_and_saveexec_b64 s[36:37], vcc
	s_cbranch_execz .LBB18_2414
; %bb.2416:                             ;   in Loop: Header=BB18_2415 Depth=3
	s_cmpk_lt_i32 s43, 0x270f
	s_cselect_b64 s[50:51], -1, 0
	s_cmpk_gt_i32 s43, 0x270e
	s_mov_b64 s[38:39], -1
	s_cbranch_scc0 .LBB18_2418
; %bb.2417:                             ;   in Loop: Header=BB18_2415 Depth=3
	s_trap 2
	ds_read_b64 v[4:5], v0
	s_andn2_b64 s[50:51], s[50:51], exec
	s_mov_b32 s43, 0
	s_mov_b64 s[48:49], 0
	s_waitcnt vmcnt(0) lgkmcnt(0)
	flat_load_dword v2, v[4:5] sc0 sc1
	s_waitcnt vmcnt(0) lgkmcnt(0)
	buffer_inv sc0 sc1
	v_cmp_eq_u32_e64 s[22:23], 0, v2
	s_and_b64 s[22:23], s[22:23], exec
	s_or_b64 s[50:51], s[50:51], s[22:23]
	s_and_saveexec_b64 s[52:53], s[50:51]
	s_cbranch_execz .LBB18_2413
	s_branch .LBB18_2412
.LBB18_2418:                            ;   in Loop: Header=BB18_2415 Depth=3
	s_add_i32 s43, s43, 1
	s_mov_b64 s[48:49], -1
                                        ; implicit-def: $vgpr2
	s_and_saveexec_b64 s[52:53], s[50:51]
	s_cbranch_execz .LBB18_2413
	s_branch .LBB18_2412
.LBB18_2419:                            ;   in Loop: Header=BB18_2407 Depth=2
	s_or_b64 exec, exec, s[92:93]
	s_xor_b64 s[22:23], s[94:95], -1
	s_and_saveexec_b64 s[92:93], s[22:23]
	s_xor_b64 s[22:23], exec, s[92:93]
	s_cbranch_execz .LBB18_2421
; %bb.2420:                             ;   in Loop: Header=BB18_2407 Depth=2
	v_or_b32_e32 v106, 64, v106
	s_waitcnt lgkmcnt(0)
	ds_write_b32 v0, v2
	s_trap 2
.LBB18_2421:                            ;   in Loop: Header=BB18_2407 Depth=2
	s_or_b64 exec, exec, s[22:23]
.LBB18_2422:                            ;   in Loop: Header=BB18_2407 Depth=2
	s_or_b64 exec, exec, s[90:91]
	v_and_b32_e32 v2, 0x100, v106
	v_cmp_ne_u32_e32 vcc, 0, v2
	v_and_b32_e32 v2, 7, v56
	s_mov_b64 s[22:23], -1
	;;#ASMSTART
	s_wakeup
	;;#ASMEND
                                        ; implicit-def: $vgpr10_vgpr11
	s_and_saveexec_b64 s[90:91], vcc
	s_cbranch_execz .LBB18_2426
; %bb.2423:                             ;   in Loop: Header=BB18_2407 Depth=2
	v_mad_u64_u32 v[12:13], s[22:23], v2, 24, v[6:7]
	flat_load_dword v4, v[12:13]
                                        ; implicit-def: $vgpr10_vgpr11
	s_waitcnt vmcnt(0) lgkmcnt(0)
	v_cmp_ne_u32_e32 vcc, 1, v4
	v_cmp_eq_u32_e64 s[22:23], 1, v4
	s_and_saveexec_b64 s[92:93], s[22:23]
	s_cbranch_execz .LBB18_2425
; %bb.2424:                             ;   in Loop: Header=BB18_2407 Depth=2
	flat_load_dword v4, v[12:13] offset:4 sc0 sc1
	s_waitcnt vmcnt(0) lgkmcnt(0)
	v_ashrrev_i32_e32 v5, 31, v4
	v_lshrrev_b64 v[10:11], 1, v[4:5]
.LBB18_2425:                            ;   in Loop: Header=BB18_2407 Depth=2
	s_or_b64 exec, exec, s[92:93]
	s_orn2_b64 s[22:23], vcc, exec
.LBB18_2426:                            ;   in Loop: Header=BB18_2407 Depth=2
	s_or_b64 exec, exec, s[90:91]
	s_and_saveexec_b64 s[90:91], s[22:23]
; %bb.2427:                             ;   in Loop: Header=BB18_2407 Depth=2
	v_mad_i64_i32 v[10:11], s[22:23], v2, v30, 0
; %bb.2428:                             ;   in Loop: Header=BB18_2407 Depth=2
	s_or_b64 exec, exec, s[90:91]
	v_and_b32_e32 v2, 0x2000, v106
	v_lshl_add_u64 v[4:5], v[10:11], 1, v[66:67]
	v_cmp_ne_u32_e32 vcc, 0, v2
	ds_write_b64 v0, v[4:5] offset:720
	s_and_saveexec_b64 s[22:23], vcc
	s_cbranch_execz .LBB18_2430
; %bb.2429:                             ;   in Loop: Header=BB18_2407 Depth=2
	ds_read_b64 v[4:5], v0 offset:872
	s_waitcnt lgkmcnt(0)
	v_lshl_add_u64 v[4:5], v[4:5], 0, 1
	ds_write_b64 v0, v[4:5] offset:872
.LBB18_2430:                            ;   in Loop: Header=BB18_2407 Depth=2
	s_or_b64 exec, exec, s[22:23]
	v_mov_b64_e32 v[56:57], v[8:9]
.LBB18_2431:                            ;   in Loop: Header=BB18_2407 Depth=2
	s_or_b64 exec, exec, s[40:41]
	s_and_saveexec_b64 s[22:23], s[4:5]
	s_cbranch_execz .LBB18_2450
; %bb.2432:                             ;   in Loop: Header=BB18_2407 Depth=2
	s_and_saveexec_b64 s[40:41], s[46:47]
	s_xor_b64 s[40:41], exec, s[40:41]
	s_cbranch_execz .LBB18_2447
; %bb.2433:                             ;   in Loop: Header=BB18_2407 Depth=2
	s_and_saveexec_b64 s[90:91], s[12:13]
	s_cbranch_execz .LBB18_2446
; %bb.2434:                             ;   in Loop: Header=BB18_2407 Depth=2
	s_mov_b64 s[94:95], exec
	v_mbcnt_lo_u32_b32 v2, s94, 0
	v_mbcnt_hi_u32_b32 v2, s95, v2
	v_cmp_eq_u32_e32 vcc, 0, v2
	s_waitcnt lgkmcnt(0)
	s_and_saveexec_b64 s[92:93], vcc
	s_cbranch_execz .LBB18_2436
; %bb.2435:                             ;   in Loop: Header=BB18_2407 Depth=2
	s_bcnt1_i32_b64 s43, s[94:95]
	v_mov_b32_e32 v2, s43
	ds_add_u64 v0, v[2:3]
	s_trap 2
.LBB18_2436:                            ;   in Loop: Header=BB18_2407 Depth=2
	s_or_b64 exec, exec, s[92:93]
	s_trap 2
	ds_read_b64 v[4:5], v0
	s_waitcnt lgkmcnt(0)
	v_lshl_add_u64 v[70:71], v[70:71], 0, v[84:85]
	v_cmp_lt_u64_e32 vcc, v[4:5], v[70:71]
	s_and_saveexec_b64 s[92:93], vcc
	s_cbranch_execz .LBB18_2445
; %bb.2437:                             ;   in Loop: Header=BB18_2407 Depth=2
	s_mov_b32 s43, 0
	s_mov_b64 s[94:95], 0
                                        ; implicit-def: $sgpr30_sgpr31
                                        ; implicit-def: $sgpr34_sgpr35
	s_branch .LBB18_2439
.LBB18_2438:                            ;   in Loop: Header=BB18_2439 Depth=3
	s_or_b64 exec, exec, s[38:39]
	s_and_b64 vcc, exec, vcc
	s_or_b64 s[94:95], vcc, s[94:95]
	s_andn2_b64 vcc, s[30:31], exec
	s_and_b64 s[30:31], s[34:35], exec
	s_or_b64 s[30:31], vcc, s[30:31]
	s_andn2_b64 exec, exec, s[94:95]
	s_cbranch_execz .LBB18_2443
.LBB18_2439:                            ;   Parent Loop BB18_47 Depth=1
                                        ;     Parent Loop BB18_2407 Depth=2
                                        ; =>    This Inner Loop Header: Depth=3
	s_add_i32 s43, s43, 1
	s_cmpk_lg_i32 s43, 0x2710
	s_cselect_b64 s[36:37], -1, 0
	s_and_b64 vcc, exec, s[36:37]
	s_cbranch_vccz .LBB18_2441
; %bb.2440:                             ;   in Loop: Header=BB18_2439 Depth=3
	s_mov_b64 vcc, -1
	s_or_b64 s[34:35], s[34:35], exec
	s_and_saveexec_b64 s[38:39], s[36:37]
	s_cbranch_execz .LBB18_2438
	s_branch .LBB18_2442
.LBB18_2441:                            ;   in Loop: Header=BB18_2439 Depth=3
	s_trap 2
	ds_read_b64 v[4:5], v0
	s_andn2_b64 s[36:37], s[36:37], exec
	s_mov_b32 s43, 0
	s_waitcnt vmcnt(0) lgkmcnt(0)
	flat_load_dword v2, v[4:5] sc0 sc1
	s_waitcnt vmcnt(0) lgkmcnt(0)
	buffer_inv sc0 sc1
	v_cmp_eq_u32_e32 vcc, 0, v2
	s_and_b64 vcc, vcc, exec
	s_or_b64 s[36:37], s[36:37], vcc
	s_mov_b64 vcc, -1
	s_or_b64 s[34:35], s[34:35], exec
	s_and_saveexec_b64 s[38:39], s[36:37]
	s_cbranch_execz .LBB18_2438
.LBB18_2442:                            ;   in Loop: Header=BB18_2439 Depth=3
	s_sleep 1
	s_trap 2
	ds_read_b64 v[4:5], v0
	s_waitcnt lgkmcnt(0)
	s_andn2_b64 s[34:35], s[34:35], exec
	v_cmp_ge_u64_e32 vcc, v[4:5], v[70:71]
	s_orn2_b64 vcc, vcc, exec
	s_branch .LBB18_2438
.LBB18_2443:                            ;   in Loop: Header=BB18_2407 Depth=2
	s_or_b64 exec, exec, s[94:95]
	s_and_saveexec_b64 s[94:95], s[30:31]
	s_xor_b64 s[94:95], exec, s[94:95]
	s_cbranch_execz .LBB18_2445
; %bb.2444:                             ;   in Loop: Header=BB18_2407 Depth=2
	ds_write_b32 v0, v111
	s_trap 2
.LBB18_2445:                            ;   in Loop: Header=BB18_2407 Depth=2
	s_or_b64 exec, exec, s[92:93]
	;;#ASMSTART
	s_wakeup
	;;#ASMEND
.LBB18_2446:                            ;   in Loop: Header=BB18_2407 Depth=2
	s_or_b64 exec, exec, s[90:91]
.LBB18_2447:                            ;   in Loop: Header=BB18_2407 Depth=2
	s_andn2_saveexec_b64 s[40:41], s[40:41]
	s_cbranch_execz .LBB18_2449
; %bb.2448:                             ;   in Loop: Header=BB18_2407 Depth=2
	s_waitcnt lgkmcnt(0)
	s_barrier
.LBB18_2449:                            ;   in Loop: Header=BB18_2407 Depth=2
	s_or_b64 exec, exec, s[40:41]
.LBB18_2450:                            ;   in Loop: Header=BB18_2407 Depth=2
	s_or_b64 exec, exec, s[22:23]
	s_trap 2
	ds_read_b32 v8, v0
	v_and_b32_e32 v2, 0x4000, v106
	v_cmp_ne_u32_e32 vcc, 0, v2
	s_xor_b64 s[22:23], s[2:3], -1
	s_and_b64 s[40:41], s[22:23], vcc
	s_and_saveexec_b64 s[22:23], s[40:41]
	s_cbranch_execz .LBB18_2469
; %bb.2451:                             ;   in Loop: Header=BB18_2407 Depth=2
	s_and_saveexec_b64 s[40:41], s[46:47]
	s_xor_b64 s[40:41], exec, s[40:41]
	s_cbranch_execz .LBB18_2466
; %bb.2452:                             ;   in Loop: Header=BB18_2407 Depth=2
	s_and_saveexec_b64 s[90:91], s[12:13]
	s_cbranch_execz .LBB18_2465
; %bb.2453:                             ;   in Loop: Header=BB18_2407 Depth=2
	s_mov_b64 s[94:95], exec
	v_mbcnt_lo_u32_b32 v2, s94, 0
	v_mbcnt_hi_u32_b32 v2, s95, v2
	v_cmp_eq_u32_e32 vcc, 0, v2
	s_waitcnt lgkmcnt(0)
	s_and_saveexec_b64 s[92:93], vcc
	s_cbranch_execz .LBB18_2455
; %bb.2454:                             ;   in Loop: Header=BB18_2407 Depth=2
	s_bcnt1_i32_b64 s43, s[94:95]
	v_mov_b32_e32 v2, s43
	ds_add_u64 v0, v[2:3]
	s_trap 2
.LBB18_2455:                            ;   in Loop: Header=BB18_2407 Depth=2
	s_or_b64 exec, exec, s[92:93]
	s_trap 2
	ds_read_b64 v[4:5], v0
	s_waitcnt lgkmcnt(0)
	v_lshl_add_u64 v[70:71], v[70:71], 0, v[84:85]
	v_cmp_lt_u64_e32 vcc, v[4:5], v[70:71]
	s_and_saveexec_b64 s[92:93], vcc
	s_cbranch_execz .LBB18_2464
; %bb.2456:                             ;   in Loop: Header=BB18_2407 Depth=2
	s_mov_b32 s43, 0
	s_mov_b64 s[94:95], 0
                                        ; implicit-def: $sgpr30_sgpr31
                                        ; implicit-def: $sgpr34_sgpr35
	s_branch .LBB18_2458
.LBB18_2457:                            ;   in Loop: Header=BB18_2458 Depth=3
	s_or_b64 exec, exec, s[38:39]
	s_and_b64 vcc, exec, vcc
	s_or_b64 s[94:95], vcc, s[94:95]
	s_andn2_b64 vcc, s[30:31], exec
	s_and_b64 s[30:31], s[34:35], exec
	s_or_b64 s[30:31], vcc, s[30:31]
	s_andn2_b64 exec, exec, s[94:95]
	s_cbranch_execz .LBB18_2462
.LBB18_2458:                            ;   Parent Loop BB18_47 Depth=1
                                        ;     Parent Loop BB18_2407 Depth=2
                                        ; =>    This Inner Loop Header: Depth=3
	s_add_i32 s43, s43, 1
	s_cmpk_lg_i32 s43, 0x2710
	s_cselect_b64 s[36:37], -1, 0
	s_and_b64 vcc, exec, s[36:37]
	s_cbranch_vccz .LBB18_2460
; %bb.2459:                             ;   in Loop: Header=BB18_2458 Depth=3
	s_mov_b64 vcc, -1
	s_or_b64 s[34:35], s[34:35], exec
	s_and_saveexec_b64 s[38:39], s[36:37]
	s_cbranch_execz .LBB18_2457
	s_branch .LBB18_2461
.LBB18_2460:                            ;   in Loop: Header=BB18_2458 Depth=3
	s_trap 2
	ds_read_b64 v[4:5], v0
	s_andn2_b64 s[36:37], s[36:37], exec
	s_mov_b32 s43, 0
	s_waitcnt vmcnt(0) lgkmcnt(0)
	flat_load_dword v2, v[4:5] sc0 sc1
	s_waitcnt vmcnt(0) lgkmcnt(0)
	buffer_inv sc0 sc1
	v_cmp_eq_u32_e32 vcc, 0, v2
	s_and_b64 vcc, vcc, exec
	s_or_b64 s[36:37], s[36:37], vcc
	s_mov_b64 vcc, -1
	s_or_b64 s[34:35], s[34:35], exec
	s_and_saveexec_b64 s[38:39], s[36:37]
	s_cbranch_execz .LBB18_2457
.LBB18_2461:                            ;   in Loop: Header=BB18_2458 Depth=3
	s_sleep 1
	s_trap 2
	ds_read_b64 v[4:5], v0
	s_waitcnt lgkmcnt(0)
	s_andn2_b64 s[34:35], s[34:35], exec
	v_cmp_ge_u64_e32 vcc, v[4:5], v[70:71]
	s_orn2_b64 vcc, vcc, exec
	s_branch .LBB18_2457
.LBB18_2462:                            ;   in Loop: Header=BB18_2407 Depth=2
	s_or_b64 exec, exec, s[94:95]
	s_and_saveexec_b64 s[94:95], s[30:31]
	s_xor_b64 s[94:95], exec, s[94:95]
	s_cbranch_execz .LBB18_2464
; %bb.2463:                             ;   in Loop: Header=BB18_2407 Depth=2
	ds_write_b32 v0, v111
	s_trap 2
.LBB18_2464:                            ;   in Loop: Header=BB18_2407 Depth=2
	s_or_b64 exec, exec, s[92:93]
	;;#ASMSTART
	s_wakeup
	;;#ASMEND
.LBB18_2465:                            ;   in Loop: Header=BB18_2407 Depth=2
	s_or_b64 exec, exec, s[90:91]
.LBB18_2466:                            ;   in Loop: Header=BB18_2407 Depth=2
	s_andn2_saveexec_b64 s[40:41], s[40:41]
	s_cbranch_execz .LBB18_2468
; %bb.2467:                             ;   in Loop: Header=BB18_2407 Depth=2
	s_waitcnt lgkmcnt(0)
	s_barrier
.LBB18_2468:                            ;   in Loop: Header=BB18_2407 Depth=2
	s_or_b64 exec, exec, s[40:41]
.LBB18_2469:                            ;   in Loop: Header=BB18_2407 Depth=2
	s_or_b64 exec, exec, s[22:23]
	s_trap 2
	ds_read_b64 v[62:63], v0
	v_sub_u32_e32 v2, v53, v58
	v_min_i32_e32 v88, v88, v2
	s_waitcnt lgkmcnt(0)
	v_cmp_eq_u64_e32 vcc, 0, v[62:63]
	s_cbranch_vccnz .LBB18_2477
; %bb.2470:                             ;   in Loop: Header=BB18_2407 Depth=2
	s_trap 2
	ds_read_b64 v[72:73], v0
	s_waitcnt lgkmcnt(0)
	v_cmp_eq_u64_e32 vcc, 0, v[72:73]
	s_cbranch_vccnz .LBB18_2477
; %bb.2471:                             ;   in Loop: Header=BB18_2407 Depth=2
	s_mov_b64 s[40:41], -1
	s_and_saveexec_b64 s[22:23], s[16:17]
	s_cbranch_execz .LBB18_2473
; %bb.2472:                             ;   in Loop: Header=BB18_2407 Depth=2
	ds_read_b32 v2, v0 offset:720
	s_waitcnt lgkmcnt(0)
	v_and_b32_e32 v2, 15, v2
	v_cmp_eq_u32_e32 vcc, 0, v2
	s_orn2_b64 s[40:41], vcc, exec
.LBB18_2473:                            ;   in Loop: Header=BB18_2407 Depth=2
	s_or_b64 exec, exec, s[22:23]
	s_and_saveexec_b64 s[22:23], s[14:15]
	s_cbranch_execz .LBB18_2475
; %bb.2474:                             ;   in Loop: Header=BB18_2407 Depth=2
	ds_read_b32 v2, v0 offset:784
	s_waitcnt lgkmcnt(0)
	v_and_b32_e32 v2, 15, v2
	v_cmp_eq_u32_e32 vcc, 0, v2
	s_and_b64 s[90:91], s[40:41], vcc
	s_andn2_b64 s[40:41], s[40:41], exec
	s_and_b64 s[90:91], s[90:91], exec
	s_or_b64 s[40:41], s[40:41], s[90:91]
.LBB18_2475:                            ;   in Loop: Header=BB18_2407 Depth=2
	s_or_b64 exec, exec, s[22:23]
	s_xor_b64 s[40:41], s[40:41], -1
	v_cndmask_b32_e64 v2, 0, 1, s[40:41]
	v_cmp_eq_u32_e64 s[22:23], 0, v8
	s_mov_b64 s[90:91], -1
	v_cmp_ne_u32_e32 vcc, 0, v2
	s_cbranch_vccz .LBB18_2482
; %bb.2476:                             ;   in Loop: Header=BB18_2407 Depth=2
	s_mov_b64 s[90:91], 0
	s_mov_b64 s[40:41], -1
	s_branch .LBB18_2483
.LBB18_2477:                            ;   in Loop: Header=BB18_2407 Depth=2
	s_mov_b64 s[22:23], 0
	s_and_saveexec_b64 s[40:41], s[4:5]
	s_cbranch_execnz .LBB18_2533
.LBB18_2478:                            ;   in Loop: Header=BB18_2407 Depth=2
	s_or_b64 exec, exec, s[40:41]
	s_and_saveexec_b64 s[40:41], s[20:21]
	s_xor_b64 s[40:41], exec, s[40:41]
	s_cbranch_execz .LBB18_2551
.LBB18_2479:                            ;   in Loop: Header=BB18_2407 Depth=2
	v_and_b32_e32 v2, 16, v106
	v_cmp_ne_u32_e32 vcc, 0, v2
	s_and_b64 s[90:91], vcc, s[22:23]
	s_and_saveexec_b64 s[22:23], s[90:91]
	s_cbranch_execz .LBB18_2481
; %bb.2480:                             ;   in Loop: Header=BB18_2407 Depth=2
	buffer_wbl2 sc1
	s_waitcnt vmcnt(0) lgkmcnt(0)
	buffer_inv sc1
.LBB18_2481:                            ;   in Loop: Header=BB18_2407 Depth=2
	s_or_b64 exec, exec, s[22:23]
	s_andn2_saveexec_b64 s[22:23], s[40:41]
	s_cbranch_execz .LBB18_2570
	s_branch .LBB18_2552
.LBB18_2482:                            ;   in Loop: Header=BB18_2407 Depth=2
	s_mov_b64 s[40:41], 0
.LBB18_2483:                            ;   in Loop: Header=BB18_2407 Depth=2
	v_cndmask_b32_e64 v2, 0, v88, s[22:23]
	v_lshlrev_b32_e32 v82, 1, v2
	s_andn2_b64 vcc, exec, s[90:91]
	v_mov_b32_e32 v14, 0
	s_cbranch_vccnz .LBB18_2491
; %bb.2484:                             ;   in Loop: Header=BB18_2407 Depth=2
	v_ashrrev_i32_e32 v4, 31, v82
	v_lshrrev_b32_e32 v4, 20, v4
	v_add_u32_e32 v4, v82, v4
	v_ashrrev_i32_e32 v28, 12, v4
	v_sub_u32_e32 v29, v28, v108
	v_lshl_add_u64 v[74:75], v[72:73], 0, v[104:105]
	v_cmp_lt_i32_e32 vcc, 0, v29
	s_mov_b64 s[90:91], 0
                                        ; implicit-def: $vgpr8_vgpr9
                                        ; implicit-def: $vgpr12_vgpr13
                                        ; implicit-def: $vgpr16_vgpr17
                                        ; implicit-def: $vgpr20_vgpr21
	s_and_saveexec_b64 s[22:23], vcc
	s_cbranch_execz .LBB18_2493
; %bb.2485:                             ;   in Loop: Header=BB18_2407 Depth=2
	v_lshl_add_u64 v[76:77], v[62:63], 0, v[104:105]
	s_mov_b64 s[94:95], 0
                                        ; implicit-def: $sgpr92_sgpr93
                                        ; implicit-def: $vgpr8_vgpr9
                                        ; implicit-def: $vgpr12_vgpr13
                                        ; implicit-def: $vgpr16_vgpr17
                                        ; implicit-def: $vgpr20_vgpr21
	s_branch .LBB18_2487
.LBB18_2486:                            ;   in Loop: Header=BB18_2487 Depth=3
	s_or_b64 exec, exec, vcc
	v_sub_u32_e32 v29, v4, v5
	v_cmp_gt_i32_e32 vcc, 1, v29
	s_or_b64 s[90:91], vcc, s[90:91]
	s_waitcnt vmcnt(0)
	global_store_dwordx4 v[74:75], v[24:27], off
	global_store_dwordx4 v[74:75], v[32:35], off offset:1024
	global_store_dwordx4 v[74:75], v[36:39], off offset:2048
	;; [unrolled: 1-line block ×3, first 2 shown]
	v_lshl_add_u64 v[24:25], v[74:75], 0, v[78:79]
	s_andn2_b64 s[92:93], s[92:93], exec
	s_and_b64 vcc, s[94:95], exec
	v_lshl_add_u64 v[74:75], v[24:25], 0, s[56:57]
	v_lshl_add_u64 v[76:77], v[76:77], 0, v[78:79]
	s_or_b64 s[92:93], s[92:93], vcc
	s_andn2_b64 exec, exec, s[90:91]
	s_cbranch_execz .LBB18_2492
.LBB18_2487:                            ;   Parent Loop BB18_47 Depth=1
                                        ;     Parent Loop BB18_2407 Depth=2
                                        ; =>    This Inner Loop Header: Depth=3
	global_load_dwordx4 v[24:27], v[76:77], off nt
	global_load_dwordx4 v[32:35], v[76:77], off offset:1024 nt
	global_load_dwordx4 v[36:39], v[76:77], off offset:2048 nt
	;; [unrolled: 1-line block ×3, first 2 shown]
	s_and_saveexec_b64 vcc, s[94:95]
	s_cbranch_execz .LBB18_2489
; %bb.2488:                             ;   in Loop: Header=BB18_2487 Depth=3
	global_store_dwordx4 v[74:75], v[8:11], off
	global_store_dwordx4 v[74:75], v[12:15], off offset:1024
	global_store_dwordx4 v[74:75], v[16:19], off offset:2048
	;; [unrolled: 1-line block ×3, first 2 shown]
	v_lshl_add_u64 v[74:75], v[74:75], 0, v[118:119]
.LBB18_2489:                            ;   in Loop: Header=BB18_2487 Depth=3
	s_or_b64 exec, exec, vcc
	v_sub_u32_e32 v4, v29, v84
	v_lshl_add_u64 v[76:77], v[76:77], 0, v[118:119]
	v_mov_b32_e32 v5, 0
	v_cmp_lt_i32_e64 s[94:95], 0, v4
	v_mov_b64_e32 v[78:79], 0
	s_and_saveexec_b64 vcc, s[94:95]
	s_cbranch_execz .LBB18_2486
; %bb.2490:                             ;   in Loop: Header=BB18_2487 Depth=3
	global_load_dwordx4 v[8:11], v[76:77], off nt
	global_load_dwordx4 v[12:15], v[76:77], off offset:1024 nt
	global_load_dwordx4 v[16:19], v[76:77], off offset:2048 nt
	;; [unrolled: 1-line block ×3, first 2 shown]
	v_lshl_add_u64 v[76:77], v[76:77], 0, s[56:57]
	v_mov_b32_e32 v5, v84
	v_mov_b64_e32 v[78:79], v[100:101]
	s_branch .LBB18_2486
.LBB18_2491:                            ;   in Loop: Header=BB18_2407 Depth=2
	v_mov_b32_e32 v4, v0
	v_mov_b32_e32 v15, v107
	s_and_saveexec_b64 s[22:23], s[40:41]
	s_cbranch_execnz .LBB18_2512
	s_branch .LBB18_2532
.LBB18_2492:                            ;   in Loop: Header=BB18_2407 Depth=2
	s_or_b64 exec, exec, s[90:91]
	s_and_b64 s[90:91], s[92:93], exec
.LBB18_2493:                            ;   in Loop: Header=BB18_2407 Depth=2
	s_or_b64 exec, exec, s[22:23]
	s_and_saveexec_b64 s[22:23], s[90:91]
	s_cbranch_execz .LBB18_2495
; %bb.2494:                             ;   in Loop: Header=BB18_2407 Depth=2
	global_store_dwordx4 v[74:75], v[8:11], off
	global_store_dwordx4 v[74:75], v[12:15], off offset:1024
	global_store_dwordx4 v[74:75], v[16:19], off offset:2048
	;; [unrolled: 1-line block ×3, first 2 shown]
.LBB18_2495:                            ;   in Loop: Header=BB18_2407 Depth=2
	s_or_b64 exec, exec, s[22:23]
	s_nop 0
	v_lshlrev_b32_e32 v20, 12, v28
	v_cmp_ne_u32_e32 vcc, v82, v20
                                        ; implicit-def: $vgpr14
                                        ; implicit-def: $vgpr4
                                        ; implicit-def: $vgpr15
	s_and_saveexec_b64 s[90:91], vcc
	s_cbranch_execz .LBB18_2511
; %bb.2496:                             ;   in Loop: Header=BB18_2407 Depth=2
	v_lshlrev_b32_e32 v4, 6, v29
	v_sub_u32_e32 v4, v107, v4
	v_ashrrev_i32_e32 v8, 31, v4
	v_lshrrev_b32_e32 v8, 26, v8
	v_add_u32_e32 v8, v4, v8
	v_sub_u32_e32 v5, v82, v20
	v_ashrrev_i32_e32 v9, 6, v8
	v_and_b32_e32 v8, 0xffffffc0, v8
	v_sub_u32_e32 v21, v4, v8
	v_ashrrev_i32_e32 v8, 31, v5
	v_lshrrev_b32_e32 v8, 22, v8
	v_add_u32_e32 v8, v5, v8
	v_lshlrev_b32_e32 v4, 4, v21
	v_and_b32_e32 v22, 0xfffffc00, v8
	v_lshl_add_u32 v4, v9, 10, v4
	v_sub_u32_e32 v24, v5, v22
	v_add_u32_e32 v10, v4, v20
	v_ashrrev_i32_e32 v11, 10, v8
	v_cmp_lt_i32_e32 vcc, 15, v24
	v_sub_u32_e32 v4, v5, v4
	s_mov_b64 s[94:95], 0
	v_addc_co_u32_e64 v5, s[22:23], 0, v11, vcc
	v_ashrrev_i32_e32 v11, 31, v10
	v_sub_u32_e32 v23, v5, v9
	v_lshl_add_u64 v[16:17], v[10:11], 0, v[72:73]
	v_cmp_lt_i32_e64 s[22:23], 15, v4
                                        ; implicit-def: $vgpr8_vgpr9
	s_and_saveexec_b64 s[92:93], s[22:23]
	s_cbranch_execz .LBB18_2506
; %bb.2497:                             ;   in Loop: Header=BB18_2407 Depth=2
	v_lshl_add_u64 v[18:19], v[10:11], 0, v[62:63]
	s_mov_b64 s[34:35], 0
                                        ; implicit-def: $sgpr30_sgpr31
                                        ; implicit-def: $vgpr8_vgpr9
	s_branch .LBB18_2499
.LBB18_2498:                            ;   in Loop: Header=BB18_2499 Depth=3
	s_or_b64 exec, exec, s[22:23]
	v_cmp_gt_i32_e64 s[22:23], 16, v4
	s_or_b64 s[94:95], s[22:23], s[94:95]
	s_andn2_b64 s[22:23], s[30:31], exec
	s_and_b64 s[30:31], s[34:35], exec
	s_or_b64 s[30:31], s[22:23], s[30:31]
	s_andn2_b64 exec, exec, s[94:95]
	s_cbranch_execz .LBB18_2505
.LBB18_2499:                            ;   Parent Loop BB18_47 Depth=1
                                        ;     Parent Loop BB18_2407 Depth=2
                                        ; =>    This Inner Loop Header: Depth=3
	global_load_dwordx4 v[12:15], v[18:19], off nt
	s_and_saveexec_b64 s[22:23], s[34:35]
	s_cbranch_execz .LBB18_2501
; %bb.2500:                             ;   in Loop: Header=BB18_2499 Depth=3
	v_lshl_add_u64 v[26:27], v[16:17], 0, v[42:43]
	global_store_dwordx4 v[16:17], v[8:11], off
	v_mov_b64_e32 v[16:17], v[26:27]
.LBB18_2501:                            ;   in Loop: Header=BB18_2499 Depth=3
	s_or_b64 exec, exec, s[22:23]
	v_sub_u32_e32 v4, v4, v109
	v_lshl_add_u64 v[18:19], v[18:19], 0, v[42:43]
	v_cmp_lt_i32_e64 s[34:35], 15, v4
	s_and_saveexec_b64 s[22:23], s[34:35]
	s_cbranch_execz .LBB18_2503
; %bb.2502:                             ;   in Loop: Header=BB18_2499 Depth=3
	global_load_dwordx4 v[8:11], v[18:19], off nt
	v_lshl_add_u64 v[18:19], v[18:19], 0, s[58:59]
.LBB18_2503:                            ;   in Loop: Header=BB18_2499 Depth=3
	s_or_b64 exec, exec, s[22:23]
	v_sub_u32_e32 v23, v23, v84
	s_waitcnt vmcnt(0)
	global_store_dwordx4 v[16:17], v[12:15], off
	v_lshl_add_u64 v[16:17], v[16:17], 0, s[58:59]
	s_and_saveexec_b64 s[22:23], s[34:35]
	s_cbranch_execz .LBB18_2498
; %bb.2504:                             ;   in Loop: Header=BB18_2499 Depth=3
	v_sub_u32_e32 v23, v23, v84
	v_sub_u32_e32 v4, v4, v109
	v_lshl_add_u64 v[18:19], v[18:19], 0, v[114:115]
	v_lshl_add_u64 v[16:17], v[16:17], 0, v[114:115]
	s_branch .LBB18_2498
.LBB18_2505:                            ;   in Loop: Header=BB18_2407 Depth=2
	s_or_b64 exec, exec, s[94:95]
	s_and_b64 s[94:95], s[30:31], exec
.LBB18_2506:                            ;   in Loop: Header=BB18_2407 Depth=2
	s_or_b64 exec, exec, s[92:93]
	s_and_saveexec_b64 s[22:23], s[94:95]
	s_cbranch_execz .LBB18_2508
; %bb.2507:                             ;   in Loop: Header=BB18_2407 Depth=2
	global_store_dwordx4 v[16:17], v[8:11], off
.LBB18_2508:                            ;   in Loop: Header=BB18_2407 Depth=2
	s_or_b64 exec, exec, s[22:23]
	v_and_b32_e32 v5, 14, v82
	v_cndmask_b32_e32 v82, v24, v5, vcc
	v_cmp_ne_u32_e64 s[22:23], 0, v82
	s_mov_b64 s[94:95], s[40:41]
                                        ; implicit-def: $vgpr14
                                        ; implicit-def: $vgpr4
                                        ; implicit-def: $vgpr15
	s_and_saveexec_b64 s[92:93], s[22:23]
	s_cbranch_execz .LBB18_2510
; %bb.2509:                             ;   in Loop: Header=BB18_2407 Depth=2
	v_sub_u32_e32 v4, v24, v5
	v_cndmask_b32_e32 v4, 0, v4, vcc
	v_cmp_lt_i32_e32 vcc, 0, v23
	v_add3_u32 v14, v22, v20, v4
	s_or_b64 s[94:95], s[40:41], exec
	v_cndmask_b32_e32 v4, 0, v84, vcc
	v_sub_u32_e32 v4, v4, v23
	v_lshl_add_u32 v4, v4, 6, v21
	v_ashrrev_i32_e32 v5, 31, v4
	v_lshrrev_b32_e32 v5, 26, v5
	v_add_u32_e32 v5, v4, v5
	v_and_b32_e32 v5, 0xffffffc0, v5
	v_sub_u32_e32 v15, v4, v5
.LBB18_2510:                            ;   in Loop: Header=BB18_2407 Depth=2
	s_or_b64 exec, exec, s[92:93]
	s_andn2_b64 s[22:23], s[40:41], exec
	s_and_b64 s[40:41], s[94:95], exec
	s_or_b64 s[40:41], s[22:23], s[40:41]
.LBB18_2511:                            ;   in Loop: Header=BB18_2407 Depth=2
	s_or_b64 exec, exec, s[90:91]
	s_and_saveexec_b64 s[22:23], s[40:41]
	s_cbranch_execz .LBB18_2532
.LBB18_2512:                            ;   in Loop: Header=BB18_2407 Depth=2
	v_ashrrev_i32_e32 v5, 31, v4
	v_lshrrev_b32_e32 v5, 26, v5
	v_add_u32_e32 v4, v4, v5
	v_ashrrev_i32_e32 v4, 6, v4
	v_lshlrev_b32_e32 v5, 10, v4
	v_lshlrev_b32_e32 v8, 1, v15
	v_add3_u32 v10, v14, v8, v5
	v_ashrrev_i32_e32 v5, 31, v82
	v_lshrrev_b32_e32 v5, 22, v5
	v_add_u32_e32 v5, v82, v5
	v_ashrrev_i32_e32 v16, 10, v5
	v_sub_u32_e32 v4, v16, v4
	v_ashrrev_i32_e32 v11, 31, v10
	v_lshl_add_u64 v[8:9], v[72:73], 0, v[10:11]
	v_cmp_lt_i32_e32 vcc, 0, v4
	s_mov_b64 s[90:91], 0
                                        ; implicit-def: $vgpr17
                                        ; implicit-def: $vgpr18
                                        ; implicit-def: $vgpr19
                                        ; implicit-def: $vgpr20
                                        ; implicit-def: $vgpr21
                                        ; implicit-def: $vgpr22
                                        ; implicit-def: $vgpr23
                                        ; implicit-def: $vgpr24
	s_and_saveexec_b64 s[40:41], vcc
	s_cbranch_execz .LBB18_2520
; %bb.2513:                             ;   in Loop: Header=BB18_2407 Depth=2
	v_lshl_add_u64 v[10:11], v[10:11], 0, v[62:63]
	s_mov_b64 s[94:95], 0
                                        ; implicit-def: $sgpr92_sgpr93
                                        ; implicit-def: $vgpr17
                                        ; implicit-def: $vgpr18
                                        ; implicit-def: $vgpr19
                                        ; implicit-def: $vgpr20
                                        ; implicit-def: $vgpr21
                                        ; implicit-def: $vgpr22
                                        ; implicit-def: $vgpr23
                                        ; implicit-def: $vgpr24
	s_branch .LBB18_2515
.LBB18_2514:                            ;   in Loop: Header=BB18_2515 Depth=3
	s_or_b64 exec, exec, vcc
	v_sub_u32_e32 v4, v4, v34
	v_cmp_gt_i32_e32 vcc, 1, v4
	s_or_b64 s[90:91], vcc, s[90:91]
	s_waitcnt vmcnt(0) lgkmcnt(0)
	flat_store_short v[8:9], v5 nt
	flat_store_short v[8:9], v25 offset:128 nt
	flat_store_short v[8:9], v26 offset:256 nt
	flat_store_short v[8:9], v27 offset:384 nt
	flat_store_short v[8:9], v28 offset:512 nt
	flat_store_short v[8:9], v29 offset:640 nt
	flat_store_short v[8:9], v32 offset:768 nt
	flat_store_short v[8:9], v33 offset:896 nt
	v_lshl_add_u64 v[8:9], v[8:9], 0, v[12:13]
	s_andn2_b64 s[92:93], s[92:93], exec
	s_and_b64 vcc, s[94:95], exec
	v_lshl_add_u64 v[8:9], v[8:9], 0, s[58:59]
	v_lshl_add_u64 v[10:11], v[10:11], 0, v[12:13]
	s_or_b64 s[92:93], s[92:93], vcc
	s_andn2_b64 exec, exec, s[90:91]
	s_cbranch_execz .LBB18_2519
.LBB18_2515:                            ;   Parent Loop BB18_47 Depth=1
                                        ;     Parent Loop BB18_2407 Depth=2
                                        ; =>    This Inner Loop Header: Depth=3
	flat_load_ushort v5, v[10:11] nt
	flat_load_ushort v25, v[10:11] offset:128 nt
	flat_load_ushort v26, v[10:11] offset:256 nt
	;; [unrolled: 1-line block ×7, first 2 shown]
	s_and_saveexec_b64 vcc, s[94:95]
	s_cbranch_execz .LBB18_2517
; %bb.2516:                             ;   in Loop: Header=BB18_2515 Depth=3
	flat_store_short v[8:9], v17 nt
	flat_store_short v[8:9], v18 offset:128 nt
	flat_store_short v[8:9], v19 offset:256 nt
	;; [unrolled: 1-line block ×7, first 2 shown]
	v_lshl_add_u64 v[8:9], v[8:9], 0, v[42:43]
.LBB18_2517:                            ;   in Loop: Header=BB18_2515 Depth=3
	s_or_b64 exec, exec, vcc
	v_sub_u32_e32 v4, v4, v84
	v_lshl_add_u64 v[10:11], v[10:11], 0, v[42:43]
	v_mov_b32_e32 v34, 0
	v_cmp_lt_i32_e64 s[94:95], 0, v4
	v_mov_b64_e32 v[12:13], 0
	s_and_saveexec_b64 vcc, s[94:95]
	s_cbranch_execz .LBB18_2514
; %bb.2518:                             ;   in Loop: Header=BB18_2515 Depth=3
	flat_load_ushort v17, v[10:11] nt
	flat_load_ushort v18, v[10:11] offset:128 nt
	flat_load_ushort v19, v[10:11] offset:256 nt
	flat_load_ushort v20, v[10:11] offset:384 nt
	flat_load_ushort v21, v[10:11] offset:512 nt
	flat_load_ushort v22, v[10:11] offset:640 nt
	flat_load_ushort v23, v[10:11] offset:768 nt
	flat_load_ushort v24, v[10:11] offset:896 nt
	v_lshl_add_u64 v[10:11], v[10:11], 0, s[58:59]
	v_mov_b32_e32 v34, v84
	v_mov_b64_e32 v[12:13], v[114:115]
	s_branch .LBB18_2514
.LBB18_2519:                            ;   in Loop: Header=BB18_2407 Depth=2
	s_or_b64 exec, exec, s[90:91]
	s_and_b64 s[90:91], s[92:93], exec
.LBB18_2520:                            ;   in Loop: Header=BB18_2407 Depth=2
	s_or_b64 exec, exec, s[40:41]
	s_and_saveexec_b64 s[40:41], s[90:91]
	s_cbranch_execz .LBB18_2522
; %bb.2521:                             ;   in Loop: Header=BB18_2407 Depth=2
	flat_store_short v[8:9], v17 nt
	flat_store_short v[8:9], v18 offset:128 nt
	flat_store_short v[8:9], v19 offset:256 nt
	;; [unrolled: 1-line block ×7, first 2 shown]
.LBB18_2522:                            ;   in Loop: Header=BB18_2407 Depth=2
	s_or_b64 exec, exec, s[40:41]
	v_lshlrev_b32_e32 v5, 10, v16
	v_cmp_ne_u32_e32 vcc, v82, v5
	s_and_b64 exec, exec, vcc
	s_cbranch_execz .LBB18_2532
; %bb.2523:                             ;   in Loop: Header=BB18_2407 Depth=2
	v_lshlrev_b32_e32 v4, 6, v4
	v_sub_u32_e32 v4, v15, v4
	v_ashrrev_i32_e32 v8, 31, v4
	v_lshrrev_b32_e32 v8, 26, v8
	v_add_u32_e32 v8, v4, v8
	v_and_b32_e32 v9, 0x7fffffc0, v8
	v_sub_u32_e32 v4, v4, v9
	v_lshlrev_b32_e32 v8, 1, v8
	v_and_b32_e32 v8, 0xffffff80, v8
	v_lshlrev_b32_e32 v4, 1, v4
	v_add3_u32 v4, v8, v4, v5
	v_sub_u32_e32 v5, v82, v4
	v_cmp_lt_i32_e32 vcc, 1, v5
	s_and_b64 exec, exec, vcc
	s_cbranch_execz .LBB18_2532
; %bb.2524:                             ;   in Loop: Header=BB18_2407 Depth=2
	v_add_u32_e32 v10, v4, v14
	v_ashrrev_i32_e32 v11, 31, v10
	v_lshl_add_u64 v[8:9], v[72:73], 0, v[10:11]
	v_lshl_add_u64 v[10:11], v[10:11], 0, v[62:63]
	s_mov_b64 s[92:93], 0
	s_mov_b64 s[40:41], 0
                                        ; implicit-def: $sgpr90_sgpr91
                                        ; implicit-def: $vgpr4
	s_branch .LBB18_2526
.LBB18_2525:                            ;   in Loop: Header=BB18_2526 Depth=3
	s_or_b64 exec, exec, s[94:95]
	v_sub_u32_e32 v5, v5, v15
	v_cmp_gt_i32_e32 vcc, 2, v5
	s_or_b64 s[40:41], vcc, s[40:41]
	s_waitcnt vmcnt(0) lgkmcnt(0)
	flat_store_short v[8:9], v14 nt
	v_lshl_add_u64 v[8:9], v[8:9], 0, v[12:13]
	s_andn2_b64 s[90:91], s[90:91], exec
	s_and_b64 s[94:95], s[92:93], exec
	v_lshl_add_u64 v[10:11], v[10:11], 0, v[12:13]
	v_lshl_add_u64 v[8:9], v[8:9], 0, s[60:61]
	s_or_b64 s[90:91], s[90:91], s[94:95]
	s_andn2_b64 exec, exec, s[40:41]
	s_cbranch_execz .LBB18_2530
.LBB18_2526:                            ;   Parent Loop BB18_47 Depth=1
                                        ;     Parent Loop BB18_2407 Depth=2
                                        ; =>    This Inner Loop Header: Depth=3
	flat_load_ushort v14, v[10:11] nt
	s_and_saveexec_b64 s[94:95], s[92:93]
	s_cbranch_execz .LBB18_2528
; %bb.2527:                             ;   in Loop: Header=BB18_2526 Depth=3
	v_lshl_add_u64 v[12:13], v[8:9], 0, v[44:45]
	flat_store_short v[8:9], v4 nt
	v_mov_b64_e32 v[8:9], v[12:13]
.LBB18_2528:                            ;   in Loop: Header=BB18_2526 Depth=3
	s_or_b64 exec, exec, s[94:95]
	v_sub_u32_e32 v5, v5, v110
	v_lshl_add_u64 v[10:11], v[10:11], 0, v[44:45]
	v_cmp_lt_i32_e64 s[92:93], 1, v5
	v_mov_b64_e32 v[12:13], 0
	v_mov_b32_e32 v15, 0
	s_and_saveexec_b64 s[94:95], s[92:93]
	s_cbranch_execz .LBB18_2525
; %bb.2529:                             ;   in Loop: Header=BB18_2526 Depth=3
	flat_load_ushort v4, v[10:11] nt
	v_lshl_add_u64 v[10:11], v[10:11], 0, s[60:61]
	v_mov_b32_e32 v15, v110
	v_mov_b64_e32 v[12:13], v[116:117]
	s_branch .LBB18_2525
.LBB18_2530:                            ;   in Loop: Header=BB18_2407 Depth=2
	s_or_b64 exec, exec, s[40:41]
	s_and_b64 exec, exec, s[90:91]
	s_cbranch_execz .LBB18_2532
; %bb.2531:                             ;   in Loop: Header=BB18_2407 Depth=2
	flat_store_short v[8:9], v4 nt
.LBB18_2532:                            ;   in Loop: Header=BB18_2407 Depth=2
	s_or_b64 exec, exec, s[22:23]
	v_cmp_lt_i32_e64 s[22:23], 0, v2
	s_and_saveexec_b64 s[40:41], s[4:5]
	s_cbranch_execz .LBB18_2478
.LBB18_2533:                            ;   in Loop: Header=BB18_2407 Depth=2
	s_and_saveexec_b64 s[90:91], s[46:47]
	s_xor_b64 s[90:91], exec, s[90:91]
	s_cbranch_execz .LBB18_2548
; %bb.2534:                             ;   in Loop: Header=BB18_2407 Depth=2
	s_and_saveexec_b64 s[92:93], s[12:13]
	s_cbranch_execz .LBB18_2547
; %bb.2535:                             ;   in Loop: Header=BB18_2407 Depth=2
	s_mov_b64 s[30:31], exec
	v_mbcnt_lo_u32_b32 v2, s30, 0
	v_mbcnt_hi_u32_b32 v2, s31, v2
	v_cmp_eq_u32_e32 vcc, 0, v2
	s_waitcnt lgkmcnt(0)
	s_and_saveexec_b64 s[94:95], vcc
	s_cbranch_execz .LBB18_2537
; %bb.2536:                             ;   in Loop: Header=BB18_2407 Depth=2
	s_bcnt1_i32_b64 s43, s[30:31]
	v_mov_b32_e32 v2, s43
	ds_add_u64 v0, v[2:3]
	s_trap 2
.LBB18_2537:                            ;   in Loop: Header=BB18_2407 Depth=2
	s_or_b64 exec, exec, s[94:95]
	s_trap 2
	ds_read_b64 v[4:5], v0
	s_waitcnt lgkmcnt(0)
	v_lshl_add_u64 v[70:71], v[70:71], 0, v[84:85]
	v_cmp_lt_u64_e32 vcc, v[4:5], v[70:71]
	s_and_saveexec_b64 s[94:95], vcc
	s_cbranch_execz .LBB18_2546
; %bb.2538:                             ;   in Loop: Header=BB18_2407 Depth=2
	s_mov_b32 s43, 0
	s_mov_b64 s[30:31], 0
                                        ; implicit-def: $sgpr34_sgpr35
                                        ; implicit-def: $sgpr36_sgpr37
	s_branch .LBB18_2540
.LBB18_2539:                            ;   in Loop: Header=BB18_2540 Depth=3
	s_or_b64 exec, exec, s[48:49]
	s_and_b64 vcc, exec, vcc
	s_or_b64 s[30:31], vcc, s[30:31]
	s_andn2_b64 vcc, s[34:35], exec
	s_and_b64 s[34:35], s[36:37], exec
	s_or_b64 s[34:35], vcc, s[34:35]
	s_andn2_b64 exec, exec, s[30:31]
	s_cbranch_execz .LBB18_2544
.LBB18_2540:                            ;   Parent Loop BB18_47 Depth=1
                                        ;     Parent Loop BB18_2407 Depth=2
                                        ; =>    This Inner Loop Header: Depth=3
	s_add_i32 s43, s43, 1
	s_cmpk_lg_i32 s43, 0x2710
	s_cselect_b64 s[38:39], -1, 0
	s_and_b64 vcc, exec, s[38:39]
	s_cbranch_vccz .LBB18_2542
; %bb.2541:                             ;   in Loop: Header=BB18_2540 Depth=3
	s_mov_b64 vcc, -1
	s_or_b64 s[36:37], s[36:37], exec
	s_and_saveexec_b64 s[48:49], s[38:39]
	s_cbranch_execz .LBB18_2539
	s_branch .LBB18_2543
.LBB18_2542:                            ;   in Loop: Header=BB18_2540 Depth=3
	s_trap 2
	ds_read_b64 v[4:5], v0
	s_andn2_b64 s[38:39], s[38:39], exec
	s_mov_b32 s43, 0
	s_waitcnt vmcnt(0) lgkmcnt(0)
	flat_load_dword v2, v[4:5] sc0 sc1
	s_waitcnt vmcnt(0) lgkmcnt(0)
	buffer_inv sc0 sc1
	v_cmp_eq_u32_e32 vcc, 0, v2
	s_and_b64 vcc, vcc, exec
	s_or_b64 s[38:39], s[38:39], vcc
	s_mov_b64 vcc, -1
	s_or_b64 s[36:37], s[36:37], exec
	s_and_saveexec_b64 s[48:49], s[38:39]
	s_cbranch_execz .LBB18_2539
.LBB18_2543:                            ;   in Loop: Header=BB18_2540 Depth=3
	s_sleep 1
	s_trap 2
	ds_read_b64 v[4:5], v0
	s_waitcnt lgkmcnt(0)
	s_andn2_b64 s[36:37], s[36:37], exec
	v_cmp_ge_u64_e32 vcc, v[4:5], v[70:71]
	s_orn2_b64 vcc, vcc, exec
	s_branch .LBB18_2539
.LBB18_2544:                            ;   in Loop: Header=BB18_2407 Depth=2
	s_or_b64 exec, exec, s[30:31]
	s_and_saveexec_b64 vcc, s[34:35]
	s_xor_b64 vcc, exec, vcc
	s_cbranch_execz .LBB18_2546
; %bb.2545:                             ;   in Loop: Header=BB18_2407 Depth=2
	ds_write_b32 v0, v111
	s_trap 2
.LBB18_2546:                            ;   in Loop: Header=BB18_2407 Depth=2
	s_or_b64 exec, exec, s[94:95]
	;;#ASMSTART
	s_wakeup
	;;#ASMEND
.LBB18_2547:                            ;   in Loop: Header=BB18_2407 Depth=2
	s_or_b64 exec, exec, s[92:93]
.LBB18_2548:                            ;   in Loop: Header=BB18_2407 Depth=2
	s_andn2_saveexec_b64 s[90:91], s[90:91]
	s_cbranch_execz .LBB18_2550
; %bb.2549:                             ;   in Loop: Header=BB18_2407 Depth=2
	s_waitcnt lgkmcnt(0)
	s_barrier
.LBB18_2550:                            ;   in Loop: Header=BB18_2407 Depth=2
	s_or_b64 exec, exec, s[90:91]
	s_or_b64 exec, exec, s[40:41]
	s_and_saveexec_b64 s[40:41], s[20:21]
	s_xor_b64 s[40:41], exec, s[40:41]
	s_cbranch_execnz .LBB18_2479
.LBB18_2551:                            ;   in Loop: Header=BB18_2407 Depth=2
	s_andn2_saveexec_b64 s[22:23], s[40:41]
	s_cbranch_execz .LBB18_2570
.LBB18_2552:                            ;   in Loop: Header=BB18_2407 Depth=2
	s_and_saveexec_b64 s[40:41], s[46:47]
	s_xor_b64 s[40:41], exec, s[40:41]
	s_cbranch_execz .LBB18_2567
; %bb.2553:                             ;   in Loop: Header=BB18_2407 Depth=2
	s_and_saveexec_b64 s[90:91], s[12:13]
	s_cbranch_execz .LBB18_2566
; %bb.2554:                             ;   in Loop: Header=BB18_2407 Depth=2
	s_mov_b64 s[94:95], exec
	v_mbcnt_lo_u32_b32 v2, s94, 0
	v_mbcnt_hi_u32_b32 v2, s95, v2
	v_cmp_eq_u32_e32 vcc, 0, v2
	;;#ASMSTART
	s_waitcnt lgkmcnt(0) vmcnt(0)
	;;#ASMEND
	s_and_saveexec_b64 s[92:93], vcc
	s_cbranch_execz .LBB18_2556
; %bb.2555:                             ;   in Loop: Header=BB18_2407 Depth=2
	s_bcnt1_i32_b64 s43, s[94:95]
	v_mov_b32_e32 v2, s43
	s_waitcnt lgkmcnt(0)
	ds_add_u64 v0, v[2:3]
	s_trap 2
.LBB18_2556:                            ;   in Loop: Header=BB18_2407 Depth=2
	s_or_b64 exec, exec, s[92:93]
	s_trap 2
	ds_read_b64 v[4:5], v0
	s_waitcnt lgkmcnt(0)
	v_lshl_add_u64 v[70:71], v[70:71], 0, v[84:85]
	v_cmp_lt_u64_e32 vcc, v[4:5], v[70:71]
	s_and_saveexec_b64 s[92:93], vcc
	s_cbranch_execz .LBB18_2565
; %bb.2557:                             ;   in Loop: Header=BB18_2407 Depth=2
	s_mov_b32 s43, 0
	s_mov_b64 s[94:95], 0
                                        ; implicit-def: $sgpr30_sgpr31
                                        ; implicit-def: $sgpr34_sgpr35
	s_branch .LBB18_2559
.LBB18_2558:                            ;   in Loop: Header=BB18_2559 Depth=3
	s_or_b64 exec, exec, s[38:39]
	s_and_b64 vcc, exec, vcc
	s_or_b64 s[94:95], vcc, s[94:95]
	s_andn2_b64 vcc, s[30:31], exec
	s_and_b64 s[30:31], s[34:35], exec
	s_or_b64 s[30:31], vcc, s[30:31]
	s_andn2_b64 exec, exec, s[94:95]
	s_cbranch_execz .LBB18_2563
.LBB18_2559:                            ;   Parent Loop BB18_47 Depth=1
                                        ;     Parent Loop BB18_2407 Depth=2
                                        ; =>    This Inner Loop Header: Depth=3
	s_add_i32 s43, s43, 1
	s_cmpk_lg_i32 s43, 0x2710
	s_cselect_b64 s[36:37], -1, 0
	s_and_b64 vcc, exec, s[36:37]
	s_cbranch_vccz .LBB18_2561
; %bb.2560:                             ;   in Loop: Header=BB18_2559 Depth=3
	s_mov_b64 vcc, -1
	s_or_b64 s[34:35], s[34:35], exec
	s_and_saveexec_b64 s[38:39], s[36:37]
	s_cbranch_execz .LBB18_2558
	s_branch .LBB18_2562
.LBB18_2561:                            ;   in Loop: Header=BB18_2559 Depth=3
	s_trap 2
	ds_read_b64 v[4:5], v0
	s_andn2_b64 s[36:37], s[36:37], exec
	s_mov_b32 s43, 0
	s_waitcnt vmcnt(0) lgkmcnt(0)
	flat_load_dword v2, v[4:5] sc0 sc1
	s_waitcnt vmcnt(0) lgkmcnt(0)
	buffer_inv sc0 sc1
	v_cmp_eq_u32_e32 vcc, 0, v2
	s_and_b64 vcc, vcc, exec
	s_or_b64 s[36:37], s[36:37], vcc
	s_mov_b64 vcc, -1
	s_or_b64 s[34:35], s[34:35], exec
	s_and_saveexec_b64 s[38:39], s[36:37]
	s_cbranch_execz .LBB18_2558
.LBB18_2562:                            ;   in Loop: Header=BB18_2559 Depth=3
	s_sleep 1
	s_trap 2
	ds_read_b64 v[4:5], v0
	s_waitcnt lgkmcnt(0)
	s_andn2_b64 s[34:35], s[34:35], exec
	v_cmp_ge_u64_e32 vcc, v[4:5], v[70:71]
	s_orn2_b64 vcc, vcc, exec
	s_branch .LBB18_2558
.LBB18_2563:                            ;   in Loop: Header=BB18_2407 Depth=2
	s_or_b64 exec, exec, s[94:95]
	s_and_saveexec_b64 s[94:95], s[30:31]
	s_xor_b64 s[94:95], exec, s[94:95]
	s_cbranch_execz .LBB18_2565
; %bb.2564:                             ;   in Loop: Header=BB18_2407 Depth=2
	ds_write_b32 v0, v111
	s_trap 2
.LBB18_2565:                            ;   in Loop: Header=BB18_2407 Depth=2
	s_or_b64 exec, exec, s[92:93]
	;;#ASMSTART
	s_wakeup
	;;#ASMEND
.LBB18_2566:                            ;   in Loop: Header=BB18_2407 Depth=2
	s_or_b64 exec, exec, s[90:91]
.LBB18_2567:                            ;   in Loop: Header=BB18_2407 Depth=2
	s_andn2_saveexec_b64 s[40:41], s[40:41]
	s_cbranch_execz .LBB18_2569
; %bb.2568:                             ;   in Loop: Header=BB18_2407 Depth=2
	;;#ASMSTART
	s_waitcnt lgkmcnt(0) vmcnt(0)
	;;#ASMEND
	s_barrier
.LBB18_2569:                            ;   in Loop: Header=BB18_2407 Depth=2
	s_or_b64 exec, exec, s[40:41]
.LBB18_2570:                            ;   in Loop: Header=BB18_2407 Depth=2
	s_or_b64 exec, exec, s[22:23]
	v_and_b32_e32 v2, 32, v106
	v_cmp_ne_u32_e32 vcc, 0, v2
	s_and_saveexec_b64 s[22:23], vcc
	s_cbranch_execz .LBB18_2406
; %bb.2571:                             ;   in Loop: Header=BB18_2407 Depth=2
	v_lshl_add_u64 v[56:57], v[56:57], 0, 2
	flat_store_dwordx2 v[64:65], v[56:57] sc0 sc1
	s_branch .LBB18_2406
.LBB18_2572:                            ;   in Loop: Header=BB18_47 Depth=1
	s_or_b64 exec, exec, s[26:27]
.LBB18_2573:                            ;   in Loop: Header=BB18_47 Depth=1
	s_or_b64 exec, exec, s[24:25]
	v_cmp_gt_i32_e32 vcc, 2, v2
	s_mov_b64 s[24:25], exec
	scratch_load_dwordx2 v[16:17], off, s33 offset:272 ; 8-byte Folded Reload
	scratch_load_dwordx2 v[18:19], off, s33 offset:312 ; 8-byte Folded Reload
	s_and_b64 s[22:23], s[24:25], vcc
	s_mov_b64 exec, s[22:23]
	s_cbranch_execz .LBB18_46
; %bb.2574:                             ;   in Loop: Header=BB18_47 Depth=1
	v_cmp_eq_u32_e64 s[28:29], 0, v2
	s_mov_b64 s[26:27], 0
	s_branch .LBB18_2576
.LBB18_2575:                            ;   in Loop: Header=BB18_2576 Depth=2
	s_or_b64 exec, exec, s[22:23]
	v_add_u32_e32 v58, v88, v58
	s_mov_b64 s[28:29], 0
	s_andn2_b64 exec, exec, s[26:27]
	s_cbranch_execz .LBB18_45
.LBB18_2576:                            ;   Parent Loop BB18_47 Depth=1
                                        ; =>  This Loop Header: Depth=2
                                        ;       Child Loop BB18_2582 Depth 3
                                        ;       Child Loop BB18_2606 Depth 3
	;; [unrolled: 1-line block ×3, first 2 shown]
	v_and_b32_e32 v2, 4, v106
	v_cmp_ne_u32_e32 vcc, 0, v2
	s_and_saveexec_b64 s[40:41], vcc
	s_cbranch_execz .LBB18_2598
; %bb.2577:                             ;   in Loop: Header=BB18_2576 Depth=2
	v_lshl_add_u64 v[8:9], v[56:57], 0, 2
	s_waitcnt vmcnt(0) lgkmcnt(0)
	v_cmp_lt_u64_e32 vcc, v[80:81], v[8:9]
	s_and_saveexec_b64 s[90:91], vcc
	s_cbranch_execz .LBB18_2589
; %bb.2578:                             ;   in Loop: Header=BB18_2576 Depth=2
	v_and_b32_e32 v2, 64, v106
	s_mov_b32 s42, 0
	v_cmp_eq_u32_e32 vcc, 0, v2
	s_mov_b64 s[92:93], 0
                                        ; implicit-def: $sgpr94_sgpr95
                                        ; implicit-def: $sgpr30_sgpr31
                                        ; implicit-def: $sgpr34_sgpr35
	s_branch .LBB18_2582
.LBB18_2579:                            ;   in Loop: Header=BB18_2582 Depth=3
	s_waitcnt vmcnt(0) lgkmcnt(0)
	v_cmp_ge_u64_e64 s[22:23], v[80:81], v[8:9]
	s_or_b64 s[48:49], s[48:49], exec
	s_orn2_b64 s[38:39], s[22:23], exec
.LBB18_2580:                            ;   in Loop: Header=BB18_2582 Depth=3
	s_or_b64 exec, exec, s[52:53]
	s_andn2_b64 s[22:23], s[34:35], exec
	s_and_b64 s[34:35], s[48:49], exec
	s_or_b64 s[34:35], s[22:23], s[34:35]
	s_andn2_b64 s[22:23], s[30:31], exec
	s_and_b64 s[30:31], s[38:39], exec
	s_or_b64 s[30:31], s[22:23], s[30:31]
.LBB18_2581:                            ;   in Loop: Header=BB18_2582 Depth=3
	s_or_b64 exec, exec, s[36:37]
	s_and_b64 s[22:23], exec, s[30:31]
	s_or_b64 s[92:93], s[22:23], s[92:93]
	s_andn2_b64 s[22:23], s[94:95], exec
	s_and_b64 s[94:95], s[34:35], exec
	s_or_b64 s[94:95], s[22:23], s[94:95]
	s_andn2_b64 exec, exec, s[92:93]
	s_cbranch_execz .LBB18_2586
.LBB18_2582:                            ;   Parent Loop BB18_47 Depth=1
                                        ;     Parent Loop BB18_2576 Depth=2
                                        ; =>    This Inner Loop Header: Depth=3
	s_sleep 1
	s_waitcnt vmcnt(0) lgkmcnt(0)
	flat_load_dwordx2 v[80:81], v[64:65] sc0 sc1
	s_or_b64 s[34:35], s[34:35], exec
	s_or_b64 s[30:31], s[30:31], exec
                                        ; implicit-def: $vgpr2
	s_and_saveexec_b64 s[36:37], vcc
	s_cbranch_execz .LBB18_2581
; %bb.2583:                             ;   in Loop: Header=BB18_2582 Depth=3
	s_cmpk_lt_i32 s42, 0x270f
	s_cselect_b64 s[50:51], -1, 0
	s_cmpk_gt_i32 s42, 0x270e
	s_mov_b64 s[38:39], -1
	s_cbranch_scc0 .LBB18_2585
; %bb.2584:                             ;   in Loop: Header=BB18_2582 Depth=3
	s_trap 2
	ds_read_b64 v[4:5], v0
	s_andn2_b64 s[50:51], s[50:51], exec
	s_mov_b32 s42, 0
	s_mov_b64 s[48:49], 0
	s_waitcnt vmcnt(0) lgkmcnt(0)
	flat_load_dword v2, v[4:5] sc0 sc1
	s_waitcnt vmcnt(0) lgkmcnt(0)
	buffer_inv sc0 sc1
	v_cmp_eq_u32_e64 s[22:23], 0, v2
	s_and_b64 s[22:23], s[22:23], exec
	s_or_b64 s[50:51], s[50:51], s[22:23]
	s_and_saveexec_b64 s[52:53], s[50:51]
	s_cbranch_execz .LBB18_2580
	s_branch .LBB18_2579
.LBB18_2585:                            ;   in Loop: Header=BB18_2582 Depth=3
	s_add_i32 s42, s42, 1
	s_mov_b64 s[48:49], -1
                                        ; implicit-def: $vgpr2
	s_and_saveexec_b64 s[52:53], s[50:51]
	s_cbranch_execz .LBB18_2580
	s_branch .LBB18_2579
.LBB18_2586:                            ;   in Loop: Header=BB18_2576 Depth=2
	s_or_b64 exec, exec, s[92:93]
	s_xor_b64 s[22:23], s[94:95], -1
	s_and_saveexec_b64 s[42:43], s[22:23]
	s_xor_b64 s[22:23], exec, s[42:43]
	s_cbranch_execz .LBB18_2588
; %bb.2587:                             ;   in Loop: Header=BB18_2576 Depth=2
	v_or_b32_e32 v106, 64, v106
	s_waitcnt lgkmcnt(0)
	ds_write_b32 v0, v2
	s_trap 2
.LBB18_2588:                            ;   in Loop: Header=BB18_2576 Depth=2
	s_or_b64 exec, exec, s[22:23]
.LBB18_2589:                            ;   in Loop: Header=BB18_2576 Depth=2
	s_or_b64 exec, exec, s[90:91]
	v_and_b32_e32 v2, 0x100, v106
	v_cmp_ne_u32_e32 vcc, 0, v2
	v_and_b32_e32 v2, 7, v56
	s_mov_b64 s[22:23], -1
	;;#ASMSTART
	s_wakeup
	;;#ASMEND
                                        ; implicit-def: $vgpr10_vgpr11
	s_and_saveexec_b64 s[90:91], vcc
	s_cbranch_execz .LBB18_2593
; %bb.2590:                             ;   in Loop: Header=BB18_2576 Depth=2
	v_mad_u64_u32 v[12:13], s[22:23], v2, 24, v[6:7]
	flat_load_dword v4, v[12:13]
                                        ; implicit-def: $vgpr10_vgpr11
	s_waitcnt vmcnt(0) lgkmcnt(0)
	v_cmp_ne_u32_e32 vcc, 1, v4
	v_cmp_eq_u32_e64 s[22:23], 1, v4
	s_and_saveexec_b64 s[92:93], s[22:23]
	s_cbranch_execz .LBB18_2592
; %bb.2591:                             ;   in Loop: Header=BB18_2576 Depth=2
	flat_load_dword v4, v[12:13] offset:4 sc0 sc1
	s_waitcnt vmcnt(0) lgkmcnt(0)
	v_ashrrev_i32_e32 v5, 31, v4
	v_lshrrev_b64 v[10:11], 1, v[4:5]
.LBB18_2592:                            ;   in Loop: Header=BB18_2576 Depth=2
	s_or_b64 exec, exec, s[92:93]
	s_orn2_b64 s[22:23], vcc, exec
.LBB18_2593:                            ;   in Loop: Header=BB18_2576 Depth=2
	s_or_b64 exec, exec, s[90:91]
	s_and_saveexec_b64 s[90:91], s[22:23]
; %bb.2594:                             ;   in Loop: Header=BB18_2576 Depth=2
	v_mad_i64_i32 v[10:11], s[22:23], v2, v30, 0
; %bb.2595:                             ;   in Loop: Header=BB18_2576 Depth=2
	s_or_b64 exec, exec, s[90:91]
	v_and_b32_e32 v2, 0x2000, v106
	v_lshl_add_u64 v[4:5], v[10:11], 1, v[66:67]
	v_cmp_ne_u32_e32 vcc, 0, v2
	ds_write_b64 v0, v[4:5] offset:720
	s_and_saveexec_b64 s[22:23], vcc
	s_cbranch_execz .LBB18_2597
; %bb.2596:                             ;   in Loop: Header=BB18_2576 Depth=2
	ds_read_b64 v[4:5], v0 offset:872
	s_waitcnt lgkmcnt(0)
	v_lshl_add_u64 v[4:5], v[4:5], 0, 1
	ds_write_b64 v0, v[4:5] offset:872
.LBB18_2597:                            ;   in Loop: Header=BB18_2576 Depth=2
	s_or_b64 exec, exec, s[22:23]
	v_mov_b64_e32 v[56:57], v[8:9]
.LBB18_2598:                            ;   in Loop: Header=BB18_2576 Depth=2
	s_or_b64 exec, exec, s[40:41]
	s_xor_b64 s[22:23], s[28:29], -1
	s_and_b64 s[22:23], exec, s[22:23]
	s_or_b64 s[26:27], s[22:23], s[26:27]
	s_and_saveexec_b64 s[22:23], s[4:5]
	s_cbranch_execz .LBB18_2617
; %bb.2599:                             ;   in Loop: Header=BB18_2576 Depth=2
	s_and_saveexec_b64 s[28:29], s[46:47]
	s_xor_b64 s[28:29], exec, s[28:29]
	s_cbranch_execz .LBB18_2614
; %bb.2600:                             ;   in Loop: Header=BB18_2576 Depth=2
	s_and_saveexec_b64 s[40:41], s[12:13]
	s_cbranch_execz .LBB18_2613
; %bb.2601:                             ;   in Loop: Header=BB18_2576 Depth=2
	s_mov_b64 s[92:93], exec
	v_mbcnt_lo_u32_b32 v2, s92, 0
	v_mbcnt_hi_u32_b32 v2, s93, v2
	v_cmp_eq_u32_e32 vcc, 0, v2
	s_waitcnt lgkmcnt(0)
	s_and_saveexec_b64 s[90:91], vcc
	s_cbranch_execz .LBB18_2603
; %bb.2602:                             ;   in Loop: Header=BB18_2576 Depth=2
	s_bcnt1_i32_b64 s42, s[92:93]
	v_mov_b32_e32 v2, s42
	ds_add_u64 v0, v[2:3]
	s_trap 2
.LBB18_2603:                            ;   in Loop: Header=BB18_2576 Depth=2
	s_or_b64 exec, exec, s[90:91]
	s_trap 2
	ds_read_b64 v[4:5], v0
	s_waitcnt lgkmcnt(0)
	v_lshl_add_u64 v[70:71], v[70:71], 0, v[84:85]
	v_cmp_lt_u64_e32 vcc, v[4:5], v[70:71]
	s_and_saveexec_b64 s[90:91], vcc
	s_cbranch_execz .LBB18_2612
; %bb.2604:                             ;   in Loop: Header=BB18_2576 Depth=2
	s_mov_b32 s42, 0
	s_mov_b64 s[92:93], 0
                                        ; implicit-def: $sgpr94_sgpr95
                                        ; implicit-def: $sgpr30_sgpr31
	s_branch .LBB18_2606
.LBB18_2605:                            ;   in Loop: Header=BB18_2606 Depth=3
	s_or_b64 exec, exec, s[36:37]
	s_and_b64 vcc, exec, vcc
	s_or_b64 s[92:93], vcc, s[92:93]
	s_andn2_b64 s[94:95], s[94:95], exec
	s_and_b64 vcc, s[30:31], exec
	s_or_b64 s[94:95], s[94:95], vcc
	s_andn2_b64 exec, exec, s[92:93]
	s_cbranch_execz .LBB18_2610
.LBB18_2606:                            ;   Parent Loop BB18_47 Depth=1
                                        ;     Parent Loop BB18_2576 Depth=2
                                        ; =>    This Inner Loop Header: Depth=3
	s_add_i32 s42, s42, 1
	s_cmpk_lg_i32 s42, 0x2710
	s_cselect_b64 s[34:35], -1, 0
	s_and_b64 vcc, exec, s[34:35]
	s_cbranch_vccz .LBB18_2608
; %bb.2607:                             ;   in Loop: Header=BB18_2606 Depth=3
	s_mov_b64 vcc, -1
	s_or_b64 s[30:31], s[30:31], exec
	s_and_saveexec_b64 s[36:37], s[34:35]
	s_cbranch_execz .LBB18_2605
	s_branch .LBB18_2609
.LBB18_2608:                            ;   in Loop: Header=BB18_2606 Depth=3
	s_trap 2
	ds_read_b64 v[4:5], v0
	s_andn2_b64 s[34:35], s[34:35], exec
	s_mov_b32 s42, 0
	s_waitcnt vmcnt(0) lgkmcnt(0)
	flat_load_dword v2, v[4:5] sc0 sc1
	s_waitcnt vmcnt(0) lgkmcnt(0)
	buffer_inv sc0 sc1
	v_cmp_eq_u32_e32 vcc, 0, v2
	s_and_b64 vcc, vcc, exec
	s_or_b64 s[34:35], s[34:35], vcc
	s_mov_b64 vcc, -1
	s_or_b64 s[30:31], s[30:31], exec
	s_and_saveexec_b64 s[36:37], s[34:35]
	s_cbranch_execz .LBB18_2605
.LBB18_2609:                            ;   in Loop: Header=BB18_2606 Depth=3
	s_sleep 1
	s_trap 2
	ds_read_b64 v[4:5], v0
	s_waitcnt lgkmcnt(0)
	s_andn2_b64 s[30:31], s[30:31], exec
	v_cmp_ge_u64_e32 vcc, v[4:5], v[70:71]
	s_orn2_b64 vcc, vcc, exec
	s_branch .LBB18_2605
.LBB18_2610:                            ;   in Loop: Header=BB18_2576 Depth=2
	s_or_b64 exec, exec, s[92:93]
	s_and_saveexec_b64 s[42:43], s[94:95]
	s_xor_b64 s[42:43], exec, s[42:43]
	s_cbranch_execz .LBB18_2612
; %bb.2611:                             ;   in Loop: Header=BB18_2576 Depth=2
	ds_write_b32 v0, v111
	s_trap 2
.LBB18_2612:                            ;   in Loop: Header=BB18_2576 Depth=2
	s_or_b64 exec, exec, s[90:91]
	;;#ASMSTART
	s_wakeup
	;;#ASMEND
.LBB18_2613:                            ;   in Loop: Header=BB18_2576 Depth=2
	s_or_b64 exec, exec, s[40:41]
.LBB18_2614:                            ;   in Loop: Header=BB18_2576 Depth=2
	s_andn2_saveexec_b64 s[28:29], s[28:29]
	s_cbranch_execz .LBB18_2616
; %bb.2615:                             ;   in Loop: Header=BB18_2576 Depth=2
	s_waitcnt lgkmcnt(0)
	s_barrier
.LBB18_2616:                            ;   in Loop: Header=BB18_2576 Depth=2
	s_or_b64 exec, exec, s[28:29]
.LBB18_2617:                            ;   in Loop: Header=BB18_2576 Depth=2
	s_or_b64 exec, exec, s[22:23]
	v_sub_u32_e32 v2, v53, v58
	v_min_i32_e32 v88, v88, v2
	s_and_saveexec_b64 s[22:23], s[20:21]
	s_xor_b64 s[22:23], exec, s[22:23]
	s_cbranch_execz .LBB18_2621
; %bb.2618:                             ;   in Loop: Header=BB18_2576 Depth=2
	s_trap 2
	ds_read_b32 v2, v0
	v_cmp_lt_i32_e32 vcc, 0, v88
	v_and_b32_e32 v4, 16, v106
	s_waitcnt lgkmcnt(0)
	v_readfirstlane_b32 s28, v2
	s_cmp_eq_u32 s28, 0
	s_cselect_b64 s[28:29], -1, 0
	s_and_b64 s[28:29], vcc, s[28:29]
	v_cmp_ne_u32_e32 vcc, 0, v4
	s_and_b64 s[40:41], vcc, s[28:29]
	s_and_saveexec_b64 s[28:29], s[40:41]
	s_cbranch_execz .LBB18_2620
; %bb.2619:                             ;   in Loop: Header=BB18_2576 Depth=2
	buffer_wbl2 sc1
	s_waitcnt vmcnt(0)
	buffer_inv sc1
.LBB18_2620:                            ;   in Loop: Header=BB18_2576 Depth=2
	s_or_b64 exec, exec, s[28:29]
.LBB18_2621:                            ;   in Loop: Header=BB18_2576 Depth=2
	s_andn2_saveexec_b64 s[22:23], s[22:23]
	s_cbranch_execz .LBB18_2640
; %bb.2622:                             ;   in Loop: Header=BB18_2576 Depth=2
	s_and_saveexec_b64 s[28:29], s[46:47]
	s_xor_b64 s[28:29], exec, s[28:29]
	s_cbranch_execz .LBB18_2637
; %bb.2623:                             ;   in Loop: Header=BB18_2576 Depth=2
	s_and_saveexec_b64 s[40:41], s[12:13]
	s_cbranch_execz .LBB18_2636
; %bb.2624:                             ;   in Loop: Header=BB18_2576 Depth=2
	s_mov_b64 s[92:93], exec
	v_mbcnt_lo_u32_b32 v2, s92, 0
	v_mbcnt_hi_u32_b32 v2, s93, v2
	v_cmp_eq_u32_e32 vcc, 0, v2
	;;#ASMSTART
	s_waitcnt lgkmcnt(0) vmcnt(0)
	;;#ASMEND
	s_and_saveexec_b64 s[90:91], vcc
	s_cbranch_execz .LBB18_2626
; %bb.2625:                             ;   in Loop: Header=BB18_2576 Depth=2
	s_bcnt1_i32_b64 s42, s[92:93]
	v_mov_b32_e32 v2, s42
	s_waitcnt lgkmcnt(0)
	ds_add_u64 v0, v[2:3]
	s_trap 2
.LBB18_2626:                            ;   in Loop: Header=BB18_2576 Depth=2
	s_or_b64 exec, exec, s[90:91]
	s_trap 2
	ds_read_b64 v[4:5], v0
	s_waitcnt lgkmcnt(0)
	v_lshl_add_u64 v[70:71], v[70:71], 0, v[84:85]
	v_cmp_lt_u64_e32 vcc, v[4:5], v[70:71]
	s_and_saveexec_b64 s[90:91], vcc
	s_cbranch_execz .LBB18_2635
; %bb.2627:                             ;   in Loop: Header=BB18_2576 Depth=2
	s_mov_b32 s42, 0
	s_mov_b64 s[92:93], 0
                                        ; implicit-def: $sgpr94_sgpr95
                                        ; implicit-def: $sgpr30_sgpr31
	s_branch .LBB18_2629
.LBB18_2628:                            ;   in Loop: Header=BB18_2629 Depth=3
	s_or_b64 exec, exec, s[36:37]
	s_and_b64 vcc, exec, vcc
	s_or_b64 s[92:93], vcc, s[92:93]
	s_andn2_b64 s[94:95], s[94:95], exec
	s_and_b64 vcc, s[30:31], exec
	s_or_b64 s[94:95], s[94:95], vcc
	s_andn2_b64 exec, exec, s[92:93]
	s_cbranch_execz .LBB18_2633
.LBB18_2629:                            ;   Parent Loop BB18_47 Depth=1
                                        ;     Parent Loop BB18_2576 Depth=2
                                        ; =>    This Inner Loop Header: Depth=3
	s_add_i32 s42, s42, 1
	s_cmpk_lg_i32 s42, 0x2710
	s_cselect_b64 s[34:35], -1, 0
	s_and_b64 vcc, exec, s[34:35]
	s_cbranch_vccz .LBB18_2631
; %bb.2630:                             ;   in Loop: Header=BB18_2629 Depth=3
	s_mov_b64 vcc, -1
	s_or_b64 s[30:31], s[30:31], exec
	s_and_saveexec_b64 s[36:37], s[34:35]
	s_cbranch_execz .LBB18_2628
	s_branch .LBB18_2632
.LBB18_2631:                            ;   in Loop: Header=BB18_2629 Depth=3
	s_trap 2
	ds_read_b64 v[4:5], v0
	s_andn2_b64 s[34:35], s[34:35], exec
	s_mov_b32 s42, 0
	s_waitcnt vmcnt(0) lgkmcnt(0)
	flat_load_dword v2, v[4:5] sc0 sc1
	s_waitcnt vmcnt(0) lgkmcnt(0)
	buffer_inv sc0 sc1
	v_cmp_eq_u32_e32 vcc, 0, v2
	s_and_b64 vcc, vcc, exec
	s_or_b64 s[34:35], s[34:35], vcc
	s_mov_b64 vcc, -1
	s_or_b64 s[30:31], s[30:31], exec
	s_and_saveexec_b64 s[36:37], s[34:35]
	s_cbranch_execz .LBB18_2628
.LBB18_2632:                            ;   in Loop: Header=BB18_2629 Depth=3
	s_sleep 1
	s_trap 2
	ds_read_b64 v[4:5], v0
	s_waitcnt lgkmcnt(0)
	s_andn2_b64 s[30:31], s[30:31], exec
	v_cmp_ge_u64_e32 vcc, v[4:5], v[70:71]
	s_orn2_b64 vcc, vcc, exec
	s_branch .LBB18_2628
.LBB18_2633:                            ;   in Loop: Header=BB18_2576 Depth=2
	s_or_b64 exec, exec, s[92:93]
	s_and_saveexec_b64 s[42:43], s[94:95]
	s_xor_b64 s[42:43], exec, s[42:43]
	s_cbranch_execz .LBB18_2635
; %bb.2634:                             ;   in Loop: Header=BB18_2576 Depth=2
	ds_write_b32 v0, v111
	s_trap 2
.LBB18_2635:                            ;   in Loop: Header=BB18_2576 Depth=2
	s_or_b64 exec, exec, s[90:91]
	;;#ASMSTART
	s_wakeup
	;;#ASMEND
.LBB18_2636:                            ;   in Loop: Header=BB18_2576 Depth=2
	s_or_b64 exec, exec, s[40:41]
.LBB18_2637:                            ;   in Loop: Header=BB18_2576 Depth=2
	s_andn2_saveexec_b64 s[28:29], s[28:29]
	s_cbranch_execz .LBB18_2639
; %bb.2638:                             ;   in Loop: Header=BB18_2576 Depth=2
	;;#ASMSTART
	s_waitcnt lgkmcnt(0) vmcnt(0)
	;;#ASMEND
	s_barrier
.LBB18_2639:                            ;   in Loop: Header=BB18_2576 Depth=2
	s_or_b64 exec, exec, s[28:29]
.LBB18_2640:                            ;   in Loop: Header=BB18_2576 Depth=2
	s_or_b64 exec, exec, s[22:23]
	v_and_b32_e32 v2, 32, v106
	v_cmp_ne_u32_e32 vcc, 0, v2
	s_and_saveexec_b64 s[22:23], vcc
	s_cbranch_execz .LBB18_2575
; %bb.2641:                             ;   in Loop: Header=BB18_2576 Depth=2
	v_lshl_add_u64 v[56:57], v[56:57], 0, 2
	flat_store_dwordx2 v[64:65], v[56:57] sc0 sc1
	s_branch .LBB18_2575
.LBB18_2642:
	s_or_b64 exec, exec, s[62:63]
	scratch_load_dword v21, off, s33 offset:328 ; 4-byte Folded Reload
	v_readlane_b32 s24, v126, 4
	v_readlane_b32 s25, v126, 5
.LBB18_2643:
	v_readlane_b32 s0, v126, 2
	v_readlane_b32 s1, v126, 3
	s_or_b64 exec, exec, s[0:1]
	v_and_b32_e32 v0, 0x800, v106
	v_cmp_eq_u32_e32 vcc, 0, v0
	s_and_saveexec_b64 s[2:3], vcc
	s_cbranch_execz .LBB18_2676
; %bb.2644:
	v_and_b32_e32 v0, 48, v106
	v_cmp_ne_u32_e32 vcc, 0, v0
	s_and_saveexec_b64 s[0:1], vcc
	s_cbranch_execz .LBB18_2646
; %bb.2645:
	scratch_load_dwordx2 v[2:3], off, s33 offset:320 ; 8-byte Folded Reload
	s_waitcnt vmcnt(0)
	flat_store_dwordx2 v[2:3], v[56:57] offset:104
.LBB18_2646:
	s_or_b64 exec, exec, s[0:1]
	s_movk_i32 s0, 0x88
	v_and_b32_e32 v0, 0x88, v106
	v_cmp_eq_u32_e32 vcc, s0, v0
	s_and_saveexec_b64 s[4:5], vcc
	s_cbranch_execz .LBB18_2656
; %bb.2647:
	v_add_u32_e32 v0, 6, v56
	v_and_b32_e32 v0, 7, v0
	v_mad_u64_u32 v[2:3], s[0:1], v0, 24, v[6:7]
	flat_load_dwordx2 v[4:5], v[2:3] offset:8 sc0 sc1
	s_waitcnt vmcnt(0)
	v_and_b32_e32 v0, 64, v106
	v_cmp_eq_u32_e64 s[0:1], 0, v0
	s_mov_b32 s18, 0
	s_waitcnt lgkmcnt(0)
	v_cmp_ne_u64_e32 vcc, -1, v[4:5]
	s_and_b64 s[0:1], vcc, s[0:1]
	s_and_b64 exec, exec, s[0:1]
	s_cbranch_execz .LBB18_2656
; %bb.2648:
	s_mov_b64 s[0:1], 0
                                        ; implicit-def: $sgpr6_sgpr7
                                        ; implicit-def: $sgpr10_sgpr11
	s_branch .LBB18_2651
.LBB18_2649:                            ;   in Loop: Header=BB18_2651 Depth=1
	flat_load_dwordx2 v[4:5], v[2:3] offset:8 sc0 sc1
	s_waitcnt vmcnt(0)
	s_andn2_b64 s[10:11], s[10:11], exec
	s_waitcnt lgkmcnt(0)
	v_cmp_eq_u64_e32 vcc, -1, v[4:5]
	s_orn2_b64 s[14:15], vcc, exec
.LBB18_2650:                            ;   in Loop: Header=BB18_2651 Depth=1
	s_or_b64 exec, exec, s[16:17]
	s_and_b64 s[8:9], exec, s[14:15]
	s_or_b64 s[0:1], s[8:9], s[0:1]
	s_andn2_b64 s[6:7], s[6:7], exec
	s_and_b64 s[8:9], s[10:11], exec
	s_or_b64 s[6:7], s[6:7], s[8:9]
	s_andn2_b64 exec, exec, s[0:1]
	s_cbranch_execz .LBB18_2654
.LBB18_2651:                            ; =>This Inner Loop Header: Depth=1
	s_cmpk_lt_i32 s18, 0x270f
	s_cselect_b64 s[12:13], -1, 0
	s_and_b64 vcc, exec, s[12:13]
	s_cbranch_vccnz .LBB18_2653
; %bb.2652:                             ;   in Loop: Header=BB18_2651 Depth=1
	s_trap 2
	ds_read_b64 v[4:5], v0
	s_andn2_b64 s[8:9], s[12:13], exec
	s_mov_b32 s18, 0
	s_waitcnt lgkmcnt(0)
	flat_load_dword v0, v[4:5] sc0 sc1
	s_waitcnt vmcnt(0) lgkmcnt(0)
	buffer_inv sc0 sc1
	v_cmp_eq_u32_e32 vcc, 0, v0
	s_and_b64 s[12:13], vcc, exec
	s_or_b64 s[12:13], s[8:9], s[12:13]
	s_mov_b64 s[14:15], -1
	s_or_b64 s[10:11], s[10:11], exec
	s_and_saveexec_b64 s[16:17], s[12:13]
	s_cbranch_execz .LBB18_2650
	s_branch .LBB18_2649
.LBB18_2653:                            ;   in Loop: Header=BB18_2651 Depth=1
	s_add_i32 s18, s18, 1
                                        ; implicit-def: $vgpr0
	s_mov_b64 s[14:15], -1
	s_or_b64 s[10:11], s[10:11], exec
	s_and_saveexec_b64 s[16:17], s[12:13]
	s_cbranch_execz .LBB18_2650
	s_branch .LBB18_2649
.LBB18_2654:
	s_or_b64 exec, exec, s[0:1]
	s_and_saveexec_b64 s[0:1], s[6:7]
	s_xor_b64 s[0:1], exec, s[0:1]
	s_cbranch_execz .LBB18_2656
; %bb.2655:
	ds_write_b32 v0, v0
	s_trap 2
.LBB18_2656:
	s_or_b64 exec, exec, s[4:5]
	v_and_b32_e32 v0, 0x2000, v106
	v_cmp_ne_u32_e32 vcc, 0, v0
	s_and_saveexec_b64 s[0:1], vcc
	s_cbranch_execz .LBB18_2658
; %bb.2657:
	s_trap 2
	scratch_load_dwordx2 v[4:5], off, s33 offset:332 ; 8-byte Folded Reload
	ds_read_b64 v[2:3], v0
	s_waitcnt vmcnt(0) lgkmcnt(0)
	flat_store_dwordx2 v[4:5], v[2:3] offset:16
.LBB18_2658:
	s_or_b64 exec, exec, s[0:1]
	v_cmp_ne_u32_e32 vcc, 64, v1
	s_and_b64 exec, exec, vcc
	s_cbranch_execz .LBB18_2676
; %bb.2659:
	s_waitcnt vmcnt(0)
	v_cmp_ne_u32_sdwa s[0:1], v1, v21 src0_sel:DWORD src1_sel:WORD_0
	s_and_saveexec_b64 s[4:5], s[0:1]
	s_xor_b64 s[0:1], exec, s[4:5]
	s_cbranch_execz .LBB18_2674
; %bb.2660:
	v_and_b32_e32 v0, 63, v31
	v_cmp_eq_u32_e32 vcc, 0, v0
	s_and_saveexec_b64 s[4:5], vcc
	s_cbranch_execz .LBB18_2673
; %bb.2661:
	s_mov_b64 s[10:11], exec
	v_mbcnt_lo_u32_b32 v0, s10, 0
	v_mbcnt_hi_u32_b32 v0, s11, v0
	v_cmp_eq_u32_e32 vcc, 0, v0
	s_waitcnt lgkmcnt(0)
	s_and_saveexec_b64 s[6:7], vcc
	s_cbranch_execz .LBB18_2663
; %bb.2662:
	s_bcnt1_i32_b64 s8, s[10:11]
	v_mov_b32_e32 v2, s8
	v_mov_b32_e32 v3, 0
	ds_add_u64 v0, v[2:3]
	s_trap 2
.LBB18_2663:
	s_or_b64 exec, exec, s[6:7]
	s_trap 2
	ds_read_b64 v[2:3], v0
	s_waitcnt lgkmcnt(0)
	v_lshrrev_b32_e32 v0, 6, v1
	v_mov_b32_e32 v1, 0
	v_lshl_add_u64 v[0:1], v[70:71], 0, v[0:1]
	v_cmp_lt_u64_e32 vcc, v[2:3], v[0:1]
	s_and_saveexec_b64 s[6:7], vcc
	s_cbranch_execz .LBB18_2672
; %bb.2664:
	s_mov_b32 s22, 0
	s_mov_b64 s[10:11], 0
                                        ; implicit-def: $sgpr12_sgpr13
                                        ; implicit-def: $sgpr14_sgpr15
	s_branch .LBB18_2666
.LBB18_2665:                            ;   in Loop: Header=BB18_2666 Depth=1
	s_or_b64 exec, exec, s[18:19]
	s_and_b64 s[8:9], exec, s[20:21]
	s_or_b64 s[10:11], s[8:9], s[10:11]
	s_andn2_b64 s[8:9], s[12:13], exec
	s_and_b64 s[12:13], s[14:15], exec
	s_or_b64 s[12:13], s[8:9], s[12:13]
	s_andn2_b64 exec, exec, s[10:11]
	s_cbranch_execz .LBB18_2670
.LBB18_2666:                            ; =>This Inner Loop Header: Depth=1
	s_add_i32 s22, s22, 1
	s_cmpk_lg_i32 s22, 0x2710
	s_cselect_b64 s[16:17], -1, 0
	s_and_b64 vcc, exec, s[16:17]
	s_cbranch_vccz .LBB18_2668
; %bb.2667:                             ;   in Loop: Header=BB18_2666 Depth=1
	s_mov_b64 s[20:21], -1
	s_or_b64 s[14:15], s[14:15], exec
	s_and_saveexec_b64 s[18:19], s[16:17]
	s_cbranch_execz .LBB18_2665
	s_branch .LBB18_2669
.LBB18_2668:                            ;   in Loop: Header=BB18_2666 Depth=1
	s_trap 2
	ds_read_b64 v[2:3], v0
	s_andn2_b64 s[8:9], s[16:17], exec
	s_mov_b32 s22, 0
	s_waitcnt lgkmcnt(0)
	flat_load_dword v2, v[2:3] sc0 sc1
	s_waitcnt vmcnt(0) lgkmcnt(0)
	buffer_inv sc0 sc1
	v_cmp_eq_u32_e32 vcc, 0, v2
	s_and_b64 s[16:17], vcc, exec
	s_or_b64 s[16:17], s[8:9], s[16:17]
	s_mov_b64 s[20:21], -1
	s_or_b64 s[14:15], s[14:15], exec
	s_and_saveexec_b64 s[18:19], s[16:17]
	s_cbranch_execz .LBB18_2665
.LBB18_2669:                            ;   in Loop: Header=BB18_2666 Depth=1
	s_sleep 1
	s_trap 2
	ds_read_b64 v[2:3], v0
	s_waitcnt lgkmcnt(0)
	s_andn2_b64 s[14:15], s[14:15], exec
	v_cmp_ge_u64_e32 vcc, v[2:3], v[0:1]
	s_orn2_b64 s[20:21], vcc, exec
	s_branch .LBB18_2665
.LBB18_2670:
	s_or_b64 exec, exec, s[10:11]
	s_and_saveexec_b64 s[8:9], s[12:13]
	s_xor_b64 s[8:9], exec, s[8:9]
	s_cbranch_execz .LBB18_2672
; %bb.2671:
	v_mov_b32_e32 v0, 1
	ds_write_b32 v0, v0
	s_trap 2
.LBB18_2672:
	s_or_b64 exec, exec, s[6:7]
	;;#ASMSTART
	s_wakeup
	;;#ASMEND
.LBB18_2673:
	s_or_b64 exec, exec, s[4:5]
.LBB18_2674:
	s_andn2_saveexec_b64 s[0:1], s[0:1]
	s_cbranch_execz .LBB18_2676
; %bb.2675:
	s_waitcnt lgkmcnt(0)
	s_barrier
.LBB18_2676:
	s_or_b64 exec, exec, s[2:3]
.LBB18_2677:
	v_readlane_b32 s0, v126, 0
	v_readlane_b32 s1, v126, 1
	s_andn2_saveexec_b64 s[22:23], s[0:1]
	s_cbranch_execz .LBB18_2679
; %bb.2678:
	s_getpc_b64 s[0:1]
	s_add_u32 s0, s0, __PRETTY_FUNCTION__._ZN10PrimitivesI12hip_bfloat1610FuncMinMaxIS0_E12FanSymmetricILi1EELi0E11ProtoSimpleILi2ELi2ELi0ELi2ELi0ELi0EELi0ELb0ELi0ELi1ELi0EEC2EiiPKiS9_PKvPvmhhhP15ncclDevWorkCollP14ncclDevWorkP2pii@rel32@lo+4
	s_addc_u32 s1, s1, __PRETTY_FUNCTION__._ZN10PrimitivesI12hip_bfloat1610FuncMinMaxIS0_E12FanSymmetricILi1EELi0E11ProtoSimpleILi2ELi2ELi0ELi2ELi0ELi0EELi0ELb0ELi0ELi1ELi0EEC2EiiPKiS9_PKvPvmhhhP15ncclDevWorkCollP14ncclDevWorkP2pii@rel32@hi+12
	s_getpc_b64 s[2:3]
	s_add_u32 s2, s2, __assert_fail@rel32@lo+4
	s_addc_u32 s3, s3, __assert_fail@rel32@hi+12
	s_mov_b64 s[8:9], s[24:25]
	v_mov_b32_e32 v0, s0
	v_mov_b32_e32 v1, s1
	s_swappc_b64 s[30:31], s[2:3]
	; divergent unreachable
.LBB18_2679:
	s_or_b64 exec, exec, s[22:23]
	scratch_load_dword v125, off, s33       ; 4-byte Folded Reload
	scratch_load_dword v124, off, s33 offset:4 ; 4-byte Folded Reload
	scratch_load_dword v123, off, s33 offset:8 ; 4-byte Folded Reload
	;; [unrolled: 1-line block ×45, first 2 shown]
	v_readlane_b32 s30, v127, 32
	v_readlane_b32 s31, v127, 33
	;; [unrolled: 1-line block ×34, first 2 shown]
	s_mov_b32 s32, s33
	v_readlane_b32 s0, v127, 34
	s_or_saveexec_b64 s[2:3], -1
	scratch_load_dword v127, off, s33 offset:340 ; 4-byte Folded Reload
	scratch_load_dword v126, off, s33 offset:344 ; 4-byte Folded Reload
	s_mov_b64 exec, s[2:3]
	s_mov_b32 s33, s0
	s_waitcnt vmcnt(0) lgkmcnt(0)
	s_setpc_b64 s[30:31]
.Lfunc_end18:
	.size	_ZN12_GLOBAL__N_17runRingI12hip_bfloat1610FuncMinMaxIS1_E11ProtoSimpleILi2ELi2ELi0ELi2ELi0ELi0EELi0ELi0ELi2ELi1EEEviiP15ncclDevWorkColl, .Lfunc_end18-_ZN12_GLOBAL__N_17runRingI12hip_bfloat1610FuncMinMaxIS1_E11ProtoSimpleILi2ELi2ELi0ELi2ELi0ELi0EELi0ELi0ELi2ELi1EEEviiP15ncclDevWorkColl
                                        ; -- End function
	.set .L_ZN12_GLOBAL__N_17runRingI12hip_bfloat1610FuncMinMaxIS1_E11ProtoSimpleILi2ELi2ELi0ELi2ELi0ELi0EELi0ELi0ELi2ELi1EEEviiP15ncclDevWorkColl.num_vgpr, max(128, .L__assert_fail.num_vgpr)
	.set .L_ZN12_GLOBAL__N_17runRingI12hip_bfloat1610FuncMinMaxIS1_E11ProtoSimpleILi2ELi2ELi0ELi2ELi0ELi0EELi0ELi0ELi2ELi1EEEviiP15ncclDevWorkColl.num_agpr, max(0, .L__assert_fail.num_agpr)
	.set .L_ZN12_GLOBAL__N_17runRingI12hip_bfloat1610FuncMinMaxIS1_E11ProtoSimpleILi2ELi2ELi0ELi2ELi0ELi0EELi0ELi0ELi2ELi1EEEviiP15ncclDevWorkColl.numbered_sgpr, max(98, .L__assert_fail.numbered_sgpr)
	.set .L_ZN12_GLOBAL__N_17runRingI12hip_bfloat1610FuncMinMaxIS1_E11ProtoSimpleILi2ELi2ELi0ELi2ELi0ELi0EELi0ELi0ELi2ELi1EEEviiP15ncclDevWorkColl.num_named_barrier, max(0, .L__assert_fail.num_named_barrier)
	.set .L_ZN12_GLOBAL__N_17runRingI12hip_bfloat1610FuncMinMaxIS1_E11ProtoSimpleILi2ELi2ELi0ELi2ELi0ELi0EELi0ELi0ELi2ELi1EEEviiP15ncclDevWorkColl.private_seg_size, 352+max(.L__assert_fail.private_seg_size)
	.set .L_ZN12_GLOBAL__N_17runRingI12hip_bfloat1610FuncMinMaxIS1_E11ProtoSimpleILi2ELi2ELi0ELi2ELi0ELi0EELi0ELi0ELi2ELi1EEEviiP15ncclDevWorkColl.uses_vcc, or(1, .L__assert_fail.uses_vcc)
	.set .L_ZN12_GLOBAL__N_17runRingI12hip_bfloat1610FuncMinMaxIS1_E11ProtoSimpleILi2ELi2ELi0ELi2ELi0ELi0EELi0ELi0ELi2ELi1EEEviiP15ncclDevWorkColl.uses_flat_scratch, or(0, .L__assert_fail.uses_flat_scratch)
	.set .L_ZN12_GLOBAL__N_17runRingI12hip_bfloat1610FuncMinMaxIS1_E11ProtoSimpleILi2ELi2ELi0ELi2ELi0ELi0EELi0ELi0ELi2ELi1EEEviiP15ncclDevWorkColl.has_dyn_sized_stack, or(0, .L__assert_fail.has_dyn_sized_stack)
	.set .L_ZN12_GLOBAL__N_17runRingI12hip_bfloat1610FuncMinMaxIS1_E11ProtoSimpleILi2ELi2ELi0ELi2ELi0ELi0EELi0ELi0ELi2ELi1EEEviiP15ncclDevWorkColl.has_recursion, or(1, .L__assert_fail.has_recursion)
	.set .L_ZN12_GLOBAL__N_17runRingI12hip_bfloat1610FuncMinMaxIS1_E11ProtoSimpleILi2ELi2ELi0ELi2ELi0ELi0EELi0ELi0ELi2ELi1EEEviiP15ncclDevWorkColl.has_indirect_call, or(0, .L__assert_fail.has_indirect_call)
	.section	.AMDGPU.csdata,"",@progbits
; Function info:
; codeLenInByte = 80136
; TotalNumSgprs: 104
; NumVgprs: 128
; NumAgprs: 0
; TotalNumVgprs: 128
; ScratchSize: 416
; MemoryBound: 1
	.text
	.p2align	2                               ; -- Begin function _Z51ncclDevFunc_AllReduce_RING_SIMPLE_MinMax_bf16_0_1_2v
	.type	_Z51ncclDevFunc_AllReduce_RING_SIMPLE_MinMax_bf16_0_1_2v,@function
_Z51ncclDevFunc_AllReduce_RING_SIMPLE_MinMax_bf16_0_1_2v: ; @_Z51ncclDevFunc_AllReduce_RING_SIMPLE_MinMax_bf16_0_1_2v
; %bb.0:
	s_waitcnt vmcnt(0) expcnt(0) lgkmcnt(0)
	s_mov_b32 s0, s33
	s_mov_b32 s33, s32
	s_or_saveexec_b64 s[2:3], -1
	scratch_store_dword off, v44, s33 offset:24 ; 4-byte Folded Spill
	scratch_store_dword off, v45, s33 offset:28 ; 4-byte Folded Spill
	s_mov_b64 exec, s[2:3]
	v_writelane_b32 v45, s0, 38
	v_writelane_b32 v45, s100, 36
	;; [unrolled: 1-line block ×3, first 2 shown]
	s_add_i32 s32, s32, 48
	scratch_store_dword off, v40, s33 offset:16 ; 4-byte Folded Spill
	scratch_store_dword off, v41, s33 offset:12 ; 4-byte Folded Spill
	;; [unrolled: 1-line block ×4, first 2 shown]
	scratch_store_dword off, v126, s33      ; 4-byte Folded Spill
	v_writelane_b32 v45, s34, 0
	v_writelane_b32 v45, s35, 1
	;; [unrolled: 1-line block ×35, first 2 shown]
	s_nop 1
	v_writelane_b32 v45, s31, 35
	s_trap 2
	ds_read_b32 v0, v0
	v_mov_b32_e32 v40, v31
                                        ; implicit-def: $vgpr44 : SGPR spill to VGPR lane
	v_and_b32_e32 v41, 0x3ff, v40
	s_mov_b32 s99, s12
	v_writelane_b32 v44, s8, 0
	s_waitcnt lgkmcnt(0)
	v_cmp_lt_i32_e32 vcc, v41, v0
	v_writelane_b32 v44, s9, 1
	s_and_saveexec_b64 s[0:1], vcc
	s_cbranch_execz .LBB19_5
; %bb.1:
	v_readlane_b32 s4, v44, 0
	v_readlane_b32 s5, v44, 1
	s_load_dword s2, s[4:5], 0x0
	v_mov_b32_e32 v1, 0
	s_mov_b32 s6, 0
	v_mov_b32_e32 v4, v41
                                        ; implicit-def: $vgpr2
	s_waitcnt lgkmcnt(0)
	s_cmp_lt_u32 s99, s2
	s_cselect_b32 s2, 12, 18
	s_add_u32 s2, s4, s2
	s_addc_u32 s3, s5, 0
	global_load_ushort v1, v1, s[2:3]
	s_trap 2
	ds_read_b32 v3, v0
	s_mov_b64 s[2:3], 0
	s_waitcnt vmcnt(0) lgkmcnt(0)
	v_mul_lo_u32 v3, v3, v1
	s_branch .LBB19_3
.LBB19_2:                               ;   in Loop: Header=BB19_3 Depth=1
	s_or_b64 exec, exec, s[4:5]
	v_add_u32_e32 v4, v4, v1
	v_cmp_ge_i32_e32 vcc, v4, v0
	s_or_b64 s[2:3], vcc, s[2:3]
	v_add_u32_e32 v2, v2, v3
	s_andn2_b64 exec, exec, s[2:3]
	s_cbranch_execz .LBB19_5
.LBB19_3:                               ; =>This Inner Loop Header: Depth=1
	ds_read_b32 v5, v2
	s_waitcnt lgkmcnt(0)
	v_and_b32_e32 v5, 0x1000000, v5
	v_cmp_ne_u32_e32 vcc, 0, v5
	s_and_saveexec_b64 s[4:5], vcc
	s_cbranch_execz .LBB19_2
; %bb.4:                                ;   in Loop: Header=BB19_3 Depth=1
	ds_read_b64 v[6:7], v2 offset:104
	s_waitcnt lgkmcnt(0)
	flat_load_ushort v5, v[6:7]
	v_mov_b32_e32 v7, s6
	s_waitcnt vmcnt(0) lgkmcnt(0)
	v_and_b32_e32 v6, 0xffff, v5
	ds_write_b64 v2, v[6:7] offset:104
	s_branch .LBB19_2
.LBB19_5:
	s_or_b64 exec, exec, s[0:1]
	s_waitcnt lgkmcnt(0)
	s_barrier
	s_trap 2
	ds_read_b32 v0, v0
	s_waitcnt lgkmcnt(0)
	v_cmp_gt_i32_e32 vcc, 1, v0
	s_cbranch_vccnz .LBB19_16
; %bb.6:
	s_mov_b32 s98, 0
	v_mov_b32_e32 v43, 6
	s_branch .LBB19_8
.LBB19_7:                               ;   in Loop: Header=BB19_8 Depth=1
	s_or_b64 exec, exec, s[2:3]
	s_trap 2
	ds_read_b32 v0, v0
	s_add_i32 s98, s98, 1
	s_waitcnt lgkmcnt(0)
	v_cmp_lt_i32_e32 vcc, s98, v0
	s_cbranch_vccz .LBB19_16
.LBB19_8:                               ; =>This Inner Loop Header: Depth=1
	s_trap 2
	ds_read_b32 v0, v0
	s_cmp_eq_u32 s98, 0
	s_cbranch_scc1 .LBB19_11
; %bb.9:                                ;   in Loop: Header=BB19_8 Depth=1
	s_trap 2
	s_waitcnt lgkmcnt(0)
	ds_read_b32 v1, v0
	s_waitcnt lgkmcnt(0)
	v_xor_b32_e32 v1, v1, v0
	v_and_b32_e32 v1, 0xff0000, v1
	v_cmp_eq_u32_e32 vcc, 0, v1
	s_cbranch_vccnz .LBB19_11
; %bb.10:                               ;   in Loop: Header=BB19_8 Depth=1
	s_barrier
	ds_read_b32 v0, v0
.LBB19_11:                              ;   in Loop: Header=BB19_8 Depth=1
	s_waitcnt lgkmcnt(0)
	v_lshlrev_b32_sdwa v42, v43, v0 dst_sel:DWORD dst_unused:UNUSED_PAD src0_sel:DWORD src1_sel:BYTE_2
	v_cmp_lt_u32_e32 vcc, v41, v42
	s_and_saveexec_b64 s[2:3], vcc
	s_cbranch_execz .LBB19_7
; %bb.12:                               ;   in Loop: Header=BB19_8 Depth=1
	v_cmp_lt_i32_e32 vcc, -1, v0
	s_mov_b64 s[4:5], src_shared_base
	s_mov_b64 s[0:1], -1
	v_writelane_b32 v44, s2, 2
	s_nop 1
	v_writelane_b32 v44, s3, 3
	s_cbranch_vccnz .LBB19_14
; %bb.13:                               ;   in Loop: Header=BB19_8 Depth=1
	v_readlane_b32 s8, v44, 0
	v_readlane_b32 s9, v44, 1
	v_mov_b32_e32 v3, s5
	v_writelane_b32 v44, s4, 4
	s_getpc_b64 s[0:1]
	s_add_u32 s0, s0, _ZN12_GLOBAL__N_17runRingI12hip_bfloat1610FuncMinMaxIS1_E11ProtoSimpleILi1ELi4ELi0ELi2ELi0ELi0EELi0ELi0ELi2ELi1EEEviiP15ncclDevWorkColl@rel32@lo+4
	s_addc_u32 s1, s1, _ZN12_GLOBAL__N_17runRingI12hip_bfloat1610FuncMinMaxIS1_E11ProtoSimpleILi1ELi4ELi0ELi2ELi0ELi0EELi0ELi0ELi2ELi1EEEviiP15ncclDevWorkColl@rel32@hi+12
	s_mov_b32 s12, s99
	v_mov_b32_e32 v31, v40
	v_mov_b32_e32 v0, v41
	;; [unrolled: 1-line block ×3, first 2 shown]
	v_writelane_b32 v44, s5, 5
	s_or_saveexec_b64 s[100:101], -1
	scratch_store_dword off, v44, s33 offset:20 ; 4-byte Folded Spill
	s_mov_b64 exec, s[100:101]
	s_swappc_b64 s[30:31], s[0:1]
	s_or_saveexec_b64 s[100:101], -1
	scratch_load_dword v44, off, s33 offset:20 ; 4-byte Folded Reload
	s_mov_b64 exec, s[100:101]
	s_waitcnt vmcnt(0)
	v_readlane_b32 s4, v44, 4
	v_readlane_b32 s2, v44, 2
	;; [unrolled: 1-line block ×4, first 2 shown]
	s_mov_b64 s[0:1], 0
.LBB19_14:                              ;   in Loop: Header=BB19_8 Depth=1
	s_andn2_b64 vcc, exec, s[0:1]
	s_cbranch_vccnz .LBB19_7
; %bb.15:                               ;   in Loop: Header=BB19_8 Depth=1
	v_readlane_b32 s8, v44, 0
	s_getpc_b64 s[0:1]
	s_add_u32 s0, s0, _ZN12_GLOBAL__N_17runRingI12hip_bfloat1610FuncMinMaxIS1_E11ProtoSimpleILi2ELi2ELi0ELi2ELi0ELi0EELi0ELi0ELi2ELi1EEEviiP15ncclDevWorkColl@rel32@lo+4
	s_addc_u32 s1, s1, _ZN12_GLOBAL__N_17runRingI12hip_bfloat1610FuncMinMaxIS1_E11ProtoSimpleILi2ELi2ELi0ELi2ELi0ELi0EELi0ELi0ELi2ELi1EEEviiP15ncclDevWorkColl@rel32@hi+12
	v_readlane_b32 s9, v44, 1
	s_mov_b32 s12, s99
	v_mov_b32_e32 v31, v40
	v_mov_b32_e32 v0, v41
	;; [unrolled: 1-line block ×4, first 2 shown]
	s_or_saveexec_b64 s[100:101], -1
	scratch_store_dword off, v44, s33 offset:20 ; 4-byte Folded Spill
	s_mov_b64 exec, s[100:101]
	s_swappc_b64 s[30:31], s[0:1]
	s_or_saveexec_b64 s[100:101], -1
	scratch_load_dword v44, off, s33 offset:20 ; 4-byte Folded Reload
	s_mov_b64 exec, s[100:101]
	s_waitcnt vmcnt(0)
	v_readlane_b32 s2, v44, 2
	v_readlane_b32 s3, v44, 3
	s_branch .LBB19_7
.LBB19_16:
	scratch_load_dword v126, off, s33       ; 4-byte Folded Reload
	scratch_load_dword v43, off, s33 offset:4 ; 4-byte Folded Reload
	scratch_load_dword v42, off, s33 offset:8 ; 4-byte Folded Reload
	;; [unrolled: 1-line block ×4, first 2 shown]
	v_readlane_b32 s30, v45, 34
	v_readlane_b32 s31, v45, 35
	;; [unrolled: 1-line block ×36, first 2 shown]
	s_mov_b32 s32, s33
	v_readlane_b32 s0, v45, 38
	v_readlane_b32 s100, v45, 36
	;; [unrolled: 1-line block ×3, first 2 shown]
	s_or_saveexec_b64 s[2:3], -1
	scratch_load_dword v44, off, s33 offset:24 ; 4-byte Folded Reload
	scratch_load_dword v45, off, s33 offset:28 ; 4-byte Folded Reload
	s_mov_b64 exec, s[2:3]
	s_mov_b32 s33, s0
	s_waitcnt vmcnt(0)
	s_setpc_b64 s[30:31]
.Lfunc_end19:
	.size	_Z51ncclDevFunc_AllReduce_RING_SIMPLE_MinMax_bf16_0_1_2v, .Lfunc_end19-_Z51ncclDevFunc_AllReduce_RING_SIMPLE_MinMax_bf16_0_1_2v
                                        ; -- End function
	.set .L_Z51ncclDevFunc_AllReduce_RING_SIMPLE_MinMax_bf16_0_1_2v.num_vgpr, max(127, .L_ZN12_GLOBAL__N_17runRingI12hip_bfloat1610FuncMinMaxIS1_E11ProtoSimpleILi1ELi4ELi0ELi2ELi0ELi0EELi0ELi0ELi2ELi1EEEviiP15ncclDevWorkColl.num_vgpr, .L_ZN12_GLOBAL__N_17runRingI12hip_bfloat1610FuncMinMaxIS1_E11ProtoSimpleILi2ELi2ELi0ELi2ELi0ELi0EELi0ELi0ELi2ELi1EEEviiP15ncclDevWorkColl.num_vgpr)
	.set .L_Z51ncclDevFunc_AllReduce_RING_SIMPLE_MinMax_bf16_0_1_2v.num_agpr, max(0, .L_ZN12_GLOBAL__N_17runRingI12hip_bfloat1610FuncMinMaxIS1_E11ProtoSimpleILi1ELi4ELi0ELi2ELi0ELi0EELi0ELi0ELi2ELi1EEEviiP15ncclDevWorkColl.num_agpr, .L_ZN12_GLOBAL__N_17runRingI12hip_bfloat1610FuncMinMaxIS1_E11ProtoSimpleILi2ELi2ELi0ELi2ELi0ELi0EELi0ELi0ELi2ELi1EEEviiP15ncclDevWorkColl.num_agpr)
	.set .L_Z51ncclDevFunc_AllReduce_RING_SIMPLE_MinMax_bf16_0_1_2v.numbered_sgpr, max(102, .L_ZN12_GLOBAL__N_17runRingI12hip_bfloat1610FuncMinMaxIS1_E11ProtoSimpleILi1ELi4ELi0ELi2ELi0ELi0EELi0ELi0ELi2ELi1EEEviiP15ncclDevWorkColl.numbered_sgpr, .L_ZN12_GLOBAL__N_17runRingI12hip_bfloat1610FuncMinMaxIS1_E11ProtoSimpleILi2ELi2ELi0ELi2ELi0ELi0EELi0ELi0ELi2ELi1EEEviiP15ncclDevWorkColl.numbered_sgpr)
	.set .L_Z51ncclDevFunc_AllReduce_RING_SIMPLE_MinMax_bf16_0_1_2v.num_named_barrier, max(0, .L_ZN12_GLOBAL__N_17runRingI12hip_bfloat1610FuncMinMaxIS1_E11ProtoSimpleILi1ELi4ELi0ELi2ELi0ELi0EELi0ELi0ELi2ELi1EEEviiP15ncclDevWorkColl.num_named_barrier, .L_ZN12_GLOBAL__N_17runRingI12hip_bfloat1610FuncMinMaxIS1_E11ProtoSimpleILi2ELi2ELi0ELi2ELi0ELi0EELi0ELi0ELi2ELi1EEEviiP15ncclDevWorkColl.num_named_barrier)
	.set .L_Z51ncclDevFunc_AllReduce_RING_SIMPLE_MinMax_bf16_0_1_2v.private_seg_size, 48+max(.L_ZN12_GLOBAL__N_17runRingI12hip_bfloat1610FuncMinMaxIS1_E11ProtoSimpleILi1ELi4ELi0ELi2ELi0ELi0EELi0ELi0ELi2ELi1EEEviiP15ncclDevWorkColl.private_seg_size, .L_ZN12_GLOBAL__N_17runRingI12hip_bfloat1610FuncMinMaxIS1_E11ProtoSimpleILi2ELi2ELi0ELi2ELi0ELi0EELi0ELi0ELi2ELi1EEEviiP15ncclDevWorkColl.private_seg_size)
	.set .L_Z51ncclDevFunc_AllReduce_RING_SIMPLE_MinMax_bf16_0_1_2v.uses_vcc, or(1, .L_ZN12_GLOBAL__N_17runRingI12hip_bfloat1610FuncMinMaxIS1_E11ProtoSimpleILi1ELi4ELi0ELi2ELi0ELi0EELi0ELi0ELi2ELi1EEEviiP15ncclDevWorkColl.uses_vcc, .L_ZN12_GLOBAL__N_17runRingI12hip_bfloat1610FuncMinMaxIS1_E11ProtoSimpleILi2ELi2ELi0ELi2ELi0ELi0EELi0ELi0ELi2ELi1EEEviiP15ncclDevWorkColl.uses_vcc)
	.set .L_Z51ncclDevFunc_AllReduce_RING_SIMPLE_MinMax_bf16_0_1_2v.uses_flat_scratch, or(0, .L_ZN12_GLOBAL__N_17runRingI12hip_bfloat1610FuncMinMaxIS1_E11ProtoSimpleILi1ELi4ELi0ELi2ELi0ELi0EELi0ELi0ELi2ELi1EEEviiP15ncclDevWorkColl.uses_flat_scratch, .L_ZN12_GLOBAL__N_17runRingI12hip_bfloat1610FuncMinMaxIS1_E11ProtoSimpleILi2ELi2ELi0ELi2ELi0ELi0EELi0ELi0ELi2ELi1EEEviiP15ncclDevWorkColl.uses_flat_scratch)
	.set .L_Z51ncclDevFunc_AllReduce_RING_SIMPLE_MinMax_bf16_0_1_2v.has_dyn_sized_stack, or(0, .L_ZN12_GLOBAL__N_17runRingI12hip_bfloat1610FuncMinMaxIS1_E11ProtoSimpleILi1ELi4ELi0ELi2ELi0ELi0EELi0ELi0ELi2ELi1EEEviiP15ncclDevWorkColl.has_dyn_sized_stack, .L_ZN12_GLOBAL__N_17runRingI12hip_bfloat1610FuncMinMaxIS1_E11ProtoSimpleILi2ELi2ELi0ELi2ELi0ELi0EELi0ELi0ELi2ELi1EEEviiP15ncclDevWorkColl.has_dyn_sized_stack)
	.set .L_Z51ncclDevFunc_AllReduce_RING_SIMPLE_MinMax_bf16_0_1_2v.has_recursion, or(1, .L_ZN12_GLOBAL__N_17runRingI12hip_bfloat1610FuncMinMaxIS1_E11ProtoSimpleILi1ELi4ELi0ELi2ELi0ELi0EELi0ELi0ELi2ELi1EEEviiP15ncclDevWorkColl.has_recursion, .L_ZN12_GLOBAL__N_17runRingI12hip_bfloat1610FuncMinMaxIS1_E11ProtoSimpleILi2ELi2ELi0ELi2ELi0ELi0EELi0ELi0ELi2ELi1EEEviiP15ncclDevWorkColl.has_recursion)
	.set .L_Z51ncclDevFunc_AllReduce_RING_SIMPLE_MinMax_bf16_0_1_2v.has_indirect_call, or(0, .L_ZN12_GLOBAL__N_17runRingI12hip_bfloat1610FuncMinMaxIS1_E11ProtoSimpleILi1ELi4ELi0ELi2ELi0ELi0EELi0ELi0ELi2ELi1EEEviiP15ncclDevWorkColl.has_indirect_call, .L_ZN12_GLOBAL__N_17runRingI12hip_bfloat1610FuncMinMaxIS1_E11ProtoSimpleILi2ELi2ELi0ELi2ELi0ELi0EELi0ELi0ELi2ELi1EEEviiP15ncclDevWorkColl.has_indirect_call)
	.section	.AMDGPU.csdata,"",@progbits
; Function info:
; codeLenInByte = 1536
; TotalNumSgprs: 108
; NumVgprs: 128
; NumAgprs: 0
; TotalNumVgprs: 128
; ScratchSize: 464
; MemoryBound: 0
	.text
	.p2align	2                               ; -- Begin function _ZN12_GLOBAL__N_17runRingI12hip_bfloat1610FuncMinMaxIS1_E11ProtoSimpleILi1ELi4ELi1ELi2ELi0ELi0EELi0ELi1ELi2ELi0EEEviiP15ncclDevWorkColl
	.type	_ZN12_GLOBAL__N_17runRingI12hip_bfloat1610FuncMinMaxIS1_E11ProtoSimpleILi1ELi4ELi1ELi2ELi0ELi0EELi0ELi1ELi2ELi0EEEviiP15ncclDevWorkColl,@function
_ZN12_GLOBAL__N_17runRingI12hip_bfloat1610FuncMinMaxIS1_E11ProtoSimpleILi1ELi4ELi1ELi2ELi0ELi0EELi0ELi1ELi2ELi0EEEviiP15ncclDevWorkColl: ; @_ZN12_GLOBAL__N_17runRingI12hip_bfloat1610FuncMinMaxIS1_E11ProtoSimpleILi1ELi4ELi1ELi2ELi0ELi0EELi0ELi1ELi2ELi0EEEviiP15ncclDevWorkColl
; %bb.0:
	s_waitcnt vmcnt(0) expcnt(0) lgkmcnt(0)
	s_mov_b32 s0, s33
	s_mov_b32 s33, s32
	s_or_saveexec_b64 s[2:3], -1
	scratch_store_dword off, v127, s33 offset:188 ; 4-byte Folded Spill
	s_mov_b64 exec, s[2:3]
	v_writelane_b32 v127, s0, 32
	s_addk_i32 s32, 0xd0
	scratch_store_dword off, v40, s33 offset:184 ; 4-byte Folded Spill
	scratch_store_dword off, v41, s33 offset:180 ; 4-byte Folded Spill
	;; [unrolled: 1-line block ×46, first 2 shown]
	scratch_store_dword off, v126, s33      ; 4-byte Folded Spill
	v_writelane_b32 v127, s34, 0
	v_writelane_b32 v127, s35, 1
	;; [unrolled: 1-line block ×31, first 2 shown]
	s_nop 1
	v_writelane_b32 v127, s31, 31
	s_trap 2
	flat_load_dword v9, v[2:3]
	ds_read_b32 v6, v0
                                        ; implicit-def: $vgpr14_vgpr15
                                        ; implicit-def: $vgpr28_vgpr29
                                        ; implicit-def: $vgpr4_vgpr5
	s_waitcnt lgkmcnt(0)
	v_readfirstlane_b32 s64, v6
	s_waitcnt vmcnt(0)
	v_cmp_ne_u32_sdwa s[0:1], v6, v9 src0_sel:DWORD src1_sel:BYTE_0
	s_and_saveexec_b64 s[2:3], s[0:1]
	s_xor_b64 s[0:1], exec, s[2:3]
	s_cbranch_execz .LBB20_6
; %bb.1:
	v_not_b32_sdwa v8, v9 dst_sel:DWORD dst_unused:UNUSED_PAD src0_sel:BYTE_0
	v_cmp_ne_u32_sdwa s[2:3], v6, v9 src0_sel:DWORD src1_sel:BYTE_1
                                        ; implicit-def: $vgpr14_vgpr15
                                        ; implicit-def: $vgpr28_vgpr29
                                        ; implicit-def: $vgpr4_vgpr5
	s_and_saveexec_b64 s[4:5], s[2:3]
	s_xor_b64 s[2:3], exec, s[4:5]
	s_cbranch_execz .LBB20_3
; %bb.2:
	flat_load_dwordx4 v[10:13], v[2:3] offset:72
	flat_load_dwordx2 v[4:5], v[2:3] offset:96
	v_add_u32_e32 v6, v6, v8
	v_ashrrev_i32_e32 v7, 31, v6
                                        ; implicit-def: $vgpr9
                                        ; implicit-def: $vgpr8
	s_waitcnt vmcnt(0) lgkmcnt(0)
	v_mul_lo_u32 v7, v12, v7
	v_mad_u64_u32 v[28:29], s[4:5], v12, v6, v[10:11]
	v_mul_lo_u32 v6, v13, v6
	v_lshrrev_b64 v[14:15], 13, v[4:5]
	v_add3_u32 v29, v6, v29, v7
	v_mov_b64_e32 v[4:5], v[12:13]
.LBB20_3:
	s_andn2_saveexec_b64 s[2:3], s[2:3]
	s_cbranch_execz .LBB20_5
; %bb.4:
	flat_load_dwordx4 v[10:13], v[2:3] offset:72
	flat_load_dwordx4 v[4:7], v[2:3] offset:88
	s_waitcnt vmcnt(0) lgkmcnt(0)
	v_add_u32_sdwa v6, v9, v8 dst_sel:DWORD dst_unused:UNUSED_PAD src0_sel:BYTE_1 src1_sel:DWORD
	v_ashrrev_i32_e32 v8, 31, v6
	v_mul_lo_u32 v8, v12, v8
	v_mad_u64_u32 v[28:29], s[4:5], v12, v6, v[10:11]
	v_mul_lo_u32 v6, v13, v6
	v_add3_u32 v29, v6, v29, v8
	v_lshrrev_b32_e32 v14, 2, v7
.LBB20_5:
	s_or_b64 exec, exec, s[2:3]
.LBB20_6:
	s_andn2_saveexec_b64 s[0:1], s[0:1]
	s_cbranch_execz .LBB20_8
; %bb.7:
	flat_load_dwordx2 v[6:7], v[2:3] offset:96
	flat_load_dwordx2 v[4:5], v[2:3] offset:72
	v_mov_b64_e32 v[28:29], 0
	s_waitcnt vmcnt(0) lgkmcnt(0)
	v_lshlrev_b64 v[14:15], 8, v[6:7]
.LBB20_8:
	s_or_b64 exec, exec, s[0:1]
	s_trap 2
	ds_read_b64 v[6:7], v0
	s_waitcnt lgkmcnt(0)
	v_cmp_ne_u32_e32 vcc, -1, v6
	s_nop 1
	v_cndmask_b32_e64 v15, 0, 1, vcc
	v_cmp_ne_u32_e32 vcc, -1, v7
	s_nop 1
	v_addc_co_u32_e64 v8, s[0:1], 0, v15, vcc
	v_lshlrev_b32_e32 v6, 1, v8
	v_cmp_le_u32_e64 s[0:1], v6, v1
	s_and_saveexec_b64 s[2:3], s[0:1]
	s_xor_b64 s[72:73], exec, s[2:3]
	s_cbranch_execz .LBB20_2224
; %bb.9:
	flat_load_dwordx4 v[10:13], v[2:3] offset:16
	flat_load_dwordx2 v[16:17], v[2:3] offset:104
	flat_load_ushort v7, v[2:3] offset:8
	flat_load_dword v6, v[2:3] offset:4
	s_trap 2
	s_load_dword s0, s[8:9], 0x0
	v_mov_b32_e32 v9, 0
	v_mov_b32_e32 v92, 4
	s_waitcnt lgkmcnt(0)
	s_cmp_lt_u32 s12, s0
	s_cselect_b32 s0, 12, 18
	s_add_u32 s0, s8, s0
	s_addc_u32 s1, s9, 0
	global_load_ushort v82, v9, s[0:1]
	ds_read_b32 v9, v0
	v_cmp_ge_u32_e64 s[0:1], v0, v15
	s_waitcnt lgkmcnt(0)
	v_readfirstlane_b32 s22, v9
	s_and_saveexec_b64 s[2:3], s[0:1]
	s_cbranch_execz .LBB20_19
; %bb.10:
	v_cmp_ge_u32_e64 s[0:1], v0, v8
                                        ; implicit-def: $vgpr92
	s_and_saveexec_b64 s[4:5], s[0:1]
	s_xor_b64 s[0:1], exec, s[4:5]
	s_cbranch_execz .LBB20_16
; %bb.11:
	v_cndmask_b32_e64 v9, 0, 1, vcc
	v_sub_u32_e32 v9, v1, v9
	v_cmp_ge_u32_e32 vcc, v0, v9
	s_and_saveexec_b64 s[4:5], vcc
	s_xor_b64 s[4:5], exec, s[4:5]
; %bb.12:
                                        ; implicit-def: $vgpr8
; %bb.13:
	s_or_saveexec_b64 s[4:5], s[4:5]
	v_mov_b32_e32 v92, 16
	s_xor_b64 exec, exec, s[4:5]
; %bb.14:
	v_sub_u32_e32 v8, v1, v8
	v_cmp_lt_i32_e32 vcc, v0, v8
	s_nop 1
	v_cndmask_b32_e64 v92, 32, 0, vcc
; %bb.15:
	s_or_b64 exec, exec, s[4:5]
.LBB20_16:
	s_andn2_saveexec_b64 s[0:1], s[0:1]
; %bb.17:
	v_mov_b32_e32 v92, 8
; %bb.18:
	s_or_b64 exec, exec, s[0:1]
.LBB20_19:
	s_or_b64 exec, exec, s[2:3]
	v_and_b32_e32 v8, 36, v92
	v_cmp_ne_u32_e32 vcc, 0, v8
	v_mov_b32_e32 v8, -1
	s_and_saveexec_b64 s[0:1], vcc
	s_cbranch_execz .LBB20_21
; %bb.20:
	s_trap 2
	ds_read_b32 v8, v0
.LBB20_21:
	s_or_b64 exec, exec, s[0:1]
	v_and_b32_e32 v9, 24, v92
	v_cmp_ne_u32_e64 s[0:1], 0, v9
	s_and_saveexec_b64 s[2:3], s[0:1]
	s_cbranch_execz .LBB20_23
; %bb.22:
	s_trap 2
	s_waitcnt lgkmcnt(0)
	ds_read_b32 v8, v0
.LBB20_23:
	s_or_b64 exec, exec, s[2:3]
	s_waitcnt vmcnt(0)
	v_lshrrev_b64 v[6:7], 31, v[6:7]
	v_and_b32_e32 v20, 3, v6
	v_mov_b64_e32 v[54:55], 0
	s_waitcnt lgkmcnt(0)
	v_ashrrev_i32_e32 v9, 31, v8
	v_mov_b64_e32 v[6:7], 0
                                        ; implicit-def: $vgpr52_vgpr53
                                        ; implicit-def: $vgpr30
                                        ; implicit-def: $vgpr58_vgpr59
                                        ; implicit-def: $vgpr66_vgpr67
                                        ; implicit-def: $vgpr80_vgpr81
                                        ; implicit-def: $vgpr64_vgpr65
	s_and_saveexec_b64 s[0:1], vcc
	s_cbranch_execz .LBB20_33
; %bb.24:
	s_trap 2
	ds_read_b64 v[6:7], v0
	v_and_b32_e32 v18, 0xffff, v20
	s_movk_i32 s2, 0xa8
                                        ; implicit-def: $vgpr52_vgpr53
	s_waitcnt lgkmcnt(0)
	v_lshl_add_u64 v[6:7], v[8:9], 3, v[6:7]
	flat_load_dwordx2 v[6:7], v[6:7]
	s_waitcnt vmcnt(0) lgkmcnt(0)
	v_mad_u64_u32 v[18:19], s[2:3], v18, s2, v[6:7]
	flat_load_dword v6, v[18:19] offset:640
	s_waitcnt vmcnt(0) lgkmcnt(0)
	v_cmp_eq_u32_e32 vcc, 1, v6
	s_and_saveexec_b64 s[2:3], vcc
	s_cbranch_execz .LBB20_26
; %bb.25:
	flat_load_dwordx2 v[52:53], v[18:19] offset:648
	v_or_b32_e32 v92, 0x2000, v92
	s_waitcnt vmcnt(0) lgkmcnt(0)
	flat_load_dwordx2 v[6:7], v[52:53]
	s_trap 2
	s_waitcnt vmcnt(0) lgkmcnt(0)
	ds_write_b64 v0, v[6:7]
	flat_load_dwordx2 v[6:7], v[52:53] offset:8
	s_waitcnt vmcnt(0) lgkmcnt(0)
	ds_write_b64 v0, v[6:7]
	flat_load_dwordx2 v[6:7], v[52:53] offset:16
	s_waitcnt vmcnt(0) lgkmcnt(0)
	ds_write_b64 v0, v[6:7]
.LBB20_26:
	s_or_b64 exec, exec, s[2:3]
	flat_load_dwordx2 v[6:7], v[18:19] offset:608
	v_and_b32_e32 v21, 32, v92
	v_cmp_ne_u32_e32 vcc, 0, v21
                                        ; implicit-def: $vgpr64_vgpr65
	s_waitcnt vmcnt(0) lgkmcnt(0)
	v_lshl_add_u64 v[58:59], v[6:7], 0, 3
	v_and_b32_e32 v58, -4, v58
	s_and_saveexec_b64 s[2:3], vcc
	s_cbranch_execz .LBB20_28
; %bb.27:
	flat_load_dwordx2 v[64:65], v[18:19] offset:560
	s_waitcnt vmcnt(0) lgkmcnt(0)
	flat_store_dwordx2 v[64:65], v[58:59] sc0 sc1
.LBB20_28:
	s_or_b64 exec, exec, s[2:3]
	s_mov_b64 s[2:3], 0x1f8
	v_and_b32_e32 v6, 4, v92
	v_lshl_add_u64 v[54:55], v[18:19], 0, s[2:3]
	v_cmp_ne_u32_e32 vcc, 0, v6
	v_mov_b64_e32 v[6:7], 0
                                        ; implicit-def: $vgpr30
                                        ; implicit-def: $vgpr66_vgpr67
                                        ; implicit-def: $vgpr80_vgpr81
	s_and_saveexec_b64 s[2:3], vcc
	s_cbranch_execz .LBB20_32
; %bb.29:
	v_and_b32_e32 v6, 0x800, v92
	v_cmp_eq_u32_e32 vcc, 0, v6
	s_and_saveexec_b64 s[4:5], vcc
	s_cbranch_execz .LBB20_31
; %bb.30:
	s_trap 2
	ds_write_b64 v0, v[54:55]
.LBB20_31:
	s_or_b64 exec, exec, s[4:5]
	flat_load_dwordx2 v[64:65], v[18:19] offset:552
	s_waitcnt vmcnt(0) lgkmcnt(0)
	flat_load_dwordx2 v[80:81], v[64:65] sc0 sc1
	flat_load_dword v21, v[18:19] offset:576
	flat_load_dwordx2 v[6:7], v[18:19] offset:600
	flat_load_dwordx2 v[66:67], v[18:19] offset:520
	v_or_b32_e32 v18, 0x100, v92
	s_waitcnt vmcnt(0) lgkmcnt(0)
	v_ashrrev_i32_e32 v30, 1, v21
	v_cmp_eq_u64_e32 vcc, 0, v[6:7]
	s_nop 1
	v_cndmask_b32_e32 v92, v18, v92, vcc
.LBB20_32:
	s_or_b64 exec, exec, s[2:3]
.LBB20_33:
	s_or_b64 exec, exec, s[0:1]
	v_and_b32_e32 v18, 24, v92
	v_cmp_ne_u32_e32 vcc, 0, v18
                                        ; implicit-def: $vgpr68_vgpr69
	s_and_saveexec_b64 s[0:1], vcc
	s_cbranch_execz .LBB20_41
; %bb.34:
	s_trap 2
	ds_read_b64 v[6:7], v0
	s_movk_i32 s2, 0xa8
	v_or_b32_e32 v18, 0x100, v92
                                        ; implicit-def: $vgpr68_vgpr69
	s_waitcnt lgkmcnt(0)
	v_lshl_add_u64 v[6:7], v[8:9], 3, v[6:7]
	flat_load_dwordx2 v[6:7], v[6:7]
	v_and_b32_e32 v8, 0xffff, v20
	s_waitcnt vmcnt(0) lgkmcnt(0)
	v_mad_u64_u32 v[54:55], s[2:3], v8, s2, v[6:7]
	flat_load_dwordx4 v[6:9], v[54:55] offset:96
	s_waitcnt vmcnt(0) lgkmcnt(0)
	v_cmp_eq_u64_e32 vcc, 0, v[6:7]
	s_nop 1
	v_cndmask_b32_e32 v92, v18, v92, vcc
	v_and_b32_e32 v18, 16, v92
	v_cmp_ne_u32_e32 vcc, 0, v18
	s_and_saveexec_b64 s[2:3], vcc
	s_cbranch_execz .LBB20_36
; %bb.35:
	flat_load_dwordx2 v[64:65], v[54:55] offset:48
	flat_load_dwordx2 v[68:69], v[54:55] offset:120
	;; [unrolled: 1-line block ×3, first 2 shown]
.LBB20_36:
	s_or_b64 exec, exec, s[2:3]
	v_lshl_add_u64 v[58:59], v[8:9], 0, 3
	v_and_b32_e32 v8, 8, v92
	v_and_b32_e32 v58, -4, v58
	v_cmp_ne_u32_e32 vcc, 0, v8
	s_and_saveexec_b64 s[2:3], vcc
	s_cbranch_execz .LBB20_40
; %bb.37:
	v_and_b32_e32 v8, 0x800, v92
	v_cmp_eq_u32_e32 vcc, 0, v8
	s_and_saveexec_b64 s[4:5], vcc
	s_cbranch_execz .LBB20_39
; %bb.38:
	s_trap 2
	ds_write_b64 v0, v[54:55]
.LBB20_39:
	s_or_b64 exec, exec, s[4:5]
	s_waitcnt vmcnt(0) lgkmcnt(0)
	flat_load_dwordx2 v[64:65], v[54:55] offset:56
	s_waitcnt vmcnt(0) lgkmcnt(0)
	flat_load_dwordx2 v[80:81], v[64:65] sc0 sc1
	flat_load_dword v8, v[54:55] offset:72
	flat_load_dwordx2 v[66:67], v[54:55] offset:16
	s_waitcnt vmcnt(0) lgkmcnt(0)
	v_ashrrev_i32_e32 v30, 1, v8
.LBB20_40:
	s_or_b64 exec, exec, s[2:3]
.LBB20_41:
	s_or_b64 exec, exec, s[0:1]
	v_cmp_eq_u32_e64 s[0:1], 0, v0
	s_and_saveexec_b64 s[2:3], s[0:1]
	s_cbranch_execz .LBB20_43
; %bb.42:
	flat_load_dwordx2 v[8:9], v[2:3] offset:32
	ds_write2_b64 v0, v[12:13], v[10:11] offset1:1
	s_trap 2
	s_waitcnt vmcnt(0) lgkmcnt(0)
	ds_write_b64 v0, v[8:9]
	ds_write_b64 v0, v[16:17]
.LBB20_43:
	s_or_b64 exec, exec, s[2:3]
	v_mov_b64_e32 v[70:71], 0
	v_cmp_lt_i64_e32 vcc, 0, v[4:5]
	s_trap 2
	s_and_saveexec_b64 s[74:75], vcc
	s_cbranch_execz .LBB20_2190
; %bb.44:
	flat_load_dword v8, v[2:3] offset:4
	s_ashr_i32 s16, s22, 31
	s_lshr_b32 s23, s16, 29
	s_add_i32 s22, s22, s23
	s_ashr_i32 s65, s64, 31
	s_ashr_i32 s23, s22, 4
	s_add_u32 s94, s64, -1
	s_addc_u32 s95, s65, -1
	s_add_i32 s71, s64, s64
	s_not_b32 s24, s64
	s_cmp_gt_i32 s64, 0
	s_cselect_b32 s24, s24, -1
	s_ashr_i32 s22, s22, 31
	s_lshr_b32 s22, s22, 29
	s_add_i32 s80, s24, s71
	s_add_i32 s23, s23, s22
	s_ashr_i32 s81, s80, 31
	s_ashr_i32 s82, s23, 3
	s_cmp_gt_i32 s64, 2
	v_and_b32_e32 v2, 0x1fffff00, v14
	v_lshrrev_b32_e32 v84, 6, v1
	v_lshlrev_b32_e32 v10, 1, v1
	s_cselect_b64 s[30:31], -1, 0
	s_add_i32 s24, s64, 1
	v_and_b32_e32 v9, 63, v31
	v_and_b32_e32 v93, 63, v0
	v_mad_i64_i32 v[96:97], s[14:15], v2, s64, 0
	v_lshlrev_b32_e32 v100, 10, v84
	v_and_b32_e32 v102, 0x7f80, v10
	v_lshrrev_b32_e32 v94, 6, v0
	v_cmp_eq_u32_e64 s[14:15], 0, v9
	v_lshlrev_b32_e32 v9, 4, v93
	v_add_u32_e32 v40, 0xfffffc00, v100
	v_add_u32_e32 v42, 0xffffff80, v102
	v_mov_b32_e32 v3, 0
	s_mov_b64 s[90:91], 0x400
	s_mov_b64 s[92:93], 0x80
	v_lshl_or_b32 v116, v94, 12, v9
	v_ashrrev_i32_e32 v41, 31, v40
	v_ashrrev_i32_e32 v43, 31, v42
	s_mov_b32 s77, 0
	v_cmp_ge_u32_e64 s[2:3], v0, v1
	v_ashrrev_i32_e32 v83, 31, v30
	v_cmp_eq_u32_e64 s[4:5], 64, v1
	v_cmp_ne_u32_e64 s[6:7], 64, v1
	v_cmp_ne_u32_sdwa s[78:79], v1, v82 src0_sel:DWORD src1_sel:WORD_0
	s_mov_b64 s[88:89], 0
	s_waitcnt vmcnt(0) lgkmcnt(0)
	v_cmp_eq_u64_e64 s[10:11], 0, v[68:69]
	v_cmp_ne_u64_e64 s[12:13], 0, v[68:69]
	s_movk_i32 s66, 0xff80
	v_mov_b64_e32 v[86:87], 0
	v_mov_b64_e32 v[70:71], 0
	v_mov_b32_e32 v95, 1
	s_movk_i32 s67, 0x108
	s_mov_b32 s68, 0x7f800000
	s_movk_i32 s69, 0x7fff
	s_mov_b32 s70, 0xffff0000
	v_mov_b32_e32 v85, v3
	v_cmp_eq_u32_e64 s[16:17], 0, v93
	v_cmp_lt_u32_e64 s[18:19], v93, v15
	v_lshlrev_b32_e32 v98, 12, v84
	v_mov_b32_e32 v99, v3
	v_mov_b32_e32 v101, v3
	;; [unrolled: 1-line block ×3, first 2 shown]
	v_cmp_le_u32_e64 s[20:21], v93, v15
	v_mov_b32_e32 v113, v3
	v_lshlrev_b32_e32 v114, 11, v84
	v_mov_b32_e32 v115, v3
	v_mov_b32_e32 v117, v3
	v_mov_b32_e32 v119, v3
	v_lshl_or_b32 v112, v94, 11, v9
	v_or_b32_e32 v118, 0xc00, v116
	v_lshl_add_u64 v[44:45], v[40:41], 0, s[90:91]
	v_lshl_add_u64 v[46:47], v[42:43], 0, s[92:93]
	s_mov_b64 s[36:37], 0x380
	s_movk_i32 s86, 0xfc80
	v_mov_b32_e32 v124, v3
	v_mov_b32_e32 v125, v3
	;; [unrolled: 1-line block ×3, first 2 shown]
	v_and_b32_e32 v8, 1, v8
	v_cmp_eq_u32_e64 s[22:23], 1, v8
	s_xor_b64 s[34:35], s[22:23], -1
	s_cmp_ge_i32 s24, s64
	s_cselect_b32 s25, s64, 0
	s_sub_i32 s84, s24, s25
	s_add_i32 s83, s64, -2
	s_ashr_i32 s85, s84, 31
	v_mov_b32_e32 v105, 0x90
	v_mov_b32_e32 v106, 0xd0
	;; [unrolled: 1-line block ×3, first 2 shown]
	v_mov_b64_e32 v[56:57], v[2:3]
	s_trap 2
	s_branch .LBB20_47
.LBB20_45:                              ;   in Loop: Header=BB20_47 Depth=1
	s_or_b64 exec, exec, s[24:25]
.LBB20_46:                              ;   in Loop: Header=BB20_47 Depth=1
	s_or_b64 exec, exec, s[26:27]
	v_lshl_add_u64 v[86:87], v[86:87], 0, v[96:97]
	v_cmp_ge_i64_e32 vcc, v[86:87], v[4:5]
	s_or_b64 s[88:89], vcc, s[88:89]
	s_andn2_b64 exec, exec, s[88:89]
	s_cbranch_execz .LBB20_2189
.LBB20_47:                              ; =>This Loop Header: Depth=1
                                        ;     Child Loop BB20_62 Depth 2
                                        ;     Child Loop BB20_86 Depth 2
	;; [unrolled: 1-line block ×13, first 2 shown]
                                        ;       Child Loop BB20_274 Depth 3
                                        ;       Child Loop BB20_302 Depth 3
	;; [unrolled: 1-line block ×12, first 2 shown]
                                        ;     Child Loop BB20_625 Depth 2
                                        ;     Child Loop BB20_665 Depth 2
	;; [unrolled: 1-line block ×9, first 2 shown]
                                        ;       Child Loop BB20_937 Depth 3
                                        ;     Child Loop BB20_945 Depth 2
                                        ;     Child Loop BB20_1013 Depth 2
                                        ;       Child Loop BB20_1018 Depth 3
                                        ;     Child Loop BB20_1282 Depth 2
                                        ;     Child Loop BB20_1301 Depth 2
	;; [unrolled: 1-line block ×6, first 2 shown]
                                        ;       Child Loop BB20_1332 Depth 3
                                        ;       Child Loop BB20_1372 Depth 3
                                        ;       Child Loop BB20_1418 Depth 3
                                        ;       Child Loop BB20_1605 Depth 3
                                        ;       Child Loop BB20_1737 Depth 3
                                        ;       Child Loop BB20_1744 Depth 3
                                        ;       Child Loop BB20_1780 Depth 3
                                        ;       Child Loop BB20_1467 Depth 3
                                        ;       Child Loop BB20_1547 Depth 3
                                        ;         Child Loop BB20_1548 Depth 4
                                        ;       Child Loop BB20_1556 Depth 3
                                        ;       Child Loop BB20_1592 Depth 3
                                        ;         Child Loop BB20_1593 Depth 4
                                        ;       Child Loop BB20_1789 Depth 3
                                        ;       Child Loop BB20_1808 Depth 3
                                        ;       Child Loop BB20_1339 Depth 3
                                        ;       Child Loop BB20_1399 Depth 3
                                        ;       Child Loop BB20_1437 Depth 3
                                        ;     Child Loop BB20_1835 Depth 2
                                        ;     Child Loop BB20_1859 Depth 2
	;; [unrolled: 1-line block ×12, first 2 shown]
	v_sub_co_u32_e32 v60, vcc, v4, v86
	s_nop 1
	v_subb_co_u32_e32 v61, vcc, v5, v87, vcc
	v_cmp_lt_i64_e32 vcc, v[60:61], v[96:97]
	s_and_saveexec_b64 s[26:27], vcc
	s_cbranch_execz .LBB20_53
; %bb.48:                               ;   in Loop: Header=BB20_47 Depth=1
	v_lshl_add_u64 v[8:9], s[94:95], 0, v[60:61]
	v_or_b32_e32 v11, s65, v9
	v_mov_b32_e32 v10, v3
	v_cmp_ne_u64_e32 vcc, 0, v[10:11]
                                        ; implicit-def: $vgpr10_vgpr11
	s_and_saveexec_b64 s[24:25], vcc
	s_xor_b64 s[28:29], exec, s[24:25]
	s_cbranch_execz .LBB20_50
; %bb.49:                               ;   in Loop: Header=BB20_47 Depth=1
	s_ashr_i32 s40, s65, 31
	s_add_u32 s24, s64, s40
	s_mov_b32 s41, s40
	s_addc_u32 s25, s65, s40
	s_xor_b64 s[42:43], s[24:25], s[40:41]
	v_cvt_f32_u32_e32 v2, s42
	v_cvt_f32_u32_e32 v10, s43
	s_sub_u32 s41, 0, s42
	s_subb_u32 s44, 0, s43
	v_fmac_f32_e32 v2, 0x4f800000, v10
	v_rcp_f32_e32 v2, v2
	s_nop 0
	v_mul_f32_e32 v2, 0x5f7ffffc, v2
	v_mul_f32_e32 v10, 0x2f800000, v2
	v_trunc_f32_e32 v10, v10
	v_fmac_f32_e32 v2, 0xcf800000, v10
	v_cvt_u32_f32_e32 v10, v10
	v_cvt_u32_f32_e32 v2, v2
	v_readfirstlane_b32 s45, v10
	v_readfirstlane_b32 s24, v2
	s_mul_i32 s25, s41, s45
	s_mul_hi_u32 s47, s41, s24
	s_mul_i32 s46, s44, s24
	s_add_i32 s25, s47, s25
	s_add_i32 s25, s25, s46
	s_mul_i32 s56, s41, s24
	s_mul_i32 s47, s24, s25
	s_mul_hi_u32 s57, s24, s56
	s_mul_hi_u32 s46, s24, s25
	s_add_u32 s47, s57, s47
	s_addc_u32 s46, 0, s46
	s_mul_hi_u32 s58, s45, s56
	s_mul_i32 s56, s45, s56
	s_add_u32 s47, s47, s56
	s_mul_hi_u32 s57, s45, s25
	s_addc_u32 s46, s46, s58
	s_addc_u32 s47, s57, 0
	s_mul_i32 s25, s45, s25
	s_add_u32 s25, s46, s25
	s_addc_u32 s46, 0, s47
	s_add_u32 s47, s24, s25
	s_cselect_b64 s[24:25], -1, 0
	s_cmp_lg_u64 s[24:25], 0
	s_addc_u32 s45, s45, s46
	s_mul_i32 s24, s41, s45
	s_mul_hi_u32 s25, s41, s47
	s_add_i32 s24, s25, s24
	s_mul_i32 s44, s44, s47
	s_add_i32 s24, s24, s44
	s_mul_i32 s41, s41, s47
	s_mul_hi_u32 s44, s45, s41
	s_mul_i32 s46, s45, s41
	s_mul_i32 s57, s47, s24
	s_mul_hi_u32 s41, s47, s41
	s_mul_hi_u32 s56, s47, s24
	s_add_u32 s41, s41, s57
	s_addc_u32 s56, 0, s56
	s_add_u32 s41, s41, s46
	s_mul_hi_u32 s25, s45, s24
	s_addc_u32 s41, s56, s44
	s_addc_u32 s25, s25, 0
	s_mul_i32 s24, s45, s24
	s_add_u32 s24, s41, s24
	s_addc_u32 s41, 0, s25
	s_add_u32 s44, s47, s24
	v_ashrrev_i32_e32 v10, 31, v9
	s_cselect_b64 s[24:25], -1, 0
	v_mov_b32_e32 v11, v10
	s_cmp_lg_u64 s[24:25], 0
	v_lshl_add_u64 v[8:9], v[8:9], 0, v[10:11]
	s_addc_u32 s41, s45, s41
	v_xor_b32_e32 v16, v8, v10
	v_xor_b32_e32 v11, v9, v10
	v_mad_u64_u32 v[8:9], s[24:25], v16, s41, 0
	v_mul_hi_u32 v2, v16, s44
	v_lshl_add_u64 v[8:9], v[2:3], 0, v[8:9]
	v_mad_u64_u32 v[14:15], s[24:25], v11, s44, 0
	v_add_co_u32_e32 v2, vcc, v8, v14
	v_mad_u64_u32 v[12:13], s[24:25], v11, s41, 0
	s_nop 0
	v_addc_co_u32_e32 v2, vcc, v9, v15, vcc
	s_nop 1
	v_addc_co_u32_e32 v13, vcc, 0, v13, vcc
	v_lshl_add_u64 v[8:9], v[2:3], 0, v[12:13]
	v_mul_lo_u32 v2, s43, v8
	v_mul_lo_u32 v14, s42, v9
	v_mad_u64_u32 v[12:13], s[24:25], s42, v8, 0
	v_add3_u32 v2, v13, v14, v2
	v_sub_u32_e32 v13, v11, v2
	v_mov_b32_e32 v14, s43
	v_sub_co_u32_e32 v16, vcc, v16, v12
	s_nop 1
	v_subb_co_u32_e64 v12, s[24:25], v13, v14, vcc
	v_subrev_co_u32_e64 v13, s[24:25], s42, v16
	v_subb_co_u32_e32 v2, vcc, v11, v2, vcc
	s_nop 0
	v_subbrev_co_u32_e64 v12, s[24:25], 0, v12, s[24:25]
	v_cmp_le_u32_e64 s[24:25], s43, v12
	v_cmp_le_u32_e32 vcc, s43, v2
	s_nop 0
	v_cndmask_b32_e64 v14, 0, -1, s[24:25]
	v_cmp_le_u32_e64 s[24:25], s42, v13
	v_cndmask_b32_e64 v11, 0, -1, vcc
	v_cmp_le_u32_e32 vcc, s42, v16
	v_cndmask_b32_e64 v13, 0, -1, s[24:25]
	v_cmp_eq_u32_e64 s[24:25], s43, v12
	s_nop 1
	v_cndmask_b32_e64 v17, v14, v13, s[24:25]
	v_lshl_add_u64 v[12:13], v[8:9], 0, 2
	v_lshl_add_u64 v[14:15], v[8:9], 0, 1
	v_cmp_ne_u32_e64 s[24:25], 0, v17
	s_nop 1
	v_cndmask_b32_e64 v13, v15, v13, s[24:25]
	v_cndmask_b32_e64 v15, 0, -1, vcc
	v_cmp_eq_u32_e32 vcc, s43, v2
	s_nop 1
	v_cndmask_b32_e32 v2, v11, v15, vcc
	v_cmp_ne_u32_e32 vcc, 0, v2
	s_nop 1
	v_cndmask_b32_e32 v2, v9, v13, vcc
	v_cndmask_b32_e64 v9, v14, v12, s[24:25]
	v_cndmask_b32_e32 v8, v8, v9, vcc
	v_xor_b32_e32 v9, s40, v10
	v_xor_b32_e32 v8, v8, v9
	;; [unrolled: 1-line block ×3, first 2 shown]
	v_sub_co_u32_e32 v10, vcc, v8, v9
	s_nop 1
	v_subb_co_u32_e32 v11, vcc, v2, v9, vcc
                                        ; implicit-def: $vgpr8_vgpr9
.LBB20_50:                              ;   in Loop: Header=BB20_47 Depth=1
	s_andn2_saveexec_b64 s[24:25], s[28:29]
	s_cbranch_execz .LBB20_52
; %bb.51:                               ;   in Loop: Header=BB20_47 Depth=1
	v_cvt_f32_u32_e32 v2, s64
	s_sub_i32 s28, 0, s64
	v_rcp_iflag_f32_e32 v2, v2
	s_nop 0
	v_mul_f32_e32 v2, 0x4f7ffffe, v2
	v_cvt_u32_f32_e32 v2, v2
	v_mul_lo_u32 v9, s28, v2
	v_mul_hi_u32 v9, v2, v9
	v_add_u32_e32 v2, v2, v9
	v_mul_hi_u32 v2, v8, v2
	v_mul_lo_u32 v9, v2, s64
	v_sub_u32_e32 v8, v8, v9
	v_add_u32_e32 v10, 1, v2
	v_subrev_u32_e32 v9, s64, v8
	v_cmp_le_u32_e32 vcc, s64, v8
	s_nop 1
	v_cndmask_b32_e32 v8, v8, v9, vcc
	v_cndmask_b32_e32 v2, v2, v10, vcc
	v_add_u32_e32 v9, 1, v2
	v_cmp_le_u32_e32 vcc, s64, v8
	s_nop 1
	v_cndmask_b32_e32 v2, v2, v9, vcc
	v_mov_b64_e32 v[10:11], v[2:3]
.LBB20_52:                              ;   in Loop: Header=BB20_47 Depth=1
	s_or_b64 exec, exec, s[24:25]
	v_lshl_add_u64 v[56:57], v[10:11], 0, 7
	v_and_b32_e32 v56, -8, v56
.LBB20_53:                              ;   in Loop: Header=BB20_47 Depth=1
	s_or_b64 exec, exec, s[26:27]
	v_mul_lo_u32 v2, v57, s80
	v_mul_lo_u32 v8, v56, s81
	v_mad_u64_u32 v[10:11], s[24:25], v56, s80, 0
	v_add3_u32 v11, v11, v8, v2
	v_sub_co_u32_e32 v8, vcc, v60, v10
	v_lshl_add_u64 v[62:63], v[86:87], 0, v[28:29]
	s_nop 0
	v_subb_co_u32_e32 v9, vcc, v61, v11, vcc
	v_cmp_lt_i64_e32 vcc, v[56:57], v[8:9]
	v_mov_b32_e32 v2, 0
	s_nop 0
	v_cndmask_b32_e32 v9, v8, v56, vcc
	v_max_i32_e32 v20, 0, v9
	v_add_u32_e32 v8, 15, v20
	v_ashrrev_i32_e32 v12, 31, v8
	v_lshrrev_b32_e32 v12, 28, v12
	v_add_u32_e32 v8, v8, v12
	v_cmp_gt_i32_e32 vcc, 1, v9
	v_and_b32_e32 v8, -16, v8
	s_or_b64 s[26:27], s[2:3], vcc
	v_max_i32_e32 v8, s82, v8
	s_xor_b64 s[24:25], s[26:27], -1
	s_and_saveexec_b64 s[28:29], s[24:25]
	s_cbranch_execz .LBB20_191
; %bb.54:                               ;   in Loop: Header=BB20_47 Depth=1
	s_and_saveexec_b64 s[24:25], s[0:1]
	s_cbranch_execz .LBB20_56
; %bb.55:                               ;   in Loop: Header=BB20_47 Depth=1
	s_trap 2
	ds_read_b64 v[12:13], v0
	s_waitcnt lgkmcnt(0)
	v_lshl_add_u64 v[12:13], v[62:63], 1, v[12:13]
	v_lshl_add_u64 v[10:11], v[10:11], 1, v[12:13]
	ds_write_b64 v0, v[10:11]
	ds_write_b64 v0, v[124:125]
.LBB20_56:                              ;   in Loop: Header=BB20_47 Depth=1
	s_or_b64 exec, exec, s[24:25]
	v_and_b32_e32 v2, 8, v92
	v_min_i32_e32 v8, v8, v20
	v_cmp_ne_u32_e32 vcc, 0, v2
	s_and_saveexec_b64 s[40:41], vcc
	s_cbranch_execz .LBB20_78
; %bb.57:                               ;   in Loop: Header=BB20_47 Depth=1
	s_waitcnt vmcnt(0) lgkmcnt(0)
	v_lshl_add_u64 v[12:13], v[80:81], 0, 8
	v_lshl_add_u64 v[10:11], v[58:59], 0, 4
	v_cmp_lt_u64_e32 vcc, v[12:13], v[10:11]
	s_and_saveexec_b64 s[42:43], vcc
	s_cbranch_execz .LBB20_69
; %bb.58:                               ;   in Loop: Header=BB20_47 Depth=1
	v_and_b32_e32 v2, 64, v92
	s_mov_b32 s76, 0
	v_cmp_eq_u32_e32 vcc, 0, v2
	s_mov_b64 s[44:45], 0
                                        ; implicit-def: $sgpr46_sgpr47
                                        ; implicit-def: $sgpr56_sgpr57
                                        ; implicit-def: $sgpr58_sgpr59
	s_branch .LBB20_62
.LBB20_59:                              ;   in Loop: Header=BB20_62 Depth=2
	s_waitcnt vmcnt(0) lgkmcnt(0)
	v_lshl_add_u64 v[12:13], v[80:81], 0, 8
	v_cmp_ge_u64_e64 s[24:25], v[12:13], v[10:11]
	s_or_b64 s[38:39], s[38:39], exec
	s_orn2_b64 s[62:63], s[24:25], exec
.LBB20_60:                              ;   in Loop: Header=BB20_62 Depth=2
	s_or_b64 exec, exec, s[50:51]
	s_andn2_b64 s[24:25], s[58:59], exec
	s_and_b64 s[58:59], s[38:39], exec
	s_or_b64 s[58:59], s[24:25], s[58:59]
	s_andn2_b64 s[24:25], s[56:57], exec
	s_and_b64 s[56:57], s[62:63], exec
	s_or_b64 s[56:57], s[24:25], s[56:57]
.LBB20_61:                              ;   in Loop: Header=BB20_62 Depth=2
	s_or_b64 exec, exec, s[60:61]
	s_and_b64 s[24:25], exec, s[56:57]
	s_or_b64 s[44:45], s[24:25], s[44:45]
	s_andn2_b64 s[24:25], s[46:47], exec
	s_and_b64 s[46:47], s[58:59], exec
	s_or_b64 s[46:47], s[24:25], s[46:47]
	s_andn2_b64 exec, exec, s[44:45]
	s_cbranch_execz .LBB20_66
.LBB20_62:                              ;   Parent Loop BB20_47 Depth=1
                                        ; =>  This Inner Loop Header: Depth=2
	s_sleep 1
	s_waitcnt vmcnt(0) lgkmcnt(0)
	flat_load_dwordx2 v[80:81], v[64:65] sc0 sc1
	s_or_b64 s[58:59], s[58:59], exec
	s_or_b64 s[56:57], s[56:57], exec
                                        ; implicit-def: $vgpr2
	s_and_saveexec_b64 s[60:61], vcc
	s_cbranch_execz .LBB20_61
; %bb.63:                               ;   in Loop: Header=BB20_62 Depth=2
	s_cmpk_lt_i32 s76, 0x270f
	s_cselect_b64 s[48:49], -1, 0
	s_cmpk_gt_i32 s76, 0x270e
	s_mov_b64 s[62:63], -1
	s_cbranch_scc0 .LBB20_65
; %bb.64:                               ;   in Loop: Header=BB20_62 Depth=2
	s_trap 2
	ds_read_b64 v[12:13], v0
	s_andn2_b64 s[48:49], s[48:49], exec
	s_mov_b32 s76, 0
	s_mov_b64 s[38:39], 0
	s_waitcnt vmcnt(0) lgkmcnt(0)
	flat_load_dword v2, v[12:13] sc0 sc1
	s_waitcnt vmcnt(0) lgkmcnt(0)
	buffer_inv sc0 sc1
	v_cmp_eq_u32_e64 s[24:25], 0, v2
	s_and_b64 s[24:25], s[24:25], exec
	s_or_b64 s[48:49], s[48:49], s[24:25]
	s_and_saveexec_b64 s[50:51], s[48:49]
	s_cbranch_execz .LBB20_60
	s_branch .LBB20_59
.LBB20_65:                              ;   in Loop: Header=BB20_62 Depth=2
	s_add_i32 s76, s76, 1
	s_mov_b64 s[38:39], -1
                                        ; implicit-def: $vgpr2
	s_and_saveexec_b64 s[50:51], s[48:49]
	s_cbranch_execz .LBB20_60
	s_branch .LBB20_59
.LBB20_66:                              ;   in Loop: Header=BB20_47 Depth=1
	s_or_b64 exec, exec, s[44:45]
	s_xor_b64 s[24:25], s[46:47], -1
	s_and_saveexec_b64 s[44:45], s[24:25]
	s_xor_b64 s[24:25], exec, s[44:45]
	s_cbranch_execz .LBB20_68
; %bb.67:                               ;   in Loop: Header=BB20_47 Depth=1
	v_or_b32_e32 v92, 64, v92
	s_waitcnt lgkmcnt(0)
	ds_write_b32 v0, v2
	s_trap 2
.LBB20_68:                              ;   in Loop: Header=BB20_47 Depth=1
	s_or_b64 exec, exec, s[24:25]
.LBB20_69:                              ;   in Loop: Header=BB20_47 Depth=1
	s_or_b64 exec, exec, s[42:43]
	v_and_b32_e32 v2, 0x100, v92
	v_cmp_ne_u32_e32 vcc, 0, v2
	v_and_b32_e32 v2, 7, v58
	s_mov_b64 s[24:25], -1
	;;#ASMSTART
	s_wakeup
	;;#ASMEND
                                        ; implicit-def: $vgpr12_vgpr13
	s_and_saveexec_b64 s[42:43], vcc
	s_cbranch_execz .LBB20_73
; %bb.70:                               ;   in Loop: Header=BB20_47 Depth=1
	v_mad_u64_u32 v[14:15], s[24:25], v2, 24, v[6:7]
	flat_load_dword v16, v[14:15]
	v_ashrrev_i32_e32 v9, 31, v8
	v_lshlrev_b64 v[12:13], 1, v[8:9]
	flat_store_dwordx2 v[14:15], v[12:13] offset:8
                                        ; implicit-def: $vgpr12_vgpr13
	s_waitcnt vmcnt(0) lgkmcnt(0)
	v_cmp_ne_u32_e32 vcc, 1, v16
	v_cmp_eq_u32_e64 s[24:25], 1, v16
	s_and_saveexec_b64 s[44:45], s[24:25]
	s_cbranch_execz .LBB20_72
; %bb.71:                               ;   in Loop: Header=BB20_47 Depth=1
	flat_load_dword v12, v[14:15] offset:4 sc0 sc1
	s_waitcnt vmcnt(0) lgkmcnt(0)
	v_ashrrev_i32_e32 v13, 31, v12
	v_lshrrev_b64 v[12:13], 1, v[12:13]
.LBB20_72:                              ;   in Loop: Header=BB20_47 Depth=1
	s_or_b64 exec, exec, s[44:45]
	s_orn2_b64 s[24:25], vcc, exec
.LBB20_73:                              ;   in Loop: Header=BB20_47 Depth=1
	s_or_b64 exec, exec, s[42:43]
	s_and_saveexec_b64 s[42:43], s[24:25]
; %bb.74:                               ;   in Loop: Header=BB20_47 Depth=1
	v_mad_i64_i32 v[12:13], s[24:25], v2, v30, 0
; %bb.75:                               ;   in Loop: Header=BB20_47 Depth=1
	s_or_b64 exec, exec, s[42:43]
	v_and_b32_e32 v2, 0x2000, v92
	v_lshl_add_u64 v[12:13], v[12:13], 1, v[66:67]
	v_cmp_ne_u32_e32 vcc, 0, v2
	ds_write_b64 v0, v[12:13] offset:784
	s_and_saveexec_b64 s[24:25], vcc
	s_cbranch_execz .LBB20_77
; %bb.76:                               ;   in Loop: Header=BB20_47 Depth=1
	ds_read_b64 v[12:13], v0 offset:872
	s_waitcnt lgkmcnt(0)
	v_lshl_add_u64 v[12:13], v[12:13], 0, 1
	ds_write_b64 v0, v[12:13] offset:872
.LBB20_77:                              ;   in Loop: Header=BB20_47 Depth=1
	s_or_b64 exec, exec, s[24:25]
	v_mov_b64_e32 v[58:59], v[10:11]
.LBB20_78:                              ;   in Loop: Header=BB20_47 Depth=1
	s_or_b64 exec, exec, s[40:41]
	s_and_saveexec_b64 s[24:25], s[6:7]
	s_cbranch_execz .LBB20_97
; %bb.79:                               ;   in Loop: Header=BB20_47 Depth=1
	s_and_saveexec_b64 s[40:41], s[78:79]
	s_xor_b64 s[40:41], exec, s[40:41]
	s_cbranch_execz .LBB20_94
; %bb.80:                               ;   in Loop: Header=BB20_47 Depth=1
	s_and_saveexec_b64 s[42:43], s[14:15]
	s_cbranch_execz .LBB20_93
; %bb.81:                               ;   in Loop: Header=BB20_47 Depth=1
	s_mov_b64 s[46:47], exec
	v_mbcnt_lo_u32_b32 v2, s46, 0
	v_mbcnt_hi_u32_b32 v2, s47, v2
	v_cmp_eq_u32_e32 vcc, 0, v2
	s_waitcnt lgkmcnt(0)
	s_and_saveexec_b64 s[44:45], vcc
	s_cbranch_execz .LBB20_83
; %bb.82:                               ;   in Loop: Header=BB20_47 Depth=1
	s_bcnt1_i32_b64 s46, s[46:47]
	v_mov_b32_e32 v2, s46
	ds_add_u64 v0, v[2:3]
	s_trap 2
.LBB20_83:                              ;   in Loop: Header=BB20_47 Depth=1
	s_or_b64 exec, exec, s[44:45]
	s_trap 2
	ds_read_b64 v[10:11], v0
	s_waitcnt lgkmcnt(0)
	v_lshl_add_u64 v[70:71], v[70:71], 0, v[84:85]
	v_cmp_lt_u64_e32 vcc, v[10:11], v[70:71]
	s_and_saveexec_b64 s[44:45], vcc
	s_cbranch_execz .LBB20_92
; %bb.84:                               ;   in Loop: Header=BB20_47 Depth=1
	s_mov_b32 s76, 0
	s_mov_b64 s[46:47], 0
                                        ; implicit-def: $sgpr56_sgpr57
                                        ; implicit-def: $sgpr58_sgpr59
	s_branch .LBB20_86
.LBB20_85:                              ;   in Loop: Header=BB20_86 Depth=2
	s_or_b64 exec, exec, s[62:63]
	s_and_b64 s[60:61], exec, vcc
	s_or_b64 s[46:47], s[60:61], s[46:47]
	s_andn2_b64 s[56:57], s[56:57], exec
	s_and_b64 s[60:61], s[58:59], exec
	s_or_b64 s[56:57], s[56:57], s[60:61]
	s_andn2_b64 exec, exec, s[46:47]
	s_cbranch_execz .LBB20_90
.LBB20_86:                              ;   Parent Loop BB20_47 Depth=1
                                        ; =>  This Inner Loop Header: Depth=2
	s_add_i32 s76, s76, 1
	s_cmpk_lg_i32 s76, 0x2710
	s_cselect_b64 s[60:61], -1, 0
	s_and_b64 vcc, exec, s[60:61]
	s_cbranch_vccz .LBB20_88
; %bb.87:                               ;   in Loop: Header=BB20_86 Depth=2
	s_mov_b64 vcc, -1
	s_or_b64 s[58:59], s[58:59], exec
	s_and_saveexec_b64 s[62:63], s[60:61]
	s_cbranch_execz .LBB20_85
	s_branch .LBB20_89
.LBB20_88:                              ;   in Loop: Header=BB20_86 Depth=2
	s_trap 2
	ds_read_b64 v[10:11], v0
	s_andn2_b64 s[60:61], s[60:61], exec
	s_mov_b32 s76, 0
	s_waitcnt vmcnt(0) lgkmcnt(0)
	flat_load_dword v2, v[10:11] sc0 sc1
	s_waitcnt vmcnt(0) lgkmcnt(0)
	buffer_inv sc0 sc1
	v_cmp_eq_u32_e32 vcc, 0, v2
	s_and_b64 s[62:63], vcc, exec
	s_or_b64 s[60:61], s[60:61], s[62:63]
	s_mov_b64 vcc, -1
	s_or_b64 s[58:59], s[58:59], exec
	s_and_saveexec_b64 s[62:63], s[60:61]
	s_cbranch_execz .LBB20_85
.LBB20_89:                              ;   in Loop: Header=BB20_86 Depth=2
	s_sleep 1
	s_trap 2
	ds_read_b64 v[10:11], v0
	s_waitcnt lgkmcnt(0)
	s_andn2_b64 s[58:59], s[58:59], exec
	v_cmp_ge_u64_e32 vcc, v[10:11], v[70:71]
	s_orn2_b64 vcc, vcc, exec
	s_branch .LBB20_85
.LBB20_90:                              ;   in Loop: Header=BB20_47 Depth=1
	s_or_b64 exec, exec, s[46:47]
	s_and_saveexec_b64 s[46:47], s[56:57]
	s_xor_b64 s[46:47], exec, s[46:47]
	s_cbranch_execz .LBB20_92
; %bb.91:                               ;   in Loop: Header=BB20_47 Depth=1
	ds_write_b32 v0, v95
	s_trap 2
.LBB20_92:                              ;   in Loop: Header=BB20_47 Depth=1
	s_or_b64 exec, exec, s[44:45]
	;;#ASMSTART
	s_wakeup
	;;#ASMEND
.LBB20_93:                              ;   in Loop: Header=BB20_47 Depth=1
	s_or_b64 exec, exec, s[42:43]
.LBB20_94:                              ;   in Loop: Header=BB20_47 Depth=1
	s_andn2_saveexec_b64 s[40:41], s[40:41]
	s_cbranch_execz .LBB20_96
; %bb.95:                               ;   in Loop: Header=BB20_47 Depth=1
	s_waitcnt lgkmcnt(0)
	s_barrier
.LBB20_96:                              ;   in Loop: Header=BB20_47 Depth=1
	s_or_b64 exec, exec, s[40:41]
.LBB20_97:                              ;   in Loop: Header=BB20_47 Depth=1
	s_or_b64 exec, exec, s[24:25]
	s_trap 2
	ds_read_b32 v9, v0
	v_and_b32_e32 v2, 0x4000, v92
	v_cmp_ne_u32_e32 vcc, 0, v2
	s_xor_b64 s[24:25], s[4:5], -1
	s_and_b64 s[40:41], s[24:25], vcc
	s_and_saveexec_b64 s[24:25], s[40:41]
	s_cbranch_execz .LBB20_116
; %bb.98:                               ;   in Loop: Header=BB20_47 Depth=1
	s_and_saveexec_b64 s[40:41], s[78:79]
	s_xor_b64 s[40:41], exec, s[40:41]
	s_cbranch_execz .LBB20_113
; %bb.99:                               ;   in Loop: Header=BB20_47 Depth=1
	s_and_saveexec_b64 s[42:43], s[14:15]
	s_cbranch_execz .LBB20_112
; %bb.100:                              ;   in Loop: Header=BB20_47 Depth=1
	s_mov_b64 s[46:47], exec
	v_mbcnt_lo_u32_b32 v2, s46, 0
	v_mbcnt_hi_u32_b32 v2, s47, v2
	v_cmp_eq_u32_e32 vcc, 0, v2
	s_waitcnt lgkmcnt(0)
	s_and_saveexec_b64 s[44:45], vcc
	s_cbranch_execz .LBB20_102
; %bb.101:                              ;   in Loop: Header=BB20_47 Depth=1
	s_bcnt1_i32_b64 s46, s[46:47]
	v_mov_b32_e32 v2, s46
	ds_add_u64 v0, v[2:3]
	s_trap 2
.LBB20_102:                             ;   in Loop: Header=BB20_47 Depth=1
	s_or_b64 exec, exec, s[44:45]
	s_trap 2
	ds_read_b64 v[10:11], v0
	s_waitcnt lgkmcnt(0)
	v_lshl_add_u64 v[70:71], v[70:71], 0, v[84:85]
	v_cmp_lt_u64_e32 vcc, v[10:11], v[70:71]
	s_and_saveexec_b64 s[44:45], vcc
	s_cbranch_execz .LBB20_111
; %bb.103:                              ;   in Loop: Header=BB20_47 Depth=1
	s_mov_b32 s76, 0
	s_mov_b64 s[46:47], 0
                                        ; implicit-def: $sgpr56_sgpr57
                                        ; implicit-def: $sgpr58_sgpr59
	s_branch .LBB20_105
.LBB20_104:                             ;   in Loop: Header=BB20_105 Depth=2
	s_or_b64 exec, exec, s[62:63]
	s_and_b64 s[60:61], exec, vcc
	s_or_b64 s[46:47], s[60:61], s[46:47]
	s_andn2_b64 s[56:57], s[56:57], exec
	s_and_b64 s[60:61], s[58:59], exec
	s_or_b64 s[56:57], s[56:57], s[60:61]
	s_andn2_b64 exec, exec, s[46:47]
	s_cbranch_execz .LBB20_109
.LBB20_105:                             ;   Parent Loop BB20_47 Depth=1
                                        ; =>  This Inner Loop Header: Depth=2
	s_add_i32 s76, s76, 1
	s_cmpk_lg_i32 s76, 0x2710
	s_cselect_b64 s[60:61], -1, 0
	s_and_b64 vcc, exec, s[60:61]
	s_cbranch_vccz .LBB20_107
; %bb.106:                              ;   in Loop: Header=BB20_105 Depth=2
	s_mov_b64 vcc, -1
	s_or_b64 s[58:59], s[58:59], exec
	s_and_saveexec_b64 s[62:63], s[60:61]
	s_cbranch_execz .LBB20_104
	s_branch .LBB20_108
.LBB20_107:                             ;   in Loop: Header=BB20_105 Depth=2
	s_trap 2
	ds_read_b64 v[10:11], v0
	s_andn2_b64 s[60:61], s[60:61], exec
	s_mov_b32 s76, 0
	s_waitcnt vmcnt(0) lgkmcnt(0)
	flat_load_dword v2, v[10:11] sc0 sc1
	s_waitcnt vmcnt(0) lgkmcnt(0)
	buffer_inv sc0 sc1
	v_cmp_eq_u32_e32 vcc, 0, v2
	s_and_b64 s[62:63], vcc, exec
	s_or_b64 s[60:61], s[60:61], s[62:63]
	s_mov_b64 vcc, -1
	s_or_b64 s[58:59], s[58:59], exec
	s_and_saveexec_b64 s[62:63], s[60:61]
	s_cbranch_execz .LBB20_104
.LBB20_108:                             ;   in Loop: Header=BB20_105 Depth=2
	s_sleep 1
	s_trap 2
	ds_read_b64 v[10:11], v0
	s_waitcnt lgkmcnt(0)
	s_andn2_b64 s[58:59], s[58:59], exec
	v_cmp_ge_u64_e32 vcc, v[10:11], v[70:71]
	s_orn2_b64 vcc, vcc, exec
	s_branch .LBB20_104
.LBB20_109:                             ;   in Loop: Header=BB20_47 Depth=1
	s_or_b64 exec, exec, s[46:47]
	s_and_saveexec_b64 s[46:47], s[56:57]
	s_xor_b64 s[46:47], exec, s[46:47]
	s_cbranch_execz .LBB20_111
; %bb.110:                              ;   in Loop: Header=BB20_47 Depth=1
	ds_write_b32 v0, v95
	s_trap 2
.LBB20_111:                             ;   in Loop: Header=BB20_47 Depth=1
	s_or_b64 exec, exec, s[44:45]
	;;#ASMSTART
	s_wakeup
	;;#ASMEND
.LBB20_112:                             ;   in Loop: Header=BB20_47 Depth=1
	s_or_b64 exec, exec, s[42:43]
.LBB20_113:                             ;   in Loop: Header=BB20_47 Depth=1
	s_andn2_saveexec_b64 s[40:41], s[40:41]
	s_cbranch_execz .LBB20_115
; %bb.114:                              ;   in Loop: Header=BB20_47 Depth=1
	s_waitcnt lgkmcnt(0)
	s_barrier
.LBB20_115:                             ;   in Loop: Header=BB20_47 Depth=1
	s_or_b64 exec, exec, s[40:41]
.LBB20_116:                             ;   in Loop: Header=BB20_47 Depth=1
	s_or_b64 exec, exec, s[24:25]
	s_trap 2
	ds_read_b64 v[10:11], v0
	s_waitcnt lgkmcnt(0)
	v_cmp_eq_u64_e32 vcc, 0, v[10:11]
	s_cbranch_vccnz .LBB20_124
; %bb.117:                              ;   in Loop: Header=BB20_47 Depth=1
	s_trap 2
	ds_read_b64 v[12:13], v0
	s_waitcnt lgkmcnt(0)
	v_cmp_eq_u64_e32 vcc, 0, v[12:13]
	s_cbranch_vccnz .LBB20_124
; %bb.118:                              ;   in Loop: Header=BB20_47 Depth=1
	s_mov_b64 s[24:25], -1
	s_and_saveexec_b64 s[40:41], s[16:17]
	s_cbranch_execz .LBB20_120
; %bb.119:                              ;   in Loop: Header=BB20_47 Depth=1
	ds_read_b32 v2, v0 offset:720
	s_waitcnt lgkmcnt(0)
	v_and_b32_e32 v2, 15, v2
	v_cmp_eq_u32_e32 vcc, 0, v2
	s_orn2_b64 s[24:25], vcc, exec
.LBB20_120:                             ;   in Loop: Header=BB20_47 Depth=1
	s_or_b64 exec, exec, s[40:41]
	s_and_saveexec_b64 s[40:41], s[18:19]
	s_cbranch_execz .LBB20_122
; %bb.121:                              ;   in Loop: Header=BB20_47 Depth=1
	ds_read_b32 v2, v0 offset:784
	s_waitcnt lgkmcnt(0)
	v_and_b32_e32 v2, 15, v2
	v_cmp_eq_u32_e32 vcc, 0, v2
	s_and_b64 s[42:43], s[24:25], vcc
	s_andn2_b64 s[24:25], s[24:25], exec
	s_and_b64 s[42:43], s[42:43], exec
	s_or_b64 s[24:25], s[24:25], s[42:43]
.LBB20_122:                             ;   in Loop: Header=BB20_47 Depth=1
	s_or_b64 exec, exec, s[40:41]
	v_cmp_eq_u32_e32 vcc, 0, v9
	s_xor_b64 s[24:25], s[24:25], -1
	v_cndmask_b32_e64 v14, 0, 1, s[24:25]
	v_cndmask_b32_e32 v2, 0, v8, vcc
	v_lshlrev_b32_e32 v9, 1, v2
	s_mov_b64 s[42:43], -1
	v_cmp_ne_u32_e32 vcc, 0, v14
	v_mov_b32_e32 v21, 0
	s_cbranch_vccz .LBB20_130
; %bb.123:                              ;   in Loop: Header=BB20_47 Depth=1
	v_mov_b32_e32 v22, v0
	s_and_saveexec_b64 s[24:25], s[42:43]
	s_cbranch_execnz .LBB20_141
	s_branch .LBB20_149
.LBB20_124:                             ;   in Loop: Header=BB20_47 Depth=1
	s_mov_b64 s[24:25], 0
	s_and_saveexec_b64 s[40:41], s[6:7]
	s_cbranch_execnz .LBB20_150
.LBB20_125:                             ;   in Loop: Header=BB20_47 Depth=1
	s_or_b64 exec, exec, s[40:41]
                                        ; implicit-def: $vgpr2
	s_and_saveexec_b64 s[40:41], s[22:23]
	s_xor_b64 s[40:41], exec, s[40:41]
	s_cbranch_execz .LBB20_168
.LBB20_126:                             ;   in Loop: Header=BB20_47 Depth=1
	v_and_b32_e32 v9, 16, v92
	v_cmp_ne_u32_e32 vcc, 0, v9
	v_and_b32_e32 v2, 16, v92
	s_and_b64 s[42:43], vcc, s[24:25]
	s_and_saveexec_b64 s[24:25], s[42:43]
	s_cbranch_execz .LBB20_128
; %bb.127:                              ;   in Loop: Header=BB20_47 Depth=1
	v_mov_b32_e32 v2, 1
	buffer_wbl2 sc1
	s_waitcnt vmcnt(0) lgkmcnt(0)
	buffer_inv sc1
.LBB20_128:                             ;   in Loop: Header=BB20_47 Depth=1
	s_or_b64 exec, exec, s[24:25]
	s_andn2_saveexec_b64 s[24:25], s[40:41]
	s_cbranch_execnz .LBB20_169
.LBB20_129:                             ;   in Loop: Header=BB20_47 Depth=1
	s_or_b64 exec, exec, s[24:25]
	v_cmp_ne_u32_e32 vcc, 0, v2
	s_and_saveexec_b64 s[24:25], vcc
	s_cbranch_execnz .LBB20_187
	s_branch .LBB20_190
.LBB20_130:                             ;   in Loop: Header=BB20_47 Depth=1
	v_ashrrev_i32_e32 v14, 31, v9
	v_lshrrev_b32_e32 v14, 20, v14
	v_add_u32_e32 v14, v9, v14
	v_ashrrev_i32_e32 v19, 12, v14
	v_sub_u32_e32 v18, v19, v94
	v_cmp_lt_i32_e32 vcc, 0, v18
	s_and_saveexec_b64 s[24:25], vcc
	s_cbranch_execz .LBB20_134
; %bb.131:                              ;   in Loop: Header=BB20_47 Depth=1
	s_mov_b64 s[40:41], 0
	v_mov_b64_e32 v[14:15], v[12:13]
	v_mov_b64_e32 v[16:17], v[10:11]
.LBB20_132:                             ;   Parent Loop BB20_47 Depth=1
                                        ; =>  This Inner Loop Header: Depth=2
	v_lshl_add_u64 v[26:27], v[116:117], 0, v[16:17]
	global_load_dwordx4 v[22:25], v[26:27], off nt
	global_load_dwordx4 v[32:35], v[26:27], off offset:1024 nt
	global_load_dwordx4 v[36:39], v[26:27], off offset:2048 nt
	;; [unrolled: 1-line block ×3, first 2 shown]
	v_sub_u32_e32 v18, v18, v84
	v_cmp_gt_i32_e32 vcc, 1, v18
	v_lshl_add_u64 v[26:27], v[116:117], 0, v[14:15]
	v_lshl_add_u64 v[16:17], v[16:17], 0, v[98:99]
	;; [unrolled: 1-line block ×3, first 2 shown]
	s_or_b64 s[40:41], vcc, s[40:41]
	s_waitcnt vmcnt(0)
	global_store_dwordx4 v[26:27], v[22:25], off
	global_store_dwordx4 v[26:27], v[32:35], off offset:1024
	global_store_dwordx4 v[26:27], v[36:39], off offset:2048
	;; [unrolled: 1-line block ×3, first 2 shown]
	s_andn2_b64 exec, exec, s[40:41]
	s_cbranch_execnz .LBB20_132
; %bb.133:                              ;   in Loop: Header=BB20_47 Depth=1
	s_or_b64 exec, exec, s[40:41]
.LBB20_134:                             ;   in Loop: Header=BB20_47 Depth=1
	s_or_b64 exec, exec, s[24:25]
	v_lshlrev_b32_e32 v16, 12, v19
	v_cmp_ne_u32_e32 vcc, v9, v16
	s_mov_b64 s[42:43], 0
	v_mov_b32_e32 v21, 0
                                        ; implicit-def: $vgpr22
	s_and_saveexec_b64 s[40:41], vcc
	s_cbranch_execz .LBB20_140
; %bb.135:                              ;   in Loop: Header=BB20_47 Depth=1
	v_lshlrev_b32_e32 v14, 6, v18
	v_sub_u32_e32 v14, v93, v14
	v_sub_u32_e32 v15, v9, v16
	v_ashrrev_i32_e32 v17, 31, v14
	v_lshrrev_b32_e32 v17, 26, v17
	v_ashrrev_i32_e32 v18, 31, v15
	v_add_u32_e32 v17, v14, v17
	v_lshrrev_b32_e32 v18, 22, v18
	v_ashrrev_i32_e32 v22, 6, v17
	v_and_b32_e32 v17, 0xffffffc0, v17
	v_add_u32_e32 v18, v15, v18
	v_sub_u32_e32 v17, v14, v17
	v_ashrrev_i32_e32 v23, 10, v18
	v_and_b32_e32 v18, 0xfffffc00, v18
	v_lshlrev_b32_e32 v14, 4, v17
	v_sub_u32_e32 v19, v15, v18
	v_lshl_add_u32 v14, v22, 10, v14
	v_cmp_lt_i32_e32 vcc, 15, v19
	v_sub_u32_e32 v21, v15, v14
	s_nop 0
	v_addc_co_u32_e64 v15, s[24:25], 0, v23, vcc
	v_sub_u32_e32 v22, v15, v22
	v_cmp_lt_i32_e64 s[24:25], 15, v21
	s_and_saveexec_b64 s[42:43], s[24:25]
	s_cbranch_execz .LBB20_139
; %bb.136:                              ;   in Loop: Header=BB20_47 Depth=1
	v_add_u32_e32 v14, v14, v16
	v_ashrrev_i32_e32 v15, 31, v14
	s_mov_b64 s[44:45], 0
.LBB20_137:                             ;   Parent Loop BB20_47 Depth=1
                                        ; =>  This Inner Loop Header: Depth=2
	v_lshl_add_u64 v[24:25], v[10:11], 0, v[14:15]
	global_load_dwordx4 v[24:27], v[24:25], off nt
	v_sub_u32_e32 v21, v21, v100
	v_cmp_gt_i32_e64 s[24:25], 16, v21
	v_lshl_add_u64 v[32:33], v[12:13], 0, v[14:15]
	v_sub_u32_e32 v22, v22, v84
	v_lshl_add_u64 v[14:15], v[14:15], 0, v[100:101]
	s_or_b64 s[44:45], s[24:25], s[44:45]
	s_waitcnt vmcnt(0)
	global_store_dwordx4 v[32:33], v[24:27], off
	s_andn2_b64 exec, exec, s[44:45]
	s_cbranch_execnz .LBB20_137
; %bb.138:                              ;   in Loop: Header=BB20_47 Depth=1
	s_or_b64 exec, exec, s[44:45]
.LBB20_139:                             ;   in Loop: Header=BB20_47 Depth=1
	s_or_b64 exec, exec, s[42:43]
	v_and_b32_e32 v9, 14, v9
	v_sub_u32_e32 v14, v19, v9
	v_cndmask_b32_e32 v14, 0, v14, vcc
	v_cndmask_b32_e32 v9, v19, v9, vcc
	v_cmp_lt_i32_e32 vcc, 0, v22
	v_add3_u32 v21, v18, v16, v14
	s_nop 0
	v_cndmask_b32_e32 v14, 0, v84, vcc
	v_sub_u32_e32 v14, v14, v22
	v_cmp_ne_u32_e32 vcc, 0, v9
	v_lshl_add_u32 v22, v14, 6, v17
	s_and_b64 s[42:43], vcc, exec
.LBB20_140:                             ;   in Loop: Header=BB20_47 Depth=1
	s_or_b64 exec, exec, s[40:41]
	s_and_saveexec_b64 s[24:25], s[42:43]
	s_cbranch_execz .LBB20_149
.LBB20_141:                             ;   in Loop: Header=BB20_47 Depth=1
	v_ashrrev_i32_e32 v14, 31, v22
	v_ashrrev_i32_e32 v15, 31, v9
	v_lshrrev_b32_e32 v14, 26, v14
	v_lshrrev_b32_e32 v15, 22, v15
	v_add_u32_e32 v14, v22, v14
	v_add_u32_e32 v15, v9, v15
	v_ashrrev_i32_e32 v23, 6, v14
	v_ashrrev_i32_e32 v25, 10, v15
	v_sub_u32_e32 v24, v25, v23
	v_cmp_lt_i32_e32 vcc, 0, v24
	s_and_saveexec_b64 s[40:41], vcc
	s_cbranch_execz .LBB20_145
; %bb.142:                              ;   in Loop: Header=BB20_47 Depth=1
	v_and_b32_e32 v14, 0x7fffffc0, v14
	v_sub_u32_e32 v14, v22, v14
	v_lshlrev_b32_e32 v14, 1, v14
	v_lshlrev_b32_e32 v15, 10, v23
	v_add3_u32 v14, v14, v21, v15
	v_ashrrev_i32_e32 v15, 31, v14
	s_mov_b64 s[42:43], 0
	v_mov_b64_e32 v[16:17], v[12:13]
	v_mov_b64_e32 v[18:19], v[10:11]
.LBB20_143:                             ;   Parent Loop BB20_47 Depth=1
                                        ; =>  This Inner Loop Header: Depth=2
	v_lshl_add_u64 v[26:27], v[14:15], 0, v[18:19]
	flat_load_ushort v32, v[26:27] nt
	flat_load_ushort v33, v[26:27] offset:128 nt
	flat_load_ushort v34, v[26:27] offset:256 nt
	;; [unrolled: 1-line block ×7, first 2 shown]
	v_sub_u32_e32 v24, v24, v84
	v_cmp_gt_i32_e32 vcc, 1, v24
	v_lshl_add_u64 v[26:27], v[14:15], 0, v[16:17]
	v_lshl_add_u64 v[18:19], v[18:19], 0, v[100:101]
	;; [unrolled: 1-line block ×3, first 2 shown]
	s_or_b64 s[42:43], vcc, s[42:43]
	s_waitcnt vmcnt(0) lgkmcnt(0)
	flat_store_short v[26:27], v32 nt
	flat_store_short v[26:27], v33 offset:128 nt
	flat_store_short v[26:27], v34 offset:256 nt
	;; [unrolled: 1-line block ×7, first 2 shown]
	s_andn2_b64 exec, exec, s[42:43]
	s_cbranch_execnz .LBB20_143
; %bb.144:                              ;   in Loop: Header=BB20_47 Depth=1
	s_or_b64 exec, exec, s[42:43]
.LBB20_145:                             ;   in Loop: Header=BB20_47 Depth=1
	s_or_b64 exec, exec, s[40:41]
	v_lshlrev_b32_e32 v14, 10, v25
	v_cmp_ne_u32_e32 vcc, v9, v14
	s_and_b64 exec, exec, vcc
	s_cbranch_execz .LBB20_149
; %bb.146:                              ;   in Loop: Header=BB20_47 Depth=1
	v_lshlrev_b32_e32 v15, 6, v23
	v_sub_u32_e32 v15, v22, v15
	v_lshlrev_b32_e32 v16, 6, v24
	v_sub_u32_e32 v15, v15, v16
	v_ashrrev_i32_e32 v16, 31, v15
	v_lshrrev_b32_e32 v16, 26, v16
	v_add_u32_e32 v16, v15, v16
	v_and_b32_e32 v17, 0x7fffffc0, v16
	v_sub_u32_e32 v15, v15, v17
	v_lshlrev_b32_e32 v16, 1, v16
	v_and_b32_e32 v16, 0xffffff80, v16
	v_lshlrev_b32_e32 v15, 1, v15
	v_add3_u32 v14, v16, v15, v14
	v_sub_u32_e32 v9, v9, v14
	v_cmp_lt_i32_e32 vcc, 1, v9
	s_and_b64 exec, exec, vcc
	s_cbranch_execz .LBB20_149
; %bb.147:                              ;   in Loop: Header=BB20_47 Depth=1
	v_add_u32_e32 v14, v14, v21
	v_ashrrev_i32_e32 v15, 31, v14
	s_mov_b64 s[40:41], 0
.LBB20_148:                             ;   Parent Loop BB20_47 Depth=1
                                        ; =>  This Inner Loop Header: Depth=2
	v_lshl_add_u64 v[16:17], v[10:11], 0, v[14:15]
	flat_load_ushort v18, v[16:17] nt
	v_sub_u32_e32 v9, v9, v102
	v_cmp_gt_i32_e32 vcc, 2, v9
	v_lshl_add_u64 v[16:17], v[12:13], 0, v[14:15]
	v_lshl_add_u64 v[14:15], v[14:15], 0, v[102:103]
	s_or_b64 s[40:41], vcc, s[40:41]
	s_waitcnt vmcnt(0) lgkmcnt(0)
	flat_store_short v[16:17], v18 nt
	s_andn2_b64 exec, exec, s[40:41]
	s_cbranch_execnz .LBB20_148
.LBB20_149:                             ;   in Loop: Header=BB20_47 Depth=1
	s_or_b64 exec, exec, s[24:25]
	v_cmp_lt_i32_e64 s[24:25], 0, v2
	s_and_saveexec_b64 s[40:41], s[6:7]
	s_cbranch_execz .LBB20_125
.LBB20_150:                             ;   in Loop: Header=BB20_47 Depth=1
	s_and_saveexec_b64 s[42:43], s[78:79]
	s_xor_b64 s[42:43], exec, s[42:43]
	s_cbranch_execz .LBB20_165
; %bb.151:                              ;   in Loop: Header=BB20_47 Depth=1
	s_and_saveexec_b64 s[44:45], s[14:15]
	s_cbranch_execz .LBB20_164
; %bb.152:                              ;   in Loop: Header=BB20_47 Depth=1
	s_mov_b64 s[56:57], exec
	v_mbcnt_lo_u32_b32 v2, s56, 0
	v_mbcnt_hi_u32_b32 v2, s57, v2
	v_cmp_eq_u32_e32 vcc, 0, v2
	s_waitcnt lgkmcnt(0)
	s_and_saveexec_b64 s[46:47], vcc
	s_cbranch_execz .LBB20_154
; %bb.153:                              ;   in Loop: Header=BB20_47 Depth=1
	s_bcnt1_i32_b64 s56, s[56:57]
	v_mov_b32_e32 v2, s56
	ds_add_u64 v0, v[2:3]
	s_trap 2
.LBB20_154:                             ;   in Loop: Header=BB20_47 Depth=1
	s_or_b64 exec, exec, s[46:47]
	s_trap 2
	ds_read_b64 v[10:11], v0
	s_waitcnt lgkmcnt(0)
	v_lshl_add_u64 v[70:71], v[70:71], 0, v[84:85]
	v_cmp_lt_u64_e32 vcc, v[10:11], v[70:71]
	s_and_saveexec_b64 s[46:47], vcc
	s_cbranch_execz .LBB20_163
; %bb.155:                              ;   in Loop: Header=BB20_47 Depth=1
	s_mov_b32 s76, 0
	s_mov_b64 s[56:57], 0
                                        ; implicit-def: $sgpr58_sgpr59
                                        ; implicit-def: $sgpr60_sgpr61
	s_branch .LBB20_157
.LBB20_156:                             ;   in Loop: Header=BB20_157 Depth=2
	s_or_b64 exec, exec, s[38:39]
	s_and_b64 s[62:63], exec, vcc
	s_or_b64 s[56:57], s[62:63], s[56:57]
	s_andn2_b64 s[58:59], s[58:59], exec
	s_and_b64 s[62:63], s[60:61], exec
	s_or_b64 s[58:59], s[58:59], s[62:63]
	s_andn2_b64 exec, exec, s[56:57]
	s_cbranch_execz .LBB20_161
.LBB20_157:                             ;   Parent Loop BB20_47 Depth=1
                                        ; =>  This Inner Loop Header: Depth=2
	s_add_i32 s76, s76, 1
	s_cmpk_lg_i32 s76, 0x2710
	s_cselect_b64 s[62:63], -1, 0
	s_and_b64 vcc, exec, s[62:63]
	s_cbranch_vccz .LBB20_159
; %bb.158:                              ;   in Loop: Header=BB20_157 Depth=2
	s_mov_b64 vcc, -1
	s_or_b64 s[60:61], s[60:61], exec
	s_and_saveexec_b64 s[38:39], s[62:63]
	s_cbranch_execz .LBB20_156
	s_branch .LBB20_160
.LBB20_159:                             ;   in Loop: Header=BB20_157 Depth=2
	s_trap 2
	ds_read_b64 v[10:11], v0
	s_andn2_b64 s[62:63], s[62:63], exec
	s_mov_b32 s76, 0
	s_waitcnt vmcnt(0) lgkmcnt(0)
	flat_load_dword v2, v[10:11] sc0 sc1
	s_waitcnt vmcnt(0) lgkmcnt(0)
	buffer_inv sc0 sc1
	v_cmp_eq_u32_e32 vcc, 0, v2
	s_and_b64 vcc, vcc, exec
	s_or_b64 s[62:63], s[62:63], vcc
	s_mov_b64 vcc, -1
	s_or_b64 s[60:61], s[60:61], exec
	s_and_saveexec_b64 s[38:39], s[62:63]
	s_cbranch_execz .LBB20_156
.LBB20_160:                             ;   in Loop: Header=BB20_157 Depth=2
	s_sleep 1
	s_trap 2
	ds_read_b64 v[10:11], v0
	s_waitcnt lgkmcnt(0)
	s_andn2_b64 s[60:61], s[60:61], exec
	v_cmp_ge_u64_e32 vcc, v[10:11], v[70:71]
	s_orn2_b64 vcc, vcc, exec
	s_branch .LBB20_156
.LBB20_161:                             ;   in Loop: Header=BB20_47 Depth=1
	s_or_b64 exec, exec, s[56:57]
	s_and_saveexec_b64 s[56:57], s[58:59]
	s_xor_b64 s[56:57], exec, s[56:57]
	s_cbranch_execz .LBB20_163
; %bb.162:                              ;   in Loop: Header=BB20_47 Depth=1
	ds_write_b32 v0, v95
	s_trap 2
.LBB20_163:                             ;   in Loop: Header=BB20_47 Depth=1
	s_or_b64 exec, exec, s[46:47]
	;;#ASMSTART
	s_wakeup
	;;#ASMEND
.LBB20_164:                             ;   in Loop: Header=BB20_47 Depth=1
	s_or_b64 exec, exec, s[44:45]
.LBB20_165:                             ;   in Loop: Header=BB20_47 Depth=1
	s_andn2_saveexec_b64 s[42:43], s[42:43]
	s_cbranch_execz .LBB20_167
; %bb.166:                              ;   in Loop: Header=BB20_47 Depth=1
	s_waitcnt lgkmcnt(0)
	s_barrier
.LBB20_167:                             ;   in Loop: Header=BB20_47 Depth=1
	s_or_b64 exec, exec, s[42:43]
	s_or_b64 exec, exec, s[40:41]
                                        ; implicit-def: $vgpr2
	s_and_saveexec_b64 s[40:41], s[22:23]
	s_xor_b64 s[40:41], exec, s[40:41]
	s_cbranch_execnz .LBB20_126
.LBB20_168:                             ;   in Loop: Header=BB20_47 Depth=1
	s_andn2_saveexec_b64 s[24:25], s[40:41]
	s_cbranch_execz .LBB20_129
.LBB20_169:                             ;   in Loop: Header=BB20_47 Depth=1
	s_and_saveexec_b64 s[40:41], s[78:79]
	s_xor_b64 s[40:41], exec, s[40:41]
	s_cbranch_execz .LBB20_184
; %bb.170:                              ;   in Loop: Header=BB20_47 Depth=1
	s_and_saveexec_b64 s[42:43], s[14:15]
	s_cbranch_execz .LBB20_183
; %bb.171:                              ;   in Loop: Header=BB20_47 Depth=1
	s_mov_b64 s[46:47], exec
	v_mbcnt_lo_u32_b32 v2, s46, 0
	v_mbcnt_hi_u32_b32 v2, s47, v2
	v_cmp_eq_u32_e32 vcc, 0, v2
	;;#ASMSTART
	s_waitcnt lgkmcnt(0) vmcnt(0)
	;;#ASMEND
	s_and_saveexec_b64 s[44:45], vcc
	s_cbranch_execz .LBB20_173
; %bb.172:                              ;   in Loop: Header=BB20_47 Depth=1
	s_bcnt1_i32_b64 s46, s[46:47]
	v_mov_b32_e32 v2, s46
	s_waitcnt lgkmcnt(0)
	ds_add_u64 v0, v[2:3]
	s_trap 2
.LBB20_173:                             ;   in Loop: Header=BB20_47 Depth=1
	s_or_b64 exec, exec, s[44:45]
	s_trap 2
	ds_read_b64 v[10:11], v0
	s_waitcnt lgkmcnt(0)
	v_lshl_add_u64 v[70:71], v[70:71], 0, v[84:85]
	v_cmp_lt_u64_e32 vcc, v[10:11], v[70:71]
	s_and_saveexec_b64 s[44:45], vcc
	s_cbranch_execz .LBB20_182
; %bb.174:                              ;   in Loop: Header=BB20_47 Depth=1
	s_mov_b32 s76, 0
	s_mov_b64 s[46:47], 0
                                        ; implicit-def: $sgpr56_sgpr57
                                        ; implicit-def: $sgpr58_sgpr59
	s_branch .LBB20_176
.LBB20_175:                             ;   in Loop: Header=BB20_176 Depth=2
	s_or_b64 exec, exec, s[62:63]
	s_and_b64 s[60:61], exec, vcc
	s_or_b64 s[46:47], s[60:61], s[46:47]
	s_andn2_b64 s[56:57], s[56:57], exec
	s_and_b64 s[60:61], s[58:59], exec
	s_or_b64 s[56:57], s[56:57], s[60:61]
	s_andn2_b64 exec, exec, s[46:47]
	s_cbranch_execz .LBB20_180
.LBB20_176:                             ;   Parent Loop BB20_47 Depth=1
                                        ; =>  This Inner Loop Header: Depth=2
	s_add_i32 s76, s76, 1
	s_cmpk_lg_i32 s76, 0x2710
	s_cselect_b64 s[60:61], -1, 0
	s_and_b64 vcc, exec, s[60:61]
	s_cbranch_vccz .LBB20_178
; %bb.177:                              ;   in Loop: Header=BB20_176 Depth=2
	s_mov_b64 vcc, -1
	s_or_b64 s[58:59], s[58:59], exec
	s_and_saveexec_b64 s[62:63], s[60:61]
	s_cbranch_execz .LBB20_175
	s_branch .LBB20_179
.LBB20_178:                             ;   in Loop: Header=BB20_176 Depth=2
	s_trap 2
	ds_read_b64 v[10:11], v0
	s_andn2_b64 s[60:61], s[60:61], exec
	s_mov_b32 s76, 0
	s_waitcnt vmcnt(0) lgkmcnt(0)
	flat_load_dword v2, v[10:11] sc0 sc1
	s_waitcnt vmcnt(0) lgkmcnt(0)
	buffer_inv sc0 sc1
	v_cmp_eq_u32_e32 vcc, 0, v2
	s_and_b64 s[62:63], vcc, exec
	s_or_b64 s[60:61], s[60:61], s[62:63]
	s_mov_b64 vcc, -1
	s_or_b64 s[58:59], s[58:59], exec
	s_and_saveexec_b64 s[62:63], s[60:61]
	s_cbranch_execz .LBB20_175
.LBB20_179:                             ;   in Loop: Header=BB20_176 Depth=2
	s_sleep 1
	s_trap 2
	ds_read_b64 v[10:11], v0
	s_waitcnt lgkmcnt(0)
	s_andn2_b64 s[58:59], s[58:59], exec
	v_cmp_ge_u64_e32 vcc, v[10:11], v[70:71]
	s_orn2_b64 vcc, vcc, exec
	s_branch .LBB20_175
.LBB20_180:                             ;   in Loop: Header=BB20_47 Depth=1
	s_or_b64 exec, exec, s[46:47]
	s_and_saveexec_b64 s[46:47], s[56:57]
	s_xor_b64 s[46:47], exec, s[46:47]
	s_cbranch_execz .LBB20_182
; %bb.181:                              ;   in Loop: Header=BB20_47 Depth=1
	ds_write_b32 v0, v95
	s_trap 2
.LBB20_182:                             ;   in Loop: Header=BB20_47 Depth=1
	s_or_b64 exec, exec, s[44:45]
	;;#ASMSTART
	s_wakeup
	;;#ASMEND
.LBB20_183:                             ;   in Loop: Header=BB20_47 Depth=1
	s_or_b64 exec, exec, s[42:43]
.LBB20_184:                             ;   in Loop: Header=BB20_47 Depth=1
	s_andn2_saveexec_b64 s[40:41], s[40:41]
	s_cbranch_execz .LBB20_186
; %bb.185:                              ;   in Loop: Header=BB20_47 Depth=1
	;;#ASMSTART
	s_waitcnt lgkmcnt(0) vmcnt(0)
	;;#ASMEND
	s_barrier
.LBB20_186:                             ;   in Loop: Header=BB20_47 Depth=1
	s_or_b64 exec, exec, s[40:41]
	v_and_b32_e32 v2, 16, v92
	s_or_b64 exec, exec, s[24:25]
	v_cmp_ne_u32_e32 vcc, 0, v2
	s_and_saveexec_b64 s[24:25], vcc
	s_cbranch_execz .LBB20_190
.LBB20_187:                             ;   in Loop: Header=BB20_47 Depth=1
	s_and_saveexec_b64 s[40:41], s[12:13]
	s_cbranch_execz .LBB20_189
; %bb.188:                              ;   in Loop: Header=BB20_47 Depth=1
	flat_store_dword v[68:69], v95 sc0 sc1
.LBB20_189:                             ;   in Loop: Header=BB20_47 Depth=1
	s_or_b64 exec, exec, s[40:41]
	v_lshl_add_u64 v[58:59], v[58:59], 0, 4
	flat_store_dwordx2 v[64:65], v[58:59] sc0 sc1
.LBB20_190:                             ;   in Loop: Header=BB20_47 Depth=1
	s_or_b64 exec, exec, s[24:25]
	v_mov_b32_e32 v2, v8
.LBB20_191:                             ;   in Loop: Header=BB20_47 Depth=1
	s_or_b64 exec, exec, s[28:29]
	s_and_saveexec_b64 s[28:29], s[26:27]
	s_cbranch_execz .LBB20_261
; %bb.192:                              ;   in Loop: Header=BB20_47 Depth=1
	v_sub_u32_e32 v2, v20, v2
	v_min_i32_e32 v8, v8, v2
	v_and_b32_e32 v2, 8, v92
	v_cmp_ne_u32_e32 vcc, 0, v2
	s_and_saveexec_b64 s[26:27], vcc
	s_cbranch_execz .LBB20_202
; %bb.193:                              ;   in Loop: Header=BB20_47 Depth=1
	s_waitcnt vmcnt(0) lgkmcnt(0)
	v_lshl_add_u64 v[12:13], v[80:81], 0, 8
	v_lshl_add_u64 v[10:11], v[58:59], 0, 4
	v_cmp_lt_u64_e32 vcc, v[12:13], v[10:11]
	s_and_saveexec_b64 s[40:41], vcc
	s_cbranch_execz .LBB20_211
; %bb.194:                              ;   in Loop: Header=BB20_47 Depth=1
	v_and_b32_e32 v2, 64, v92
	s_mov_b32 s76, 0
	v_cmp_eq_u32_e32 vcc, 0, v2
	s_mov_b64 s[42:43], 0
                                        ; implicit-def: $sgpr44_sgpr45
                                        ; implicit-def: $sgpr46_sgpr47
                                        ; implicit-def: $sgpr56_sgpr57
	s_branch .LBB20_198
.LBB20_195:                             ;   in Loop: Header=BB20_198 Depth=2
	s_waitcnt vmcnt(0) lgkmcnt(0)
	v_lshl_add_u64 v[12:13], v[80:81], 0, 8
	v_cmp_ge_u64_e64 s[24:25], v[12:13], v[10:11]
	s_or_b64 s[62:63], s[62:63], exec
	s_orn2_b64 s[60:61], s[24:25], exec
.LBB20_196:                             ;   in Loop: Header=BB20_198 Depth=2
	s_or_b64 exec, exec, s[48:49]
	s_andn2_b64 s[24:25], s[56:57], exec
	s_and_b64 s[56:57], s[62:63], exec
	s_or_b64 s[56:57], s[24:25], s[56:57]
	s_andn2_b64 s[24:25], s[46:47], exec
	s_and_b64 s[46:47], s[60:61], exec
	s_or_b64 s[46:47], s[24:25], s[46:47]
.LBB20_197:                             ;   in Loop: Header=BB20_198 Depth=2
	s_or_b64 exec, exec, s[58:59]
	s_and_b64 s[24:25], exec, s[46:47]
	s_or_b64 s[42:43], s[24:25], s[42:43]
	s_andn2_b64 s[24:25], s[44:45], exec
	s_and_b64 s[44:45], s[56:57], exec
	s_or_b64 s[44:45], s[24:25], s[44:45]
	s_andn2_b64 exec, exec, s[42:43]
	s_cbranch_execz .LBB20_208
.LBB20_198:                             ;   Parent Loop BB20_47 Depth=1
                                        ; =>  This Inner Loop Header: Depth=2
	s_sleep 1
	s_waitcnt vmcnt(0) lgkmcnt(0)
	flat_load_dwordx2 v[80:81], v[64:65] sc0 sc1
	s_or_b64 s[56:57], s[56:57], exec
	s_or_b64 s[46:47], s[46:47], exec
                                        ; implicit-def: $vgpr2
	s_and_saveexec_b64 s[58:59], vcc
	s_cbranch_execz .LBB20_197
; %bb.199:                              ;   in Loop: Header=BB20_198 Depth=2
	s_cmpk_lt_i32 s76, 0x270f
	s_cselect_b64 s[38:39], -1, 0
	s_cmpk_gt_i32 s76, 0x270e
	s_mov_b64 s[60:61], -1
	s_cbranch_scc0 .LBB20_201
; %bb.200:                              ;   in Loop: Header=BB20_198 Depth=2
	s_trap 2
	ds_read_b64 v[12:13], v0
	s_andn2_b64 s[38:39], s[38:39], exec
	s_mov_b32 s76, 0
	s_mov_b64 s[62:63], 0
	s_waitcnt vmcnt(0) lgkmcnt(0)
	flat_load_dword v2, v[12:13] sc0 sc1
	s_waitcnt vmcnt(0) lgkmcnt(0)
	buffer_inv sc0 sc1
	v_cmp_eq_u32_e64 s[24:25], 0, v2
	s_and_b64 s[24:25], s[24:25], exec
	s_or_b64 s[38:39], s[38:39], s[24:25]
	s_and_saveexec_b64 s[48:49], s[38:39]
	s_cbranch_execz .LBB20_196
	s_branch .LBB20_195
.LBB20_201:                             ;   in Loop: Header=BB20_198 Depth=2
	s_add_i32 s76, s76, 1
	s_mov_b64 s[62:63], -1
                                        ; implicit-def: $vgpr2
	s_and_saveexec_b64 s[48:49], s[38:39]
	s_cbranch_execz .LBB20_196
	s_branch .LBB20_195
.LBB20_202:                             ;   in Loop: Header=BB20_47 Depth=1
	s_or_b64 exec, exec, s[26:27]
	s_and_saveexec_b64 s[24:25], s[6:7]
	s_cbranch_execnz .LBB20_220
.LBB20_203:                             ;   in Loop: Header=BB20_47 Depth=1
	s_or_b64 exec, exec, s[24:25]
                                        ; implicit-def: $vgpr2
	s_and_saveexec_b64 s[24:25], s[22:23]
	s_xor_b64 s[24:25], exec, s[24:25]
	s_cbranch_execz .LBB20_238
.LBB20_204:                             ;   in Loop: Header=BB20_47 Depth=1
	s_trap 2
	ds_read_b32 v9, v0
	v_cmp_lt_i32_e32 vcc, 0, v8
	v_and_b32_e32 v8, 16, v92
	v_and_b32_e32 v2, 16, v92
	s_waitcnt lgkmcnt(0)
	v_readfirstlane_b32 s26, v9
	s_cmp_eq_u32 s26, 0
	s_cselect_b64 s[26:27], -1, 0
	s_and_b64 s[26:27], vcc, s[26:27]
	v_cmp_ne_u32_e32 vcc, 0, v8
	s_and_b64 s[40:41], vcc, s[26:27]
	s_and_saveexec_b64 s[26:27], s[40:41]
	s_cbranch_execz .LBB20_206
; %bb.205:                              ;   in Loop: Header=BB20_47 Depth=1
	v_mov_b32_e32 v2, 1
	buffer_wbl2 sc1
	s_waitcnt vmcnt(0)
	buffer_inv sc1
.LBB20_206:                             ;   in Loop: Header=BB20_47 Depth=1
	s_or_b64 exec, exec, s[26:27]
	s_andn2_saveexec_b64 s[24:25], s[24:25]
	s_cbranch_execnz .LBB20_239
.LBB20_207:                             ;   in Loop: Header=BB20_47 Depth=1
	s_or_b64 exec, exec, s[24:25]
	v_cmp_ne_u32_e32 vcc, 0, v2
	s_and_saveexec_b64 s[24:25], vcc
	s_cbranch_execnz .LBB20_257
	s_branch .LBB20_260
.LBB20_208:                             ;   in Loop: Header=BB20_47 Depth=1
	s_or_b64 exec, exec, s[42:43]
	s_xor_b64 s[24:25], s[44:45], -1
	s_and_saveexec_b64 s[42:43], s[24:25]
	s_xor_b64 s[24:25], exec, s[42:43]
	s_cbranch_execz .LBB20_210
; %bb.209:                              ;   in Loop: Header=BB20_47 Depth=1
	v_or_b32_e32 v92, 64, v92
	s_waitcnt lgkmcnt(0)
	ds_write_b32 v0, v2
	s_trap 2
.LBB20_210:                             ;   in Loop: Header=BB20_47 Depth=1
	s_or_b64 exec, exec, s[24:25]
.LBB20_211:                             ;   in Loop: Header=BB20_47 Depth=1
	s_or_b64 exec, exec, s[40:41]
	v_and_b32_e32 v2, 0x100, v92
	v_cmp_ne_u32_e32 vcc, 0, v2
	v_and_b32_e32 v2, 7, v58
	s_mov_b64 s[24:25], -1
	;;#ASMSTART
	s_wakeup
	;;#ASMEND
                                        ; implicit-def: $vgpr12_vgpr13
	s_and_saveexec_b64 s[40:41], vcc
	s_cbranch_execz .LBB20_215
; %bb.212:                              ;   in Loop: Header=BB20_47 Depth=1
	v_mad_u64_u32 v[14:15], s[24:25], v2, 24, v[6:7]
	flat_load_dword v16, v[14:15]
	v_ashrrev_i32_e32 v9, 31, v8
	v_lshlrev_b64 v[12:13], 1, v[8:9]
	flat_store_dwordx2 v[14:15], v[12:13] offset:8
                                        ; implicit-def: $vgpr12_vgpr13
	s_waitcnt vmcnt(0) lgkmcnt(0)
	v_cmp_ne_u32_e32 vcc, 1, v16
	v_cmp_eq_u32_e64 s[24:25], 1, v16
	s_and_saveexec_b64 s[42:43], s[24:25]
	s_cbranch_execz .LBB20_214
; %bb.213:                              ;   in Loop: Header=BB20_47 Depth=1
	flat_load_dword v12, v[14:15] offset:4 sc0 sc1
	s_waitcnt vmcnt(0) lgkmcnt(0)
	v_ashrrev_i32_e32 v13, 31, v12
	v_lshrrev_b64 v[12:13], 1, v[12:13]
.LBB20_214:                             ;   in Loop: Header=BB20_47 Depth=1
	s_or_b64 exec, exec, s[42:43]
	s_orn2_b64 s[24:25], vcc, exec
.LBB20_215:                             ;   in Loop: Header=BB20_47 Depth=1
	s_or_b64 exec, exec, s[40:41]
	s_and_saveexec_b64 s[40:41], s[24:25]
; %bb.216:                              ;   in Loop: Header=BB20_47 Depth=1
	v_mad_i64_i32 v[12:13], s[24:25], v2, v30, 0
; %bb.217:                              ;   in Loop: Header=BB20_47 Depth=1
	s_or_b64 exec, exec, s[40:41]
	v_and_b32_e32 v2, 0x2000, v92
	v_lshl_add_u64 v[12:13], v[12:13], 1, v[66:67]
	v_cmp_ne_u32_e32 vcc, 0, v2
	ds_write_b64 v0, v[12:13] offset:784
	s_and_saveexec_b64 s[24:25], vcc
	s_cbranch_execz .LBB20_219
; %bb.218:                              ;   in Loop: Header=BB20_47 Depth=1
	ds_read_b64 v[12:13], v0 offset:872
	s_waitcnt lgkmcnt(0)
	v_lshl_add_u64 v[12:13], v[12:13], 0, 1
	ds_write_b64 v0, v[12:13] offset:872
.LBB20_219:                             ;   in Loop: Header=BB20_47 Depth=1
	s_or_b64 exec, exec, s[24:25]
	v_mov_b64_e32 v[58:59], v[10:11]
	s_or_b64 exec, exec, s[26:27]
	s_and_saveexec_b64 s[24:25], s[6:7]
	s_cbranch_execz .LBB20_203
.LBB20_220:                             ;   in Loop: Header=BB20_47 Depth=1
	s_and_saveexec_b64 s[26:27], s[78:79]
	s_xor_b64 s[26:27], exec, s[26:27]
	s_cbranch_execz .LBB20_235
; %bb.221:                              ;   in Loop: Header=BB20_47 Depth=1
	s_and_saveexec_b64 s[40:41], s[14:15]
	s_cbranch_execz .LBB20_234
; %bb.222:                              ;   in Loop: Header=BB20_47 Depth=1
	s_mov_b64 s[44:45], exec
	v_mbcnt_lo_u32_b32 v2, s44, 0
	v_mbcnt_hi_u32_b32 v2, s45, v2
	v_cmp_eq_u32_e32 vcc, 0, v2
	s_waitcnt lgkmcnt(0)
	s_and_saveexec_b64 s[42:43], vcc
	s_cbranch_execz .LBB20_224
; %bb.223:                              ;   in Loop: Header=BB20_47 Depth=1
	s_bcnt1_i32_b64 s44, s[44:45]
	v_mov_b32_e32 v2, s44
	ds_add_u64 v0, v[2:3]
	s_trap 2
.LBB20_224:                             ;   in Loop: Header=BB20_47 Depth=1
	s_or_b64 exec, exec, s[42:43]
	s_trap 2
	ds_read_b64 v[10:11], v0
	s_waitcnt lgkmcnt(0)
	v_lshl_add_u64 v[70:71], v[70:71], 0, v[84:85]
	v_cmp_lt_u64_e32 vcc, v[10:11], v[70:71]
	s_and_saveexec_b64 s[42:43], vcc
	s_cbranch_execz .LBB20_233
; %bb.225:                              ;   in Loop: Header=BB20_47 Depth=1
	s_mov_b32 s76, 0
	s_mov_b64 s[44:45], 0
                                        ; implicit-def: $sgpr46_sgpr47
                                        ; implicit-def: $sgpr56_sgpr57
	s_branch .LBB20_227
.LBB20_226:                             ;   in Loop: Header=BB20_227 Depth=2
	s_or_b64 exec, exec, s[60:61]
	s_and_b64 s[58:59], exec, s[62:63]
	s_or_b64 s[44:45], s[58:59], s[44:45]
	s_andn2_b64 s[46:47], s[46:47], exec
	s_and_b64 s[58:59], s[56:57], exec
	s_or_b64 s[46:47], s[46:47], s[58:59]
	s_andn2_b64 exec, exec, s[44:45]
	s_cbranch_execz .LBB20_231
.LBB20_227:                             ;   Parent Loop BB20_47 Depth=1
                                        ; =>  This Inner Loop Header: Depth=2
	s_add_i32 s76, s76, 1
	s_cmpk_lg_i32 s76, 0x2710
	s_cselect_b64 s[58:59], -1, 0
	s_and_b64 vcc, exec, s[58:59]
	s_cbranch_vccz .LBB20_229
; %bb.228:                              ;   in Loop: Header=BB20_227 Depth=2
	s_mov_b64 s[62:63], -1
	s_or_b64 s[56:57], s[56:57], exec
	s_and_saveexec_b64 s[60:61], s[58:59]
	s_cbranch_execz .LBB20_226
	s_branch .LBB20_230
.LBB20_229:                             ;   in Loop: Header=BB20_227 Depth=2
	s_trap 2
	ds_read_b64 v[10:11], v0
	s_andn2_b64 s[58:59], s[58:59], exec
	s_mov_b32 s76, 0
	s_waitcnt vmcnt(0) lgkmcnt(0)
	flat_load_dword v2, v[10:11] sc0 sc1
	s_waitcnt vmcnt(0) lgkmcnt(0)
	buffer_inv sc0 sc1
	v_cmp_eq_u32_e32 vcc, 0, v2
	s_and_b64 s[60:61], vcc, exec
	s_or_b64 s[58:59], s[58:59], s[60:61]
	s_mov_b64 s[62:63], -1
	s_or_b64 s[56:57], s[56:57], exec
	s_and_saveexec_b64 s[60:61], s[58:59]
	s_cbranch_execz .LBB20_226
.LBB20_230:                             ;   in Loop: Header=BB20_227 Depth=2
	s_sleep 1
	s_trap 2
	ds_read_b64 v[10:11], v0
	s_waitcnt lgkmcnt(0)
	s_andn2_b64 s[56:57], s[56:57], exec
	v_cmp_ge_u64_e32 vcc, v[10:11], v[70:71]
	s_orn2_b64 s[62:63], vcc, exec
	s_branch .LBB20_226
.LBB20_231:                             ;   in Loop: Header=BB20_47 Depth=1
	s_or_b64 exec, exec, s[44:45]
	s_and_saveexec_b64 s[44:45], s[46:47]
	s_xor_b64 s[44:45], exec, s[44:45]
	s_cbranch_execz .LBB20_233
; %bb.232:                              ;   in Loop: Header=BB20_47 Depth=1
	ds_write_b32 v0, v95
	s_trap 2
.LBB20_233:                             ;   in Loop: Header=BB20_47 Depth=1
	s_or_b64 exec, exec, s[42:43]
	;;#ASMSTART
	s_wakeup
	;;#ASMEND
.LBB20_234:                             ;   in Loop: Header=BB20_47 Depth=1
	s_or_b64 exec, exec, s[40:41]
.LBB20_235:                             ;   in Loop: Header=BB20_47 Depth=1
	s_andn2_saveexec_b64 s[26:27], s[26:27]
	s_cbranch_execz .LBB20_237
; %bb.236:                              ;   in Loop: Header=BB20_47 Depth=1
	s_waitcnt lgkmcnt(0)
	s_barrier
.LBB20_237:                             ;   in Loop: Header=BB20_47 Depth=1
	s_or_b64 exec, exec, s[26:27]
	s_or_b64 exec, exec, s[24:25]
                                        ; implicit-def: $vgpr2
	s_and_saveexec_b64 s[24:25], s[22:23]
	s_xor_b64 s[24:25], exec, s[24:25]
	s_cbranch_execnz .LBB20_204
.LBB20_238:                             ;   in Loop: Header=BB20_47 Depth=1
	s_andn2_saveexec_b64 s[24:25], s[24:25]
	s_cbranch_execz .LBB20_207
.LBB20_239:                             ;   in Loop: Header=BB20_47 Depth=1
	s_and_saveexec_b64 s[26:27], s[78:79]
	s_xor_b64 s[26:27], exec, s[26:27]
	s_cbranch_execz .LBB20_254
; %bb.240:                              ;   in Loop: Header=BB20_47 Depth=1
	s_and_saveexec_b64 s[40:41], s[14:15]
	s_cbranch_execz .LBB20_253
; %bb.241:                              ;   in Loop: Header=BB20_47 Depth=1
	s_mov_b64 s[44:45], exec
	v_mbcnt_lo_u32_b32 v2, s44, 0
	v_mbcnt_hi_u32_b32 v2, s45, v2
	v_cmp_eq_u32_e32 vcc, 0, v2
	;;#ASMSTART
	s_waitcnt lgkmcnt(0) vmcnt(0)
	;;#ASMEND
	s_and_saveexec_b64 s[42:43], vcc
	s_cbranch_execz .LBB20_243
; %bb.242:                              ;   in Loop: Header=BB20_47 Depth=1
	s_bcnt1_i32_b64 s44, s[44:45]
	v_mov_b32_e32 v2, s44
	s_waitcnt lgkmcnt(0)
	ds_add_u64 v0, v[2:3]
	s_trap 2
.LBB20_243:                             ;   in Loop: Header=BB20_47 Depth=1
	s_or_b64 exec, exec, s[42:43]
	s_trap 2
	ds_read_b64 v[8:9], v0
	s_waitcnt lgkmcnt(0)
	v_lshl_add_u64 v[70:71], v[70:71], 0, v[84:85]
	v_cmp_lt_u64_e32 vcc, v[8:9], v[70:71]
	s_and_saveexec_b64 s[42:43], vcc
	s_cbranch_execz .LBB20_252
; %bb.244:                              ;   in Loop: Header=BB20_47 Depth=1
	s_mov_b32 s76, 0
	s_mov_b64 s[44:45], 0
                                        ; implicit-def: $sgpr46_sgpr47
                                        ; implicit-def: $sgpr56_sgpr57
	s_branch .LBB20_246
.LBB20_245:                             ;   in Loop: Header=BB20_246 Depth=2
	s_or_b64 exec, exec, s[60:61]
	s_and_b64 s[58:59], exec, s[62:63]
	s_or_b64 s[44:45], s[58:59], s[44:45]
	s_andn2_b64 s[46:47], s[46:47], exec
	s_and_b64 s[58:59], s[56:57], exec
	s_or_b64 s[46:47], s[46:47], s[58:59]
	s_andn2_b64 exec, exec, s[44:45]
	s_cbranch_execz .LBB20_250
.LBB20_246:                             ;   Parent Loop BB20_47 Depth=1
                                        ; =>  This Inner Loop Header: Depth=2
	s_add_i32 s76, s76, 1
	s_cmpk_lg_i32 s76, 0x2710
	s_cselect_b64 s[58:59], -1, 0
	s_and_b64 vcc, exec, s[58:59]
	s_cbranch_vccz .LBB20_248
; %bb.247:                              ;   in Loop: Header=BB20_246 Depth=2
	s_mov_b64 s[62:63], -1
	s_or_b64 s[56:57], s[56:57], exec
	s_and_saveexec_b64 s[60:61], s[58:59]
	s_cbranch_execz .LBB20_245
	s_branch .LBB20_249
.LBB20_248:                             ;   in Loop: Header=BB20_246 Depth=2
	s_trap 2
	ds_read_b64 v[8:9], v0
	s_andn2_b64 s[58:59], s[58:59], exec
	s_mov_b32 s76, 0
	s_waitcnt vmcnt(0) lgkmcnt(0)
	flat_load_dword v2, v[8:9] sc0 sc1
	s_waitcnt vmcnt(0) lgkmcnt(0)
	buffer_inv sc0 sc1
	v_cmp_eq_u32_e32 vcc, 0, v2
	s_and_b64 s[60:61], vcc, exec
	s_or_b64 s[58:59], s[58:59], s[60:61]
	s_mov_b64 s[62:63], -1
	s_or_b64 s[56:57], s[56:57], exec
	s_and_saveexec_b64 s[60:61], s[58:59]
	s_cbranch_execz .LBB20_245
.LBB20_249:                             ;   in Loop: Header=BB20_246 Depth=2
	s_sleep 1
	s_trap 2
	ds_read_b64 v[8:9], v0
	s_waitcnt lgkmcnt(0)
	s_andn2_b64 s[56:57], s[56:57], exec
	v_cmp_ge_u64_e32 vcc, v[8:9], v[70:71]
	s_orn2_b64 s[62:63], vcc, exec
	s_branch .LBB20_245
.LBB20_250:                             ;   in Loop: Header=BB20_47 Depth=1
	s_or_b64 exec, exec, s[44:45]
	s_and_saveexec_b64 s[44:45], s[46:47]
	s_xor_b64 s[44:45], exec, s[44:45]
	s_cbranch_execz .LBB20_252
; %bb.251:                              ;   in Loop: Header=BB20_47 Depth=1
	ds_write_b32 v0, v95
	s_trap 2
.LBB20_252:                             ;   in Loop: Header=BB20_47 Depth=1
	s_or_b64 exec, exec, s[42:43]
	;;#ASMSTART
	s_wakeup
	;;#ASMEND
.LBB20_253:                             ;   in Loop: Header=BB20_47 Depth=1
	s_or_b64 exec, exec, s[40:41]
.LBB20_254:                             ;   in Loop: Header=BB20_47 Depth=1
	s_andn2_saveexec_b64 s[26:27], s[26:27]
	s_cbranch_execz .LBB20_256
; %bb.255:                              ;   in Loop: Header=BB20_47 Depth=1
	;;#ASMSTART
	s_waitcnt lgkmcnt(0) vmcnt(0)
	;;#ASMEND
	s_barrier
.LBB20_256:                             ;   in Loop: Header=BB20_47 Depth=1
	s_or_b64 exec, exec, s[26:27]
	v_and_b32_e32 v2, 16, v92
	s_or_b64 exec, exec, s[24:25]
	v_cmp_ne_u32_e32 vcc, 0, v2
	s_and_saveexec_b64 s[24:25], vcc
	s_cbranch_execz .LBB20_260
.LBB20_257:                             ;   in Loop: Header=BB20_47 Depth=1
	s_and_saveexec_b64 s[26:27], s[12:13]
	s_cbranch_execz .LBB20_259
; %bb.258:                              ;   in Loop: Header=BB20_47 Depth=1
	flat_store_dword v[68:69], v95 sc0 sc1
.LBB20_259:                             ;   in Loop: Header=BB20_47 Depth=1
	s_or_b64 exec, exec, s[26:27]
	v_lshl_add_u64 v[58:59], v[58:59], 0, 4
	flat_store_dwordx2 v[64:65], v[58:59] sc0 sc1
.LBB20_260:                             ;   in Loop: Header=BB20_47 Depth=1
	s_or_b64 exec, exec, s[24:25]
.LBB20_261:                             ;   in Loop: Header=BB20_47 Depth=1
	s_or_b64 exec, exec, s[28:29]
	v_cndmask_b32_e64 v2, 0, 1, s[30:31]
	v_cmp_ne_u32_e64 s[24:25], 1, v2
	s_andn2_b64 vcc, exec, s[30:31]
	s_cbranch_vccnz .LBB20_612
; %bb.262:                              ;   in Loop: Header=BB20_47 Depth=1
	s_mov_b32 s54, 2
	s_branch .LBB20_265
.LBB20_263:                             ;   in Loop: Header=BB20_265 Depth=2
	s_or_b64 exec, exec, s[26:27]
.LBB20_264:                             ;   in Loop: Header=BB20_265 Depth=2
	s_or_b64 exec, exec, s[28:29]
	s_add_i32 s54, s54, 1
	s_cmp_eq_u32 s54, s64
	s_cbranch_scc1 .LBB20_612
.LBB20_265:                             ;   Parent Loop BB20_47 Depth=1
                                        ; =>  This Loop Header: Depth=2
                                        ;       Child Loop BB20_274 Depth 3
                                        ;       Child Loop BB20_302 Depth 3
	;; [unrolled: 1-line block ×12, first 2 shown]
	s_sub_i32 s26, s71, s54
	s_cmp_ge_i32 s26, s64
	s_cselect_b32 s27, s64, 0
	s_sub_i32 s26, s26, s27
	s_ashr_i32 s27, s26, 31
	v_mul_lo_u32 v2, v56, s27
	v_mul_lo_u32 v10, v57, s26
	v_mad_u64_u32 v[8:9], s[26:27], v56, s26, 0
	v_add3_u32 v9, v9, v2, v10
	v_sub_co_u32_e32 v10, vcc, v60, v8
	s_nop 1
	v_subb_co_u32_e32 v11, vcc, v61, v9, vcc
	v_cmp_lt_i64_e32 vcc, v[56:57], v[10:11]
	s_nop 1
	v_cndmask_b32_e32 v2, v10, v56, vcc
	v_max_i32_e32 v48, 0, v2
	v_add_u32_e32 v10, 15, v48
	v_ashrrev_i32_e32 v11, 31, v10
	v_lshrrev_b32_e32 v11, 28, v11
	v_add_u32_e32 v10, v10, v11
	v_cmp_gt_i32_e32 vcc, 1, v2
	v_and_b32_e32 v10, -16, v10
	s_or_b64 s[40:41], s[2:3], vcc
	v_max_i32_e32 v24, s82, v10
	s_xor_b64 s[26:27], s[40:41], -1
	v_mov_b32_e32 v2, 0
	s_and_saveexec_b64 s[42:43], s[26:27]
	s_cbranch_execz .LBB20_539
; %bb.266:                              ;   in Loop: Header=BB20_265 Depth=2
	s_and_saveexec_b64 s[26:27], s[0:1]
	s_cbranch_execz .LBB20_268
; %bb.267:                              ;   in Loop: Header=BB20_265 Depth=2
	s_trap 2
	ds_read_b64 v[10:11], v0
	s_waitcnt lgkmcnt(0)
	v_lshl_add_u64 v[10:11], v[62:63], 1, v[10:11]
	v_lshl_add_u64 v[8:9], v[8:9], 1, v[10:11]
	ds_write_b64 v0, v[8:9]
	ds_write_b64 v0, v[124:125]
.LBB20_268:                             ;   in Loop: Header=BB20_265 Depth=2
	s_or_b64 exec, exec, s[26:27]
	v_and_b32_e32 v2, 12, v92
	v_min_i32_e32 v24, v24, v48
	v_cmp_ne_u32_e32 vcc, 0, v2
	s_and_saveexec_b64 s[28:29], vcc
	s_cbranch_execz .LBB20_294
; %bb.269:                              ;   in Loop: Header=BB20_265 Depth=2
	v_and_b32_e32 v2, 8, v92
	s_waitcnt vmcnt(0) lgkmcnt(0)
	v_lshl_add_u64 v[10:11], v[80:81], 0, v[2:3]
	v_lshl_add_u64 v[8:9], v[58:59], 0, 4
	v_cmp_lt_u64_e32 vcc, v[10:11], v[8:9]
	s_and_saveexec_b64 s[44:45], vcc
	s_cbranch_execz .LBB20_281
; %bb.270:                              ;   in Loop: Header=BB20_265 Depth=2
	v_and_b32_e32 v10, 64, v92
	s_mov_b32 s76, 0
	v_cmp_eq_u32_e32 vcc, 0, v10
	s_mov_b64 s[46:47], 0
                                        ; implicit-def: $sgpr56_sgpr57
                                        ; implicit-def: $sgpr58_sgpr59
                                        ; implicit-def: $sgpr60_sgpr61
	s_branch .LBB20_274
.LBB20_271:                             ;   in Loop: Header=BB20_274 Depth=3
	s_waitcnt vmcnt(0) lgkmcnt(0)
	v_lshl_add_u64 v[12:13], v[80:81], 0, v[2:3]
	v_cmp_ge_u64_e64 s[26:27], v[12:13], v[8:9]
	s_or_b64 s[48:49], s[48:49], exec
	s_orn2_b64 s[38:39], s[26:27], exec
.LBB20_272:                             ;   in Loop: Header=BB20_274 Depth=3
	s_or_b64 exec, exec, s[52:53]
	s_andn2_b64 s[26:27], s[60:61], exec
	s_and_b64 s[60:61], s[48:49], exec
	s_or_b64 s[60:61], s[26:27], s[60:61]
	s_andn2_b64 s[26:27], s[58:59], exec
	s_and_b64 s[58:59], s[38:39], exec
	s_or_b64 s[58:59], s[26:27], s[58:59]
.LBB20_273:                             ;   in Loop: Header=BB20_274 Depth=3
	s_or_b64 exec, exec, s[62:63]
	s_and_b64 s[26:27], exec, s[58:59]
	s_or_b64 s[46:47], s[26:27], s[46:47]
	s_andn2_b64 s[26:27], s[56:57], exec
	s_and_b64 s[56:57], s[60:61], exec
	s_or_b64 s[56:57], s[26:27], s[56:57]
	s_andn2_b64 exec, exec, s[46:47]
	s_cbranch_execz .LBB20_278
.LBB20_274:                             ;   Parent Loop BB20_47 Depth=1
                                        ;     Parent Loop BB20_265 Depth=2
                                        ; =>    This Inner Loop Header: Depth=3
	s_sleep 1
	s_waitcnt vmcnt(0) lgkmcnt(0)
	flat_load_dwordx2 v[80:81], v[64:65] sc0 sc1
	s_or_b64 s[60:61], s[60:61], exec
	s_or_b64 s[58:59], s[58:59], exec
                                        ; implicit-def: $vgpr10
	s_and_saveexec_b64 s[62:63], vcc
	s_cbranch_execz .LBB20_273
; %bb.275:                              ;   in Loop: Header=BB20_274 Depth=3
	s_cmpk_lt_i32 s76, 0x270f
	s_cselect_b64 s[50:51], -1, 0
	s_cmpk_gt_i32 s76, 0x270e
	s_mov_b64 s[38:39], -1
	s_cbranch_scc0 .LBB20_277
; %bb.276:                              ;   in Loop: Header=BB20_274 Depth=3
	s_trap 2
	ds_read_b64 v[10:11], v0
	s_andn2_b64 s[50:51], s[50:51], exec
	s_mov_b32 s76, 0
	s_mov_b64 s[48:49], 0
	s_waitcnt vmcnt(0) lgkmcnt(0)
	flat_load_dword v10, v[10:11] sc0 sc1
	s_waitcnt vmcnt(0) lgkmcnt(0)
	buffer_inv sc0 sc1
	v_cmp_eq_u32_e64 s[26:27], 0, v10
	s_and_b64 s[26:27], s[26:27], exec
	s_or_b64 s[50:51], s[50:51], s[26:27]
	s_and_saveexec_b64 s[52:53], s[50:51]
	s_cbranch_execz .LBB20_272
	s_branch .LBB20_271
.LBB20_277:                             ;   in Loop: Header=BB20_274 Depth=3
	s_add_i32 s76, s76, 1
	s_mov_b64 s[48:49], -1
                                        ; implicit-def: $vgpr10
	s_and_saveexec_b64 s[52:53], s[50:51]
	s_cbranch_execz .LBB20_272
	s_branch .LBB20_271
.LBB20_278:                             ;   in Loop: Header=BB20_265 Depth=2
	s_or_b64 exec, exec, s[46:47]
	s_xor_b64 s[26:27], s[56:57], -1
	s_and_saveexec_b64 s[46:47], s[26:27]
	s_xor_b64 s[26:27], exec, s[46:47]
	s_cbranch_execz .LBB20_280
; %bb.279:                              ;   in Loop: Header=BB20_265 Depth=2
	v_or_b32_e32 v92, 64, v92
	s_waitcnt lgkmcnt(0)
	ds_write_b32 v0, v10
	s_trap 2
.LBB20_280:                             ;   in Loop: Header=BB20_265 Depth=2
	s_or_b64 exec, exec, s[26:27]
.LBB20_281:                             ;   in Loop: Header=BB20_265 Depth=2
	s_or_b64 exec, exec, s[44:45]
	v_and_b32_e32 v10, 0x108, v92
	v_cmp_ne_u32_e32 vcc, s67, v10
	;;#ASMSTART
	s_wakeup
	;;#ASMEND
                                        ; implicit-def: $vgpr10_vgpr11
	s_and_saveexec_b64 s[26:27], vcc
	s_xor_b64 s[26:27], exec, s[26:27]
; %bb.282:                              ;   in Loop: Header=BB20_265 Depth=2
	v_and_b32_e32 v10, 7, v58
	v_mov_b32_e32 v11, v3
                                        ; implicit-def: $vgpr58_vgpr59
; %bb.283:                              ;   in Loop: Header=BB20_265 Depth=2
	s_andn2_saveexec_b64 s[26:27], s[26:27]
	s_cbranch_execz .LBB20_285
; %bb.284:                              ;   in Loop: Header=BB20_265 Depth=2
	v_and_b32_e32 v10, 7, v58
	v_ashrrev_i32_e32 v25, 31, v24
	v_mov_b32_e32 v11, v3
	v_mad_u64_u32 v[12:13], s[44:45], v10, 24, v[6:7]
	v_lshlrev_b64 v[14:15], 1, v[24:25]
	flat_store_dwordx2 v[12:13], v[14:15] offset:8
.LBB20_285:                             ;   in Loop: Header=BB20_265 Depth=2
	s_or_b64 exec, exec, s[26:27]
	v_and_b32_e32 v12, 0x100, v92
	v_cmp_ne_u32_e32 vcc, 0, v12
	s_mov_b64 s[26:27], -1
                                        ; implicit-def: $vgpr12_vgpr13
	s_and_saveexec_b64 s[44:45], vcc
	s_cbranch_execz .LBB20_289
; %bb.286:                              ;   in Loop: Header=BB20_265 Depth=2
	v_mad_u64_u32 v[14:15], s[26:27], v10, 24, v[6:7]
	v_mov_b32_e32 v12, v15
	v_mad_u64_u32 v[12:13], s[26:27], v11, 24, v[12:13]
	v_mov_b32_e32 v15, v12
	flat_load_dword v12, v[14:15]
	s_waitcnt vmcnt(0) lgkmcnt(0)
	v_cmp_ne_u32_e32 vcc, 1, v12
	v_cmp_eq_u32_e64 s[26:27], 1, v12
                                        ; implicit-def: $vgpr12_vgpr13
	s_and_saveexec_b64 s[46:47], s[26:27]
	s_cbranch_execz .LBB20_288
; %bb.287:                              ;   in Loop: Header=BB20_265 Depth=2
	flat_load_dword v12, v[14:15] offset:4 sc0 sc1
	s_waitcnt vmcnt(0) lgkmcnt(0)
	v_ashrrev_i32_e32 v13, 31, v12
	v_lshrrev_b64 v[12:13], 1, v[12:13]
.LBB20_288:                             ;   in Loop: Header=BB20_265 Depth=2
	s_or_b64 exec, exec, s[46:47]
	s_orn2_b64 s[26:27], vcc, exec
.LBB20_289:                             ;   in Loop: Header=BB20_265 Depth=2
	s_or_b64 exec, exec, s[44:45]
	s_and_saveexec_b64 s[44:45], s[26:27]
; %bb.290:                              ;   in Loop: Header=BB20_265 Depth=2
	v_mul_lo_u32 v11, v11, v30
	v_mul_lo_u32 v14, v10, v83
	v_mad_u64_u32 v[12:13], s[26:27], v10, v30, 0
	v_add3_u32 v13, v13, v14, v11
; %bb.291:                              ;   in Loop: Header=BB20_265 Depth=2
	s_or_b64 exec, exec, s[44:45]
	v_cmp_eq_u32_e32 vcc, 0, v2
	v_lshl_add_u64 v[10:11], v[12:13], 1, v[66:67]
	s_nop 0
	v_cndmask_b32_e32 v2, v104, v105, vcc
	v_add_u32_e32 v2, v0, v2
	ds_write_b64 v2, v[10:11] offset:584
	v_and_b32_e32 v2, 0x2000, v92
	v_cmp_ne_u32_e32 vcc, 0, v2
	s_and_saveexec_b64 s[26:27], vcc
	s_cbranch_execz .LBB20_293
; %bb.292:                              ;   in Loop: Header=BB20_265 Depth=2
	ds_read_b64 v[10:11], v0 offset:872
	s_waitcnt lgkmcnt(0)
	v_lshl_add_u64 v[10:11], v[10:11], 0, 1
	ds_write_b64 v0, v[10:11] offset:872
.LBB20_293:                             ;   in Loop: Header=BB20_265 Depth=2
	s_or_b64 exec, exec, s[26:27]
	v_mov_b64_e32 v[58:59], v[8:9]
.LBB20_294:                             ;   in Loop: Header=BB20_265 Depth=2
	s_or_b64 exec, exec, s[28:29]
	s_and_saveexec_b64 s[26:27], s[6:7]
	s_cbranch_execz .LBB20_313
; %bb.295:                              ;   in Loop: Header=BB20_265 Depth=2
	s_and_saveexec_b64 s[28:29], s[78:79]
	s_xor_b64 s[28:29], exec, s[28:29]
	s_cbranch_execz .LBB20_310
; %bb.296:                              ;   in Loop: Header=BB20_265 Depth=2
	s_and_saveexec_b64 s[44:45], s[14:15]
	s_cbranch_execz .LBB20_309
; %bb.297:                              ;   in Loop: Header=BB20_265 Depth=2
	s_mov_b64 s[56:57], exec
	v_mbcnt_lo_u32_b32 v2, s56, 0
	v_mbcnt_hi_u32_b32 v2, s57, v2
	v_cmp_eq_u32_e32 vcc, 0, v2
	s_waitcnt lgkmcnt(0)
	s_and_saveexec_b64 s[46:47], vcc
	s_cbranch_execz .LBB20_299
; %bb.298:                              ;   in Loop: Header=BB20_265 Depth=2
	s_bcnt1_i32_b64 s56, s[56:57]
	v_mov_b32_e32 v2, s56
	ds_add_u64 v0, v[2:3]
	s_trap 2
.LBB20_299:                             ;   in Loop: Header=BB20_265 Depth=2
	s_or_b64 exec, exec, s[46:47]
	s_trap 2
	ds_read_b64 v[8:9], v0
	s_waitcnt lgkmcnt(0)
	v_lshl_add_u64 v[70:71], v[70:71], 0, v[84:85]
	v_cmp_lt_u64_e32 vcc, v[8:9], v[70:71]
	s_and_saveexec_b64 s[46:47], vcc
	s_cbranch_execz .LBB20_308
; %bb.300:                              ;   in Loop: Header=BB20_265 Depth=2
	s_mov_b32 s76, 0
	s_mov_b64 s[56:57], 0
                                        ; implicit-def: $sgpr58_sgpr59
                                        ; implicit-def: $sgpr60_sgpr61
	s_branch .LBB20_302
.LBB20_301:                             ;   in Loop: Header=BB20_302 Depth=3
	s_or_b64 exec, exec, s[38:39]
	s_and_b64 s[62:63], exec, vcc
	s_or_b64 s[56:57], s[62:63], s[56:57]
	s_andn2_b64 s[58:59], s[58:59], exec
	s_and_b64 s[62:63], s[60:61], exec
	s_or_b64 s[58:59], s[58:59], s[62:63]
	s_andn2_b64 exec, exec, s[56:57]
	s_cbranch_execz .LBB20_306
.LBB20_302:                             ;   Parent Loop BB20_47 Depth=1
                                        ;     Parent Loop BB20_265 Depth=2
                                        ; =>    This Inner Loop Header: Depth=3
	s_add_i32 s76, s76, 1
	s_cmpk_lg_i32 s76, 0x2710
	s_cselect_b64 s[62:63], -1, 0
	s_and_b64 vcc, exec, s[62:63]
	s_cbranch_vccz .LBB20_304
; %bb.303:                              ;   in Loop: Header=BB20_302 Depth=3
	s_mov_b64 vcc, -1
	s_or_b64 s[60:61], s[60:61], exec
	s_and_saveexec_b64 s[38:39], s[62:63]
	s_cbranch_execz .LBB20_301
	s_branch .LBB20_305
.LBB20_304:                             ;   in Loop: Header=BB20_302 Depth=3
	s_trap 2
	ds_read_b64 v[8:9], v0
	s_andn2_b64 s[62:63], s[62:63], exec
	s_mov_b32 s76, 0
	s_waitcnt vmcnt(0) lgkmcnt(0)
	flat_load_dword v2, v[8:9] sc0 sc1
	s_waitcnt vmcnt(0) lgkmcnt(0)
	buffer_inv sc0 sc1
	v_cmp_eq_u32_e32 vcc, 0, v2
	s_and_b64 vcc, vcc, exec
	s_or_b64 s[62:63], s[62:63], vcc
	s_mov_b64 vcc, -1
	s_or_b64 s[60:61], s[60:61], exec
	s_and_saveexec_b64 s[38:39], s[62:63]
	s_cbranch_execz .LBB20_301
.LBB20_305:                             ;   in Loop: Header=BB20_302 Depth=3
	s_sleep 1
	s_trap 2
	ds_read_b64 v[8:9], v0
	s_waitcnt lgkmcnt(0)
	s_andn2_b64 s[60:61], s[60:61], exec
	v_cmp_ge_u64_e32 vcc, v[8:9], v[70:71]
	s_orn2_b64 vcc, vcc, exec
	s_branch .LBB20_301
.LBB20_306:                             ;   in Loop: Header=BB20_265 Depth=2
	s_or_b64 exec, exec, s[56:57]
	s_and_saveexec_b64 s[56:57], s[58:59]
	s_xor_b64 s[56:57], exec, s[56:57]
	s_cbranch_execz .LBB20_308
; %bb.307:                              ;   in Loop: Header=BB20_265 Depth=2
	ds_write_b32 v0, v95
	s_trap 2
.LBB20_308:                             ;   in Loop: Header=BB20_265 Depth=2
	s_or_b64 exec, exec, s[46:47]
	;;#ASMSTART
	s_wakeup
	;;#ASMEND
.LBB20_309:                             ;   in Loop: Header=BB20_265 Depth=2
	s_or_b64 exec, exec, s[44:45]
.LBB20_310:                             ;   in Loop: Header=BB20_265 Depth=2
	s_andn2_saveexec_b64 s[28:29], s[28:29]
	s_cbranch_execz .LBB20_312
; %bb.311:                              ;   in Loop: Header=BB20_265 Depth=2
	s_waitcnt lgkmcnt(0)
	s_barrier
.LBB20_312:                             ;   in Loop: Header=BB20_265 Depth=2
	s_or_b64 exec, exec, s[28:29]
.LBB20_313:                             ;   in Loop: Header=BB20_265 Depth=2
	s_or_b64 exec, exec, s[26:27]
	s_trap 2
	ds_read_b32 v8, v0
	v_and_b32_e32 v2, 0x4000, v92
	v_cmp_ne_u32_e32 vcc, 0, v2
	s_xor_b64 s[26:27], s[4:5], -1
	s_and_b64 s[28:29], s[26:27], vcc
	s_and_saveexec_b64 s[26:27], s[28:29]
	s_cbranch_execz .LBB20_332
; %bb.314:                              ;   in Loop: Header=BB20_265 Depth=2
	s_and_saveexec_b64 s[28:29], s[78:79]
	s_xor_b64 s[28:29], exec, s[28:29]
	s_cbranch_execz .LBB20_329
; %bb.315:                              ;   in Loop: Header=BB20_265 Depth=2
	s_and_saveexec_b64 s[44:45], s[14:15]
	s_cbranch_execz .LBB20_328
; %bb.316:                              ;   in Loop: Header=BB20_265 Depth=2
	s_mov_b64 s[56:57], exec
	v_mbcnt_lo_u32_b32 v2, s56, 0
	v_mbcnt_hi_u32_b32 v2, s57, v2
	v_cmp_eq_u32_e32 vcc, 0, v2
	s_waitcnt lgkmcnt(0)
	s_and_saveexec_b64 s[46:47], vcc
	s_cbranch_execz .LBB20_318
; %bb.317:                              ;   in Loop: Header=BB20_265 Depth=2
	s_bcnt1_i32_b64 s56, s[56:57]
	v_mov_b32_e32 v2, s56
	ds_add_u64 v0, v[2:3]
	s_trap 2
.LBB20_318:                             ;   in Loop: Header=BB20_265 Depth=2
	s_or_b64 exec, exec, s[46:47]
	s_trap 2
	ds_read_b64 v[10:11], v0
	s_waitcnt lgkmcnt(0)
	v_lshl_add_u64 v[70:71], v[70:71], 0, v[84:85]
	v_cmp_lt_u64_e32 vcc, v[10:11], v[70:71]
	s_and_saveexec_b64 s[46:47], vcc
	s_cbranch_execz .LBB20_327
; %bb.319:                              ;   in Loop: Header=BB20_265 Depth=2
	s_mov_b32 s76, 0
	s_mov_b64 s[56:57], 0
                                        ; implicit-def: $sgpr58_sgpr59
                                        ; implicit-def: $sgpr60_sgpr61
	s_branch .LBB20_321
.LBB20_320:                             ;   in Loop: Header=BB20_321 Depth=3
	s_or_b64 exec, exec, s[38:39]
	s_and_b64 s[62:63], exec, vcc
	s_or_b64 s[56:57], s[62:63], s[56:57]
	s_andn2_b64 s[58:59], s[58:59], exec
	s_and_b64 s[62:63], s[60:61], exec
	s_or_b64 s[58:59], s[58:59], s[62:63]
	s_andn2_b64 exec, exec, s[56:57]
	s_cbranch_execz .LBB20_325
.LBB20_321:                             ;   Parent Loop BB20_47 Depth=1
                                        ;     Parent Loop BB20_265 Depth=2
                                        ; =>    This Inner Loop Header: Depth=3
	s_add_i32 s76, s76, 1
	s_cmpk_lg_i32 s76, 0x2710
	s_cselect_b64 s[62:63], -1, 0
	s_and_b64 vcc, exec, s[62:63]
	s_cbranch_vccz .LBB20_323
; %bb.322:                              ;   in Loop: Header=BB20_321 Depth=3
	s_mov_b64 vcc, -1
	s_or_b64 s[60:61], s[60:61], exec
	s_and_saveexec_b64 s[38:39], s[62:63]
	s_cbranch_execz .LBB20_320
	s_branch .LBB20_324
.LBB20_323:                             ;   in Loop: Header=BB20_321 Depth=3
	s_trap 2
	ds_read_b64 v[10:11], v0
	s_andn2_b64 s[62:63], s[62:63], exec
	s_mov_b32 s76, 0
	s_waitcnt vmcnt(0) lgkmcnt(0)
	flat_load_dword v2, v[10:11] sc0 sc1
	s_waitcnt vmcnt(0) lgkmcnt(0)
	buffer_inv sc0 sc1
	v_cmp_eq_u32_e32 vcc, 0, v2
	s_and_b64 vcc, vcc, exec
	s_or_b64 s[62:63], s[62:63], vcc
	s_mov_b64 vcc, -1
	s_or_b64 s[60:61], s[60:61], exec
	s_and_saveexec_b64 s[38:39], s[62:63]
	s_cbranch_execz .LBB20_320
.LBB20_324:                             ;   in Loop: Header=BB20_321 Depth=3
	s_sleep 1
	s_trap 2
	ds_read_b64 v[10:11], v0
	s_waitcnt lgkmcnt(0)
	s_andn2_b64 s[60:61], s[60:61], exec
	v_cmp_ge_u64_e32 vcc, v[10:11], v[70:71]
	s_orn2_b64 vcc, vcc, exec
	s_branch .LBB20_320
.LBB20_325:                             ;   in Loop: Header=BB20_265 Depth=2
	s_or_b64 exec, exec, s[56:57]
	s_and_saveexec_b64 s[56:57], s[58:59]
	s_xor_b64 s[56:57], exec, s[56:57]
	s_cbranch_execz .LBB20_327
; %bb.326:                              ;   in Loop: Header=BB20_265 Depth=2
	ds_write_b32 v0, v95
	s_trap 2
.LBB20_327:                             ;   in Loop: Header=BB20_265 Depth=2
	s_or_b64 exec, exec, s[46:47]
	;;#ASMSTART
	s_wakeup
	;;#ASMEND
.LBB20_328:                             ;   in Loop: Header=BB20_265 Depth=2
	s_or_b64 exec, exec, s[44:45]
.LBB20_329:                             ;   in Loop: Header=BB20_265 Depth=2
	s_andn2_saveexec_b64 s[28:29], s[28:29]
	s_cbranch_execz .LBB20_331
; %bb.330:                              ;   in Loop: Header=BB20_265 Depth=2
	s_waitcnt lgkmcnt(0)
	s_barrier
.LBB20_331:                             ;   in Loop: Header=BB20_265 Depth=2
	s_or_b64 exec, exec, s[28:29]
.LBB20_332:                             ;   in Loop: Header=BB20_265 Depth=2
	s_or_b64 exec, exec, s[26:27]
	s_trap 2
	s_waitcnt lgkmcnt(0)
	ds_read_b64 v[26:27], v0
	s_waitcnt lgkmcnt(0)
	v_cmp_eq_u64_e32 vcc, 0, v[26:27]
	s_cbranch_vccnz .LBB20_340
; %bb.333:                              ;   in Loop: Header=BB20_265 Depth=2
	s_trap 2
	ds_read_b64 v[32:33], v0
	s_waitcnt lgkmcnt(0)
	v_cmp_eq_u64_e32 vcc, 0, v[32:33]
	s_cbranch_vccnz .LBB20_340
; %bb.334:                              ;   in Loop: Header=BB20_265 Depth=2
	s_trap 2
	ds_read_b64 v[10:11], v0
	s_mov_b64 s[28:29], -1
	s_waitcnt lgkmcnt(0)
	v_readfirstlane_b32 s60, v10
	s_and_saveexec_b64 s[26:27], s[20:21]
	s_cbranch_execz .LBB20_336
; %bb.335:                              ;   in Loop: Header=BB20_265 Depth=2
	ds_read_b32 v2, v0 offset:720
	s_waitcnt lgkmcnt(0)
	v_and_b32_e32 v2, 15, v2
	v_cmp_eq_u32_e32 vcc, 0, v2
	s_orn2_b64 s[28:29], vcc, exec
.LBB20_336:                             ;   in Loop: Header=BB20_265 Depth=2
	s_or_b64 exec, exec, s[26:27]
	s_and_saveexec_b64 s[26:27], s[18:19]
	s_cbranch_execz .LBB20_338
; %bb.337:                              ;   in Loop: Header=BB20_265 Depth=2
	ds_read_b32 v2, v0 offset:784
	s_waitcnt lgkmcnt(0)
	v_and_b32_e32 v2, 15, v2
	v_cmp_eq_u32_e32 vcc, 0, v2
	s_and_b64 s[44:45], s[28:29], vcc
	s_andn2_b64 s[28:29], s[28:29], exec
	s_and_b64 s[44:45], s[44:45], exec
	s_or_b64 s[28:29], s[28:29], s[44:45]
.LBB20_338:                             ;   in Loop: Header=BB20_265 Depth=2
	s_or_b64 exec, exec, s[26:27]
	v_cmp_eq_u32_e32 vcc, 0, v8
	s_xor_b64 s[28:29], s[28:29], -1
	v_cndmask_b32_e64 v8, 0, 1, s[28:29]
	v_cndmask_b32_e32 v2, 0, v24, vcc
	v_lshlrev_b32_e32 v25, 1, v2
	s_mov_b64 s[26:27], -1
	v_cmp_ne_u32_e32 vcc, 0, v8
	v_mov_b32_e32 v14, 0
	s_cbranch_vccz .LBB20_345
; %bb.339:                              ;   in Loop: Header=BB20_265 Depth=2
	v_mov_b32_e32 v15, v0
	s_and_saveexec_b64 s[28:29], s[26:27]
	s_cbranch_execnz .LBB20_452
	s_branch .LBB20_496
.LBB20_340:                             ;   in Loop: Header=BB20_265 Depth=2
	s_mov_b64 s[26:27], 0
	s_and_saveexec_b64 s[28:29], s[6:7]
	s_cbranch_execnz .LBB20_497
.LBB20_341:                             ;   in Loop: Header=BB20_265 Depth=2
	s_or_b64 exec, exec, s[28:29]
                                        ; implicit-def: $vgpr2
	s_and_saveexec_b64 s[28:29], s[22:23]
	s_xor_b64 s[28:29], exec, s[28:29]
	s_cbranch_execz .LBB20_515
.LBB20_342:                             ;   in Loop: Header=BB20_265 Depth=2
	v_and_b32_e32 v8, 16, v92
	v_cmp_ne_u32_e32 vcc, 0, v8
	v_and_b32_e32 v2, 16, v92
	s_and_b64 s[44:45], vcc, s[26:27]
	s_and_saveexec_b64 s[26:27], s[44:45]
	s_cbranch_execz .LBB20_344
; %bb.343:                              ;   in Loop: Header=BB20_265 Depth=2
	v_mov_b32_e32 v2, 1
	buffer_wbl2 sc1
	s_waitcnt vmcnt(0) lgkmcnt(0)
	buffer_inv sc1
.LBB20_344:                             ;   in Loop: Header=BB20_265 Depth=2
	s_or_b64 exec, exec, s[26:27]
	s_andn2_saveexec_b64 s[26:27], s[28:29]
	s_cbranch_execz .LBB20_534
	s_branch .LBB20_516
.LBB20_345:                             ;   in Loop: Header=BB20_265 Depth=2
	v_ashrrev_i32_e32 v8, 31, v25
	v_lshrrev_b32_e32 v8, 21, v8
	v_add_u32_e32 v8, v25, v8
	v_ashrrev_i32_e32 v50, 11, v8
	v_sub_u32_e32 v49, v50, v94
	v_cmp_lt_i32_e32 vcc, 0, v49
	s_and_saveexec_b64 s[28:29], vcc
	s_cbranch_execz .LBB20_413
; %bb.346:                              ;   in Loop: Header=BB20_265 Depth=2
	s_trap 2
	ds_read_b64 v[8:9], v0
	s_and_b32 s76, s60, 1
	s_cmp_eq_u64 s[76:77], 0
	v_lshl_add_u64 v[34:35], v[26:27], 0, v[112:113]
	v_lshl_add_u64 v[36:37], v[32:33], 0, v[112:113]
	s_waitcnt lgkmcnt(0)
	v_lshl_add_u64 v[38:39], v[8:9], 0, v[112:113]
	s_mov_b64 s[44:45], 0
	s_cselect_b64 vcc, -1, 0
	s_branch .LBB20_348
.LBB20_347:                             ;   in Loop: Header=BB20_348 Depth=3
	s_or_b64 exec, exec, s[46:47]
	v_lshrrev_b32_e32 v15, 16, v20
	v_and_or_b32 v17, v17, s70, v15
	v_lshrrev_b32_e32 v15, 16, v51
	v_lshrrev_b32_e32 v12, 16, v12
	v_and_or_b32 v16, v16, s70, v15
	v_lshrrev_b32_e32 v15, 16, v21
	v_and_or_b32 v9, v9, s70, v12
	;; [unrolled: 2-line block ×4, first 2 shown]
	v_lshrrev_b32_e32 v12, 16, v13
	v_sub_u32_e32 v49, v49, v84
	v_and_or_b32 v19, v19, s70, v15
	v_and_or_b32 v10, v10, s70, v12
	v_lshrrev_b32_e32 v12, 16, v14
	v_cmp_gt_i32_e64 s[26:27], 1, v49
	v_and_or_b32 v11, v11, s70, v12
	global_store_dwordx4 v[36:37], v[16:19], off
	global_store_dwordx4 v[36:37], v[8:11], off offset:1024
	v_lshl_add_u64 v[34:35], v[34:35], 0, v[114:115]
	v_lshl_add_u64 v[38:39], v[38:39], 0, v[114:115]
	s_or_b64 s[44:45], s[26:27], s[44:45]
	v_lshl_add_u64 v[36:37], v[36:37], 0, v[114:115]
	s_andn2_b64 exec, exec, s[44:45]
	s_cbranch_execz .LBB20_412
.LBB20_348:                             ;   Parent Loop BB20_47 Depth=1
                                        ;     Parent Loop BB20_265 Depth=2
                                        ; =>    This Inner Loop Header: Depth=3
	global_load_dwordx4 v[16:19], v[34:35], off nt
	global_load_dwordx4 v[20:23], v[38:39], off nt
	global_load_dwordx4 v[8:11], v[34:35], off offset:1024 nt
	global_load_dwordx4 v[12:15], v[38:39], off offset:1024 nt
	s_waitcnt vmcnt(0)
	v_lshlrev_b32_e32 v51, 16, v16
	v_lshlrev_b32_e32 v72, 16, v20
	v_max_f32_e32 v72, v72, v72
	v_max_f32_e32 v51, v51, v51
	v_min_f32_e32 v73, v51, v72
	v_max_f32_e32 v51, v51, v72
	v_cndmask_b32_e32 v72, v51, v73, vcc
	v_and_b32_e32 v51, 0x7f800000, v72
	v_cmp_ne_u32_e64 s[26:27], s68, v51
                                        ; implicit-def: $vgpr51
	s_and_saveexec_b64 s[46:47], s[26:27]
	s_xor_b64 s[26:27], exec, s[46:47]
; %bb.349:                              ;   in Loop: Header=BB20_348 Depth=3
	v_bfe_u32 v51, v72, 16, 1
	v_add3_u32 v51, v72, v51, s69
                                        ; implicit-def: $vgpr72
; %bb.350:                              ;   in Loop: Header=BB20_348 Depth=3
	s_andn2_saveexec_b64 s[46:47], s[26:27]
; %bb.351:                              ;   in Loop: Header=BB20_348 Depth=3
	v_or_b32_e32 v51, 0x10000, v72
	v_cmp_eq_u32_sdwa s[26:27], v72, v3 src0_sel:WORD_0 src1_sel:DWORD
	s_nop 1
	v_cndmask_b32_e64 v51, v51, v72, s[26:27]
; %bb.352:                              ;   in Loop: Header=BB20_348 Depth=3
	s_or_b64 exec, exec, s[46:47]
	v_and_b32_e32 v16, 0xffff0000, v16
	v_and_b32_e32 v20, 0xffff0000, v20
	v_max_f32_e32 v20, v20, v20
	v_max_f32_e32 v16, v16, v16
	v_min_f32_e32 v72, v16, v20
	v_max_f32_e32 v16, v16, v20
	v_cndmask_b32_e32 v20, v16, v72, vcc
	v_and_b32_e32 v16, 0x7f800000, v20
	v_cmp_ne_u32_e64 s[26:27], s68, v16
                                        ; implicit-def: $vgpr16
	s_and_saveexec_b64 s[46:47], s[26:27]
	s_xor_b64 s[26:27], exec, s[46:47]
; %bb.353:                              ;   in Loop: Header=BB20_348 Depth=3
	v_bfe_u32 v16, v20, 16, 1
	v_add3_u32 v16, v20, v16, s69
                                        ; implicit-def: $vgpr20
; %bb.354:                              ;   in Loop: Header=BB20_348 Depth=3
	s_andn2_saveexec_b64 s[46:47], s[26:27]
; %bb.355:                              ;   in Loop: Header=BB20_348 Depth=3
	v_or_b32_e32 v16, 0x10000, v20
	v_cmp_eq_u32_sdwa s[26:27], v20, v3 src0_sel:WORD_0 src1_sel:DWORD
	s_nop 1
	v_cndmask_b32_e64 v16, v16, v20, s[26:27]
; %bb.356:                              ;   in Loop: Header=BB20_348 Depth=3
	s_or_b64 exec, exec, s[46:47]
	v_lshlrev_b32_e32 v20, 16, v17
	v_lshlrev_b32_e32 v72, 16, v21
	v_max_f32_e32 v72, v72, v72
	v_max_f32_e32 v20, v20, v20
	v_min_f32_e32 v73, v20, v72
	v_max_f32_e32 v20, v20, v72
	v_cndmask_b32_e32 v72, v20, v73, vcc
	v_and_b32_e32 v20, 0x7f800000, v72
	v_cmp_ne_u32_e64 s[26:27], s68, v20
                                        ; implicit-def: $vgpr20
	s_and_saveexec_b64 s[46:47], s[26:27]
	s_xor_b64 s[26:27], exec, s[46:47]
; %bb.357:                              ;   in Loop: Header=BB20_348 Depth=3
	v_bfe_u32 v20, v72, 16, 1
	v_add3_u32 v20, v72, v20, s69
                                        ; implicit-def: $vgpr72
; %bb.358:                              ;   in Loop: Header=BB20_348 Depth=3
	s_andn2_saveexec_b64 s[46:47], s[26:27]
; %bb.359:                              ;   in Loop: Header=BB20_348 Depth=3
	v_or_b32_e32 v20, 0x10000, v72
	v_cmp_eq_u32_sdwa s[26:27], v72, v3 src0_sel:WORD_0 src1_sel:DWORD
	s_nop 1
	v_cndmask_b32_e64 v20, v20, v72, s[26:27]
; %bb.360:                              ;   in Loop: Header=BB20_348 Depth=3
	s_or_b64 exec, exec, s[46:47]
	v_and_b32_e32 v17, 0xffff0000, v17
	v_and_b32_e32 v21, 0xffff0000, v21
	v_max_f32_e32 v21, v21, v21
	v_max_f32_e32 v17, v17, v17
	v_min_f32_e32 v72, v17, v21
	v_max_f32_e32 v17, v17, v21
	v_cndmask_b32_e32 v21, v17, v72, vcc
	v_and_b32_e32 v17, 0x7f800000, v21
	v_cmp_ne_u32_e64 s[26:27], s68, v17
                                        ; implicit-def: $vgpr17
	s_and_saveexec_b64 s[46:47], s[26:27]
	s_xor_b64 s[26:27], exec, s[46:47]
; %bb.361:                              ;   in Loop: Header=BB20_348 Depth=3
	v_bfe_u32 v17, v21, 16, 1
	v_add3_u32 v17, v21, v17, s69
                                        ; implicit-def: $vgpr21
; %bb.362:                              ;   in Loop: Header=BB20_348 Depth=3
	s_andn2_saveexec_b64 s[46:47], s[26:27]
; %bb.363:                              ;   in Loop: Header=BB20_348 Depth=3
	v_or_b32_e32 v17, 0x10000, v21
	v_cmp_eq_u32_sdwa s[26:27], v21, v3 src0_sel:WORD_0 src1_sel:DWORD
	s_nop 1
	v_cndmask_b32_e64 v17, v17, v21, s[26:27]
; %bb.364:                              ;   in Loop: Header=BB20_348 Depth=3
	s_or_b64 exec, exec, s[46:47]
	v_lshlrev_b32_e32 v21, 16, v18
	v_lshlrev_b32_e32 v72, 16, v22
	v_max_f32_e32 v72, v72, v72
	v_max_f32_e32 v21, v21, v21
	v_min_f32_e32 v73, v21, v72
	v_max_f32_e32 v21, v21, v72
	v_cndmask_b32_e32 v72, v21, v73, vcc
	v_and_b32_e32 v21, 0x7f800000, v72
	v_cmp_ne_u32_e64 s[26:27], s68, v21
                                        ; implicit-def: $vgpr21
	s_and_saveexec_b64 s[46:47], s[26:27]
	s_xor_b64 s[26:27], exec, s[46:47]
; %bb.365:                              ;   in Loop: Header=BB20_348 Depth=3
	v_bfe_u32 v21, v72, 16, 1
	v_add3_u32 v21, v72, v21, s69
                                        ; implicit-def: $vgpr72
; %bb.366:                              ;   in Loop: Header=BB20_348 Depth=3
	s_andn2_saveexec_b64 s[46:47], s[26:27]
; %bb.367:                              ;   in Loop: Header=BB20_348 Depth=3
	v_or_b32_e32 v21, 0x10000, v72
	v_cmp_eq_u32_sdwa s[26:27], v72, v3 src0_sel:WORD_0 src1_sel:DWORD
	s_nop 1
	v_cndmask_b32_e64 v21, v21, v72, s[26:27]
; %bb.368:                              ;   in Loop: Header=BB20_348 Depth=3
	s_or_b64 exec, exec, s[46:47]
	v_and_b32_e32 v18, 0xffff0000, v18
	v_and_b32_e32 v22, 0xffff0000, v22
	v_max_f32_e32 v22, v22, v22
	v_max_f32_e32 v18, v18, v18
	v_min_f32_e32 v72, v18, v22
	v_max_f32_e32 v18, v18, v22
	v_cndmask_b32_e32 v22, v18, v72, vcc
	v_and_b32_e32 v18, 0x7f800000, v22
	v_cmp_ne_u32_e64 s[26:27], s68, v18
                                        ; implicit-def: $vgpr18
	s_and_saveexec_b64 s[46:47], s[26:27]
	s_xor_b64 s[26:27], exec, s[46:47]
; %bb.369:                              ;   in Loop: Header=BB20_348 Depth=3
	v_bfe_u32 v18, v22, 16, 1
	v_add3_u32 v18, v22, v18, s69
                                        ; implicit-def: $vgpr22
; %bb.370:                              ;   in Loop: Header=BB20_348 Depth=3
	s_andn2_saveexec_b64 s[46:47], s[26:27]
; %bb.371:                              ;   in Loop: Header=BB20_348 Depth=3
	v_or_b32_e32 v18, 0x10000, v22
	v_cmp_eq_u32_sdwa s[26:27], v22, v3 src0_sel:WORD_0 src1_sel:DWORD
	s_nop 1
	v_cndmask_b32_e64 v18, v18, v22, s[26:27]
; %bb.372:                              ;   in Loop: Header=BB20_348 Depth=3
	s_or_b64 exec, exec, s[46:47]
	v_lshlrev_b32_e32 v22, 16, v19
	v_lshlrev_b32_e32 v72, 16, v23
	v_max_f32_e32 v72, v72, v72
	v_max_f32_e32 v22, v22, v22
	v_min_f32_e32 v73, v22, v72
	v_max_f32_e32 v22, v22, v72
	v_cndmask_b32_e32 v72, v22, v73, vcc
	v_and_b32_e32 v22, 0x7f800000, v72
	v_cmp_ne_u32_e64 s[26:27], s68, v22
                                        ; implicit-def: $vgpr22
	s_and_saveexec_b64 s[46:47], s[26:27]
	s_xor_b64 s[26:27], exec, s[46:47]
; %bb.373:                              ;   in Loop: Header=BB20_348 Depth=3
	v_bfe_u32 v22, v72, 16, 1
	v_add3_u32 v22, v72, v22, s69
                                        ; implicit-def: $vgpr72
; %bb.374:                              ;   in Loop: Header=BB20_348 Depth=3
	s_andn2_saveexec_b64 s[46:47], s[26:27]
; %bb.375:                              ;   in Loop: Header=BB20_348 Depth=3
	v_or_b32_e32 v22, 0x10000, v72
	v_cmp_eq_u32_sdwa s[26:27], v72, v3 src0_sel:WORD_0 src1_sel:DWORD
	s_nop 1
	v_cndmask_b32_e64 v22, v22, v72, s[26:27]
; %bb.376:                              ;   in Loop: Header=BB20_348 Depth=3
	s_or_b64 exec, exec, s[46:47]
	v_and_b32_e32 v19, 0xffff0000, v19
	v_and_b32_e32 v23, 0xffff0000, v23
	v_max_f32_e32 v23, v23, v23
	v_max_f32_e32 v19, v19, v19
	v_min_f32_e32 v72, v19, v23
	v_max_f32_e32 v19, v19, v23
	v_cndmask_b32_e32 v23, v19, v72, vcc
	v_and_b32_e32 v19, 0x7f800000, v23
	v_cmp_ne_u32_e64 s[26:27], s68, v19
                                        ; implicit-def: $vgpr19
	s_and_saveexec_b64 s[46:47], s[26:27]
	s_xor_b64 s[26:27], exec, s[46:47]
; %bb.377:                              ;   in Loop: Header=BB20_348 Depth=3
	v_bfe_u32 v19, v23, 16, 1
	v_add3_u32 v19, v23, v19, s69
                                        ; implicit-def: $vgpr23
; %bb.378:                              ;   in Loop: Header=BB20_348 Depth=3
	s_andn2_saveexec_b64 s[46:47], s[26:27]
; %bb.379:                              ;   in Loop: Header=BB20_348 Depth=3
	v_or_b32_e32 v19, 0x10000, v23
	v_cmp_eq_u32_sdwa s[26:27], v23, v3 src0_sel:WORD_0 src1_sel:DWORD
	s_nop 1
	v_cndmask_b32_e64 v19, v19, v23, s[26:27]
; %bb.380:                              ;   in Loop: Header=BB20_348 Depth=3
	s_or_b64 exec, exec, s[46:47]
	v_lshlrev_b32_e32 v23, 16, v8
	v_lshlrev_b32_e32 v72, 16, v12
	v_max_f32_e32 v72, v72, v72
	v_max_f32_e32 v23, v23, v23
	v_min_f32_e32 v73, v23, v72
	v_max_f32_e32 v23, v23, v72
	v_cndmask_b32_e32 v72, v23, v73, vcc
	v_and_b32_e32 v23, 0x7f800000, v72
	v_cmp_ne_u32_e64 s[26:27], s68, v23
                                        ; implicit-def: $vgpr23
	s_and_saveexec_b64 s[46:47], s[26:27]
	s_xor_b64 s[26:27], exec, s[46:47]
; %bb.381:                              ;   in Loop: Header=BB20_348 Depth=3
	v_bfe_u32 v23, v72, 16, 1
	v_add3_u32 v23, v72, v23, s69
                                        ; implicit-def: $vgpr72
; %bb.382:                              ;   in Loop: Header=BB20_348 Depth=3
	s_andn2_saveexec_b64 s[46:47], s[26:27]
; %bb.383:                              ;   in Loop: Header=BB20_348 Depth=3
	v_or_b32_e32 v23, 0x10000, v72
	v_cmp_eq_u32_sdwa s[26:27], v72, v3 src0_sel:WORD_0 src1_sel:DWORD
	s_nop 1
	v_cndmask_b32_e64 v23, v23, v72, s[26:27]
; %bb.384:                              ;   in Loop: Header=BB20_348 Depth=3
	s_or_b64 exec, exec, s[46:47]
	v_and_b32_e32 v8, 0xffff0000, v8
	v_and_b32_e32 v12, 0xffff0000, v12
	v_max_f32_e32 v12, v12, v12
	v_max_f32_e32 v8, v8, v8
	v_min_f32_e32 v72, v8, v12
	v_max_f32_e32 v8, v8, v12
	v_cndmask_b32_e32 v12, v8, v72, vcc
	v_and_b32_e32 v8, 0x7f800000, v12
	v_cmp_ne_u32_e64 s[26:27], s68, v8
                                        ; implicit-def: $vgpr8
	s_and_saveexec_b64 s[46:47], s[26:27]
	s_xor_b64 s[26:27], exec, s[46:47]
; %bb.385:                              ;   in Loop: Header=BB20_348 Depth=3
	v_bfe_u32 v8, v12, 16, 1
	v_add3_u32 v8, v12, v8, s69
                                        ; implicit-def: $vgpr12
; %bb.386:                              ;   in Loop: Header=BB20_348 Depth=3
	s_andn2_saveexec_b64 s[46:47], s[26:27]
; %bb.387:                              ;   in Loop: Header=BB20_348 Depth=3
	v_or_b32_e32 v8, 0x10000, v12
	v_cmp_eq_u32_sdwa s[26:27], v12, v3 src0_sel:WORD_0 src1_sel:DWORD
	s_nop 1
	v_cndmask_b32_e64 v8, v8, v12, s[26:27]
; %bb.388:                              ;   in Loop: Header=BB20_348 Depth=3
	s_or_b64 exec, exec, s[46:47]
	v_lshlrev_b32_e32 v12, 16, v9
	v_lshlrev_b32_e32 v72, 16, v13
	v_max_f32_e32 v72, v72, v72
	v_max_f32_e32 v12, v12, v12
	v_min_f32_e32 v73, v12, v72
	v_max_f32_e32 v12, v12, v72
	v_cndmask_b32_e32 v72, v12, v73, vcc
	v_and_b32_e32 v12, 0x7f800000, v72
	v_cmp_ne_u32_e64 s[26:27], s68, v12
                                        ; implicit-def: $vgpr12
	s_and_saveexec_b64 s[46:47], s[26:27]
	s_xor_b64 s[26:27], exec, s[46:47]
; %bb.389:                              ;   in Loop: Header=BB20_348 Depth=3
	v_bfe_u32 v12, v72, 16, 1
	v_add3_u32 v12, v72, v12, s69
                                        ; implicit-def: $vgpr72
; %bb.390:                              ;   in Loop: Header=BB20_348 Depth=3
	s_andn2_saveexec_b64 s[46:47], s[26:27]
; %bb.391:                              ;   in Loop: Header=BB20_348 Depth=3
	v_or_b32_e32 v12, 0x10000, v72
	v_cmp_eq_u32_sdwa s[26:27], v72, v3 src0_sel:WORD_0 src1_sel:DWORD
	s_nop 1
	v_cndmask_b32_e64 v12, v12, v72, s[26:27]
; %bb.392:                              ;   in Loop: Header=BB20_348 Depth=3
	s_or_b64 exec, exec, s[46:47]
	v_and_b32_e32 v9, 0xffff0000, v9
	v_and_b32_e32 v13, 0xffff0000, v13
	v_max_f32_e32 v13, v13, v13
	v_max_f32_e32 v9, v9, v9
	v_min_f32_e32 v72, v9, v13
	v_max_f32_e32 v9, v9, v13
	v_cndmask_b32_e32 v13, v9, v72, vcc
	v_and_b32_e32 v9, 0x7f800000, v13
	v_cmp_ne_u32_e64 s[26:27], s68, v9
                                        ; implicit-def: $vgpr9
	s_and_saveexec_b64 s[46:47], s[26:27]
	s_xor_b64 s[26:27], exec, s[46:47]
; %bb.393:                              ;   in Loop: Header=BB20_348 Depth=3
	v_bfe_u32 v9, v13, 16, 1
	v_add3_u32 v9, v13, v9, s69
                                        ; implicit-def: $vgpr13
; %bb.394:                              ;   in Loop: Header=BB20_348 Depth=3
	s_andn2_saveexec_b64 s[46:47], s[26:27]
; %bb.395:                              ;   in Loop: Header=BB20_348 Depth=3
	v_or_b32_e32 v9, 0x10000, v13
	v_cmp_eq_u32_sdwa s[26:27], v13, v3 src0_sel:WORD_0 src1_sel:DWORD
	s_nop 1
	v_cndmask_b32_e64 v9, v9, v13, s[26:27]
; %bb.396:                              ;   in Loop: Header=BB20_348 Depth=3
	s_or_b64 exec, exec, s[46:47]
	v_lshlrev_b32_e32 v13, 16, v10
	v_lshlrev_b32_e32 v72, 16, v14
	v_max_f32_e32 v72, v72, v72
	v_max_f32_e32 v13, v13, v13
	v_min_f32_e32 v73, v13, v72
	v_max_f32_e32 v13, v13, v72
	v_cndmask_b32_e32 v72, v13, v73, vcc
	v_and_b32_e32 v13, 0x7f800000, v72
	v_cmp_ne_u32_e64 s[26:27], s68, v13
                                        ; implicit-def: $vgpr13
	s_and_saveexec_b64 s[46:47], s[26:27]
	s_xor_b64 s[26:27], exec, s[46:47]
; %bb.397:                              ;   in Loop: Header=BB20_348 Depth=3
	v_bfe_u32 v13, v72, 16, 1
	v_add3_u32 v13, v72, v13, s69
                                        ; implicit-def: $vgpr72
; %bb.398:                              ;   in Loop: Header=BB20_348 Depth=3
	s_andn2_saveexec_b64 s[46:47], s[26:27]
; %bb.399:                              ;   in Loop: Header=BB20_348 Depth=3
	v_or_b32_e32 v13, 0x10000, v72
	v_cmp_eq_u32_sdwa s[26:27], v72, v3 src0_sel:WORD_0 src1_sel:DWORD
	s_nop 1
	v_cndmask_b32_e64 v13, v13, v72, s[26:27]
; %bb.400:                              ;   in Loop: Header=BB20_348 Depth=3
	s_or_b64 exec, exec, s[46:47]
	v_and_b32_e32 v10, 0xffff0000, v10
	v_and_b32_e32 v14, 0xffff0000, v14
	v_max_f32_e32 v14, v14, v14
	v_max_f32_e32 v10, v10, v10
	v_min_f32_e32 v72, v10, v14
	v_max_f32_e32 v10, v10, v14
	v_cndmask_b32_e32 v14, v10, v72, vcc
	v_and_b32_e32 v10, 0x7f800000, v14
	v_cmp_ne_u32_e64 s[26:27], s68, v10
                                        ; implicit-def: $vgpr10
	s_and_saveexec_b64 s[46:47], s[26:27]
	s_xor_b64 s[26:27], exec, s[46:47]
; %bb.401:                              ;   in Loop: Header=BB20_348 Depth=3
	v_bfe_u32 v10, v14, 16, 1
	v_add3_u32 v10, v14, v10, s69
                                        ; implicit-def: $vgpr14
; %bb.402:                              ;   in Loop: Header=BB20_348 Depth=3
	s_andn2_saveexec_b64 s[46:47], s[26:27]
; %bb.403:                              ;   in Loop: Header=BB20_348 Depth=3
	v_or_b32_e32 v10, 0x10000, v14
	v_cmp_eq_u32_sdwa s[26:27], v14, v3 src0_sel:WORD_0 src1_sel:DWORD
	s_nop 1
	v_cndmask_b32_e64 v10, v10, v14, s[26:27]
; %bb.404:                              ;   in Loop: Header=BB20_348 Depth=3
	s_or_b64 exec, exec, s[46:47]
	v_lshlrev_b32_e32 v14, 16, v11
	v_lshlrev_b32_e32 v72, 16, v15
	v_max_f32_e32 v72, v72, v72
	v_max_f32_e32 v14, v14, v14
	v_min_f32_e32 v73, v14, v72
	v_max_f32_e32 v14, v14, v72
	v_cndmask_b32_e32 v72, v14, v73, vcc
	v_and_b32_e32 v14, 0x7f800000, v72
	v_cmp_ne_u32_e64 s[26:27], s68, v14
                                        ; implicit-def: $vgpr14
	s_and_saveexec_b64 s[46:47], s[26:27]
	s_xor_b64 s[26:27], exec, s[46:47]
; %bb.405:                              ;   in Loop: Header=BB20_348 Depth=3
	v_bfe_u32 v14, v72, 16, 1
	v_add3_u32 v14, v72, v14, s69
                                        ; implicit-def: $vgpr72
; %bb.406:                              ;   in Loop: Header=BB20_348 Depth=3
	s_andn2_saveexec_b64 s[46:47], s[26:27]
; %bb.407:                              ;   in Loop: Header=BB20_348 Depth=3
	v_or_b32_e32 v14, 0x10000, v72
	v_cmp_eq_u32_sdwa s[26:27], v72, v3 src0_sel:WORD_0 src1_sel:DWORD
	s_nop 1
	v_cndmask_b32_e64 v14, v14, v72, s[26:27]
; %bb.408:                              ;   in Loop: Header=BB20_348 Depth=3
	s_or_b64 exec, exec, s[46:47]
	v_and_b32_e32 v11, 0xffff0000, v11
	v_and_b32_e32 v15, 0xffff0000, v15
	v_max_f32_e32 v15, v15, v15
	v_max_f32_e32 v11, v11, v11
	v_min_f32_e32 v72, v11, v15
	v_max_f32_e32 v11, v11, v15
	v_cndmask_b32_e32 v15, v11, v72, vcc
	v_and_b32_e32 v11, 0x7f800000, v15
	v_cmp_ne_u32_e64 s[26:27], s68, v11
                                        ; implicit-def: $vgpr11
	s_and_saveexec_b64 s[46:47], s[26:27]
	s_xor_b64 s[26:27], exec, s[46:47]
; %bb.409:                              ;   in Loop: Header=BB20_348 Depth=3
	v_bfe_u32 v11, v15, 16, 1
	v_add3_u32 v11, v15, v11, s69
                                        ; implicit-def: $vgpr15
; %bb.410:                              ;   in Loop: Header=BB20_348 Depth=3
	s_andn2_saveexec_b64 s[46:47], s[26:27]
	s_cbranch_execz .LBB20_347
; %bb.411:                              ;   in Loop: Header=BB20_348 Depth=3
	v_or_b32_e32 v11, 0x10000, v15
	v_cmp_eq_u32_sdwa s[26:27], v15, v3 src0_sel:WORD_0 src1_sel:DWORD
	s_nop 1
	v_cndmask_b32_e64 v11, v11, v15, s[26:27]
	s_branch .LBB20_347
.LBB20_412:                             ;   in Loop: Header=BB20_265 Depth=2
	s_or_b64 exec, exec, s[44:45]
.LBB20_413:                             ;   in Loop: Header=BB20_265 Depth=2
	s_or_b64 exec, exec, s[28:29]
	v_lshlrev_b32_e32 v22, 11, v50
	v_cmp_ne_u32_e32 vcc, v25, v22
	s_mov_b64 s[26:27], 0
	v_mov_b32_e32 v14, 0
                                        ; implicit-def: $vgpr15
	s_and_saveexec_b64 s[44:45], vcc
	s_cbranch_execz .LBB20_451
; %bb.414:                              ;   in Loop: Header=BB20_265 Depth=2
	v_lshlrev_b32_e32 v8, 6, v49
	v_sub_u32_e32 v8, v93, v8
	v_ashrrev_i32_e32 v10, 31, v8
	v_lshrrev_b32_e32 v10, 26, v10
	v_add_u32_e32 v10, v8, v10
	v_sub_u32_e32 v9, v25, v22
	v_ashrrev_i32_e32 v11, 6, v10
	v_and_b32_e32 v10, 0xffffffc0, v10
	v_sub_u32_e32 v23, v8, v10
	v_ashrrev_i32_e32 v10, 31, v9
	v_lshrrev_b32_e32 v10, 22, v10
	v_add_u32_e32 v10, v9, v10
	v_and_b32_e32 v34, 0xfffffc00, v10
	v_lshlrev_b32_e32 v8, 4, v23
	v_sub_u32_e32 v35, v9, v34
	v_lshl_add_u32 v8, v11, 10, v8
	v_ashrrev_i32_e32 v12, 10, v10
	v_cmp_lt_i32_e32 vcc, 15, v35
	v_sub_u32_e32 v37, v9, v8
	s_nop 0
	v_addc_co_u32_e64 v9, s[26:27], 0, v12, vcc
	v_sub_u32_e32 v36, v9, v11
	v_cmp_lt_i32_e64 s[26:27], 15, v37
	s_and_saveexec_b64 s[46:47], s[26:27]
	s_cbranch_execz .LBB20_450
; %bb.415:                              ;   in Loop: Header=BB20_265 Depth=2
	s_trap 2
	ds_read_b64 v[10:11], v0
	v_add_u32_e32 v8, v8, v22
	s_and_b32 s76, s60, 1
	v_ashrrev_i32_e32 v9, 31, v8
	s_cmp_eq_u64 s[76:77], 0
	v_lshl_add_u64 v[16:17], v[8:9], 0, v[26:27]
	s_waitcnt lgkmcnt(0)
	v_lshl_add_u64 v[18:19], v[10:11], 0, v[8:9]
	v_lshl_add_u64 v[20:21], v[8:9], 0, v[32:33]
	s_mov_b64 s[56:57], 0
	s_cselect_b64 s[26:27], -1, 0
	s_branch .LBB20_417
.LBB20_416:                             ;   in Loop: Header=BB20_417 Depth=3
	s_or_b64 exec, exec, s[58:59]
	v_lshrrev_b32_e32 v12, 16, v12
	v_and_or_b32 v9, v9, s70, v12
	v_lshrrev_b32_e32 v12, 16, v38
	v_and_or_b32 v8, v8, s70, v12
	;; [unrolled: 2-line block ×3, first 2 shown]
	v_lshrrev_b32_e32 v12, 16, v14
	v_sub_u32_e32 v37, v37, v100
	v_and_or_b32 v11, v11, s70, v12
	v_cmp_gt_i32_e64 s[28:29], 16, v37
	global_store_dwordx4 v[20:21], v[8:11], off
	v_lshl_add_u64 v[16:17], v[16:17], 0, v[100:101]
	v_lshl_add_u64 v[18:19], v[18:19], 0, v[100:101]
	;; [unrolled: 1-line block ×3, first 2 shown]
	s_or_b64 s[56:57], s[28:29], s[56:57]
	v_sub_u32_e32 v36, v36, v84
	s_andn2_b64 exec, exec, s[56:57]
	s_cbranch_execz .LBB20_449
.LBB20_417:                             ;   Parent Loop BB20_47 Depth=1
                                        ;     Parent Loop BB20_265 Depth=2
                                        ; =>    This Inner Loop Header: Depth=3
	global_load_dwordx4 v[8:11], v[18:19], off nt
	global_load_dwordx4 v[12:15], v[16:17], off nt
	s_waitcnt vmcnt(0)
	v_lshlrev_b32_e32 v38, 16, v8
	v_lshlrev_b32_e32 v39, 16, v12
	v_max_f32_e32 v38, v38, v38
	v_max_f32_e32 v39, v39, v39
	v_min_f32_e32 v49, v39, v38
	v_max_f32_e32 v38, v39, v38
	v_cndmask_b32_e64 v39, v38, v49, s[26:27]
	v_and_b32_e32 v38, 0x7f800000, v39
	v_cmp_ne_u32_e64 s[28:29], s68, v38
                                        ; implicit-def: $vgpr38
	s_and_saveexec_b64 s[58:59], s[28:29]
	s_xor_b64 s[28:29], exec, s[58:59]
; %bb.418:                              ;   in Loop: Header=BB20_417 Depth=3
	v_bfe_u32 v38, v39, 16, 1
	v_add3_u32 v38, v39, v38, s69
                                        ; implicit-def: $vgpr39
; %bb.419:                              ;   in Loop: Header=BB20_417 Depth=3
	s_andn2_saveexec_b64 s[58:59], s[28:29]
; %bb.420:                              ;   in Loop: Header=BB20_417 Depth=3
	v_or_b32_e32 v38, 0x10000, v39
	v_cmp_eq_u32_sdwa s[28:29], v39, v3 src0_sel:WORD_0 src1_sel:DWORD
	s_nop 1
	v_cndmask_b32_e64 v38, v38, v39, s[28:29]
; %bb.421:                              ;   in Loop: Header=BB20_417 Depth=3
	s_or_b64 exec, exec, s[58:59]
	v_and_b32_e32 v8, 0xffff0000, v8
	v_and_b32_e32 v12, 0xffff0000, v12
	v_max_f32_e32 v8, v8, v8
	v_max_f32_e32 v12, v12, v12
	v_min_f32_e32 v39, v12, v8
	v_max_f32_e32 v8, v12, v8
	v_cndmask_b32_e64 v12, v8, v39, s[26:27]
	v_and_b32_e32 v8, 0x7f800000, v12
	v_cmp_ne_u32_e64 s[28:29], s68, v8
                                        ; implicit-def: $vgpr8
	s_and_saveexec_b64 s[58:59], s[28:29]
	s_xor_b64 s[28:29], exec, s[58:59]
; %bb.422:                              ;   in Loop: Header=BB20_417 Depth=3
	v_bfe_u32 v8, v12, 16, 1
	v_add3_u32 v8, v12, v8, s69
                                        ; implicit-def: $vgpr12
; %bb.423:                              ;   in Loop: Header=BB20_417 Depth=3
	s_andn2_saveexec_b64 s[58:59], s[28:29]
; %bb.424:                              ;   in Loop: Header=BB20_417 Depth=3
	v_or_b32_e32 v8, 0x10000, v12
	v_cmp_eq_u32_sdwa s[28:29], v12, v3 src0_sel:WORD_0 src1_sel:DWORD
	s_nop 1
	v_cndmask_b32_e64 v8, v8, v12, s[28:29]
; %bb.425:                              ;   in Loop: Header=BB20_417 Depth=3
	s_or_b64 exec, exec, s[58:59]
	v_lshlrev_b32_e32 v12, 16, v9
	v_lshlrev_b32_e32 v39, 16, v13
	v_max_f32_e32 v12, v12, v12
	v_max_f32_e32 v39, v39, v39
	v_min_f32_e32 v49, v39, v12
	v_max_f32_e32 v12, v39, v12
	v_cndmask_b32_e64 v39, v12, v49, s[26:27]
	v_and_b32_e32 v12, 0x7f800000, v39
	v_cmp_ne_u32_e64 s[28:29], s68, v12
                                        ; implicit-def: $vgpr12
	s_and_saveexec_b64 s[58:59], s[28:29]
	s_xor_b64 s[28:29], exec, s[58:59]
; %bb.426:                              ;   in Loop: Header=BB20_417 Depth=3
	v_bfe_u32 v12, v39, 16, 1
	v_add3_u32 v12, v39, v12, s69
                                        ; implicit-def: $vgpr39
; %bb.427:                              ;   in Loop: Header=BB20_417 Depth=3
	s_andn2_saveexec_b64 s[58:59], s[28:29]
; %bb.428:                              ;   in Loop: Header=BB20_417 Depth=3
	v_or_b32_e32 v12, 0x10000, v39
	v_cmp_eq_u32_sdwa s[28:29], v39, v3 src0_sel:WORD_0 src1_sel:DWORD
	s_nop 1
	v_cndmask_b32_e64 v12, v12, v39, s[28:29]
; %bb.429:                              ;   in Loop: Header=BB20_417 Depth=3
	s_or_b64 exec, exec, s[58:59]
	v_and_b32_e32 v13, 0xffff0000, v13
	v_and_b32_e32 v9, 0xffff0000, v9
	v_max_f32_e32 v9, v9, v9
	v_max_f32_e32 v13, v13, v13
	v_min_f32_e32 v39, v13, v9
	v_max_f32_e32 v9, v13, v9
	v_cndmask_b32_e64 v13, v9, v39, s[26:27]
	v_and_b32_e32 v9, 0x7f800000, v13
	v_cmp_ne_u32_e64 s[28:29], s68, v9
                                        ; implicit-def: $vgpr9
	s_and_saveexec_b64 s[58:59], s[28:29]
	s_xor_b64 s[28:29], exec, s[58:59]
; %bb.430:                              ;   in Loop: Header=BB20_417 Depth=3
	v_bfe_u32 v9, v13, 16, 1
	v_add3_u32 v9, v13, v9, s69
                                        ; implicit-def: $vgpr13
; %bb.431:                              ;   in Loop: Header=BB20_417 Depth=3
	s_andn2_saveexec_b64 s[58:59], s[28:29]
; %bb.432:                              ;   in Loop: Header=BB20_417 Depth=3
	v_or_b32_e32 v9, 0x10000, v13
	v_cmp_eq_u32_sdwa s[28:29], v13, v3 src0_sel:WORD_0 src1_sel:DWORD
	s_nop 1
	v_cndmask_b32_e64 v9, v9, v13, s[28:29]
; %bb.433:                              ;   in Loop: Header=BB20_417 Depth=3
	s_or_b64 exec, exec, s[58:59]
	v_lshlrev_b32_e32 v13, 16, v10
	v_lshlrev_b32_e32 v39, 16, v14
	v_max_f32_e32 v13, v13, v13
	v_max_f32_e32 v39, v39, v39
	v_min_f32_e32 v49, v39, v13
	v_max_f32_e32 v13, v39, v13
	v_cndmask_b32_e64 v39, v13, v49, s[26:27]
	v_and_b32_e32 v13, 0x7f800000, v39
	v_cmp_ne_u32_e64 s[28:29], s68, v13
                                        ; implicit-def: $vgpr13
	s_and_saveexec_b64 s[58:59], s[28:29]
	s_xor_b64 s[28:29], exec, s[58:59]
; %bb.434:                              ;   in Loop: Header=BB20_417 Depth=3
	v_bfe_u32 v13, v39, 16, 1
	v_add3_u32 v13, v39, v13, s69
                                        ; implicit-def: $vgpr39
; %bb.435:                              ;   in Loop: Header=BB20_417 Depth=3
	s_andn2_saveexec_b64 s[58:59], s[28:29]
; %bb.436:                              ;   in Loop: Header=BB20_417 Depth=3
	v_or_b32_e32 v13, 0x10000, v39
	v_cmp_eq_u32_sdwa s[28:29], v39, v3 src0_sel:WORD_0 src1_sel:DWORD
	s_nop 1
	v_cndmask_b32_e64 v13, v13, v39, s[28:29]
; %bb.437:                              ;   in Loop: Header=BB20_417 Depth=3
	s_or_b64 exec, exec, s[58:59]
	v_and_b32_e32 v14, 0xffff0000, v14
	v_and_b32_e32 v10, 0xffff0000, v10
	v_max_f32_e32 v10, v10, v10
	v_max_f32_e32 v14, v14, v14
	v_min_f32_e32 v39, v14, v10
	v_max_f32_e32 v10, v14, v10
	v_cndmask_b32_e64 v14, v10, v39, s[26:27]
	v_and_b32_e32 v10, 0x7f800000, v14
	v_cmp_ne_u32_e64 s[28:29], s68, v10
                                        ; implicit-def: $vgpr10
	s_and_saveexec_b64 s[58:59], s[28:29]
	s_xor_b64 s[28:29], exec, s[58:59]
; %bb.438:                              ;   in Loop: Header=BB20_417 Depth=3
	v_bfe_u32 v10, v14, 16, 1
	v_add3_u32 v10, v14, v10, s69
                                        ; implicit-def: $vgpr14
; %bb.439:                              ;   in Loop: Header=BB20_417 Depth=3
	s_andn2_saveexec_b64 s[58:59], s[28:29]
; %bb.440:                              ;   in Loop: Header=BB20_417 Depth=3
	v_or_b32_e32 v10, 0x10000, v14
	v_cmp_eq_u32_sdwa s[28:29], v14, v3 src0_sel:WORD_0 src1_sel:DWORD
	s_nop 1
	v_cndmask_b32_e64 v10, v10, v14, s[28:29]
; %bb.441:                              ;   in Loop: Header=BB20_417 Depth=3
	s_or_b64 exec, exec, s[58:59]
	v_lshlrev_b32_e32 v14, 16, v11
	v_lshlrev_b32_e32 v39, 16, v15
	v_max_f32_e32 v14, v14, v14
	v_max_f32_e32 v39, v39, v39
	v_min_f32_e32 v49, v39, v14
	v_max_f32_e32 v14, v39, v14
	v_cndmask_b32_e64 v39, v14, v49, s[26:27]
	v_and_b32_e32 v14, 0x7f800000, v39
	v_cmp_ne_u32_e64 s[28:29], s68, v14
                                        ; implicit-def: $vgpr14
	s_and_saveexec_b64 s[58:59], s[28:29]
	s_xor_b64 s[28:29], exec, s[58:59]
; %bb.442:                              ;   in Loop: Header=BB20_417 Depth=3
	v_bfe_u32 v14, v39, 16, 1
	v_add3_u32 v14, v39, v14, s69
                                        ; implicit-def: $vgpr39
; %bb.443:                              ;   in Loop: Header=BB20_417 Depth=3
	s_andn2_saveexec_b64 s[58:59], s[28:29]
; %bb.444:                              ;   in Loop: Header=BB20_417 Depth=3
	v_or_b32_e32 v14, 0x10000, v39
	v_cmp_eq_u32_sdwa s[28:29], v39, v3 src0_sel:WORD_0 src1_sel:DWORD
	s_nop 1
	v_cndmask_b32_e64 v14, v14, v39, s[28:29]
; %bb.445:                              ;   in Loop: Header=BB20_417 Depth=3
	s_or_b64 exec, exec, s[58:59]
	v_and_b32_e32 v15, 0xffff0000, v15
	v_and_b32_e32 v11, 0xffff0000, v11
	v_max_f32_e32 v11, v11, v11
	v_max_f32_e32 v15, v15, v15
	v_min_f32_e32 v39, v15, v11
	v_max_f32_e32 v11, v15, v11
	v_cndmask_b32_e64 v15, v11, v39, s[26:27]
	v_and_b32_e32 v11, 0x7f800000, v15
	v_cmp_ne_u32_e64 s[28:29], s68, v11
                                        ; implicit-def: $vgpr11
	s_and_saveexec_b64 s[58:59], s[28:29]
	s_xor_b64 s[28:29], exec, s[58:59]
; %bb.446:                              ;   in Loop: Header=BB20_417 Depth=3
	v_bfe_u32 v11, v15, 16, 1
	v_add3_u32 v11, v15, v11, s69
                                        ; implicit-def: $vgpr15
; %bb.447:                              ;   in Loop: Header=BB20_417 Depth=3
	s_andn2_saveexec_b64 s[58:59], s[28:29]
	s_cbranch_execz .LBB20_416
; %bb.448:                              ;   in Loop: Header=BB20_417 Depth=3
	v_or_b32_e32 v11, 0x10000, v15
	v_cmp_eq_u32_sdwa s[28:29], v15, v3 src0_sel:WORD_0 src1_sel:DWORD
	s_nop 1
	v_cndmask_b32_e64 v11, v11, v15, s[28:29]
	s_branch .LBB20_416
.LBB20_449:                             ;   in Loop: Header=BB20_265 Depth=2
	s_or_b64 exec, exec, s[56:57]
.LBB20_450:                             ;   in Loop: Header=BB20_265 Depth=2
	s_or_b64 exec, exec, s[46:47]
	v_and_b32_e32 v8, 14, v25
	v_sub_u32_e32 v9, v35, v8
	v_cndmask_b32_e32 v9, 0, v9, vcc
	v_cndmask_b32_e32 v25, v35, v8, vcc
	v_cmp_lt_i32_e32 vcc, 0, v36
	v_add3_u32 v14, v34, v22, v9
	s_nop 0
	v_cndmask_b32_e32 v8, 0, v84, vcc
	v_sub_u32_e32 v8, v8, v36
	v_cmp_ne_u32_e32 vcc, 0, v25
	v_lshl_add_u32 v15, v8, 6, v23
	s_and_b64 s[26:27], vcc, exec
.LBB20_451:                             ;   in Loop: Header=BB20_265 Depth=2
	s_or_b64 exec, exec, s[44:45]
	s_and_saveexec_b64 s[28:29], s[26:27]
	s_cbranch_execz .LBB20_496
.LBB20_452:                             ;   in Loop: Header=BB20_265 Depth=2
	v_ashrrev_i32_e32 v8, 31, v15
	v_ashrrev_i32_e32 v9, 31, v25
	v_lshrrev_b32_e32 v8, 26, v8
	v_lshrrev_b32_e32 v9, 22, v9
	v_add_u32_e32 v8, v15, v8
	v_add_u32_e32 v9, v25, v9
	v_ashrrev_i32_e32 v16, 6, v8
	v_ashrrev_i32_e32 v18, 10, v9
	v_sub_u32_e32 v17, v18, v16
	v_cmp_lt_i32_e32 vcc, 0, v17
	s_and_saveexec_b64 s[44:45], vcc
	s_cbranch_execz .LBB20_488
; %bb.453:                              ;   in Loop: Header=BB20_265 Depth=2
	v_and_b32_e32 v8, 0x7fffffc0, v8
	s_trap 2
	ds_read_b64 v[10:11], v0
	v_sub_u32_e32 v8, v15, v8
	v_lshlrev_b32_e32 v8, 1, v8
	v_lshlrev_b32_e32 v9, 10, v16
	v_add3_u32 v12, v8, v14, v9
	s_and_b32 s76, s60, 1
	v_ashrrev_i32_e32 v13, 31, v12
	s_cmp_eq_u64 s[76:77], 0
	v_lshl_add_u64 v[20:21], v[32:33], 0, s[36:37]
	v_lshl_add_u64 v[8:9], v[12:13], 0, v[26:27]
	s_waitcnt lgkmcnt(0)
	v_lshl_add_u64 v[10:11], v[10:11], 0, v[12:13]
	s_mov_b64 s[46:47], 0
	s_cselect_b64 s[26:27], -1, 0
	v_lshl_add_u64 v[12:13], v[20:21], 0, v[12:13]
	s_branch .LBB20_455
.LBB20_454:                             ;   in Loop: Header=BB20_455 Depth=3
	s_or_b64 exec, exec, s[56:57]
	v_add_co_u32_e32 v50, vcc, 0xfffffc80, v12
	v_sub_u32_e32 v17, v17, v84
	s_nop 0
	v_addc_co_u32_e32 v51, vcc, -1, v13, vcc
	flat_store_short_d16_hi v[50:51], v19 nt
	v_add_co_u32_e32 v50, vcc, 0xfffffd00, v12
	v_lshl_add_u64 v[8:9], v[8:9], 0, v[100:101]
	s_nop 0
	v_addc_co_u32_e32 v51, vcc, -1, v13, vcc
	flat_store_short_d16_hi v[50:51], v22 nt
	v_add_co_u32_e32 v50, vcc, 0xfffffd80, v12
	v_lshl_add_u64 v[10:11], v[10:11], 0, v[100:101]
	s_nop 0
	v_addc_co_u32_e32 v51, vcc, -1, v13, vcc
	v_add_co_u32_e32 v34, vcc, 0xfffffe00, v12
	flat_store_short_d16_hi v[50:51], v35 nt
	s_nop 0
	v_addc_co_u32_e32 v35, vcc, -1, v13, vcc
	flat_store_short_d16_hi v[34:35], v37 nt
	v_add_co_u32_e32 v34, vcc, 0xfffffe80, v12
	s_nop 1
	v_addc_co_u32_e32 v35, vcc, -1, v13, vcc
	flat_store_short_d16_hi v[34:35], v39 nt
	v_add_co_u32_e32 v34, vcc, 0xffffff00, v12
	;; [unrolled: 4-line block ×3, first 2 shown]
	s_nop 1
	v_addc_co_u32_e32 v35, vcc, -1, v13, vcc
	v_cmp_gt_i32_e32 vcc, 1, v17
	flat_store_short_d16_hi v[34:35], v23 nt
	flat_store_short_d16_hi v[12:13], v20 nt
	s_or_b64 s[46:47], vcc, s[46:47]
	v_lshl_add_u64 v[12:13], v[12:13], 0, v[100:101]
	s_andn2_b64 exec, exec, s[46:47]
	s_cbranch_execz .LBB20_487
.LBB20_455:                             ;   Parent Loop BB20_47 Depth=1
                                        ;     Parent Loop BB20_265 Depth=2
                                        ; =>    This Inner Loop Header: Depth=3
	flat_load_ushort v35, v[8:9] offset:256 nt
	flat_load_ushort v37, v[8:9] offset:384 nt
	;; [unrolled: 1-line block ×6, first 2 shown]
	flat_load_ushort v19, v[8:9] nt
	flat_load_ushort v51, v[10:11] offset:256 nt
	flat_load_ushort v50, v[10:11] offset:384 nt
	;; [unrolled: 1-line block ×6, first 2 shown]
	flat_load_ushort v73, v[10:11] nt
	flat_load_ushort v22, v[8:9] offset:128 nt
	flat_load_ushort v72, v[10:11] offset:128 nt
	s_waitcnt vmcnt(0) lgkmcnt(0)
	v_lshlrev_b32_e32 v19, 16, v19
	v_max_f32_e32 v19, v19, v19
	v_lshlrev_b32_e32 v73, 16, v73
	v_max_f32_e32 v73, v73, v73
	v_min_f32_e32 v74, v19, v73
	v_max_f32_e32 v19, v19, v73
	v_cndmask_b32_e64 v73, v19, v74, s[26:27]
	v_and_b32_e32 v19, 0x7f800000, v73
	v_cmp_ne_u32_e32 vcc, s68, v19
                                        ; implicit-def: $vgpr19
	s_and_saveexec_b64 s[56:57], vcc
	s_xor_b64 s[56:57], exec, s[56:57]
; %bb.456:                              ;   in Loop: Header=BB20_455 Depth=3
	v_bfe_u32 v19, v73, 16, 1
	v_add3_u32 v19, v73, v19, s69
                                        ; implicit-def: $vgpr73
; %bb.457:                              ;   in Loop: Header=BB20_455 Depth=3
	s_andn2_saveexec_b64 s[56:57], s[56:57]
; %bb.458:                              ;   in Loop: Header=BB20_455 Depth=3
	v_or_b32_e32 v19, 0x10000, v73
	v_cmp_eq_u32_sdwa vcc, v73, v3 src0_sel:WORD_0 src1_sel:DWORD
	s_nop 1
	v_cndmask_b32_e32 v19, v19, v73, vcc
; %bb.459:                              ;   in Loop: Header=BB20_455 Depth=3
	s_or_b64 exec, exec, s[56:57]
	v_lshlrev_b32_e32 v22, 16, v22
	v_lshlrev_b32_e32 v72, 16, v72
	v_max_f32_e32 v72, v72, v72
	v_max_f32_e32 v22, v22, v22
	v_min_f32_e32 v73, v22, v72
	v_max_f32_e32 v22, v22, v72
	v_cndmask_b32_e64 v72, v22, v73, s[26:27]
	v_and_b32_e32 v22, 0x7f800000, v72
	v_cmp_ne_u32_e32 vcc, s68, v22
                                        ; implicit-def: $vgpr22
	s_and_saveexec_b64 s[56:57], vcc
	s_xor_b64 s[56:57], exec, s[56:57]
; %bb.460:                              ;   in Loop: Header=BB20_455 Depth=3
	v_bfe_u32 v22, v72, 16, 1
	v_add3_u32 v22, v72, v22, s69
                                        ; implicit-def: $vgpr72
; %bb.461:                              ;   in Loop: Header=BB20_455 Depth=3
	s_andn2_saveexec_b64 s[56:57], s[56:57]
; %bb.462:                              ;   in Loop: Header=BB20_455 Depth=3
	v_or_b32_e32 v22, 0x10000, v72
	v_cmp_eq_u32_sdwa vcc, v72, v3 src0_sel:WORD_0 src1_sel:DWORD
	s_nop 1
	v_cndmask_b32_e32 v22, v22, v72, vcc
; %bb.463:                              ;   in Loop: Header=BB20_455 Depth=3
	s_or_b64 exec, exec, s[56:57]
	v_lshlrev_b32_e32 v35, 16, v35
	v_lshlrev_b32_e32 v51, 16, v51
	v_max_f32_e32 v51, v51, v51
	v_max_f32_e32 v35, v35, v35
	v_min_f32_e32 v72, v35, v51
	v_max_f32_e32 v35, v35, v51
	v_cndmask_b32_e64 v51, v35, v72, s[26:27]
	v_and_b32_e32 v35, 0x7f800000, v51
	v_cmp_ne_u32_e32 vcc, s68, v35
                                        ; implicit-def: $vgpr35
	s_and_saveexec_b64 s[56:57], vcc
	s_xor_b64 s[56:57], exec, s[56:57]
; %bb.464:                              ;   in Loop: Header=BB20_455 Depth=3
	v_bfe_u32 v35, v51, 16, 1
	v_add3_u32 v35, v51, v35, s69
                                        ; implicit-def: $vgpr51
; %bb.465:                              ;   in Loop: Header=BB20_455 Depth=3
	s_andn2_saveexec_b64 s[56:57], s[56:57]
; %bb.466:                              ;   in Loop: Header=BB20_455 Depth=3
	v_or_b32_e32 v35, 0x10000, v51
	v_cmp_eq_u32_sdwa vcc, v51, v3 src0_sel:WORD_0 src1_sel:DWORD
	s_nop 1
	v_cndmask_b32_e32 v35, v35, v51, vcc
; %bb.467:                              ;   in Loop: Header=BB20_455 Depth=3
	s_or_b64 exec, exec, s[56:57]
	v_lshlrev_b32_e32 v37, 16, v37
	v_lshlrev_b32_e32 v50, 16, v50
	v_max_f32_e32 v50, v50, v50
	v_max_f32_e32 v37, v37, v37
	v_min_f32_e32 v51, v37, v50
	v_max_f32_e32 v37, v37, v50
	v_cndmask_b32_e64 v50, v37, v51, s[26:27]
	v_and_b32_e32 v37, 0x7f800000, v50
	v_cmp_ne_u32_e32 vcc, s68, v37
                                        ; implicit-def: $vgpr37
	s_and_saveexec_b64 s[56:57], vcc
	s_xor_b64 s[56:57], exec, s[56:57]
; %bb.468:                              ;   in Loop: Header=BB20_455 Depth=3
	v_bfe_u32 v37, v50, 16, 1
	v_add3_u32 v37, v50, v37, s69
                                        ; implicit-def: $vgpr50
; %bb.469:                              ;   in Loop: Header=BB20_455 Depth=3
	s_andn2_saveexec_b64 s[56:57], s[56:57]
; %bb.470:                              ;   in Loop: Header=BB20_455 Depth=3
	v_or_b32_e32 v37, 0x10000, v50
	v_cmp_eq_u32_sdwa vcc, v50, v3 src0_sel:WORD_0 src1_sel:DWORD
	s_nop 1
	v_cndmask_b32_e32 v37, v37, v50, vcc
; %bb.471:                              ;   in Loop: Header=BB20_455 Depth=3
	s_or_b64 exec, exec, s[56:57]
	v_lshlrev_b32_e32 v39, 16, v39
	v_lshlrev_b32_e32 v49, 16, v49
	v_max_f32_e32 v49, v49, v49
	v_max_f32_e32 v39, v39, v39
	v_min_f32_e32 v50, v39, v49
	v_max_f32_e32 v39, v39, v49
	v_cndmask_b32_e64 v49, v39, v50, s[26:27]
	v_and_b32_e32 v39, 0x7f800000, v49
	v_cmp_ne_u32_e32 vcc, s68, v39
                                        ; implicit-def: $vgpr39
	s_and_saveexec_b64 s[56:57], vcc
	s_xor_b64 s[56:57], exec, s[56:57]
; %bb.472:                              ;   in Loop: Header=BB20_455 Depth=3
	v_bfe_u32 v39, v49, 16, 1
	v_add3_u32 v39, v49, v39, s69
                                        ; implicit-def: $vgpr49
; %bb.473:                              ;   in Loop: Header=BB20_455 Depth=3
	s_andn2_saveexec_b64 s[56:57], s[56:57]
; %bb.474:                              ;   in Loop: Header=BB20_455 Depth=3
	v_or_b32_e32 v39, 0x10000, v49
	v_cmp_eq_u32_sdwa vcc, v49, v3 src0_sel:WORD_0 src1_sel:DWORD
	s_nop 1
	v_cndmask_b32_e32 v39, v39, v49, vcc
; %bb.475:                              ;   in Loop: Header=BB20_455 Depth=3
	s_or_b64 exec, exec, s[56:57]
	v_lshlrev_b32_e32 v36, 16, v36
	v_lshlrev_b32_e32 v38, 16, v38
	v_max_f32_e32 v38, v38, v38
	v_max_f32_e32 v36, v36, v36
	v_min_f32_e32 v49, v36, v38
	v_max_f32_e32 v36, v36, v38
	v_cndmask_b32_e64 v38, v36, v49, s[26:27]
	v_and_b32_e32 v36, 0x7f800000, v38
	v_cmp_ne_u32_e32 vcc, s68, v36
                                        ; implicit-def: $vgpr36
	s_and_saveexec_b64 s[56:57], vcc
	s_xor_b64 s[56:57], exec, s[56:57]
; %bb.476:                              ;   in Loop: Header=BB20_455 Depth=3
	v_bfe_u32 v36, v38, 16, 1
	v_add3_u32 v36, v38, v36, s69
                                        ; implicit-def: $vgpr38
; %bb.477:                              ;   in Loop: Header=BB20_455 Depth=3
	s_andn2_saveexec_b64 s[56:57], s[56:57]
; %bb.478:                              ;   in Loop: Header=BB20_455 Depth=3
	v_or_b32_e32 v36, 0x10000, v38
	v_cmp_eq_u32_sdwa vcc, v38, v3 src0_sel:WORD_0 src1_sel:DWORD
	s_nop 1
	v_cndmask_b32_e32 v36, v36, v38, vcc
; %bb.479:                              ;   in Loop: Header=BB20_455 Depth=3
	s_or_b64 exec, exec, s[56:57]
	v_lshlrev_b32_e32 v23, 16, v23
	v_lshlrev_b32_e32 v34, 16, v34
	v_max_f32_e32 v34, v34, v34
	v_max_f32_e32 v23, v23, v23
	v_min_f32_e32 v38, v23, v34
	v_max_f32_e32 v23, v23, v34
	v_cndmask_b32_e64 v34, v23, v38, s[26:27]
	v_and_b32_e32 v23, 0x7f800000, v34
	v_cmp_ne_u32_e32 vcc, s68, v23
                                        ; implicit-def: $vgpr23
	s_and_saveexec_b64 s[56:57], vcc
	s_xor_b64 s[56:57], exec, s[56:57]
; %bb.480:                              ;   in Loop: Header=BB20_455 Depth=3
	v_bfe_u32 v23, v34, 16, 1
	v_add3_u32 v23, v34, v23, s69
                                        ; implicit-def: $vgpr34
; %bb.481:                              ;   in Loop: Header=BB20_455 Depth=3
	s_andn2_saveexec_b64 s[56:57], s[56:57]
; %bb.482:                              ;   in Loop: Header=BB20_455 Depth=3
	v_or_b32_e32 v23, 0x10000, v34
	v_cmp_eq_u32_sdwa vcc, v34, v3 src0_sel:WORD_0 src1_sel:DWORD
	s_nop 1
	v_cndmask_b32_e32 v23, v23, v34, vcc
; %bb.483:                              ;   in Loop: Header=BB20_455 Depth=3
	s_or_b64 exec, exec, s[56:57]
	v_lshlrev_b32_e32 v20, 16, v20
	v_lshlrev_b32_e32 v21, 16, v21
	v_max_f32_e32 v21, v21, v21
	v_max_f32_e32 v20, v20, v20
	v_min_f32_e32 v34, v20, v21
	v_max_f32_e32 v20, v20, v21
	v_cndmask_b32_e64 v21, v20, v34, s[26:27]
	v_and_b32_e32 v20, 0x7f800000, v21
	v_cmp_ne_u32_e32 vcc, s68, v20
                                        ; implicit-def: $vgpr20
	s_and_saveexec_b64 s[56:57], vcc
	s_xor_b64 s[56:57], exec, s[56:57]
; %bb.484:                              ;   in Loop: Header=BB20_455 Depth=3
	v_bfe_u32 v20, v21, 16, 1
	v_add3_u32 v20, v21, v20, s69
                                        ; implicit-def: $vgpr21
; %bb.485:                              ;   in Loop: Header=BB20_455 Depth=3
	s_andn2_saveexec_b64 s[56:57], s[56:57]
	s_cbranch_execz .LBB20_454
; %bb.486:                              ;   in Loop: Header=BB20_455 Depth=3
	v_or_b32_e32 v20, 0x10000, v21
	v_cmp_eq_u32_sdwa vcc, v21, v3 src0_sel:WORD_0 src1_sel:DWORD
	s_nop 1
	v_cndmask_b32_e32 v20, v20, v21, vcc
	s_branch .LBB20_454
.LBB20_487:                             ;   in Loop: Header=BB20_265 Depth=2
	s_or_b64 exec, exec, s[46:47]
.LBB20_488:                             ;   in Loop: Header=BB20_265 Depth=2
	s_or_b64 exec, exec, s[44:45]
	v_lshlrev_b32_e32 v8, 10, v18
	v_cmp_ne_u32_e32 vcc, v25, v8
	s_and_b64 exec, exec, vcc
	s_cbranch_execz .LBB20_496
; %bb.489:                              ;   in Loop: Header=BB20_265 Depth=2
	v_lshlrev_b32_e32 v9, 6, v16
	v_sub_u32_e32 v9, v15, v9
	v_lshlrev_b32_e32 v10, 6, v17
	v_sub_u32_e32 v9, v9, v10
	v_ashrrev_i32_e32 v10, 31, v9
	v_lshrrev_b32_e32 v10, 26, v10
	v_add_u32_e32 v10, v9, v10
	v_and_b32_e32 v11, 0x7fffffc0, v10
	v_sub_u32_e32 v9, v9, v11
	v_lshlrev_b32_e32 v10, 1, v10
	v_and_b32_e32 v10, 0xffffff80, v10
	v_lshlrev_b32_e32 v9, 1, v9
	v_add3_u32 v8, v10, v9, v8
	v_sub_u32_e32 v15, v25, v8
	v_cmp_lt_i32_e32 vcc, 1, v15
	s_and_b64 exec, exec, vcc
	s_cbranch_execz .LBB20_496
; %bb.490:                              ;   in Loop: Header=BB20_265 Depth=2
	s_trap 2
	ds_read_b64 v[10:11], v0
	v_add_u32_e32 v12, v8, v14
	s_and_b32 s76, s60, 1
	v_ashrrev_i32_e32 v13, 31, v12
	s_cmp_eq_u64 s[76:77], 0
	v_lshl_add_u64 v[8:9], v[12:13], 0, v[26:27]
	s_waitcnt lgkmcnt(0)
	v_lshl_add_u64 v[10:11], v[10:11], 0, v[12:13]
	v_lshl_add_u64 v[12:13], v[12:13], 0, v[32:33]
	s_mov_b64 s[44:45], 0
	s_cselect_b64 vcc, -1, 0
	s_branch .LBB20_492
.LBB20_491:                             ;   in Loop: Header=BB20_492 Depth=3
	s_or_b64 exec, exec, s[46:47]
	v_sub_u32_e32 v15, v15, v102
	v_cmp_gt_i32_e64 s[26:27], 2, v15
	flat_store_short_d16_hi v[12:13], v16 nt
	v_lshl_add_u64 v[8:9], v[8:9], 0, v[102:103]
	v_lshl_add_u64 v[10:11], v[10:11], 0, v[102:103]
	s_or_b64 s[44:45], s[26:27], s[44:45]
	v_lshl_add_u64 v[12:13], v[12:13], 0, v[102:103]
	s_andn2_b64 exec, exec, s[44:45]
	s_cbranch_execz .LBB20_496
.LBB20_492:                             ;   Parent Loop BB20_47 Depth=1
                                        ;     Parent Loop BB20_265 Depth=2
                                        ; =>    This Inner Loop Header: Depth=3
	flat_load_ushort v14, v[10:11] nt
	flat_load_ushort v16, v[8:9] nt
	s_waitcnt vmcnt(0) lgkmcnt(0)
	v_lshlrev_b32_e32 v14, 16, v14
	v_lshlrev_b32_e32 v16, 16, v16
	v_max_f32_e32 v14, v14, v14
	v_max_f32_e32 v16, v16, v16
	v_min_f32_e32 v17, v16, v14
	v_max_f32_e32 v14, v16, v14
	v_cndmask_b32_e32 v14, v14, v17, vcc
	v_and_b32_e32 v16, 0x7f800000, v14
	v_cmp_ne_u32_e64 s[26:27], s68, v16
                                        ; implicit-def: $vgpr16
	s_and_saveexec_b64 s[46:47], s[26:27]
	s_xor_b64 s[26:27], exec, s[46:47]
; %bb.493:                              ;   in Loop: Header=BB20_492 Depth=3
	v_bfe_u32 v16, v14, 16, 1
	v_add3_u32 v16, v14, v16, s69
                                        ; implicit-def: $vgpr14
; %bb.494:                              ;   in Loop: Header=BB20_492 Depth=3
	s_andn2_saveexec_b64 s[46:47], s[26:27]
	s_cbranch_execz .LBB20_491
; %bb.495:                              ;   in Loop: Header=BB20_492 Depth=3
	v_or_b32_e32 v16, 0x10000, v14
	v_cmp_eq_u32_sdwa s[26:27], v14, v3 src0_sel:WORD_0 src1_sel:DWORD
	s_nop 1
	v_cndmask_b32_e64 v16, v16, v14, s[26:27]
	s_branch .LBB20_491
.LBB20_496:                             ;   in Loop: Header=BB20_265 Depth=2
	s_or_b64 exec, exec, s[28:29]
	v_cmp_lt_i32_e64 s[26:27], 0, v2
	s_and_saveexec_b64 s[28:29], s[6:7]
	s_cbranch_execz .LBB20_341
.LBB20_497:                             ;   in Loop: Header=BB20_265 Depth=2
	s_and_saveexec_b64 s[44:45], s[78:79]
	s_xor_b64 s[44:45], exec, s[44:45]
	s_cbranch_execz .LBB20_512
; %bb.498:                              ;   in Loop: Header=BB20_265 Depth=2
	s_and_saveexec_b64 s[46:47], s[14:15]
	s_cbranch_execz .LBB20_511
; %bb.499:                              ;   in Loop: Header=BB20_265 Depth=2
	s_mov_b64 s[58:59], exec
	v_mbcnt_lo_u32_b32 v2, s58, 0
	v_mbcnt_hi_u32_b32 v2, s59, v2
	v_cmp_eq_u32_e32 vcc, 0, v2
	s_waitcnt lgkmcnt(0)
	s_and_saveexec_b64 s[56:57], vcc
	s_cbranch_execz .LBB20_501
; %bb.500:                              ;   in Loop: Header=BB20_265 Depth=2
	s_bcnt1_i32_b64 s58, s[58:59]
	v_mov_b32_e32 v2, s58
	ds_add_u64 v0, v[2:3]
	s_trap 2
.LBB20_501:                             ;   in Loop: Header=BB20_265 Depth=2
	s_or_b64 exec, exec, s[56:57]
	s_trap 2
	ds_read_b64 v[8:9], v0
	s_waitcnt lgkmcnt(0)
	v_lshl_add_u64 v[70:71], v[70:71], 0, v[84:85]
	v_cmp_lt_u64_e32 vcc, v[8:9], v[70:71]
	s_and_saveexec_b64 s[56:57], vcc
	s_cbranch_execz .LBB20_510
; %bb.502:                              ;   in Loop: Header=BB20_265 Depth=2
	s_mov_b32 s76, 0
	s_mov_b64 s[58:59], 0
                                        ; implicit-def: $sgpr60_sgpr61
                                        ; implicit-def: $sgpr62_sgpr63
	s_branch .LBB20_504
.LBB20_503:                             ;   in Loop: Header=BB20_504 Depth=3
	s_or_b64 exec, exec, s[48:49]
	s_and_b64 vcc, exec, vcc
	s_or_b64 s[58:59], vcc, s[58:59]
	s_andn2_b64 s[60:61], s[60:61], exec
	s_and_b64 vcc, s[62:63], exec
	s_or_b64 s[60:61], s[60:61], vcc
	s_andn2_b64 exec, exec, s[58:59]
	s_cbranch_execz .LBB20_508
.LBB20_504:                             ;   Parent Loop BB20_47 Depth=1
                                        ;     Parent Loop BB20_265 Depth=2
                                        ; =>    This Inner Loop Header: Depth=3
	s_add_i32 s76, s76, 1
	s_cmpk_lg_i32 s76, 0x2710
	s_cselect_b64 s[38:39], -1, 0
	s_and_b64 vcc, exec, s[38:39]
	s_cbranch_vccz .LBB20_506
; %bb.505:                              ;   in Loop: Header=BB20_504 Depth=3
	s_mov_b64 vcc, -1
	s_or_b64 s[62:63], s[62:63], exec
	s_and_saveexec_b64 s[48:49], s[38:39]
	s_cbranch_execz .LBB20_503
	s_branch .LBB20_507
.LBB20_506:                             ;   in Loop: Header=BB20_504 Depth=3
	s_trap 2
	ds_read_b64 v[8:9], v0
	s_andn2_b64 s[38:39], s[38:39], exec
	s_mov_b32 s76, 0
	s_waitcnt vmcnt(0) lgkmcnt(0)
	flat_load_dword v2, v[8:9] sc0 sc1
	s_waitcnt vmcnt(0) lgkmcnt(0)
	buffer_inv sc0 sc1
	v_cmp_eq_u32_e32 vcc, 0, v2
	s_and_b64 vcc, vcc, exec
	s_or_b64 s[38:39], s[38:39], vcc
	s_mov_b64 vcc, -1
	s_or_b64 s[62:63], s[62:63], exec
	s_and_saveexec_b64 s[48:49], s[38:39]
	s_cbranch_execz .LBB20_503
.LBB20_507:                             ;   in Loop: Header=BB20_504 Depth=3
	s_sleep 1
	s_trap 2
	ds_read_b64 v[8:9], v0
	s_waitcnt lgkmcnt(0)
	s_andn2_b64 s[62:63], s[62:63], exec
	v_cmp_ge_u64_e32 vcc, v[8:9], v[70:71]
	s_orn2_b64 vcc, vcc, exec
	s_branch .LBB20_503
.LBB20_508:                             ;   in Loop: Header=BB20_265 Depth=2
	s_or_b64 exec, exec, s[58:59]
	s_and_saveexec_b64 s[58:59], s[60:61]
	s_xor_b64 s[58:59], exec, s[58:59]
	s_cbranch_execz .LBB20_510
; %bb.509:                              ;   in Loop: Header=BB20_265 Depth=2
	ds_write_b32 v0, v95
	s_trap 2
.LBB20_510:                             ;   in Loop: Header=BB20_265 Depth=2
	s_or_b64 exec, exec, s[56:57]
	;;#ASMSTART
	s_wakeup
	;;#ASMEND
.LBB20_511:                             ;   in Loop: Header=BB20_265 Depth=2
	s_or_b64 exec, exec, s[46:47]
.LBB20_512:                             ;   in Loop: Header=BB20_265 Depth=2
	s_andn2_saveexec_b64 s[44:45], s[44:45]
	s_cbranch_execz .LBB20_514
; %bb.513:                              ;   in Loop: Header=BB20_265 Depth=2
	s_waitcnt lgkmcnt(0)
	s_barrier
.LBB20_514:                             ;   in Loop: Header=BB20_265 Depth=2
	s_or_b64 exec, exec, s[44:45]
	s_or_b64 exec, exec, s[28:29]
                                        ; implicit-def: $vgpr2
	s_and_saveexec_b64 s[28:29], s[22:23]
	s_xor_b64 s[28:29], exec, s[28:29]
	s_cbranch_execnz .LBB20_342
.LBB20_515:                             ;   in Loop: Header=BB20_265 Depth=2
	s_andn2_saveexec_b64 s[26:27], s[28:29]
	s_cbranch_execz .LBB20_534
.LBB20_516:                             ;   in Loop: Header=BB20_265 Depth=2
	s_and_saveexec_b64 s[28:29], s[78:79]
	s_xor_b64 s[28:29], exec, s[28:29]
	s_cbranch_execz .LBB20_531
; %bb.517:                              ;   in Loop: Header=BB20_265 Depth=2
	s_and_saveexec_b64 s[44:45], s[14:15]
	s_cbranch_execz .LBB20_530
; %bb.518:                              ;   in Loop: Header=BB20_265 Depth=2
	s_mov_b64 s[56:57], exec
	v_mbcnt_lo_u32_b32 v2, s56, 0
	v_mbcnt_hi_u32_b32 v2, s57, v2
	v_cmp_eq_u32_e32 vcc, 0, v2
	;;#ASMSTART
	s_waitcnt lgkmcnt(0) vmcnt(0)
	;;#ASMEND
	s_and_saveexec_b64 s[46:47], vcc
	s_cbranch_execz .LBB20_520
; %bb.519:                              ;   in Loop: Header=BB20_265 Depth=2
	s_bcnt1_i32_b64 s56, s[56:57]
	v_mov_b32_e32 v2, s56
	s_waitcnt lgkmcnt(0)
	ds_add_u64 v0, v[2:3]
	s_trap 2
.LBB20_520:                             ;   in Loop: Header=BB20_265 Depth=2
	s_or_b64 exec, exec, s[46:47]
	s_trap 2
	ds_read_b64 v[8:9], v0
	s_waitcnt lgkmcnt(0)
	v_lshl_add_u64 v[70:71], v[70:71], 0, v[84:85]
	v_cmp_lt_u64_e32 vcc, v[8:9], v[70:71]
	s_and_saveexec_b64 s[46:47], vcc
	s_cbranch_execz .LBB20_529
; %bb.521:                              ;   in Loop: Header=BB20_265 Depth=2
	s_mov_b32 s76, 0
	s_mov_b64 s[56:57], 0
                                        ; implicit-def: $sgpr58_sgpr59
                                        ; implicit-def: $sgpr60_sgpr61
	s_branch .LBB20_523
.LBB20_522:                             ;   in Loop: Header=BB20_523 Depth=3
	s_or_b64 exec, exec, s[38:39]
	s_and_b64 s[62:63], exec, vcc
	s_or_b64 s[56:57], s[62:63], s[56:57]
	s_andn2_b64 s[58:59], s[58:59], exec
	s_and_b64 s[62:63], s[60:61], exec
	s_or_b64 s[58:59], s[58:59], s[62:63]
	s_andn2_b64 exec, exec, s[56:57]
	s_cbranch_execz .LBB20_527
.LBB20_523:                             ;   Parent Loop BB20_47 Depth=1
                                        ;     Parent Loop BB20_265 Depth=2
                                        ; =>    This Inner Loop Header: Depth=3
	s_add_i32 s76, s76, 1
	s_cmpk_lg_i32 s76, 0x2710
	s_cselect_b64 s[62:63], -1, 0
	s_and_b64 vcc, exec, s[62:63]
	s_cbranch_vccz .LBB20_525
; %bb.524:                              ;   in Loop: Header=BB20_523 Depth=3
	s_mov_b64 vcc, -1
	s_or_b64 s[60:61], s[60:61], exec
	s_and_saveexec_b64 s[38:39], s[62:63]
	s_cbranch_execz .LBB20_522
	s_branch .LBB20_526
.LBB20_525:                             ;   in Loop: Header=BB20_523 Depth=3
	s_trap 2
	ds_read_b64 v[8:9], v0
	s_andn2_b64 s[62:63], s[62:63], exec
	s_mov_b32 s76, 0
	s_waitcnt vmcnt(0) lgkmcnt(0)
	flat_load_dword v2, v[8:9] sc0 sc1
	s_waitcnt vmcnt(0) lgkmcnt(0)
	buffer_inv sc0 sc1
	v_cmp_eq_u32_e32 vcc, 0, v2
	s_and_b64 vcc, vcc, exec
	s_or_b64 s[62:63], s[62:63], vcc
	s_mov_b64 vcc, -1
	s_or_b64 s[60:61], s[60:61], exec
	s_and_saveexec_b64 s[38:39], s[62:63]
	s_cbranch_execz .LBB20_522
.LBB20_526:                             ;   in Loop: Header=BB20_523 Depth=3
	s_sleep 1
	s_trap 2
	ds_read_b64 v[8:9], v0
	s_waitcnt lgkmcnt(0)
	s_andn2_b64 s[60:61], s[60:61], exec
	v_cmp_ge_u64_e32 vcc, v[8:9], v[70:71]
	s_orn2_b64 vcc, vcc, exec
	s_branch .LBB20_522
.LBB20_527:                             ;   in Loop: Header=BB20_265 Depth=2
	s_or_b64 exec, exec, s[56:57]
	s_and_saveexec_b64 s[56:57], s[58:59]
	s_xor_b64 s[56:57], exec, s[56:57]
	s_cbranch_execz .LBB20_529
; %bb.528:                              ;   in Loop: Header=BB20_265 Depth=2
	ds_write_b32 v0, v95
	s_trap 2
.LBB20_529:                             ;   in Loop: Header=BB20_265 Depth=2
	s_or_b64 exec, exec, s[46:47]
	;;#ASMSTART
	s_wakeup
	;;#ASMEND
.LBB20_530:                             ;   in Loop: Header=BB20_265 Depth=2
	s_or_b64 exec, exec, s[44:45]
.LBB20_531:                             ;   in Loop: Header=BB20_265 Depth=2
	s_andn2_saveexec_b64 s[28:29], s[28:29]
	s_cbranch_execz .LBB20_533
; %bb.532:                              ;   in Loop: Header=BB20_265 Depth=2
	;;#ASMSTART
	s_waitcnt lgkmcnt(0) vmcnt(0)
	;;#ASMEND
	s_barrier
.LBB20_533:                             ;   in Loop: Header=BB20_265 Depth=2
	s_or_b64 exec, exec, s[28:29]
	v_and_b32_e32 v2, 16, v92
.LBB20_534:                             ;   in Loop: Header=BB20_265 Depth=2
	s_or_b64 exec, exec, s[26:27]
	v_cmp_ne_u32_e32 vcc, 0, v2
	s_xor_b64 s[26:27], s[10:11], -1
	s_and_b64 s[28:29], vcc, s[26:27]
	s_and_saveexec_b64 s[26:27], s[28:29]
	s_cbranch_execz .LBB20_536
; %bb.535:                              ;   in Loop: Header=BB20_265 Depth=2
	flat_store_dword v[68:69], v95 sc0 sc1
.LBB20_536:                             ;   in Loop: Header=BB20_265 Depth=2
	s_or_b64 exec, exec, s[26:27]
	v_and_b32_e32 v2, 48, v92
	v_cmp_ne_u32_e32 vcc, 0, v2
	s_and_saveexec_b64 s[26:27], vcc
	s_cbranch_execz .LBB20_538
; %bb.537:                              ;   in Loop: Header=BB20_265 Depth=2
	v_lshl_add_u64 v[58:59], v[58:59], 0, 4
	flat_store_dwordx2 v[64:65], v[58:59] sc0 sc1
.LBB20_538:                             ;   in Loop: Header=BB20_265 Depth=2
	s_or_b64 exec, exec, s[26:27]
	v_mov_b32_e32 v2, v24
.LBB20_539:                             ;   in Loop: Header=BB20_265 Depth=2
	s_or_b64 exec, exec, s[42:43]
	s_and_saveexec_b64 s[28:29], s[40:41]
	s_cbranch_execz .LBB20_264
; %bb.540:                              ;   in Loop: Header=BB20_265 Depth=2
	v_sub_u32_e32 v2, v48, v2
	v_min_i32_e32 v8, v24, v2
	v_and_b32_e32 v2, 12, v92
	v_cmp_ne_u32_e32 vcc, 0, v2
	s_and_saveexec_b64 s[40:41], vcc
	s_cbranch_execz .LBB20_550
; %bb.541:                              ;   in Loop: Header=BB20_265 Depth=2
	v_and_b32_e32 v2, 8, v92
	s_waitcnt vmcnt(0) lgkmcnt(0)
	v_lshl_add_u64 v[12:13], v[80:81], 0, v[2:3]
	v_lshl_add_u64 v[10:11], v[58:59], 0, 4
	v_cmp_lt_u64_e32 vcc, v[12:13], v[10:11]
	s_and_saveexec_b64 s[42:43], vcc
	s_cbranch_execz .LBB20_566
; %bb.542:                              ;   in Loop: Header=BB20_265 Depth=2
	v_and_b32_e32 v9, 64, v92
	s_mov_b32 s76, 0
	v_cmp_eq_u32_e32 vcc, 0, v9
	s_mov_b64 s[44:45], 0
                                        ; implicit-def: $sgpr46_sgpr47
                                        ; implicit-def: $sgpr56_sgpr57
                                        ; implicit-def: $sgpr58_sgpr59
	s_branch .LBB20_546
.LBB20_543:                             ;   in Loop: Header=BB20_546 Depth=3
	s_waitcnt vmcnt(0) lgkmcnt(0)
	v_lshl_add_u64 v[12:13], v[80:81], 0, v[2:3]
	v_cmp_ge_u64_e64 s[26:27], v[12:13], v[10:11]
	s_or_b64 s[38:39], s[38:39], exec
	s_orn2_b64 s[62:63], s[26:27], exec
.LBB20_544:                             ;   in Loop: Header=BB20_546 Depth=3
	s_or_b64 exec, exec, s[50:51]
	s_andn2_b64 s[26:27], s[58:59], exec
	s_and_b64 s[58:59], s[38:39], exec
	s_or_b64 s[58:59], s[26:27], s[58:59]
	s_andn2_b64 s[26:27], s[56:57], exec
	s_and_b64 s[56:57], s[62:63], exec
	s_or_b64 s[56:57], s[26:27], s[56:57]
.LBB20_545:                             ;   in Loop: Header=BB20_546 Depth=3
	s_or_b64 exec, exec, s[60:61]
	s_and_b64 s[26:27], exec, s[56:57]
	s_or_b64 s[44:45], s[26:27], s[44:45]
	s_andn2_b64 s[26:27], s[46:47], exec
	s_and_b64 s[46:47], s[58:59], exec
	s_or_b64 s[46:47], s[26:27], s[46:47]
	s_andn2_b64 exec, exec, s[44:45]
	s_cbranch_execz .LBB20_563
.LBB20_546:                             ;   Parent Loop BB20_47 Depth=1
                                        ;     Parent Loop BB20_265 Depth=2
                                        ; =>    This Inner Loop Header: Depth=3
	s_sleep 1
	s_waitcnt vmcnt(0) lgkmcnt(0)
	flat_load_dwordx2 v[80:81], v[64:65] sc0 sc1
	s_or_b64 s[58:59], s[58:59], exec
	s_or_b64 s[56:57], s[56:57], exec
                                        ; implicit-def: $vgpr9
	s_and_saveexec_b64 s[60:61], vcc
	s_cbranch_execz .LBB20_545
; %bb.547:                              ;   in Loop: Header=BB20_546 Depth=3
	s_cmpk_lt_i32 s76, 0x270f
	s_cselect_b64 s[48:49], -1, 0
	s_cmpk_gt_i32 s76, 0x270e
	s_mov_b64 s[62:63], -1
	s_cbranch_scc0 .LBB20_549
; %bb.548:                              ;   in Loop: Header=BB20_546 Depth=3
	s_trap 2
	ds_read_b64 v[12:13], v0
	s_andn2_b64 s[48:49], s[48:49], exec
	s_mov_b32 s76, 0
	s_mov_b64 s[38:39], 0
	s_waitcnt vmcnt(0) lgkmcnt(0)
	flat_load_dword v9, v[12:13] sc0 sc1
	s_waitcnt vmcnt(0) lgkmcnt(0)
	buffer_inv sc0 sc1
	v_cmp_eq_u32_e64 s[26:27], 0, v9
	s_and_b64 s[26:27], s[26:27], exec
	s_or_b64 s[48:49], s[48:49], s[26:27]
	s_and_saveexec_b64 s[50:51], s[48:49]
	s_cbranch_execz .LBB20_544
	s_branch .LBB20_543
.LBB20_549:                             ;   in Loop: Header=BB20_546 Depth=3
	s_add_i32 s76, s76, 1
	s_mov_b64 s[38:39], -1
                                        ; implicit-def: $vgpr9
	s_and_saveexec_b64 s[50:51], s[48:49]
	s_cbranch_execz .LBB20_544
	s_branch .LBB20_543
.LBB20_550:                             ;   in Loop: Header=BB20_265 Depth=2
	s_or_b64 exec, exec, s[40:41]
	s_and_saveexec_b64 s[26:27], s[6:7]
	s_cbranch_execnz .LBB20_579
.LBB20_551:                             ;   in Loop: Header=BB20_265 Depth=2
	s_or_b64 exec, exec, s[26:27]
                                        ; implicit-def: $vgpr2
	s_and_saveexec_b64 s[26:27], s[34:35]
	s_xor_b64 s[26:27], exec, s[26:27]
	s_cbranch_execz .LBB20_604
.LBB20_552:                             ;   in Loop: Header=BB20_265 Depth=2
	s_and_saveexec_b64 s[40:41], s[78:79]
	s_xor_b64 s[40:41], exec, s[40:41]
	s_cbranch_execz .LBB20_594
; %bb.553:                              ;   in Loop: Header=BB20_265 Depth=2
	s_and_saveexec_b64 s[42:43], s[14:15]
	s_cbranch_execz .LBB20_593
; %bb.554:                              ;   in Loop: Header=BB20_265 Depth=2
	s_mov_b64 s[46:47], exec
	v_mbcnt_lo_u32_b32 v2, s46, 0
	v_mbcnt_hi_u32_b32 v2, s47, v2
	v_cmp_eq_u32_e32 vcc, 0, v2
	;;#ASMSTART
	s_waitcnt lgkmcnt(0) vmcnt(0)
	;;#ASMEND
	s_and_saveexec_b64 s[44:45], vcc
	s_cbranch_execz .LBB20_556
; %bb.555:                              ;   in Loop: Header=BB20_265 Depth=2
	s_bcnt1_i32_b64 s46, s[46:47]
	v_mov_b32_e32 v2, s46
	s_waitcnt lgkmcnt(0)
	ds_add_u64 v0, v[2:3]
	s_trap 2
.LBB20_556:                             ;   in Loop: Header=BB20_265 Depth=2
	s_or_b64 exec, exec, s[44:45]
	s_trap 2
	ds_read_b64 v[8:9], v0
	s_waitcnt lgkmcnt(0)
	v_lshl_add_u64 v[70:71], v[70:71], 0, v[84:85]
	v_cmp_lt_u64_e32 vcc, v[8:9], v[70:71]
	s_and_saveexec_b64 s[44:45], vcc
	s_cbranch_execz .LBB20_592
; %bb.557:                              ;   in Loop: Header=BB20_265 Depth=2
	s_mov_b32 s76, 0
	s_mov_b64 s[46:47], 0
                                        ; implicit-def: $sgpr56_sgpr57
                                        ; implicit-def: $sgpr58_sgpr59
	s_branch .LBB20_559
.LBB20_558:                             ;   in Loop: Header=BB20_559 Depth=3
	s_or_b64 exec, exec, s[62:63]
	s_and_b64 s[60:61], exec, vcc
	s_or_b64 s[46:47], s[60:61], s[46:47]
	s_andn2_b64 s[56:57], s[56:57], exec
	s_and_b64 s[60:61], s[58:59], exec
	s_or_b64 s[56:57], s[56:57], s[60:61]
	s_andn2_b64 exec, exec, s[46:47]
	s_cbranch_execz .LBB20_590
.LBB20_559:                             ;   Parent Loop BB20_47 Depth=1
                                        ;     Parent Loop BB20_265 Depth=2
                                        ; =>    This Inner Loop Header: Depth=3
	s_add_i32 s76, s76, 1
	s_cmpk_lg_i32 s76, 0x2710
	s_cselect_b64 s[60:61], -1, 0
	s_and_b64 vcc, exec, s[60:61]
	s_cbranch_vccz .LBB20_561
; %bb.560:                              ;   in Loop: Header=BB20_559 Depth=3
	s_mov_b64 vcc, -1
	s_or_b64 s[58:59], s[58:59], exec
	s_and_saveexec_b64 s[62:63], s[60:61]
	s_cbranch_execz .LBB20_558
	s_branch .LBB20_562
.LBB20_561:                             ;   in Loop: Header=BB20_559 Depth=3
	s_trap 2
	ds_read_b64 v[8:9], v0
	s_andn2_b64 s[60:61], s[60:61], exec
	s_mov_b32 s76, 0
	s_waitcnt vmcnt(0) lgkmcnt(0)
	flat_load_dword v2, v[8:9] sc0 sc1
	s_waitcnt vmcnt(0) lgkmcnt(0)
	buffer_inv sc0 sc1
	v_cmp_eq_u32_e32 vcc, 0, v2
	s_and_b64 s[62:63], vcc, exec
	s_or_b64 s[60:61], s[60:61], s[62:63]
	s_mov_b64 vcc, -1
	s_or_b64 s[58:59], s[58:59], exec
	s_and_saveexec_b64 s[62:63], s[60:61]
	s_cbranch_execz .LBB20_558
.LBB20_562:                             ;   in Loop: Header=BB20_559 Depth=3
	s_sleep 1
	s_trap 2
	ds_read_b64 v[8:9], v0
	s_waitcnt lgkmcnt(0)
	s_andn2_b64 s[58:59], s[58:59], exec
	v_cmp_ge_u64_e32 vcc, v[8:9], v[70:71]
	s_orn2_b64 vcc, vcc, exec
	s_branch .LBB20_558
.LBB20_563:                             ;   in Loop: Header=BB20_265 Depth=2
	s_or_b64 exec, exec, s[44:45]
	s_xor_b64 s[26:27], s[46:47], -1
	s_and_saveexec_b64 s[44:45], s[26:27]
	s_xor_b64 s[26:27], exec, s[44:45]
	s_cbranch_execz .LBB20_565
; %bb.564:                              ;   in Loop: Header=BB20_265 Depth=2
	v_or_b32_e32 v92, 64, v92
	s_waitcnt lgkmcnt(0)
	ds_write_b32 v0, v9
	s_trap 2
.LBB20_565:                             ;   in Loop: Header=BB20_265 Depth=2
	s_or_b64 exec, exec, s[26:27]
.LBB20_566:                             ;   in Loop: Header=BB20_265 Depth=2
	s_or_b64 exec, exec, s[42:43]
	v_and_b32_e32 v9, 0x108, v92
	v_cmp_ne_u32_e32 vcc, s67, v9
	;;#ASMSTART
	s_wakeup
	;;#ASMEND
                                        ; implicit-def: $vgpr12_vgpr13
	s_and_saveexec_b64 s[26:27], vcc
	s_xor_b64 s[26:27], exec, s[26:27]
; %bb.567:                              ;   in Loop: Header=BB20_265 Depth=2
	v_and_b32_e32 v12, 7, v58
	v_mov_b32_e32 v13, v3
                                        ; implicit-def: $vgpr58_vgpr59
; %bb.568:                              ;   in Loop: Header=BB20_265 Depth=2
	s_andn2_saveexec_b64 s[26:27], s[26:27]
	s_cbranch_execz .LBB20_570
; %bb.569:                              ;   in Loop: Header=BB20_265 Depth=2
	v_and_b32_e32 v12, 7, v58
	v_ashrrev_i32_e32 v9, 31, v8
	v_mov_b32_e32 v13, v3
	v_mad_u64_u32 v[14:15], s[42:43], v12, 24, v[6:7]
	v_lshlrev_b64 v[16:17], 1, v[8:9]
	flat_store_dwordx2 v[14:15], v[16:17] offset:8
.LBB20_570:                             ;   in Loop: Header=BB20_265 Depth=2
	s_or_b64 exec, exec, s[26:27]
	v_and_b32_e32 v9, 0x100, v92
	v_cmp_ne_u32_e32 vcc, 0, v9
	s_mov_b64 s[26:27], -1
                                        ; implicit-def: $vgpr14_vgpr15
	s_and_saveexec_b64 s[42:43], vcc
	s_cbranch_execz .LBB20_574
; %bb.571:                              ;   in Loop: Header=BB20_265 Depth=2
	v_mad_u64_u32 v[16:17], s[26:27], v12, 24, v[6:7]
	v_mov_b32_e32 v14, v17
	v_mad_u64_u32 v[14:15], s[26:27], v13, 24, v[14:15]
	v_mov_b32_e32 v17, v14
	flat_load_dword v9, v[16:17]
                                        ; implicit-def: $vgpr14_vgpr15
	s_waitcnt vmcnt(0) lgkmcnt(0)
	v_cmp_ne_u32_e32 vcc, 1, v9
	v_cmp_eq_u32_e64 s[26:27], 1, v9
	s_and_saveexec_b64 s[44:45], s[26:27]
	s_cbranch_execz .LBB20_573
; %bb.572:                              ;   in Loop: Header=BB20_265 Depth=2
	flat_load_dword v14, v[16:17] offset:4 sc0 sc1
	s_waitcnt vmcnt(0) lgkmcnt(0)
	v_ashrrev_i32_e32 v15, 31, v14
	v_lshrrev_b64 v[14:15], 1, v[14:15]
.LBB20_573:                             ;   in Loop: Header=BB20_265 Depth=2
	s_or_b64 exec, exec, s[44:45]
	s_orn2_b64 s[26:27], vcc, exec
.LBB20_574:                             ;   in Loop: Header=BB20_265 Depth=2
	s_or_b64 exec, exec, s[42:43]
	s_and_saveexec_b64 s[42:43], s[26:27]
; %bb.575:                              ;   in Loop: Header=BB20_265 Depth=2
	v_mul_lo_u32 v9, v13, v30
	v_mul_lo_u32 v13, v12, v83
	v_mad_u64_u32 v[14:15], s[26:27], v12, v30, 0
	v_add3_u32 v15, v15, v13, v9
; %bb.576:                              ;   in Loop: Header=BB20_265 Depth=2
	s_or_b64 exec, exec, s[42:43]
	v_cmp_eq_u32_e32 vcc, 0, v2
	v_lshl_add_u64 v[12:13], v[14:15], 1, v[66:67]
	s_nop 0
	v_cndmask_b32_e32 v2, v104, v105, vcc
	v_add_u32_e32 v2, v0, v2
	ds_write_b64 v2, v[12:13] offset:584
	v_and_b32_e32 v2, 0x2000, v92
	v_cmp_ne_u32_e32 vcc, 0, v2
	s_and_saveexec_b64 s[26:27], vcc
	s_cbranch_execz .LBB20_578
; %bb.577:                              ;   in Loop: Header=BB20_265 Depth=2
	ds_read_b64 v[12:13], v0 offset:872
	s_waitcnt lgkmcnt(0)
	v_lshl_add_u64 v[12:13], v[12:13], 0, 1
	ds_write_b64 v0, v[12:13] offset:872
.LBB20_578:                             ;   in Loop: Header=BB20_265 Depth=2
	s_or_b64 exec, exec, s[26:27]
	v_mov_b64_e32 v[58:59], v[10:11]
	s_or_b64 exec, exec, s[40:41]
	s_and_saveexec_b64 s[26:27], s[6:7]
	s_cbranch_execz .LBB20_551
.LBB20_579:                             ;   in Loop: Header=BB20_265 Depth=2
	s_and_saveexec_b64 s[40:41], s[78:79]
	s_xor_b64 s[40:41], exec, s[40:41]
	s_cbranch_execz .LBB20_601
; %bb.580:                              ;   in Loop: Header=BB20_265 Depth=2
	s_and_saveexec_b64 s[42:43], s[14:15]
	s_cbranch_execz .LBB20_600
; %bb.581:                              ;   in Loop: Header=BB20_265 Depth=2
	s_mov_b64 s[46:47], exec
	v_mbcnt_lo_u32_b32 v2, s46, 0
	v_mbcnt_hi_u32_b32 v2, s47, v2
	v_cmp_eq_u32_e32 vcc, 0, v2
	s_waitcnt lgkmcnt(0)
	s_and_saveexec_b64 s[44:45], vcc
	s_cbranch_execz .LBB20_583
; %bb.582:                              ;   in Loop: Header=BB20_265 Depth=2
	s_bcnt1_i32_b64 s46, s[46:47]
	v_mov_b32_e32 v2, s46
	ds_add_u64 v0, v[2:3]
	s_trap 2
.LBB20_583:                             ;   in Loop: Header=BB20_265 Depth=2
	s_or_b64 exec, exec, s[44:45]
	s_trap 2
	ds_read_b64 v[10:11], v0
	s_waitcnt lgkmcnt(0)
	v_lshl_add_u64 v[70:71], v[70:71], 0, v[84:85]
	v_cmp_lt_u64_e32 vcc, v[10:11], v[70:71]
	s_and_saveexec_b64 s[44:45], vcc
	s_cbranch_execz .LBB20_599
; %bb.584:                              ;   in Loop: Header=BB20_265 Depth=2
	s_mov_b32 s76, 0
	s_mov_b64 s[46:47], 0
                                        ; implicit-def: $sgpr56_sgpr57
                                        ; implicit-def: $sgpr58_sgpr59
	s_branch .LBB20_586
.LBB20_585:                             ;   in Loop: Header=BB20_586 Depth=3
	s_or_b64 exec, exec, s[62:63]
	s_and_b64 s[60:61], exec, vcc
	s_or_b64 s[46:47], s[60:61], s[46:47]
	s_andn2_b64 s[56:57], s[56:57], exec
	s_and_b64 s[60:61], s[58:59], exec
	s_or_b64 s[56:57], s[56:57], s[60:61]
	s_andn2_b64 exec, exec, s[46:47]
	s_cbranch_execz .LBB20_597
.LBB20_586:                             ;   Parent Loop BB20_47 Depth=1
                                        ;     Parent Loop BB20_265 Depth=2
                                        ; =>    This Inner Loop Header: Depth=3
	s_add_i32 s76, s76, 1
	s_cmpk_lg_i32 s76, 0x2710
	s_cselect_b64 s[60:61], -1, 0
	s_and_b64 vcc, exec, s[60:61]
	s_cbranch_vccz .LBB20_588
; %bb.587:                              ;   in Loop: Header=BB20_586 Depth=3
	s_mov_b64 vcc, -1
	s_or_b64 s[58:59], s[58:59], exec
	s_and_saveexec_b64 s[62:63], s[60:61]
	s_cbranch_execz .LBB20_585
	s_branch .LBB20_589
.LBB20_588:                             ;   in Loop: Header=BB20_586 Depth=3
	s_trap 2
	ds_read_b64 v[10:11], v0
	s_andn2_b64 s[60:61], s[60:61], exec
	s_mov_b32 s76, 0
	s_waitcnt vmcnt(0) lgkmcnt(0)
	flat_load_dword v2, v[10:11] sc0 sc1
	s_waitcnt vmcnt(0) lgkmcnt(0)
	buffer_inv sc0 sc1
	v_cmp_eq_u32_e32 vcc, 0, v2
	s_and_b64 s[62:63], vcc, exec
	s_or_b64 s[60:61], s[60:61], s[62:63]
	s_mov_b64 vcc, -1
	s_or_b64 s[58:59], s[58:59], exec
	s_and_saveexec_b64 s[62:63], s[60:61]
	s_cbranch_execz .LBB20_585
.LBB20_589:                             ;   in Loop: Header=BB20_586 Depth=3
	s_sleep 1
	s_trap 2
	ds_read_b64 v[10:11], v0
	s_waitcnt lgkmcnt(0)
	s_andn2_b64 s[58:59], s[58:59], exec
	v_cmp_ge_u64_e32 vcc, v[10:11], v[70:71]
	s_orn2_b64 vcc, vcc, exec
	s_branch .LBB20_585
.LBB20_590:                             ;   in Loop: Header=BB20_265 Depth=2
	s_or_b64 exec, exec, s[46:47]
	s_and_saveexec_b64 s[46:47], s[56:57]
	s_xor_b64 s[46:47], exec, s[46:47]
	s_cbranch_execz .LBB20_592
; %bb.591:                              ;   in Loop: Header=BB20_265 Depth=2
	ds_write_b32 v0, v95
	s_trap 2
.LBB20_592:                             ;   in Loop: Header=BB20_265 Depth=2
	s_or_b64 exec, exec, s[44:45]
	;;#ASMSTART
	s_wakeup
	;;#ASMEND
.LBB20_593:                             ;   in Loop: Header=BB20_265 Depth=2
	s_or_b64 exec, exec, s[42:43]
.LBB20_594:                             ;   in Loop: Header=BB20_265 Depth=2
	s_andn2_saveexec_b64 s[40:41], s[40:41]
	s_cbranch_execz .LBB20_596
; %bb.595:                              ;   in Loop: Header=BB20_265 Depth=2
	;;#ASMSTART
	s_waitcnt lgkmcnt(0) vmcnt(0)
	;;#ASMEND
	s_barrier
.LBB20_596:                             ;   in Loop: Header=BB20_265 Depth=2
	s_or_b64 exec, exec, s[40:41]
	v_and_b32_e32 v2, 16, v92
                                        ; implicit-def: $vgpr8
	s_andn2_saveexec_b64 s[26:27], s[26:27]
	s_cbranch_execz .LBB20_608
	s_branch .LBB20_605
.LBB20_597:                             ;   in Loop: Header=BB20_265 Depth=2
	s_or_b64 exec, exec, s[46:47]
	s_and_saveexec_b64 s[46:47], s[56:57]
	s_xor_b64 s[46:47], exec, s[46:47]
	s_cbranch_execz .LBB20_599
; %bb.598:                              ;   in Loop: Header=BB20_265 Depth=2
	ds_write_b32 v0, v95
	s_trap 2
.LBB20_599:                             ;   in Loop: Header=BB20_265 Depth=2
	s_or_b64 exec, exec, s[44:45]
	;;#ASMSTART
	s_wakeup
	;;#ASMEND
.LBB20_600:                             ;   in Loop: Header=BB20_265 Depth=2
	s_or_b64 exec, exec, s[42:43]
.LBB20_601:                             ;   in Loop: Header=BB20_265 Depth=2
	s_andn2_saveexec_b64 s[40:41], s[40:41]
	s_cbranch_execz .LBB20_603
; %bb.602:                              ;   in Loop: Header=BB20_265 Depth=2
	s_waitcnt lgkmcnt(0)
	s_barrier
.LBB20_603:                             ;   in Loop: Header=BB20_265 Depth=2
	s_or_b64 exec, exec, s[40:41]
	s_or_b64 exec, exec, s[26:27]
                                        ; implicit-def: $vgpr2
	s_and_saveexec_b64 s[26:27], s[34:35]
	s_xor_b64 s[26:27], exec, s[26:27]
	s_cbranch_execnz .LBB20_552
.LBB20_604:                             ;   in Loop: Header=BB20_265 Depth=2
	s_andn2_saveexec_b64 s[26:27], s[26:27]
	s_cbranch_execz .LBB20_608
.LBB20_605:                             ;   in Loop: Header=BB20_265 Depth=2
	s_trap 2
	ds_read_b32 v9, v0
	v_cmp_lt_i32_e32 vcc, 0, v8
	v_and_b32_e32 v8, 16, v92
	v_and_b32_e32 v2, 16, v92
	s_waitcnt lgkmcnt(0)
	v_readfirstlane_b32 s40, v9
	s_cmp_eq_u32 s40, 0
	s_cselect_b64 s[40:41], -1, 0
	s_and_b64 s[40:41], vcc, s[40:41]
	v_cmp_ne_u32_e32 vcc, 0, v8
	s_and_b64 s[42:43], vcc, s[40:41]
	s_and_saveexec_b64 s[40:41], s[42:43]
	s_cbranch_execz .LBB20_607
; %bb.606:                              ;   in Loop: Header=BB20_265 Depth=2
	v_mov_b32_e32 v2, 1
	buffer_wbl2 sc1
	s_waitcnt vmcnt(0)
	buffer_inv sc1
.LBB20_607:                             ;   in Loop: Header=BB20_265 Depth=2
	s_or_b64 exec, exec, s[40:41]
.LBB20_608:                             ;   in Loop: Header=BB20_265 Depth=2
	s_or_b64 exec, exec, s[26:27]
	v_cmp_ne_u32_e32 vcc, 0, v2
	s_xor_b64 s[26:27], s[10:11], -1
	s_and_b64 s[40:41], vcc, s[26:27]
	s_and_saveexec_b64 s[26:27], s[40:41]
	s_cbranch_execz .LBB20_610
; %bb.609:                              ;   in Loop: Header=BB20_265 Depth=2
	flat_store_dword v[68:69], v95 sc0 sc1
.LBB20_610:                             ;   in Loop: Header=BB20_265 Depth=2
	s_or_b64 exec, exec, s[26:27]
	v_and_b32_e32 v2, 48, v92
	v_cmp_ne_u32_e32 vcc, 0, v2
	s_and_saveexec_b64 s[26:27], vcc
	s_cbranch_execz .LBB20_263
; %bb.611:                              ;   in Loop: Header=BB20_265 Depth=2
	v_lshl_add_u64 v[58:59], v[58:59], 0, 4
	flat_store_dwordx2 v[64:65], v[58:59] sc0 sc1
	s_branch .LBB20_263
.LBB20_612:                             ;   in Loop: Header=BB20_47 Depth=1
	v_mul_lo_u32 v2, v57, s64
	v_mul_lo_u32 v10, v56, s65
	v_mad_u64_u32 v[8:9], s[26:27], v56, s64, 0
	v_add3_u32 v9, v9, v10, v2
	v_sub_co_u32_e32 v10, vcc, v60, v8
	v_mov_b32_e32 v2, 0
	s_nop 0
	v_subb_co_u32_e32 v11, vcc, v61, v9, vcc
	v_cmp_lt_i64_e32 vcc, v[56:57], v[10:11]
	s_nop 1
	v_cndmask_b32_e32 v10, v10, v56, vcc
	v_max_i32_e32 v108, 0, v10
	v_add_u32_e32 v11, 15, v108
	v_ashrrev_i32_e32 v12, 31, v11
	v_lshrrev_b32_e32 v12, 28, v12
	v_add_u32_e32 v11, v11, v12
	v_cmp_gt_i32_e32 vcc, 1, v10
	v_and_b32_e32 v11, -16, v11
	s_or_b64 s[38:39], s[2:3], vcc
	v_max_i32_e32 v36, s82, v11
	s_xor_b64 s[26:27], s[38:39], -1
	s_and_saveexec_b64 s[48:49], s[26:27]
	s_cbranch_execz .LBB20_618
; %bb.613:                              ;   in Loop: Header=BB20_47 Depth=1
	s_and_saveexec_b64 s[26:27], s[0:1]
	s_cbranch_execz .LBB20_615
; %bb.614:                              ;   in Loop: Header=BB20_47 Depth=1
	s_trap 2
	ds_read2_b64 v[10:13], v0 offset1:1
	ds_read_b64 v[14:15], v0
	v_lshl_add_u64 v[8:9], v[8:9], 0, v[62:63]
	v_lshlrev_b64 v[8:9], 1, v[8:9]
	s_waitcnt lgkmcnt(0)
	v_lshl_add_u64 v[10:11], v[10:11], 0, v[8:9]
	ds_write_b64 v0, v[10:11]
	v_lshl_add_u64 v[10:11], v[12:13], 0, v[8:9]
	v_lshl_add_u64 v[8:9], v[14:15], 0, v[8:9]
	v_cmp_ne_u64_e32 vcc, 0, v[14:15]
	ds_write_b64 v0, v[10:11]
	s_nop 0
	v_cndmask_b32_e32 v9, 0, v9, vcc
	v_cndmask_b32_e32 v8, 0, v8, vcc
	ds_write_b64 v0, v[8:9]
.LBB20_615:                             ;   in Loop: Header=BB20_47 Depth=1
	s_or_b64 exec, exec, s[26:27]
	v_and_b32_e32 v2, 12, v92
	v_min_i32_e32 v36, v36, v108
	v_cmp_ne_u32_e32 vcc, 0, v2
	s_and_saveexec_b64 s[28:29], vcc
	s_cbranch_execz .LBB20_657
; %bb.616:                              ;   in Loop: Header=BB20_47 Depth=1
	v_and_b32_e32 v2, 8, v92
	s_waitcnt vmcnt(0) lgkmcnt(0)
	v_lshl_add_u64 v[10:11], v[80:81], 0, v[2:3]
	v_lshl_add_u64 v[8:9], v[58:59], 0, 4
	v_cmp_lt_u64_e32 vcc, v[10:11], v[8:9]
	s_and_saveexec_b64 s[40:41], vcc
	s_cbranch_execz .LBB20_644
; %bb.617:                              ;   in Loop: Header=BB20_47 Depth=1
	v_and_b32_e32 v10, 64, v92
	s_mov_b32 s76, 0
	v_cmp_eq_u32_e32 vcc, 0, v10
	s_mov_b64 s[42:43], 0
                                        ; implicit-def: $sgpr44_sgpr45
                                        ; implicit-def: $sgpr46_sgpr47
                                        ; implicit-def: $sgpr56_sgpr57
	s_branch .LBB20_625
.LBB20_618:                             ;   in Loop: Header=BB20_47 Depth=1
	s_or_b64 exec, exec, s[48:49]
	s_and_saveexec_b64 s[28:29], s[38:39]
	s_cbranch_execz .LBB20_1317
.LBB20_619:                             ;   in Loop: Header=BB20_47 Depth=1
	v_sub_u32_e32 v2, v108, v2
	v_min_i32_e32 v8, v36, v2
	v_and_b32_e32 v2, 12, v92
	v_cmp_ne_u32_e32 vcc, 0, v2
	s_and_saveexec_b64 s[40:41], vcc
	s_cbranch_execz .LBB20_636
; %bb.620:                              ;   in Loop: Header=BB20_47 Depth=1
	v_and_b32_e32 v2, 8, v92
	s_waitcnt vmcnt(0) lgkmcnt(0)
	v_lshl_add_u64 v[12:13], v[80:81], 0, v[2:3]
	v_lshl_add_u64 v[10:11], v[58:59], 0, 4
	v_cmp_lt_u64_e32 vcc, v[12:13], v[10:11]
	s_and_saveexec_b64 s[42:43], vcc
	s_cbranch_execz .LBB20_672
; %bb.621:                              ;   in Loop: Header=BB20_47 Depth=1
	v_and_b32_e32 v9, 64, v92
	s_mov_b32 s76, 0
	v_cmp_eq_u32_e32 vcc, 0, v9
	s_mov_b64 s[44:45], 0
                                        ; implicit-def: $sgpr46_sgpr47
                                        ; implicit-def: $sgpr56_sgpr57
                                        ; implicit-def: $sgpr58_sgpr59
	s_branch .LBB20_632
.LBB20_622:                             ;   in Loop: Header=BB20_625 Depth=2
	s_waitcnt vmcnt(0) lgkmcnt(0)
	v_lshl_add_u64 v[12:13], v[80:81], 0, v[2:3]
	v_cmp_ge_u64_e64 s[26:27], v[12:13], v[8:9]
	s_or_b64 s[62:63], s[62:63], exec
	s_orn2_b64 s[60:61], s[26:27], exec
.LBB20_623:                             ;   in Loop: Header=BB20_625 Depth=2
	s_or_b64 exec, exec, s[52:53]
	s_andn2_b64 s[26:27], s[56:57], exec
	s_and_b64 s[56:57], s[62:63], exec
	s_or_b64 s[56:57], s[26:27], s[56:57]
	s_andn2_b64 s[26:27], s[46:47], exec
	s_and_b64 s[46:47], s[60:61], exec
	s_or_b64 s[46:47], s[26:27], s[46:47]
.LBB20_624:                             ;   in Loop: Header=BB20_625 Depth=2
	s_or_b64 exec, exec, s[58:59]
	s_and_b64 s[26:27], exec, s[46:47]
	s_or_b64 s[42:43], s[26:27], s[42:43]
	s_andn2_b64 s[26:27], s[44:45], exec
	s_and_b64 s[44:45], s[56:57], exec
	s_or_b64 s[44:45], s[26:27], s[44:45]
	s_andn2_b64 exec, exec, s[42:43]
	s_cbranch_execz .LBB20_641
.LBB20_625:                             ;   Parent Loop BB20_47 Depth=1
                                        ; =>  This Inner Loop Header: Depth=2
	s_sleep 1
	s_waitcnt vmcnt(0) lgkmcnt(0)
	flat_load_dwordx2 v[80:81], v[64:65] sc0 sc1
	s_or_b64 s[56:57], s[56:57], exec
	s_or_b64 s[46:47], s[46:47], exec
                                        ; implicit-def: $vgpr10
	s_and_saveexec_b64 s[58:59], vcc
	s_cbranch_execz .LBB20_624
; %bb.626:                              ;   in Loop: Header=BB20_625 Depth=2
	s_cmpk_lt_i32 s76, 0x270f
	s_cselect_b64 s[50:51], -1, 0
	s_cmpk_gt_i32 s76, 0x270e
	s_mov_b64 s[60:61], -1
	s_cbranch_scc0 .LBB20_628
; %bb.627:                              ;   in Loop: Header=BB20_625 Depth=2
	s_trap 2
	ds_read_b64 v[10:11], v0
	s_andn2_b64 s[50:51], s[50:51], exec
	s_mov_b32 s76, 0
	s_mov_b64 s[62:63], 0
	s_waitcnt vmcnt(0) lgkmcnt(0)
	flat_load_dword v10, v[10:11] sc0 sc1
	s_waitcnt vmcnt(0) lgkmcnt(0)
	buffer_inv sc0 sc1
	v_cmp_eq_u32_e64 s[26:27], 0, v10
	s_and_b64 s[26:27], s[26:27], exec
	s_or_b64 s[50:51], s[50:51], s[26:27]
	s_and_saveexec_b64 s[52:53], s[50:51]
	s_cbranch_execz .LBB20_623
	s_branch .LBB20_622
.LBB20_628:                             ;   in Loop: Header=BB20_625 Depth=2
	s_add_i32 s76, s76, 1
	s_mov_b64 s[62:63], -1
                                        ; implicit-def: $vgpr10
	s_and_saveexec_b64 s[52:53], s[50:51]
	s_cbranch_execz .LBB20_623
	s_branch .LBB20_622
.LBB20_629:                             ;   in Loop: Header=BB20_632 Depth=2
	s_waitcnt vmcnt(0) lgkmcnt(0)
	v_lshl_add_u64 v[12:13], v[80:81], 0, v[2:3]
	v_cmp_ge_u64_e64 s[26:27], v[12:13], v[10:11]
	s_or_b64 s[38:39], s[38:39], exec
	s_orn2_b64 s[62:63], s[26:27], exec
.LBB20_630:                             ;   in Loop: Header=BB20_632 Depth=2
	s_or_b64 exec, exec, s[50:51]
	s_andn2_b64 s[26:27], s[58:59], exec
	s_and_b64 s[58:59], s[38:39], exec
	s_or_b64 s[58:59], s[26:27], s[58:59]
	s_andn2_b64 s[26:27], s[56:57], exec
	s_and_b64 s[56:57], s[62:63], exec
	s_or_b64 s[56:57], s[26:27], s[56:57]
.LBB20_631:                             ;   in Loop: Header=BB20_632 Depth=2
	s_or_b64 exec, exec, s[60:61]
	s_and_b64 s[26:27], exec, s[56:57]
	s_or_b64 s[44:45], s[26:27], s[44:45]
	s_andn2_b64 s[26:27], s[46:47], exec
	s_and_b64 s[46:47], s[58:59], exec
	s_or_b64 s[46:47], s[26:27], s[46:47]
	s_andn2_b64 exec, exec, s[44:45]
	s_cbranch_execz .LBB20_669
.LBB20_632:                             ;   Parent Loop BB20_47 Depth=1
                                        ; =>  This Inner Loop Header: Depth=2
	s_sleep 1
	s_waitcnt vmcnt(0) lgkmcnt(0)
	flat_load_dwordx2 v[80:81], v[64:65] sc0 sc1
	s_or_b64 s[58:59], s[58:59], exec
	s_or_b64 s[56:57], s[56:57], exec
                                        ; implicit-def: $vgpr9
	s_and_saveexec_b64 s[60:61], vcc
	s_cbranch_execz .LBB20_631
; %bb.633:                              ;   in Loop: Header=BB20_632 Depth=2
	s_cmpk_lt_i32 s76, 0x270f
	s_cselect_b64 s[48:49], -1, 0
	s_cmpk_gt_i32 s76, 0x270e
	s_mov_b64 s[62:63], -1
	s_cbranch_scc0 .LBB20_635
; %bb.634:                              ;   in Loop: Header=BB20_632 Depth=2
	s_trap 2
	ds_read_b64 v[12:13], v0
	s_andn2_b64 s[48:49], s[48:49], exec
	s_mov_b32 s76, 0
	s_mov_b64 s[38:39], 0
	s_waitcnt vmcnt(0) lgkmcnt(0)
	flat_load_dword v9, v[12:13] sc0 sc1
	s_waitcnt vmcnt(0) lgkmcnt(0)
	buffer_inv sc0 sc1
	v_cmp_eq_u32_e64 s[26:27], 0, v9
	s_and_b64 s[26:27], s[26:27], exec
	s_or_b64 s[48:49], s[48:49], s[26:27]
	s_and_saveexec_b64 s[50:51], s[48:49]
	s_cbranch_execz .LBB20_630
	s_branch .LBB20_629
.LBB20_635:                             ;   in Loop: Header=BB20_632 Depth=2
	s_add_i32 s76, s76, 1
	s_mov_b64 s[38:39], -1
                                        ; implicit-def: $vgpr9
	s_and_saveexec_b64 s[50:51], s[48:49]
	s_cbranch_execz .LBB20_630
	s_branch .LBB20_629
.LBB20_636:                             ;   in Loop: Header=BB20_47 Depth=1
	s_or_b64 exec, exec, s[40:41]
	s_and_saveexec_b64 s[26:27], s[6:7]
	s_cbranch_execnz .LBB20_685
.LBB20_637:                             ;   in Loop: Header=BB20_47 Depth=1
	s_or_b64 exec, exec, s[26:27]
                                        ; implicit-def: $vgpr2
	s_and_saveexec_b64 s[26:27], s[22:23]
	s_xor_b64 s[26:27], exec, s[26:27]
	s_cbranch_execz .LBB20_722
.LBB20_638:                             ;   in Loop: Header=BB20_47 Depth=1
	s_trap 2
	ds_read_b32 v9, v0
	v_cmp_lt_i32_e32 vcc, 0, v8
	v_and_b32_e32 v8, 16, v92
	v_and_b32_e32 v2, 16, v92
	s_waitcnt lgkmcnt(0)
	v_readfirstlane_b32 s40, v9
	s_cmp_eq_u32 s40, 0
	s_cselect_b64 s[40:41], -1, 0
	s_and_b64 s[40:41], vcc, s[40:41]
	v_cmp_ne_u32_e32 vcc, 0, v8
	s_and_b64 s[42:43], vcc, s[40:41]
	s_and_saveexec_b64 s[40:41], s[42:43]
	s_cbranch_execz .LBB20_640
; %bb.639:                              ;   in Loop: Header=BB20_47 Depth=1
	v_mov_b32_e32 v2, 1
	buffer_wbl2 sc1
	s_waitcnt vmcnt(0)
	buffer_inv sc1
.LBB20_640:                             ;   in Loop: Header=BB20_47 Depth=1
	s_or_b64 exec, exec, s[40:41]
	s_andn2_saveexec_b64 s[26:27], s[26:27]
	s_cbranch_execz .LBB20_895
	s_branch .LBB20_723
.LBB20_641:                             ;   in Loop: Header=BB20_47 Depth=1
	s_or_b64 exec, exec, s[42:43]
	s_xor_b64 s[26:27], s[44:45], -1
	s_and_saveexec_b64 s[42:43], s[26:27]
	s_xor_b64 s[26:27], exec, s[42:43]
	s_cbranch_execz .LBB20_643
; %bb.642:                              ;   in Loop: Header=BB20_47 Depth=1
	v_or_b32_e32 v92, 64, v92
	s_waitcnt lgkmcnt(0)
	ds_write_b32 v0, v10
	s_trap 2
.LBB20_643:                             ;   in Loop: Header=BB20_47 Depth=1
	s_or_b64 exec, exec, s[26:27]
.LBB20_644:                             ;   in Loop: Header=BB20_47 Depth=1
	s_or_b64 exec, exec, s[40:41]
	v_and_b32_e32 v10, 0x108, v92
	v_cmp_ne_u32_e32 vcc, s67, v10
	;;#ASMSTART
	s_wakeup
	;;#ASMEND
                                        ; implicit-def: $vgpr10_vgpr11
	s_and_saveexec_b64 s[26:27], vcc
	s_xor_b64 s[26:27], exec, s[26:27]
; %bb.645:                              ;   in Loop: Header=BB20_47 Depth=1
	v_and_b32_e32 v10, 7, v58
	v_mov_b32_e32 v11, v3
                                        ; implicit-def: $vgpr58_vgpr59
; %bb.646:                              ;   in Loop: Header=BB20_47 Depth=1
	s_andn2_saveexec_b64 s[26:27], s[26:27]
	s_cbranch_execz .LBB20_648
; %bb.647:                              ;   in Loop: Header=BB20_47 Depth=1
	v_and_b32_e32 v10, 7, v58
	v_ashrrev_i32_e32 v37, 31, v36
	v_mov_b32_e32 v11, v3
	v_mad_u64_u32 v[12:13], s[40:41], v10, 24, v[6:7]
	v_lshlrev_b64 v[14:15], 1, v[36:37]
	flat_store_dwordx2 v[12:13], v[14:15] offset:8
.LBB20_648:                             ;   in Loop: Header=BB20_47 Depth=1
	s_or_b64 exec, exec, s[26:27]
	v_and_b32_e32 v12, 0x100, v92
	v_cmp_ne_u32_e32 vcc, 0, v12
	s_mov_b64 s[26:27], -1
                                        ; implicit-def: $vgpr12_vgpr13
	s_and_saveexec_b64 s[40:41], vcc
	s_cbranch_execz .LBB20_652
; %bb.649:                              ;   in Loop: Header=BB20_47 Depth=1
	v_mad_u64_u32 v[14:15], s[26:27], v10, 24, v[6:7]
	v_mov_b32_e32 v12, v15
	v_mad_u64_u32 v[12:13], s[26:27], v11, 24, v[12:13]
	v_mov_b32_e32 v15, v12
	flat_load_dword v12, v[14:15]
	s_waitcnt vmcnt(0) lgkmcnt(0)
	v_cmp_ne_u32_e32 vcc, 1, v12
	v_cmp_eq_u32_e64 s[26:27], 1, v12
                                        ; implicit-def: $vgpr12_vgpr13
	s_and_saveexec_b64 s[42:43], s[26:27]
	s_cbranch_execz .LBB20_651
; %bb.650:                              ;   in Loop: Header=BB20_47 Depth=1
	flat_load_dword v12, v[14:15] offset:4 sc0 sc1
	s_waitcnt vmcnt(0) lgkmcnt(0)
	v_ashrrev_i32_e32 v13, 31, v12
	v_lshrrev_b64 v[12:13], 1, v[12:13]
.LBB20_651:                             ;   in Loop: Header=BB20_47 Depth=1
	s_or_b64 exec, exec, s[42:43]
	s_orn2_b64 s[26:27], vcc, exec
.LBB20_652:                             ;   in Loop: Header=BB20_47 Depth=1
	s_or_b64 exec, exec, s[40:41]
	s_and_saveexec_b64 s[40:41], s[26:27]
; %bb.653:                              ;   in Loop: Header=BB20_47 Depth=1
	v_mul_lo_u32 v11, v11, v30
	v_mul_lo_u32 v14, v10, v83
	v_mad_u64_u32 v[12:13], s[26:27], v10, v30, 0
	v_add3_u32 v13, v13, v14, v11
; %bb.654:                              ;   in Loop: Header=BB20_47 Depth=1
	s_or_b64 exec, exec, s[40:41]
	v_cmp_eq_u32_e32 vcc, 0, v2
	v_lshl_add_u64 v[10:11], v[12:13], 1, v[66:67]
	s_nop 0
	v_cndmask_b32_e32 v2, v106, v105, vcc
	v_add_u32_e32 v2, v0, v2
	ds_write_b64 v2, v[10:11] offset:584
	v_and_b32_e32 v2, 0x2000, v92
	v_cmp_ne_u32_e32 vcc, 0, v2
	s_and_saveexec_b64 s[26:27], vcc
	s_cbranch_execz .LBB20_656
; %bb.655:                              ;   in Loop: Header=BB20_47 Depth=1
	ds_read_b64 v[10:11], v0 offset:872
	s_waitcnt lgkmcnt(0)
	v_lshl_add_u64 v[10:11], v[10:11], 0, 1
	ds_write_b64 v0, v[10:11] offset:872
.LBB20_656:                             ;   in Loop: Header=BB20_47 Depth=1
	s_or_b64 exec, exec, s[26:27]
	v_mov_b64_e32 v[58:59], v[8:9]
.LBB20_657:                             ;   in Loop: Header=BB20_47 Depth=1
	s_or_b64 exec, exec, s[28:29]
	s_and_saveexec_b64 s[26:27], s[6:7]
	s_cbranch_execz .LBB20_703
; %bb.658:                              ;   in Loop: Header=BB20_47 Depth=1
	s_and_saveexec_b64 s[28:29], s[78:79]
	s_xor_b64 s[28:29], exec, s[28:29]
	s_cbranch_execz .LBB20_700
; %bb.659:                              ;   in Loop: Header=BB20_47 Depth=1
	s_and_saveexec_b64 s[40:41], s[14:15]
	s_cbranch_execz .LBB20_699
; %bb.660:                              ;   in Loop: Header=BB20_47 Depth=1
	s_mov_b64 s[44:45], exec
	v_mbcnt_lo_u32_b32 v2, s44, 0
	v_mbcnt_hi_u32_b32 v2, s45, v2
	v_cmp_eq_u32_e32 vcc, 0, v2
	s_waitcnt lgkmcnt(0)
	s_and_saveexec_b64 s[42:43], vcc
	s_cbranch_execz .LBB20_662
; %bb.661:                              ;   in Loop: Header=BB20_47 Depth=1
	s_bcnt1_i32_b64 s44, s[44:45]
	v_mov_b32_e32 v2, s44
	ds_add_u64 v0, v[2:3]
	s_trap 2
.LBB20_662:                             ;   in Loop: Header=BB20_47 Depth=1
	s_or_b64 exec, exec, s[42:43]
	s_trap 2
	ds_read_b64 v[8:9], v0
	s_waitcnt lgkmcnt(0)
	v_lshl_add_u64 v[70:71], v[70:71], 0, v[84:85]
	v_cmp_lt_u64_e32 vcc, v[8:9], v[70:71]
	s_and_saveexec_b64 s[42:43], vcc
	s_cbranch_execz .LBB20_698
; %bb.663:                              ;   in Loop: Header=BB20_47 Depth=1
	s_mov_b32 s76, 0
	s_mov_b64 s[44:45], 0
                                        ; implicit-def: $sgpr46_sgpr47
                                        ; implicit-def: $sgpr56_sgpr57
	s_branch .LBB20_665
.LBB20_664:                             ;   in Loop: Header=BB20_665 Depth=2
	s_or_b64 exec, exec, s[60:61]
	s_and_b64 s[58:59], exec, s[62:63]
	s_or_b64 s[44:45], s[58:59], s[44:45]
	s_andn2_b64 s[46:47], s[46:47], exec
	s_and_b64 s[58:59], s[56:57], exec
	s_or_b64 s[46:47], s[46:47], s[58:59]
	s_andn2_b64 exec, exec, s[44:45]
	s_cbranch_execz .LBB20_696
.LBB20_665:                             ;   Parent Loop BB20_47 Depth=1
                                        ; =>  This Inner Loop Header: Depth=2
	s_add_i32 s76, s76, 1
	s_cmpk_lg_i32 s76, 0x2710
	s_cselect_b64 s[58:59], -1, 0
	s_and_b64 vcc, exec, s[58:59]
	s_cbranch_vccz .LBB20_667
; %bb.666:                              ;   in Loop: Header=BB20_665 Depth=2
	s_mov_b64 s[62:63], -1
	s_or_b64 s[56:57], s[56:57], exec
	s_and_saveexec_b64 s[60:61], s[58:59]
	s_cbranch_execz .LBB20_664
	s_branch .LBB20_668
.LBB20_667:                             ;   in Loop: Header=BB20_665 Depth=2
	s_trap 2
	ds_read_b64 v[8:9], v0
	s_andn2_b64 s[58:59], s[58:59], exec
	s_mov_b32 s76, 0
	s_waitcnt vmcnt(0) lgkmcnt(0)
	flat_load_dword v2, v[8:9] sc0 sc1
	s_waitcnt vmcnt(0) lgkmcnt(0)
	buffer_inv sc0 sc1
	v_cmp_eq_u32_e32 vcc, 0, v2
	s_and_b64 s[60:61], vcc, exec
	s_or_b64 s[58:59], s[58:59], s[60:61]
	s_mov_b64 s[62:63], -1
	s_or_b64 s[56:57], s[56:57], exec
	s_and_saveexec_b64 s[60:61], s[58:59]
	s_cbranch_execz .LBB20_664
.LBB20_668:                             ;   in Loop: Header=BB20_665 Depth=2
	s_sleep 1
	s_trap 2
	ds_read_b64 v[8:9], v0
	s_waitcnt lgkmcnt(0)
	s_andn2_b64 s[56:57], s[56:57], exec
	v_cmp_ge_u64_e32 vcc, v[8:9], v[70:71]
	s_orn2_b64 s[62:63], vcc, exec
	s_branch .LBB20_664
.LBB20_669:                             ;   in Loop: Header=BB20_47 Depth=1
	s_or_b64 exec, exec, s[44:45]
	s_xor_b64 s[26:27], s[46:47], -1
	s_and_saveexec_b64 s[44:45], s[26:27]
	s_xor_b64 s[26:27], exec, s[44:45]
	s_cbranch_execz .LBB20_671
; %bb.670:                              ;   in Loop: Header=BB20_47 Depth=1
	v_or_b32_e32 v92, 64, v92
	s_waitcnt lgkmcnt(0)
	ds_write_b32 v0, v9
	s_trap 2
.LBB20_671:                             ;   in Loop: Header=BB20_47 Depth=1
	s_or_b64 exec, exec, s[26:27]
.LBB20_672:                             ;   in Loop: Header=BB20_47 Depth=1
	s_or_b64 exec, exec, s[42:43]
	v_and_b32_e32 v9, 0x108, v92
	v_cmp_ne_u32_e32 vcc, s67, v9
	;;#ASMSTART
	s_wakeup
	;;#ASMEND
                                        ; implicit-def: $vgpr12_vgpr13
	s_and_saveexec_b64 s[26:27], vcc
	s_xor_b64 s[26:27], exec, s[26:27]
; %bb.673:                              ;   in Loop: Header=BB20_47 Depth=1
	v_and_b32_e32 v12, 7, v58
	v_mov_b32_e32 v13, v3
                                        ; implicit-def: $vgpr58_vgpr59
; %bb.674:                              ;   in Loop: Header=BB20_47 Depth=1
	s_andn2_saveexec_b64 s[26:27], s[26:27]
	s_cbranch_execz .LBB20_676
; %bb.675:                              ;   in Loop: Header=BB20_47 Depth=1
	v_and_b32_e32 v12, 7, v58
	v_ashrrev_i32_e32 v9, 31, v8
	v_mov_b32_e32 v13, v3
	v_mad_u64_u32 v[14:15], s[42:43], v12, 24, v[6:7]
	v_lshlrev_b64 v[16:17], 1, v[8:9]
	flat_store_dwordx2 v[14:15], v[16:17] offset:8
.LBB20_676:                             ;   in Loop: Header=BB20_47 Depth=1
	s_or_b64 exec, exec, s[26:27]
	v_and_b32_e32 v9, 0x100, v92
	v_cmp_ne_u32_e32 vcc, 0, v9
	s_mov_b64 s[26:27], -1
                                        ; implicit-def: $vgpr14_vgpr15
	s_and_saveexec_b64 s[42:43], vcc
	s_cbranch_execz .LBB20_680
; %bb.677:                              ;   in Loop: Header=BB20_47 Depth=1
	v_mad_u64_u32 v[16:17], s[26:27], v12, 24, v[6:7]
	v_mov_b32_e32 v14, v17
	v_mad_u64_u32 v[14:15], s[26:27], v13, 24, v[14:15]
	v_mov_b32_e32 v17, v14
	flat_load_dword v9, v[16:17]
                                        ; implicit-def: $vgpr14_vgpr15
	s_waitcnt vmcnt(0) lgkmcnt(0)
	v_cmp_ne_u32_e32 vcc, 1, v9
	v_cmp_eq_u32_e64 s[26:27], 1, v9
	s_and_saveexec_b64 s[44:45], s[26:27]
	s_cbranch_execz .LBB20_679
; %bb.678:                              ;   in Loop: Header=BB20_47 Depth=1
	flat_load_dword v14, v[16:17] offset:4 sc0 sc1
	s_waitcnt vmcnt(0) lgkmcnt(0)
	v_ashrrev_i32_e32 v15, 31, v14
	v_lshrrev_b64 v[14:15], 1, v[14:15]
.LBB20_679:                             ;   in Loop: Header=BB20_47 Depth=1
	s_or_b64 exec, exec, s[44:45]
	s_orn2_b64 s[26:27], vcc, exec
.LBB20_680:                             ;   in Loop: Header=BB20_47 Depth=1
	s_or_b64 exec, exec, s[42:43]
	s_and_saveexec_b64 s[42:43], s[26:27]
; %bb.681:                              ;   in Loop: Header=BB20_47 Depth=1
	v_mul_lo_u32 v9, v13, v30
	v_mul_lo_u32 v13, v12, v83
	v_mad_u64_u32 v[14:15], s[26:27], v12, v30, 0
	v_add3_u32 v15, v15, v13, v9
; %bb.682:                              ;   in Loop: Header=BB20_47 Depth=1
	s_or_b64 exec, exec, s[42:43]
	v_cmp_eq_u32_e32 vcc, 0, v2
	v_lshl_add_u64 v[12:13], v[14:15], 1, v[66:67]
	s_nop 0
	v_cndmask_b32_e32 v2, v106, v105, vcc
	v_add_u32_e32 v2, v0, v2
	ds_write_b64 v2, v[12:13] offset:584
	v_and_b32_e32 v2, 0x2000, v92
	v_cmp_ne_u32_e32 vcc, 0, v2
	s_and_saveexec_b64 s[26:27], vcc
	s_cbranch_execz .LBB20_684
; %bb.683:                              ;   in Loop: Header=BB20_47 Depth=1
	ds_read_b64 v[12:13], v0 offset:872
	s_waitcnt lgkmcnt(0)
	v_lshl_add_u64 v[12:13], v[12:13], 0, 1
	ds_write_b64 v0, v[12:13] offset:872
.LBB20_684:                             ;   in Loop: Header=BB20_47 Depth=1
	s_or_b64 exec, exec, s[26:27]
	v_mov_b64_e32 v[58:59], v[10:11]
	s_or_b64 exec, exec, s[40:41]
	s_and_saveexec_b64 s[26:27], s[6:7]
	s_cbranch_execz .LBB20_637
.LBB20_685:                             ;   in Loop: Header=BB20_47 Depth=1
	s_and_saveexec_b64 s[40:41], s[78:79]
	s_xor_b64 s[40:41], exec, s[40:41]
	s_cbranch_execz .LBB20_719
; %bb.686:                              ;   in Loop: Header=BB20_47 Depth=1
	s_and_saveexec_b64 s[42:43], s[14:15]
	s_cbranch_execz .LBB20_718
; %bb.687:                              ;   in Loop: Header=BB20_47 Depth=1
	s_mov_b64 s[46:47], exec
	v_mbcnt_lo_u32_b32 v2, s46, 0
	v_mbcnt_hi_u32_b32 v2, s47, v2
	v_cmp_eq_u32_e32 vcc, 0, v2
	s_waitcnt lgkmcnt(0)
	s_and_saveexec_b64 s[44:45], vcc
	s_cbranch_execz .LBB20_689
; %bb.688:                              ;   in Loop: Header=BB20_47 Depth=1
	s_bcnt1_i32_b64 s46, s[46:47]
	v_mov_b32_e32 v2, s46
	ds_add_u64 v0, v[2:3]
	s_trap 2
.LBB20_689:                             ;   in Loop: Header=BB20_47 Depth=1
	s_or_b64 exec, exec, s[44:45]
	s_trap 2
	ds_read_b64 v[10:11], v0
	s_waitcnt lgkmcnt(0)
	v_lshl_add_u64 v[70:71], v[70:71], 0, v[84:85]
	v_cmp_lt_u64_e32 vcc, v[10:11], v[70:71]
	s_and_saveexec_b64 s[44:45], vcc
	s_cbranch_execz .LBB20_717
; %bb.690:                              ;   in Loop: Header=BB20_47 Depth=1
	s_mov_b32 s76, 0
	s_mov_b64 s[46:47], 0
                                        ; implicit-def: $sgpr56_sgpr57
                                        ; implicit-def: $sgpr58_sgpr59
	s_branch .LBB20_692
.LBB20_691:                             ;   in Loop: Header=BB20_692 Depth=2
	s_or_b64 exec, exec, s[62:63]
	s_and_b64 s[60:61], exec, vcc
	s_or_b64 s[46:47], s[60:61], s[46:47]
	s_andn2_b64 s[56:57], s[56:57], exec
	s_and_b64 s[60:61], s[58:59], exec
	s_or_b64 s[56:57], s[56:57], s[60:61]
	s_andn2_b64 exec, exec, s[46:47]
	s_cbranch_execz .LBB20_715
.LBB20_692:                             ;   Parent Loop BB20_47 Depth=1
                                        ; =>  This Inner Loop Header: Depth=2
	s_add_i32 s76, s76, 1
	s_cmpk_lg_i32 s76, 0x2710
	s_cselect_b64 s[60:61], -1, 0
	s_and_b64 vcc, exec, s[60:61]
	s_cbranch_vccz .LBB20_694
; %bb.693:                              ;   in Loop: Header=BB20_692 Depth=2
	s_mov_b64 vcc, -1
	s_or_b64 s[58:59], s[58:59], exec
	s_and_saveexec_b64 s[62:63], s[60:61]
	s_cbranch_execz .LBB20_691
	s_branch .LBB20_695
.LBB20_694:                             ;   in Loop: Header=BB20_692 Depth=2
	s_trap 2
	ds_read_b64 v[10:11], v0
	s_andn2_b64 s[60:61], s[60:61], exec
	s_mov_b32 s76, 0
	s_waitcnt vmcnt(0) lgkmcnt(0)
	flat_load_dword v2, v[10:11] sc0 sc1
	s_waitcnt vmcnt(0) lgkmcnt(0)
	buffer_inv sc0 sc1
	v_cmp_eq_u32_e32 vcc, 0, v2
	s_and_b64 s[62:63], vcc, exec
	s_or_b64 s[60:61], s[60:61], s[62:63]
	s_mov_b64 vcc, -1
	s_or_b64 s[58:59], s[58:59], exec
	s_and_saveexec_b64 s[62:63], s[60:61]
	s_cbranch_execz .LBB20_691
.LBB20_695:                             ;   in Loop: Header=BB20_692 Depth=2
	s_sleep 1
	s_trap 2
	ds_read_b64 v[10:11], v0
	s_waitcnt lgkmcnt(0)
	s_andn2_b64 s[58:59], s[58:59], exec
	v_cmp_ge_u64_e32 vcc, v[10:11], v[70:71]
	s_orn2_b64 vcc, vcc, exec
	s_branch .LBB20_691
.LBB20_696:                             ;   in Loop: Header=BB20_47 Depth=1
	s_or_b64 exec, exec, s[44:45]
	s_and_saveexec_b64 s[44:45], s[46:47]
	s_xor_b64 s[44:45], exec, s[44:45]
	s_cbranch_execz .LBB20_698
; %bb.697:                              ;   in Loop: Header=BB20_47 Depth=1
	ds_write_b32 v0, v95
	s_trap 2
.LBB20_698:                             ;   in Loop: Header=BB20_47 Depth=1
	s_or_b64 exec, exec, s[42:43]
	;;#ASMSTART
	s_wakeup
	;;#ASMEND
.LBB20_699:                             ;   in Loop: Header=BB20_47 Depth=1
	s_or_b64 exec, exec, s[40:41]
.LBB20_700:                             ;   in Loop: Header=BB20_47 Depth=1
	s_andn2_saveexec_b64 s[28:29], s[28:29]
	s_cbranch_execz .LBB20_702
; %bb.701:                              ;   in Loop: Header=BB20_47 Depth=1
	s_waitcnt lgkmcnt(0)
	s_barrier
.LBB20_702:                             ;   in Loop: Header=BB20_47 Depth=1
	s_or_b64 exec, exec, s[28:29]
.LBB20_703:                             ;   in Loop: Header=BB20_47 Depth=1
	s_or_b64 exec, exec, s[26:27]
	s_trap 2
	ds_read_b32 v8, v0
	v_and_b32_e32 v2, 0x4000, v92
	v_cmp_ne_u32_e32 vcc, 0, v2
	s_xor_b64 s[26:27], s[4:5], -1
	s_and_b64 s[28:29], s[26:27], vcc
	s_and_saveexec_b64 s[26:27], s[28:29]
	s_cbranch_execz .LBB20_741
; %bb.704:                              ;   in Loop: Header=BB20_47 Depth=1
	s_and_saveexec_b64 s[28:29], s[78:79]
	s_xor_b64 s[28:29], exec, s[28:29]
	s_cbranch_execz .LBB20_738
; %bb.705:                              ;   in Loop: Header=BB20_47 Depth=1
	s_and_saveexec_b64 s[40:41], s[14:15]
	s_cbranch_execz .LBB20_737
; %bb.706:                              ;   in Loop: Header=BB20_47 Depth=1
	s_mov_b64 s[44:45], exec
	v_mbcnt_lo_u32_b32 v2, s44, 0
	v_mbcnt_hi_u32_b32 v2, s45, v2
	v_cmp_eq_u32_e32 vcc, 0, v2
	s_waitcnt lgkmcnt(0)
	s_and_saveexec_b64 s[42:43], vcc
	s_cbranch_execz .LBB20_708
; %bb.707:                              ;   in Loop: Header=BB20_47 Depth=1
	s_bcnt1_i32_b64 s44, s[44:45]
	v_mov_b32_e32 v2, s44
	ds_add_u64 v0, v[2:3]
	s_trap 2
.LBB20_708:                             ;   in Loop: Header=BB20_47 Depth=1
	s_or_b64 exec, exec, s[42:43]
	s_trap 2
	ds_read_b64 v[10:11], v0
	s_waitcnt lgkmcnt(0)
	v_lshl_add_u64 v[70:71], v[70:71], 0, v[84:85]
	v_cmp_lt_u64_e32 vcc, v[10:11], v[70:71]
	s_and_saveexec_b64 s[42:43], vcc
	s_cbranch_execz .LBB20_736
; %bb.709:                              ;   in Loop: Header=BB20_47 Depth=1
	s_mov_b32 s76, 0
	s_mov_b64 s[44:45], 0
                                        ; implicit-def: $sgpr46_sgpr47
                                        ; implicit-def: $sgpr56_sgpr57
	s_branch .LBB20_711
.LBB20_710:                             ;   in Loop: Header=BB20_711 Depth=2
	s_or_b64 exec, exec, s[60:61]
	s_and_b64 s[58:59], exec, s[62:63]
	s_or_b64 s[44:45], s[58:59], s[44:45]
	s_andn2_b64 s[46:47], s[46:47], exec
	s_and_b64 s[58:59], s[56:57], exec
	s_or_b64 s[46:47], s[46:47], s[58:59]
	s_andn2_b64 exec, exec, s[44:45]
	s_cbranch_execz .LBB20_734
.LBB20_711:                             ;   Parent Loop BB20_47 Depth=1
                                        ; =>  This Inner Loop Header: Depth=2
	s_add_i32 s76, s76, 1
	s_cmpk_lg_i32 s76, 0x2710
	s_cselect_b64 s[58:59], -1, 0
	s_and_b64 vcc, exec, s[58:59]
	s_cbranch_vccz .LBB20_713
; %bb.712:                              ;   in Loop: Header=BB20_711 Depth=2
	s_mov_b64 s[62:63], -1
	s_or_b64 s[56:57], s[56:57], exec
	s_and_saveexec_b64 s[60:61], s[58:59]
	s_cbranch_execz .LBB20_710
	s_branch .LBB20_714
.LBB20_713:                             ;   in Loop: Header=BB20_711 Depth=2
	s_trap 2
	ds_read_b64 v[10:11], v0
	s_andn2_b64 s[58:59], s[58:59], exec
	s_mov_b32 s76, 0
	s_waitcnt vmcnt(0) lgkmcnt(0)
	flat_load_dword v2, v[10:11] sc0 sc1
	s_waitcnt vmcnt(0) lgkmcnt(0)
	buffer_inv sc0 sc1
	v_cmp_eq_u32_e32 vcc, 0, v2
	s_and_b64 s[60:61], vcc, exec
	s_or_b64 s[58:59], s[58:59], s[60:61]
	s_mov_b64 s[62:63], -1
	s_or_b64 s[56:57], s[56:57], exec
	s_and_saveexec_b64 s[60:61], s[58:59]
	s_cbranch_execz .LBB20_710
.LBB20_714:                             ;   in Loop: Header=BB20_711 Depth=2
	s_sleep 1
	s_trap 2
	ds_read_b64 v[10:11], v0
	s_waitcnt lgkmcnt(0)
	s_andn2_b64 s[56:57], s[56:57], exec
	v_cmp_ge_u64_e32 vcc, v[10:11], v[70:71]
	s_orn2_b64 s[62:63], vcc, exec
	s_branch .LBB20_710
.LBB20_715:                             ;   in Loop: Header=BB20_47 Depth=1
	s_or_b64 exec, exec, s[46:47]
	s_and_saveexec_b64 s[46:47], s[56:57]
	s_xor_b64 s[46:47], exec, s[46:47]
	s_cbranch_execz .LBB20_717
; %bb.716:                              ;   in Loop: Header=BB20_47 Depth=1
	ds_write_b32 v0, v95
	s_trap 2
.LBB20_717:                             ;   in Loop: Header=BB20_47 Depth=1
	s_or_b64 exec, exec, s[44:45]
	;;#ASMSTART
	s_wakeup
	;;#ASMEND
.LBB20_718:                             ;   in Loop: Header=BB20_47 Depth=1
	s_or_b64 exec, exec, s[42:43]
.LBB20_719:                             ;   in Loop: Header=BB20_47 Depth=1
	s_andn2_saveexec_b64 s[40:41], s[40:41]
	s_cbranch_execz .LBB20_721
; %bb.720:                              ;   in Loop: Header=BB20_47 Depth=1
	s_waitcnt lgkmcnt(0)
	s_barrier
.LBB20_721:                             ;   in Loop: Header=BB20_47 Depth=1
	s_or_b64 exec, exec, s[40:41]
	s_or_b64 exec, exec, s[26:27]
                                        ; implicit-def: $vgpr2
	s_and_saveexec_b64 s[26:27], s[22:23]
	s_xor_b64 s[26:27], exec, s[26:27]
	s_cbranch_execnz .LBB20_638
.LBB20_722:                             ;   in Loop: Header=BB20_47 Depth=1
	s_andn2_saveexec_b64 s[26:27], s[26:27]
	s_cbranch_execz .LBB20_895
.LBB20_723:                             ;   in Loop: Header=BB20_47 Depth=1
	s_and_saveexec_b64 s[40:41], s[78:79]
	s_xor_b64 s[40:41], exec, s[40:41]
	s_cbranch_execz .LBB20_892
; %bb.724:                              ;   in Loop: Header=BB20_47 Depth=1
	s_and_saveexec_b64 s[42:43], s[14:15]
	s_cbranch_execz .LBB20_891
; %bb.725:                              ;   in Loop: Header=BB20_47 Depth=1
	s_mov_b64 s[46:47], exec
	v_mbcnt_lo_u32_b32 v2, s46, 0
	v_mbcnt_hi_u32_b32 v2, s47, v2
	v_cmp_eq_u32_e32 vcc, 0, v2
	;;#ASMSTART
	s_waitcnt lgkmcnt(0) vmcnt(0)
	;;#ASMEND
	s_and_saveexec_b64 s[44:45], vcc
	s_cbranch_execz .LBB20_727
; %bb.726:                              ;   in Loop: Header=BB20_47 Depth=1
	s_bcnt1_i32_b64 s46, s[46:47]
	v_mov_b32_e32 v2, s46
	s_waitcnt lgkmcnt(0)
	ds_add_u64 v0, v[2:3]
	s_trap 2
.LBB20_727:                             ;   in Loop: Header=BB20_47 Depth=1
	s_or_b64 exec, exec, s[44:45]
	s_trap 2
	ds_read_b64 v[8:9], v0
	s_waitcnt lgkmcnt(0)
	v_lshl_add_u64 v[70:71], v[70:71], 0, v[84:85]
	v_cmp_lt_u64_e32 vcc, v[8:9], v[70:71]
	s_and_saveexec_b64 s[44:45], vcc
	s_cbranch_execz .LBB20_890
; %bb.728:                              ;   in Loop: Header=BB20_47 Depth=1
	s_mov_b32 s76, 0
	s_mov_b64 s[46:47], 0
                                        ; implicit-def: $sgpr56_sgpr57
                                        ; implicit-def: $sgpr58_sgpr59
	s_branch .LBB20_730
.LBB20_729:                             ;   in Loop: Header=BB20_730 Depth=2
	s_or_b64 exec, exec, s[62:63]
	s_and_b64 s[60:61], exec, vcc
	s_or_b64 s[46:47], s[60:61], s[46:47]
	s_andn2_b64 s[56:57], s[56:57], exec
	s_and_b64 s[60:61], s[58:59], exec
	s_or_b64 s[56:57], s[56:57], s[60:61]
	s_andn2_b64 exec, exec, s[46:47]
	s_cbranch_execz .LBB20_888
.LBB20_730:                             ;   Parent Loop BB20_47 Depth=1
                                        ; =>  This Inner Loop Header: Depth=2
	s_add_i32 s76, s76, 1
	s_cmpk_lg_i32 s76, 0x2710
	s_cselect_b64 s[60:61], -1, 0
	s_and_b64 vcc, exec, s[60:61]
	s_cbranch_vccz .LBB20_732
; %bb.731:                              ;   in Loop: Header=BB20_730 Depth=2
	s_mov_b64 vcc, -1
	s_or_b64 s[58:59], s[58:59], exec
	s_and_saveexec_b64 s[62:63], s[60:61]
	s_cbranch_execz .LBB20_729
	s_branch .LBB20_733
.LBB20_732:                             ;   in Loop: Header=BB20_730 Depth=2
	s_trap 2
	ds_read_b64 v[8:9], v0
	s_andn2_b64 s[60:61], s[60:61], exec
	s_mov_b32 s76, 0
	s_waitcnt vmcnt(0) lgkmcnt(0)
	flat_load_dword v2, v[8:9] sc0 sc1
	s_waitcnt vmcnt(0) lgkmcnt(0)
	buffer_inv sc0 sc1
	v_cmp_eq_u32_e32 vcc, 0, v2
	s_and_b64 s[62:63], vcc, exec
	s_or_b64 s[60:61], s[60:61], s[62:63]
	s_mov_b64 vcc, -1
	s_or_b64 s[58:59], s[58:59], exec
	s_and_saveexec_b64 s[62:63], s[60:61]
	s_cbranch_execz .LBB20_729
.LBB20_733:                             ;   in Loop: Header=BB20_730 Depth=2
	s_sleep 1
	s_trap 2
	ds_read_b64 v[8:9], v0
	s_waitcnt lgkmcnt(0)
	s_andn2_b64 s[58:59], s[58:59], exec
	v_cmp_ge_u64_e32 vcc, v[8:9], v[70:71]
	s_orn2_b64 vcc, vcc, exec
	s_branch .LBB20_729
.LBB20_734:                             ;   in Loop: Header=BB20_47 Depth=1
	s_or_b64 exec, exec, s[44:45]
	s_and_saveexec_b64 s[44:45], s[46:47]
	s_xor_b64 s[44:45], exec, s[44:45]
	s_cbranch_execz .LBB20_736
; %bb.735:                              ;   in Loop: Header=BB20_47 Depth=1
	ds_write_b32 v0, v95
	s_trap 2
.LBB20_736:                             ;   in Loop: Header=BB20_47 Depth=1
	s_or_b64 exec, exec, s[42:43]
	;;#ASMSTART
	s_wakeup
	;;#ASMEND
.LBB20_737:                             ;   in Loop: Header=BB20_47 Depth=1
	s_or_b64 exec, exec, s[40:41]
.LBB20_738:                             ;   in Loop: Header=BB20_47 Depth=1
	s_andn2_saveexec_b64 s[28:29], s[28:29]
	s_cbranch_execz .LBB20_740
; %bb.739:                              ;   in Loop: Header=BB20_47 Depth=1
	s_waitcnt lgkmcnt(0)
	s_barrier
.LBB20_740:                             ;   in Loop: Header=BB20_47 Depth=1
	s_or_b64 exec, exec, s[28:29]
.LBB20_741:                             ;   in Loop: Header=BB20_47 Depth=1
	s_or_b64 exec, exec, s[26:27]
	s_trap 2
	ds_read_b64 v[48:49], v0
	s_waitcnt lgkmcnt(0)
	v_cmp_eq_u64_e32 vcc, 0, v[48:49]
	s_cbranch_vccnz .LBB20_750
; %bb.742:                              ;   in Loop: Header=BB20_47 Depth=1
	s_trap 2
	ds_read_b64 v[38:39], v0
	s_waitcnt lgkmcnt(0)
	v_cmp_eq_u64_e32 vcc, 0, v[38:39]
	s_cbranch_vccnz .LBB20_750
; %bb.743:                              ;   in Loop: Header=BB20_47 Depth=1
	s_trap 2
	ds_read_b64 v[50:51], v0
	v_cmp_eq_u32_e32 vcc, 0, v8
	s_waitcnt lgkmcnt(0)
	v_readfirstlane_b32 s87, v50
	v_cndmask_b32_e32 v37, 0, v36, vcc
	v_cmp_ne_u64_e32 vcc, 0, v[50:51]
	s_cbranch_vccz .LBB20_755
; %bb.744:                              ;   in Loop: Header=BB20_47 Depth=1
	s_trap 2
	ds_read_b64 v[72:73], v0
	s_mov_b64 s[28:29], -1
	s_and_saveexec_b64 s[26:27], s[20:21]
	s_cbranch_execz .LBB20_746
; %bb.745:                              ;   in Loop: Header=BB20_47 Depth=1
	ds_read_b32 v2, v0 offset:720
	s_waitcnt lgkmcnt(0)
	v_and_b32_e32 v2, 15, v2
	v_cmp_eq_u32_e32 vcc, 0, v2
	s_orn2_b64 s[28:29], vcc, exec
.LBB20_746:                             ;   in Loop: Header=BB20_47 Depth=1
	s_or_b64 exec, exec, s[26:27]
	s_and_saveexec_b64 s[26:27], s[20:21]
	s_cbranch_execz .LBB20_748
; %bb.747:                              ;   in Loop: Header=BB20_47 Depth=1
	ds_read_b32 v2, v0 offset:784
	s_waitcnt lgkmcnt(0)
	v_and_b32_e32 v2, 15, v2
	v_cmp_eq_u32_e32 vcc, 0, v2
	s_and_b64 s[40:41], s[28:29], vcc
	s_andn2_b64 s[28:29], s[28:29], exec
	s_and_b64 s[40:41], s[40:41], exec
	s_or_b64 s[28:29], s[28:29], s[40:41]
.LBB20_748:                             ;   in Loop: Header=BB20_47 Depth=1
	s_or_b64 exec, exec, s[26:27]
	s_xor_b64 s[28:29], s[28:29], -1
	v_cndmask_b32_e64 v2, 0, 1, s[28:29]
	v_lshlrev_b32_e32 v109, 1, v37
	s_mov_b64 s[26:27], -1
	v_mov_b32_e32 v18, 0
	v_cmp_ne_u32_e32 vcc, 0, v2
	s_cbranch_vccz .LBB20_757
; %bb.749:                              ;   in Loop: Header=BB20_47 Depth=1
	v_mov_b32_e32 v19, v0
	s_and_saveexec_b64 s[42:43], s[26:27]
	s_cbranch_execnz .LBB20_942
	s_branch .LBB20_1020
.LBB20_750:                             ;   in Loop: Header=BB20_47 Depth=1
	s_mov_b64 s[26:27], 0
	s_and_saveexec_b64 s[28:29], s[6:7]
	s_cbranch_execnz .LBB20_1275
.LBB20_751:                             ;   in Loop: Header=BB20_47 Depth=1
	s_or_b64 exec, exec, s[28:29]
                                        ; implicit-def: $vgpr2
	s_and_saveexec_b64 s[28:29], s[22:23]
	s_xor_b64 s[28:29], exec, s[28:29]
	s_cbranch_execz .LBB20_1293
.LBB20_752:                             ;   in Loop: Header=BB20_47 Depth=1
	v_and_b32_e32 v8, 16, v92
	v_cmp_ne_u32_e32 vcc, 0, v8
	v_and_b32_e32 v2, 16, v92
	s_and_b64 s[40:41], vcc, s[26:27]
	s_and_saveexec_b64 s[26:27], s[40:41]
	s_cbranch_execz .LBB20_754
; %bb.753:                              ;   in Loop: Header=BB20_47 Depth=1
	v_mov_b32_e32 v2, 1
	buffer_wbl2 sc1
	s_waitcnt vmcnt(0) lgkmcnt(0)
	buffer_inv sc1
.LBB20_754:                             ;   in Loop: Header=BB20_47 Depth=1
	s_or_b64 exec, exec, s[26:27]
	s_andn2_saveexec_b64 s[26:27], s[28:29]
	s_cbranch_execz .LBB20_1312
	s_branch .LBB20_1294
.LBB20_755:                             ;   in Loop: Header=BB20_47 Depth=1
	s_cbranch_execnz .LBB20_1021
.LBB20_756:                             ;   in Loop: Header=BB20_47 Depth=1
	v_cmp_lt_i32_e64 s[26:27], 0, v37
	s_and_saveexec_b64 s[28:29], s[6:7]
	s_cbranch_execnz .LBB20_1275
	s_branch .LBB20_751
.LBB20_757:                             ;   in Loop: Header=BB20_47 Depth=1
	v_ashrrev_i32_e32 v2, 31, v109
	v_lshrrev_b32_e32 v2, 21, v2
	v_add_u32_e32 v2, v109, v2
	v_ashrrev_i32_e32 v110, 11, v2
	v_sub_u32_e32 v2, v110, v94
	v_cmp_lt_i32_e32 vcc, 0, v2
	s_and_saveexec_b64 s[28:29], vcc
	s_cbranch_execz .LBB20_901
; %bb.758:                              ;   in Loop: Header=BB20_47 Depth=1
	s_trap 2
	ds_read_b64 v[8:9], v0
	s_and_b32 s76, s87, 1
	s_cmp_eq_u64 s[76:77], 0
	s_waitcnt lgkmcnt(0)
	v_lshl_add_u64 v[74:75], v[72:73], 0, v[112:113]
	v_lshl_add_u64 v[76:77], v[38:39], 0, v[112:113]
	;; [unrolled: 1-line block ×5, first 2 shown]
	s_mov_b64 s[40:41], 0
	s_cselect_b64 vcc, -1, 0
	s_branch .LBB20_760
.LBB20_759:                             ;   in Loop: Header=BB20_760 Depth=2
	s_or_b64 exec, exec, s[42:43]
	v_or_b32_sdwa v9, v9, v16 dst_sel:DWORD dst_unused:UNUSED_PAD src0_sel:DWORD src1_sel:WORD_1
	v_lshrrev_b32_e32 v16, 16, v32
	v_or_b32_sdwa v10, v10, v17 dst_sel:DWORD dst_unused:UNUSED_PAD src0_sel:DWORD src1_sel:WORD_1
	v_and_or_b32 v17, v21, s70, v16
	v_lshrrev_b32_e32 v16, 16, v23
	v_or_b32_sdwa v11, v11, v18 dst_sel:DWORD dst_unused:UNUSED_PAD src0_sel:DWORD src1_sel:WORD_1
	v_and_or_b32 v16, v20, s70, v16
	v_lshrrev_b32_e32 v18, 16, v33
	v_lshrrev_b32_e32 v20, 16, v34
	v_sub_u32_e32 v2, v2, v84
	v_and_or_b32 v18, v22, s70, v18
	v_and_or_b32 v19, v19, s70, v20
	v_cmp_gt_i32_e64 s[26:27], 1, v2
	v_or_b32_sdwa v8, v8, v27 dst_sel:DWORD dst_unused:UNUSED_PAD src0_sel:DWORD src1_sel:WORD_1
	v_or_b32_sdwa v13, v13, v24 dst_sel:DWORD dst_unused:UNUSED_PAD src0_sel:DWORD src1_sel:WORD_1
	;; [unrolled: 1-line block ×5, first 2 shown]
	global_store_dwordx4 v[76:77], v[16:19], off offset:1024
	global_store_dwordx4 v[78:79], v[12:15], off
	global_store_dwordx4 v[78:79], v[8:11], off offset:1024
	v_lshl_add_u64 v[88:89], v[88:89], 0, v[114:115]
	v_lshl_add_u64 v[90:91], v[90:91], 0, v[114:115]
	;; [unrolled: 1-line block ×4, first 2 shown]
	s_or_b64 s[40:41], s[26:27], s[40:41]
	v_lshl_add_u64 v[74:75], v[74:75], 0, v[114:115]
	s_andn2_b64 exec, exec, s[40:41]
	s_cbranch_execz .LBB20_900
.LBB20_760:                             ;   Parent Loop BB20_47 Depth=1
                                        ; =>  This Inner Loop Header: Depth=2
	global_load_dwordx4 v[24:27], v[88:89], off nt
	global_load_dwordx4 v[32:35], v[90:91], off nt
	global_load_dwordx4 v[16:19], v[88:89], off offset:1024 nt
	global_load_dwordx4 v[12:15], v[74:75], off nt
	global_load_dwordx4 v[8:11], v[74:75], off offset:1024 nt
	global_load_dwordx4 v[20:23], v[90:91], off offset:1024 nt
	s_waitcnt vmcnt(0)
	v_lshlrev_b32_e32 v111, 16, v24
	v_lshlrev_b32_e32 v120, 16, v32
	v_max_f32_e32 v120, v120, v120
	v_max_f32_e32 v111, v111, v111
	v_min_f32_e32 v121, v111, v120
	v_max_f32_e32 v111, v111, v120
	v_cndmask_b32_e32 v120, v111, v121, vcc
	v_and_b32_e32 v111, 0x7f800000, v120
	v_cmp_ne_u32_e64 s[26:27], s68, v111
                                        ; implicit-def: $vgpr111
	s_and_saveexec_b64 s[42:43], s[26:27]
	s_xor_b64 s[26:27], exec, s[42:43]
; %bb.761:                              ;   in Loop: Header=BB20_760 Depth=2
	v_bfe_u32 v111, v120, 16, 1
	v_add3_u32 v111, v120, v111, s69
                                        ; implicit-def: $vgpr120
; %bb.762:                              ;   in Loop: Header=BB20_760 Depth=2
	s_andn2_saveexec_b64 s[42:43], s[26:27]
; %bb.763:                              ;   in Loop: Header=BB20_760 Depth=2
	v_or_b32_e32 v111, 0x10000, v120
	v_cmp_eq_u32_sdwa s[26:27], v120, v3 src0_sel:WORD_0 src1_sel:DWORD
	s_nop 1
	v_cndmask_b32_e64 v111, v111, v120, s[26:27]
; %bb.764:                              ;   in Loop: Header=BB20_760 Depth=2
	s_or_b64 exec, exec, s[42:43]
	v_and_b32_e32 v24, 0xffff0000, v24
	v_and_b32_e32 v32, 0xffff0000, v32
	v_max_f32_e32 v32, v32, v32
	v_max_f32_e32 v24, v24, v24
	v_min_f32_e32 v120, v24, v32
	v_max_f32_e32 v24, v24, v32
	v_cndmask_b32_e32 v24, v24, v120, vcc
	v_and_b32_e32 v32, 0x7f800000, v24
	v_cmp_ne_u32_e64 s[26:27], s68, v32
                                        ; implicit-def: $vgpr32
	s_and_saveexec_b64 s[42:43], s[26:27]
	s_xor_b64 s[26:27], exec, s[42:43]
; %bb.765:                              ;   in Loop: Header=BB20_760 Depth=2
	v_bfe_u32 v32, v24, 16, 1
	v_add3_u32 v32, v24, v32, s69
                                        ; implicit-def: $vgpr24
; %bb.766:                              ;   in Loop: Header=BB20_760 Depth=2
	s_andn2_saveexec_b64 s[42:43], s[26:27]
; %bb.767:                              ;   in Loop: Header=BB20_760 Depth=2
	v_or_b32_e32 v32, 0x10000, v24
	v_cmp_eq_u32_sdwa s[26:27], v24, v3 src0_sel:WORD_0 src1_sel:DWORD
	s_nop 1
	v_cndmask_b32_e64 v32, v32, v24, s[26:27]
; %bb.768:                              ;   in Loop: Header=BB20_760 Depth=2
	s_or_b64 exec, exec, s[42:43]
	v_lshlrev_b32_e32 v24, 16, v25
	v_lshlrev_b32_e32 v120, 16, v33
	v_max_f32_e32 v120, v120, v120
	v_max_f32_e32 v24, v24, v24
	v_min_f32_e32 v121, v24, v120
	v_max_f32_e32 v24, v24, v120
	v_cndmask_b32_e32 v120, v24, v121, vcc
	v_and_b32_e32 v24, 0x7f800000, v120
	v_cmp_ne_u32_e64 s[26:27], s68, v24
                                        ; implicit-def: $vgpr24
	s_and_saveexec_b64 s[42:43], s[26:27]
	s_xor_b64 s[26:27], exec, s[42:43]
; %bb.769:                              ;   in Loop: Header=BB20_760 Depth=2
	v_bfe_u32 v24, v120, 16, 1
	v_add3_u32 v24, v120, v24, s69
                                        ; implicit-def: $vgpr120
; %bb.770:                              ;   in Loop: Header=BB20_760 Depth=2
	s_andn2_saveexec_b64 s[42:43], s[26:27]
; %bb.771:                              ;   in Loop: Header=BB20_760 Depth=2
	v_or_b32_e32 v24, 0x10000, v120
	v_cmp_eq_u32_sdwa s[26:27], v120, v3 src0_sel:WORD_0 src1_sel:DWORD
	s_nop 1
	v_cndmask_b32_e64 v24, v24, v120, s[26:27]
; %bb.772:                              ;   in Loop: Header=BB20_760 Depth=2
	s_or_b64 exec, exec, s[42:43]
	v_and_b32_e32 v25, 0xffff0000, v25
	v_and_b32_e32 v33, 0xffff0000, v33
	v_max_f32_e32 v33, v33, v33
	v_max_f32_e32 v25, v25, v25
	v_min_f32_e32 v120, v25, v33
	v_max_f32_e32 v25, v25, v33
	v_cndmask_b32_e32 v25, v25, v120, vcc
	v_and_b32_e32 v33, 0x7f800000, v25
	v_cmp_ne_u32_e64 s[26:27], s68, v33
                                        ; implicit-def: $vgpr33
	s_and_saveexec_b64 s[42:43], s[26:27]
	s_xor_b64 s[26:27], exec, s[42:43]
; %bb.773:                              ;   in Loop: Header=BB20_760 Depth=2
	v_bfe_u32 v33, v25, 16, 1
	v_add3_u32 v33, v25, v33, s69
                                        ; implicit-def: $vgpr25
; %bb.774:                              ;   in Loop: Header=BB20_760 Depth=2
	s_andn2_saveexec_b64 s[42:43], s[26:27]
; %bb.775:                              ;   in Loop: Header=BB20_760 Depth=2
	v_or_b32_e32 v33, 0x10000, v25
	v_cmp_eq_u32_sdwa s[26:27], v25, v3 src0_sel:WORD_0 src1_sel:DWORD
	s_nop 1
	v_cndmask_b32_e64 v33, v33, v25, s[26:27]
; %bb.776:                              ;   in Loop: Header=BB20_760 Depth=2
	s_or_b64 exec, exec, s[42:43]
	v_lshlrev_b32_e32 v25, 16, v26
	v_lshlrev_b32_e32 v120, 16, v34
	v_max_f32_e32 v120, v120, v120
	v_max_f32_e32 v25, v25, v25
	v_min_f32_e32 v121, v25, v120
	v_max_f32_e32 v25, v25, v120
	v_cndmask_b32_e32 v120, v25, v121, vcc
	v_and_b32_e32 v25, 0x7f800000, v120
	v_cmp_ne_u32_e64 s[26:27], s68, v25
                                        ; implicit-def: $vgpr25
	s_and_saveexec_b64 s[42:43], s[26:27]
	s_xor_b64 s[26:27], exec, s[42:43]
; %bb.777:                              ;   in Loop: Header=BB20_760 Depth=2
	v_bfe_u32 v25, v120, 16, 1
	v_add3_u32 v25, v120, v25, s69
                                        ; implicit-def: $vgpr120
; %bb.778:                              ;   in Loop: Header=BB20_760 Depth=2
	s_andn2_saveexec_b64 s[42:43], s[26:27]
; %bb.779:                              ;   in Loop: Header=BB20_760 Depth=2
	v_or_b32_e32 v25, 0x10000, v120
	v_cmp_eq_u32_sdwa s[26:27], v120, v3 src0_sel:WORD_0 src1_sel:DWORD
	s_nop 1
	v_cndmask_b32_e64 v25, v25, v120, s[26:27]
; %bb.780:                              ;   in Loop: Header=BB20_760 Depth=2
	s_or_b64 exec, exec, s[42:43]
	v_and_b32_e32 v26, 0xffff0000, v26
	v_and_b32_e32 v34, 0xffff0000, v34
	v_max_f32_e32 v34, v34, v34
	v_max_f32_e32 v26, v26, v26
	v_min_f32_e32 v120, v26, v34
	v_max_f32_e32 v26, v26, v34
	v_cndmask_b32_e32 v26, v26, v120, vcc
	v_and_b32_e32 v34, 0x7f800000, v26
	v_cmp_ne_u32_e64 s[26:27], s68, v34
                                        ; implicit-def: $vgpr34
	s_and_saveexec_b64 s[42:43], s[26:27]
	s_xor_b64 s[26:27], exec, s[42:43]
; %bb.781:                              ;   in Loop: Header=BB20_760 Depth=2
	v_bfe_u32 v34, v26, 16, 1
	v_add3_u32 v34, v26, v34, s69
                                        ; implicit-def: $vgpr26
; %bb.782:                              ;   in Loop: Header=BB20_760 Depth=2
	s_andn2_saveexec_b64 s[42:43], s[26:27]
; %bb.783:                              ;   in Loop: Header=BB20_760 Depth=2
	v_or_b32_e32 v34, 0x10000, v26
	v_cmp_eq_u32_sdwa s[26:27], v26, v3 src0_sel:WORD_0 src1_sel:DWORD
	s_nop 1
	v_cndmask_b32_e64 v34, v34, v26, s[26:27]
; %bb.784:                              ;   in Loop: Header=BB20_760 Depth=2
	s_or_b64 exec, exec, s[42:43]
	v_lshlrev_b32_e32 v26, 16, v27
	v_lshlrev_b32_e32 v120, 16, v35
	v_max_f32_e32 v120, v120, v120
	v_max_f32_e32 v26, v26, v26
	v_min_f32_e32 v121, v26, v120
	v_max_f32_e32 v26, v26, v120
	v_cndmask_b32_e32 v120, v26, v121, vcc
	v_and_b32_e32 v26, 0x7f800000, v120
	v_cmp_ne_u32_e64 s[26:27], s68, v26
                                        ; implicit-def: $vgpr26
	s_and_saveexec_b64 s[42:43], s[26:27]
	s_xor_b64 s[26:27], exec, s[42:43]
; %bb.785:                              ;   in Loop: Header=BB20_760 Depth=2
	v_bfe_u32 v26, v120, 16, 1
	v_add3_u32 v26, v120, v26, s69
                                        ; implicit-def: $vgpr120
; %bb.786:                              ;   in Loop: Header=BB20_760 Depth=2
	s_andn2_saveexec_b64 s[42:43], s[26:27]
; %bb.787:                              ;   in Loop: Header=BB20_760 Depth=2
	v_or_b32_e32 v26, 0x10000, v120
	v_cmp_eq_u32_sdwa s[26:27], v120, v3 src0_sel:WORD_0 src1_sel:DWORD
	s_nop 1
	v_cndmask_b32_e64 v26, v26, v120, s[26:27]
; %bb.788:                              ;   in Loop: Header=BB20_760 Depth=2
	s_or_b64 exec, exec, s[42:43]
	v_and_b32_e32 v27, 0xffff0000, v27
	v_and_b32_e32 v35, 0xffff0000, v35
	v_max_f32_e32 v35, v35, v35
	v_max_f32_e32 v27, v27, v27
	v_min_f32_e32 v120, v27, v35
	v_max_f32_e32 v27, v27, v35
	v_cndmask_b32_e32 v27, v27, v120, vcc
	v_and_b32_e32 v35, 0x7f800000, v27
	v_cmp_ne_u32_e64 s[26:27], s68, v35
                                        ; implicit-def: $vgpr35
	s_and_saveexec_b64 s[42:43], s[26:27]
	s_xor_b64 s[26:27], exec, s[42:43]
; %bb.789:                              ;   in Loop: Header=BB20_760 Depth=2
	v_bfe_u32 v35, v27, 16, 1
	v_add3_u32 v35, v27, v35, s69
                                        ; implicit-def: $vgpr27
; %bb.790:                              ;   in Loop: Header=BB20_760 Depth=2
	s_andn2_saveexec_b64 s[42:43], s[26:27]
; %bb.791:                              ;   in Loop: Header=BB20_760 Depth=2
	v_or_b32_e32 v35, 0x10000, v27
	v_cmp_eq_u32_sdwa s[26:27], v27, v3 src0_sel:WORD_0 src1_sel:DWORD
	s_nop 1
	v_cndmask_b32_e64 v35, v35, v27, s[26:27]
; %bb.792:                              ;   in Loop: Header=BB20_760 Depth=2
	s_or_b64 exec, exec, s[42:43]
	v_lshlrev_b32_e32 v27, 16, v16
	v_lshlrev_b32_e32 v120, 16, v20
	v_max_f32_e32 v120, v120, v120
	v_max_f32_e32 v27, v27, v27
	v_min_f32_e32 v121, v27, v120
	v_max_f32_e32 v27, v27, v120
	v_cndmask_b32_e32 v120, v27, v121, vcc
	v_and_b32_e32 v27, 0x7f800000, v120
	v_cmp_ne_u32_e64 s[26:27], s68, v27
                                        ; implicit-def: $vgpr27
	s_and_saveexec_b64 s[42:43], s[26:27]
	s_xor_b64 s[26:27], exec, s[42:43]
; %bb.793:                              ;   in Loop: Header=BB20_760 Depth=2
	v_bfe_u32 v27, v120, 16, 1
	v_add3_u32 v27, v120, v27, s69
                                        ; implicit-def: $vgpr120
; %bb.794:                              ;   in Loop: Header=BB20_760 Depth=2
	s_andn2_saveexec_b64 s[42:43], s[26:27]
; %bb.795:                              ;   in Loop: Header=BB20_760 Depth=2
	v_or_b32_e32 v27, 0x10000, v120
	v_cmp_eq_u32_sdwa s[26:27], v120, v3 src0_sel:WORD_0 src1_sel:DWORD
	s_nop 1
	v_cndmask_b32_e64 v27, v27, v120, s[26:27]
; %bb.796:                              ;   in Loop: Header=BB20_760 Depth=2
	s_or_b64 exec, exec, s[42:43]
	v_and_b32_e32 v16, 0xffff0000, v16
	v_and_b32_e32 v20, 0xffff0000, v20
	v_max_f32_e32 v20, v20, v20
	v_max_f32_e32 v16, v16, v16
	v_min_f32_e32 v120, v16, v20
	v_max_f32_e32 v16, v16, v20
	v_cndmask_b32_e32 v16, v16, v120, vcc
	v_and_b32_e32 v20, 0x7f800000, v16
	v_cmp_ne_u32_e64 s[26:27], s68, v20
                                        ; implicit-def: $vgpr20
	s_and_saveexec_b64 s[42:43], s[26:27]
	s_xor_b64 s[26:27], exec, s[42:43]
; %bb.797:                              ;   in Loop: Header=BB20_760 Depth=2
	v_bfe_u32 v20, v16, 16, 1
	v_add3_u32 v20, v16, v20, s69
                                        ; implicit-def: $vgpr16
; %bb.798:                              ;   in Loop: Header=BB20_760 Depth=2
	s_andn2_saveexec_b64 s[42:43], s[26:27]
; %bb.799:                              ;   in Loop: Header=BB20_760 Depth=2
	v_or_b32_e32 v20, 0x10000, v16
	v_cmp_eq_u32_sdwa s[26:27], v16, v3 src0_sel:WORD_0 src1_sel:DWORD
	s_nop 1
	v_cndmask_b32_e64 v20, v20, v16, s[26:27]
; %bb.800:                              ;   in Loop: Header=BB20_760 Depth=2
	s_or_b64 exec, exec, s[42:43]
	v_lshlrev_b32_e32 v16, 16, v17
	v_lshlrev_b32_e32 v120, 16, v21
	v_max_f32_e32 v120, v120, v120
	v_max_f32_e32 v16, v16, v16
	v_min_f32_e32 v121, v16, v120
	v_max_f32_e32 v16, v16, v120
	v_cndmask_b32_e32 v120, v16, v121, vcc
	v_and_b32_e32 v16, 0x7f800000, v120
	v_cmp_ne_u32_e64 s[26:27], s68, v16
                                        ; implicit-def: $vgpr16
	s_and_saveexec_b64 s[42:43], s[26:27]
	s_xor_b64 s[26:27], exec, s[42:43]
; %bb.801:                              ;   in Loop: Header=BB20_760 Depth=2
	v_bfe_u32 v16, v120, 16, 1
	v_add3_u32 v16, v120, v16, s69
                                        ; implicit-def: $vgpr120
; %bb.802:                              ;   in Loop: Header=BB20_760 Depth=2
	s_andn2_saveexec_b64 s[42:43], s[26:27]
; %bb.803:                              ;   in Loop: Header=BB20_760 Depth=2
	v_or_b32_e32 v16, 0x10000, v120
	v_cmp_eq_u32_sdwa s[26:27], v120, v3 src0_sel:WORD_0 src1_sel:DWORD
	s_nop 1
	v_cndmask_b32_e64 v16, v16, v120, s[26:27]
; %bb.804:                              ;   in Loop: Header=BB20_760 Depth=2
	s_or_b64 exec, exec, s[42:43]
	v_and_b32_e32 v17, 0xffff0000, v17
	v_and_b32_e32 v21, 0xffff0000, v21
	v_max_f32_e32 v21, v21, v21
	v_max_f32_e32 v17, v17, v17
	v_min_f32_e32 v120, v17, v21
	v_max_f32_e32 v17, v17, v21
	v_cndmask_b32_e32 v17, v17, v120, vcc
	v_and_b32_e32 v21, 0x7f800000, v17
	v_cmp_ne_u32_e64 s[26:27], s68, v21
                                        ; implicit-def: $vgpr21
	s_and_saveexec_b64 s[42:43], s[26:27]
	s_xor_b64 s[26:27], exec, s[42:43]
; %bb.805:                              ;   in Loop: Header=BB20_760 Depth=2
	v_bfe_u32 v21, v17, 16, 1
	v_add3_u32 v21, v17, v21, s69
                                        ; implicit-def: $vgpr17
; %bb.806:                              ;   in Loop: Header=BB20_760 Depth=2
	s_andn2_saveexec_b64 s[42:43], s[26:27]
; %bb.807:                              ;   in Loop: Header=BB20_760 Depth=2
	v_or_b32_e32 v21, 0x10000, v17
	v_cmp_eq_u32_sdwa s[26:27], v17, v3 src0_sel:WORD_0 src1_sel:DWORD
	s_nop 1
	v_cndmask_b32_e64 v21, v21, v17, s[26:27]
; %bb.808:                              ;   in Loop: Header=BB20_760 Depth=2
	s_or_b64 exec, exec, s[42:43]
	v_lshlrev_b32_e32 v17, 16, v18
	v_lshlrev_b32_e32 v120, 16, v22
	v_max_f32_e32 v120, v120, v120
	v_max_f32_e32 v17, v17, v17
	v_min_f32_e32 v121, v17, v120
	v_max_f32_e32 v17, v17, v120
	v_cndmask_b32_e32 v120, v17, v121, vcc
	v_and_b32_e32 v17, 0x7f800000, v120
	v_cmp_ne_u32_e64 s[26:27], s68, v17
                                        ; implicit-def: $vgpr17
	s_and_saveexec_b64 s[42:43], s[26:27]
	s_xor_b64 s[26:27], exec, s[42:43]
; %bb.809:                              ;   in Loop: Header=BB20_760 Depth=2
	v_bfe_u32 v17, v120, 16, 1
	v_add3_u32 v17, v120, v17, s69
                                        ; implicit-def: $vgpr120
; %bb.810:                              ;   in Loop: Header=BB20_760 Depth=2
	s_andn2_saveexec_b64 s[42:43], s[26:27]
; %bb.811:                              ;   in Loop: Header=BB20_760 Depth=2
	v_or_b32_e32 v17, 0x10000, v120
	v_cmp_eq_u32_sdwa s[26:27], v120, v3 src0_sel:WORD_0 src1_sel:DWORD
	s_nop 1
	v_cndmask_b32_e64 v17, v17, v120, s[26:27]
; %bb.812:                              ;   in Loop: Header=BB20_760 Depth=2
	s_or_b64 exec, exec, s[42:43]
	v_and_b32_e32 v18, 0xffff0000, v18
	v_and_b32_e32 v22, 0xffff0000, v22
	v_max_f32_e32 v22, v22, v22
	v_max_f32_e32 v18, v18, v18
	v_min_f32_e32 v120, v18, v22
	v_max_f32_e32 v18, v18, v22
	v_cndmask_b32_e32 v18, v18, v120, vcc
	v_and_b32_e32 v22, 0x7f800000, v18
	v_cmp_ne_u32_e64 s[26:27], s68, v22
                                        ; implicit-def: $vgpr22
	s_and_saveexec_b64 s[42:43], s[26:27]
	s_xor_b64 s[26:27], exec, s[42:43]
; %bb.813:                              ;   in Loop: Header=BB20_760 Depth=2
	v_bfe_u32 v22, v18, 16, 1
	v_add3_u32 v22, v18, v22, s69
                                        ; implicit-def: $vgpr18
; %bb.814:                              ;   in Loop: Header=BB20_760 Depth=2
	s_andn2_saveexec_b64 s[42:43], s[26:27]
; %bb.815:                              ;   in Loop: Header=BB20_760 Depth=2
	v_or_b32_e32 v22, 0x10000, v18
	v_cmp_eq_u32_sdwa s[26:27], v18, v3 src0_sel:WORD_0 src1_sel:DWORD
	s_nop 1
	v_cndmask_b32_e64 v22, v22, v18, s[26:27]
; %bb.816:                              ;   in Loop: Header=BB20_760 Depth=2
	s_or_b64 exec, exec, s[42:43]
	v_lshlrev_b32_e32 v18, 16, v19
	v_lshlrev_b32_e32 v120, 16, v23
	v_max_f32_e32 v120, v120, v120
	v_max_f32_e32 v18, v18, v18
	v_min_f32_e32 v121, v18, v120
	v_max_f32_e32 v18, v18, v120
	v_cndmask_b32_e32 v120, v18, v121, vcc
	v_and_b32_e32 v18, 0x7f800000, v120
	v_cmp_ne_u32_e64 s[26:27], s68, v18
                                        ; implicit-def: $vgpr18
	s_and_saveexec_b64 s[42:43], s[26:27]
	s_xor_b64 s[26:27], exec, s[42:43]
; %bb.817:                              ;   in Loop: Header=BB20_760 Depth=2
	v_bfe_u32 v18, v120, 16, 1
	v_add3_u32 v18, v120, v18, s69
                                        ; implicit-def: $vgpr120
; %bb.818:                              ;   in Loop: Header=BB20_760 Depth=2
	s_andn2_saveexec_b64 s[42:43], s[26:27]
; %bb.819:                              ;   in Loop: Header=BB20_760 Depth=2
	v_or_b32_e32 v18, 0x10000, v120
	v_cmp_eq_u32_sdwa s[26:27], v120, v3 src0_sel:WORD_0 src1_sel:DWORD
	s_nop 1
	v_cndmask_b32_e64 v18, v18, v120, s[26:27]
; %bb.820:                              ;   in Loop: Header=BB20_760 Depth=2
	s_or_b64 exec, exec, s[42:43]
	v_and_b32_e32 v19, 0xffff0000, v19
	v_and_b32_e32 v23, 0xffff0000, v23
	v_max_f32_e32 v23, v23, v23
	v_max_f32_e32 v19, v19, v19
	v_min_f32_e32 v120, v19, v23
	v_max_f32_e32 v19, v19, v23
	v_cndmask_b32_e32 v23, v19, v120, vcc
	v_and_b32_e32 v19, 0x7f800000, v23
	v_cmp_ne_u32_e64 s[26:27], s68, v19
                                        ; implicit-def: $vgpr19
	s_and_saveexec_b64 s[42:43], s[26:27]
	s_xor_b64 s[26:27], exec, s[42:43]
; %bb.821:                              ;   in Loop: Header=BB20_760 Depth=2
	v_bfe_u32 v19, v23, 16, 1
	v_add3_u32 v19, v23, v19, s69
                                        ; implicit-def: $vgpr23
; %bb.822:                              ;   in Loop: Header=BB20_760 Depth=2
	s_andn2_saveexec_b64 s[42:43], s[26:27]
; %bb.823:                              ;   in Loop: Header=BB20_760 Depth=2
	v_or_b32_e32 v19, 0x10000, v23
	v_cmp_eq_u32_sdwa s[26:27], v23, v3 src0_sel:WORD_0 src1_sel:DWORD
	s_nop 1
	v_cndmask_b32_e64 v19, v19, v23, s[26:27]
; %bb.824:                              ;   in Loop: Header=BB20_760 Depth=2
	s_or_b64 exec, exec, s[42:43]
	v_and_b32_e32 v23, 0xffff0000, v111
	v_lshlrev_b32_e32 v120, 16, v12
	v_max_f32_e32 v23, v23, v23
	v_max_f32_e32 v120, v120, v120
	v_min_f32_e32 v121, v23, v120
	v_max_f32_e32 v23, v23, v120
	v_cndmask_b32_e32 v120, v23, v121, vcc
	v_and_b32_e32 v23, 0x7f800000, v120
	v_cmp_ne_u32_e64 s[26:27], s68, v23
                                        ; implicit-def: $vgpr23
	s_and_saveexec_b64 s[42:43], s[26:27]
	s_xor_b64 s[26:27], exec, s[42:43]
; %bb.825:                              ;   in Loop: Header=BB20_760 Depth=2
	v_bfe_u32 v23, v120, 16, 1
	v_add3_u32 v23, v120, v23, s69
                                        ; implicit-def: $vgpr120
; %bb.826:                              ;   in Loop: Header=BB20_760 Depth=2
	s_andn2_saveexec_b64 s[42:43], s[26:27]
; %bb.827:                              ;   in Loop: Header=BB20_760 Depth=2
	v_or_b32_e32 v23, 0x10000, v120
	v_cmp_eq_u32_sdwa s[26:27], v120, v3 src0_sel:WORD_0 src1_sel:DWORD
	s_nop 1
	v_cndmask_b32_e64 v23, v23, v120, s[26:27]
; %bb.828:                              ;   in Loop: Header=BB20_760 Depth=2
	s_or_b64 exec, exec, s[42:43]
	v_and_b32_e32 v120, 0xffff0000, v12
	v_and_b32_e32 v12, 0xffff0000, v32
	v_max_f32_e32 v32, v120, v120
	v_max_f32_e32 v120, v12, v12
	v_min_f32_e32 v121, v120, v32
	v_max_f32_e32 v32, v120, v32
	v_cndmask_b32_e32 v120, v32, v121, vcc
	v_and_b32_e32 v32, 0x7f800000, v120
	v_cmp_ne_u32_e64 s[26:27], s68, v32
                                        ; implicit-def: $vgpr32
	s_and_saveexec_b64 s[42:43], s[26:27]
	s_xor_b64 s[26:27], exec, s[42:43]
; %bb.829:                              ;   in Loop: Header=BB20_760 Depth=2
	v_bfe_u32 v32, v120, 16, 1
	v_add3_u32 v32, v120, v32, s69
                                        ; implicit-def: $vgpr120
; %bb.830:                              ;   in Loop: Header=BB20_760 Depth=2
	s_andn2_saveexec_b64 s[42:43], s[26:27]
; %bb.831:                              ;   in Loop: Header=BB20_760 Depth=2
	v_or_b32_e32 v32, 0x10000, v120
	v_cmp_eq_u32_sdwa s[26:27], v120, v3 src0_sel:WORD_0 src1_sel:DWORD
	s_nop 1
	v_cndmask_b32_e64 v32, v32, v120, s[26:27]
; %bb.832:                              ;   in Loop: Header=BB20_760 Depth=2
	s_or_b64 exec, exec, s[42:43]
	v_and_b32_e32 v120, 0xffff0000, v24
	v_lshlrev_b32_e32 v121, 16, v13
	v_max_f32_e32 v120, v120, v120
	v_max_f32_e32 v121, v121, v121
	v_min_f32_e32 v122, v120, v121
	v_max_f32_e32 v120, v120, v121
	v_cndmask_b32_e32 v121, v120, v122, vcc
	v_and_b32_e32 v120, 0x7f800000, v121
	v_cmp_ne_u32_e64 s[26:27], s68, v120
                                        ; implicit-def: $vgpr120
	s_and_saveexec_b64 s[42:43], s[26:27]
	s_xor_b64 s[26:27], exec, s[42:43]
; %bb.833:                              ;   in Loop: Header=BB20_760 Depth=2
	v_bfe_u32 v120, v121, 16, 1
	v_add3_u32 v120, v121, v120, s69
                                        ; implicit-def: $vgpr121
; %bb.834:                              ;   in Loop: Header=BB20_760 Depth=2
	s_andn2_saveexec_b64 s[42:43], s[26:27]
; %bb.835:                              ;   in Loop: Header=BB20_760 Depth=2
	v_or_b32_e32 v120, 0x10000, v121
	v_cmp_eq_u32_sdwa s[26:27], v121, v3 src0_sel:WORD_0 src1_sel:DWORD
	s_nop 1
	v_cndmask_b32_e64 v120, v120, v121, s[26:27]
; %bb.836:                              ;   in Loop: Header=BB20_760 Depth=2
	s_or_b64 exec, exec, s[42:43]
	v_and_b32_e32 v121, 0xffff0000, v13
	v_and_b32_e32 v13, 0xffff0000, v33
	v_max_f32_e32 v33, v121, v121
	v_max_f32_e32 v121, v13, v13
	v_min_f32_e32 v122, v121, v33
	v_max_f32_e32 v33, v121, v33
	v_cndmask_b32_e32 v121, v33, v122, vcc
	v_and_b32_e32 v33, 0x7f800000, v121
	v_cmp_ne_u32_e64 s[26:27], s68, v33
                                        ; implicit-def: $vgpr33
	s_and_saveexec_b64 s[42:43], s[26:27]
	s_xor_b64 s[26:27], exec, s[42:43]
; %bb.837:                              ;   in Loop: Header=BB20_760 Depth=2
	v_bfe_u32 v33, v121, 16, 1
	v_add3_u32 v33, v121, v33, s69
                                        ; implicit-def: $vgpr121
; %bb.838:                              ;   in Loop: Header=BB20_760 Depth=2
	s_andn2_saveexec_b64 s[42:43], s[26:27]
; %bb.839:                              ;   in Loop: Header=BB20_760 Depth=2
	v_or_b32_e32 v33, 0x10000, v121
	v_cmp_eq_u32_sdwa s[26:27], v121, v3 src0_sel:WORD_0 src1_sel:DWORD
	s_nop 1
	v_cndmask_b32_e64 v33, v33, v121, s[26:27]
; %bb.840:                              ;   in Loop: Header=BB20_760 Depth=2
	s_or_b64 exec, exec, s[42:43]
	v_and_b32_e32 v121, 0xffff0000, v25
	v_lshlrev_b32_e32 v122, 16, v14
	v_max_f32_e32 v121, v121, v121
	v_max_f32_e32 v122, v122, v122
	v_min_f32_e32 v123, v121, v122
	v_max_f32_e32 v121, v121, v122
	v_cndmask_b32_e32 v122, v121, v123, vcc
	v_and_b32_e32 v121, 0x7f800000, v122
	v_cmp_ne_u32_e64 s[26:27], s68, v121
                                        ; implicit-def: $vgpr121
	s_and_saveexec_b64 s[42:43], s[26:27]
	s_xor_b64 s[26:27], exec, s[42:43]
; %bb.841:                              ;   in Loop: Header=BB20_760 Depth=2
	v_bfe_u32 v121, v122, 16, 1
	v_add3_u32 v121, v122, v121, s69
                                        ; implicit-def: $vgpr122
; %bb.842:                              ;   in Loop: Header=BB20_760 Depth=2
	s_andn2_saveexec_b64 s[42:43], s[26:27]
; %bb.843:                              ;   in Loop: Header=BB20_760 Depth=2
	v_or_b32_e32 v121, 0x10000, v122
	v_cmp_eq_u32_sdwa s[26:27], v122, v3 src0_sel:WORD_0 src1_sel:DWORD
	s_nop 1
	v_cndmask_b32_e64 v121, v121, v122, s[26:27]
; %bb.844:                              ;   in Loop: Header=BB20_760 Depth=2
	s_or_b64 exec, exec, s[42:43]
	v_and_b32_e32 v122, 0xffff0000, v14
	v_and_b32_e32 v14, 0xffff0000, v34
	v_max_f32_e32 v34, v122, v122
	v_max_f32_e32 v122, v14, v14
	v_min_f32_e32 v123, v122, v34
	v_max_f32_e32 v34, v122, v34
	v_cndmask_b32_e32 v122, v34, v123, vcc
	v_and_b32_e32 v34, 0x7f800000, v122
	v_cmp_ne_u32_e64 s[26:27], s68, v34
                                        ; implicit-def: $vgpr34
	s_and_saveexec_b64 s[42:43], s[26:27]
	s_xor_b64 s[26:27], exec, s[42:43]
; %bb.845:                              ;   in Loop: Header=BB20_760 Depth=2
	v_bfe_u32 v34, v122, 16, 1
	v_add3_u32 v34, v122, v34, s69
                                        ; implicit-def: $vgpr122
; %bb.846:                              ;   in Loop: Header=BB20_760 Depth=2
	s_andn2_saveexec_b64 s[42:43], s[26:27]
; %bb.847:                              ;   in Loop: Header=BB20_760 Depth=2
	v_or_b32_e32 v34, 0x10000, v122
	v_cmp_eq_u32_sdwa s[26:27], v122, v3 src0_sel:WORD_0 src1_sel:DWORD
	s_nop 1
	v_cndmask_b32_e64 v34, v34, v122, s[26:27]
; %bb.848:                              ;   in Loop: Header=BB20_760 Depth=2
	s_or_b64 exec, exec, s[42:43]
	v_and_b32_e32 v122, 0xffff0000, v26
	v_lshlrev_b32_e32 v123, 16, v15
	v_max_f32_e32 v122, v122, v122
	v_max_f32_e32 v123, v123, v123
	v_min_f32_e32 v126, v122, v123
	v_max_f32_e32 v122, v122, v123
	v_cndmask_b32_e32 v123, v122, v126, vcc
	v_and_b32_e32 v122, 0x7f800000, v123
	v_cmp_ne_u32_e64 s[26:27], s68, v122
                                        ; implicit-def: $vgpr122
	s_and_saveexec_b64 s[42:43], s[26:27]
	s_xor_b64 s[26:27], exec, s[42:43]
; %bb.849:                              ;   in Loop: Header=BB20_760 Depth=2
	v_bfe_u32 v122, v123, 16, 1
	v_add3_u32 v122, v123, v122, s69
                                        ; implicit-def: $vgpr123
; %bb.850:                              ;   in Loop: Header=BB20_760 Depth=2
	s_andn2_saveexec_b64 s[42:43], s[26:27]
; %bb.851:                              ;   in Loop: Header=BB20_760 Depth=2
	v_or_b32_e32 v122, 0x10000, v123
	v_cmp_eq_u32_sdwa s[26:27], v123, v3 src0_sel:WORD_0 src1_sel:DWORD
	s_nop 1
	v_cndmask_b32_e64 v122, v122, v123, s[26:27]
; %bb.852:                              ;   in Loop: Header=BB20_760 Depth=2
	s_or_b64 exec, exec, s[42:43]
	v_and_b32_e32 v123, 0xffff0000, v15
	v_and_b32_e32 v15, 0xffff0000, v35
	v_max_f32_e32 v35, v123, v123
	v_max_f32_e32 v123, v15, v15
	v_min_f32_e32 v126, v123, v35
	v_max_f32_e32 v35, v123, v35
	v_cndmask_b32_e32 v123, v35, v126, vcc
	v_and_b32_e32 v35, 0x7f800000, v123
	v_cmp_ne_u32_e64 s[26:27], s68, v35
                                        ; implicit-def: $vgpr35
	s_and_saveexec_b64 s[42:43], s[26:27]
	s_xor_b64 s[26:27], exec, s[42:43]
; %bb.853:                              ;   in Loop: Header=BB20_760 Depth=2
	v_bfe_u32 v35, v123, 16, 1
	v_add3_u32 v35, v123, v35, s69
                                        ; implicit-def: $vgpr123
; %bb.854:                              ;   in Loop: Header=BB20_760 Depth=2
	s_andn2_saveexec_b64 s[42:43], s[26:27]
; %bb.855:                              ;   in Loop: Header=BB20_760 Depth=2
	v_or_b32_e32 v35, 0x10000, v123
	v_cmp_eq_u32_sdwa s[26:27], v123, v3 src0_sel:WORD_0 src1_sel:DWORD
	s_nop 1
	v_cndmask_b32_e64 v35, v35, v123, s[26:27]
; %bb.856:                              ;   in Loop: Header=BB20_760 Depth=2
	s_or_b64 exec, exec, s[42:43]
	v_lshrrev_b32_e32 v23, 16, v23
	v_and_or_b32 v32, v32, s70, v23
	v_lshrrev_b32_e32 v23, 16, v121
	v_lshrrev_b32_e32 v120, 16, v120
	v_and_or_b32 v34, v34, s70, v23
	v_lshrrev_b32_e32 v23, 16, v122
	v_and_or_b32 v33, v33, s70, v120
	v_and_or_b32 v35, v35, s70, v23
	global_store_dwordx4 v[76:77], v[32:35], off
	v_and_b32_e32 v23, 0xffff0000, v27
	v_max_f32_e32 v23, v23, v23
	v_lshlrev_b32_e32 v32, 16, v8
	v_max_f32_e32 v32, v32, v32
	v_min_f32_e32 v33, v23, v32
	v_max_f32_e32 v23, v23, v32
	v_cndmask_b32_e32 v32, v23, v33, vcc
	v_and_b32_e32 v23, 0x7f800000, v32
	v_cmp_ne_u32_e64 s[26:27], s68, v23
                                        ; implicit-def: $vgpr23
	s_and_saveexec_b64 s[42:43], s[26:27]
	s_xor_b64 s[26:27], exec, s[42:43]
; %bb.857:                              ;   in Loop: Header=BB20_760 Depth=2
	v_bfe_u32 v23, v32, 16, 1
	v_add3_u32 v23, v32, v23, s69
                                        ; implicit-def: $vgpr32
; %bb.858:                              ;   in Loop: Header=BB20_760 Depth=2
	s_andn2_saveexec_b64 s[42:43], s[26:27]
; %bb.859:                              ;   in Loop: Header=BB20_760 Depth=2
	v_or_b32_e32 v23, 0x10000, v32
	v_cmp_eq_u32_sdwa s[26:27], v32, v3 src0_sel:WORD_0 src1_sel:DWORD
	s_nop 1
	v_cndmask_b32_e64 v23, v23, v32, s[26:27]
; %bb.860:                              ;   in Loop: Header=BB20_760 Depth=2
	s_or_b64 exec, exec, s[42:43]
	v_and_b32_e32 v32, 0xffff0000, v8
	v_and_b32_e32 v8, 0xffff0000, v20
	v_max_f32_e32 v20, v32, v32
	v_max_f32_e32 v32, v8, v8
	v_min_f32_e32 v33, v32, v20
	v_max_f32_e32 v20, v32, v20
	v_cndmask_b32_e32 v32, v20, v33, vcc
	v_and_b32_e32 v20, 0x7f800000, v32
	v_cmp_ne_u32_e64 s[26:27], s68, v20
                                        ; implicit-def: $vgpr20
	s_and_saveexec_b64 s[42:43], s[26:27]
	s_xor_b64 s[26:27], exec, s[42:43]
; %bb.861:                              ;   in Loop: Header=BB20_760 Depth=2
	v_bfe_u32 v20, v32, 16, 1
	v_add3_u32 v20, v32, v20, s69
                                        ; implicit-def: $vgpr32
; %bb.862:                              ;   in Loop: Header=BB20_760 Depth=2
	s_andn2_saveexec_b64 s[42:43], s[26:27]
; %bb.863:                              ;   in Loop: Header=BB20_760 Depth=2
	v_or_b32_e32 v20, 0x10000, v32
	v_cmp_eq_u32_sdwa s[26:27], v32, v3 src0_sel:WORD_0 src1_sel:DWORD
	s_nop 1
	v_cndmask_b32_e64 v20, v20, v32, s[26:27]
; %bb.864:                              ;   in Loop: Header=BB20_760 Depth=2
	s_or_b64 exec, exec, s[42:43]
	v_and_b32_e32 v32, 0xffff0000, v16
	v_lshlrev_b32_e32 v33, 16, v9
	v_max_f32_e32 v32, v32, v32
	v_max_f32_e32 v33, v33, v33
	v_min_f32_e32 v34, v32, v33
	v_max_f32_e32 v32, v32, v33
	v_cndmask_b32_e32 v33, v32, v34, vcc
	v_and_b32_e32 v32, 0x7f800000, v33
	v_cmp_ne_u32_e64 s[26:27], s68, v32
                                        ; implicit-def: $vgpr32
	s_and_saveexec_b64 s[42:43], s[26:27]
	s_xor_b64 s[26:27], exec, s[42:43]
; %bb.865:                              ;   in Loop: Header=BB20_760 Depth=2
	v_bfe_u32 v32, v33, 16, 1
	v_add3_u32 v32, v33, v32, s69
                                        ; implicit-def: $vgpr33
; %bb.866:                              ;   in Loop: Header=BB20_760 Depth=2
	s_andn2_saveexec_b64 s[42:43], s[26:27]
; %bb.867:                              ;   in Loop: Header=BB20_760 Depth=2
	v_or_b32_e32 v32, 0x10000, v33
	v_cmp_eq_u32_sdwa s[26:27], v33, v3 src0_sel:WORD_0 src1_sel:DWORD
	s_nop 1
	v_cndmask_b32_e64 v32, v32, v33, s[26:27]
; %bb.868:                              ;   in Loop: Header=BB20_760 Depth=2
	s_or_b64 exec, exec, s[42:43]
	v_and_b32_e32 v33, 0xffff0000, v9
	v_and_b32_e32 v9, 0xffff0000, v21
	v_max_f32_e32 v21, v33, v33
	v_max_f32_e32 v33, v9, v9
	v_min_f32_e32 v34, v33, v21
	v_max_f32_e32 v21, v33, v21
	v_cndmask_b32_e32 v33, v21, v34, vcc
	v_and_b32_e32 v21, 0x7f800000, v33
	v_cmp_ne_u32_e64 s[26:27], s68, v21
                                        ; implicit-def: $vgpr21
	s_and_saveexec_b64 s[42:43], s[26:27]
	s_xor_b64 s[26:27], exec, s[42:43]
; %bb.869:                              ;   in Loop: Header=BB20_760 Depth=2
	v_bfe_u32 v21, v33, 16, 1
	v_add3_u32 v21, v33, v21, s69
                                        ; implicit-def: $vgpr33
; %bb.870:                              ;   in Loop: Header=BB20_760 Depth=2
	s_andn2_saveexec_b64 s[42:43], s[26:27]
; %bb.871:                              ;   in Loop: Header=BB20_760 Depth=2
	v_or_b32_e32 v21, 0x10000, v33
	v_cmp_eq_u32_sdwa s[26:27], v33, v3 src0_sel:WORD_0 src1_sel:DWORD
	s_nop 1
	v_cndmask_b32_e64 v21, v21, v33, s[26:27]
; %bb.872:                              ;   in Loop: Header=BB20_760 Depth=2
	s_or_b64 exec, exec, s[42:43]
	v_and_b32_e32 v33, 0xffff0000, v17
	v_lshlrev_b32_e32 v34, 16, v10
	v_max_f32_e32 v33, v33, v33
	v_max_f32_e32 v34, v34, v34
	v_min_f32_e32 v35, v33, v34
	v_max_f32_e32 v33, v33, v34
	v_cndmask_b32_e32 v34, v33, v35, vcc
	v_and_b32_e32 v33, 0x7f800000, v34
	v_cmp_ne_u32_e64 s[26:27], s68, v33
                                        ; implicit-def: $vgpr33
	s_and_saveexec_b64 s[42:43], s[26:27]
	s_xor_b64 s[26:27], exec, s[42:43]
; %bb.873:                              ;   in Loop: Header=BB20_760 Depth=2
	v_bfe_u32 v33, v34, 16, 1
	v_add3_u32 v33, v34, v33, s69
                                        ; implicit-def: $vgpr34
; %bb.874:                              ;   in Loop: Header=BB20_760 Depth=2
	s_andn2_saveexec_b64 s[42:43], s[26:27]
; %bb.875:                              ;   in Loop: Header=BB20_760 Depth=2
	v_or_b32_e32 v33, 0x10000, v34
	v_cmp_eq_u32_sdwa s[26:27], v34, v3 src0_sel:WORD_0 src1_sel:DWORD
	s_nop 1
	v_cndmask_b32_e64 v33, v33, v34, s[26:27]
; %bb.876:                              ;   in Loop: Header=BB20_760 Depth=2
	s_or_b64 exec, exec, s[42:43]
	v_and_b32_e32 v34, 0xffff0000, v10
	v_and_b32_e32 v10, 0xffff0000, v22
	v_max_f32_e32 v22, v34, v34
	v_max_f32_e32 v34, v10, v10
	v_min_f32_e32 v35, v34, v22
	v_max_f32_e32 v22, v34, v22
	v_cndmask_b32_e32 v34, v22, v35, vcc
	v_and_b32_e32 v22, 0x7f800000, v34
	v_cmp_ne_u32_e64 s[26:27], s68, v22
                                        ; implicit-def: $vgpr22
	s_and_saveexec_b64 s[42:43], s[26:27]
	s_xor_b64 s[26:27], exec, s[42:43]
; %bb.877:                              ;   in Loop: Header=BB20_760 Depth=2
	v_bfe_u32 v22, v34, 16, 1
	v_add3_u32 v22, v34, v22, s69
                                        ; implicit-def: $vgpr34
; %bb.878:                              ;   in Loop: Header=BB20_760 Depth=2
	s_andn2_saveexec_b64 s[42:43], s[26:27]
; %bb.879:                              ;   in Loop: Header=BB20_760 Depth=2
	v_or_b32_e32 v22, 0x10000, v34
	v_cmp_eq_u32_sdwa s[26:27], v34, v3 src0_sel:WORD_0 src1_sel:DWORD
	s_nop 1
	v_cndmask_b32_e64 v22, v22, v34, s[26:27]
; %bb.880:                              ;   in Loop: Header=BB20_760 Depth=2
	s_or_b64 exec, exec, s[42:43]
	v_and_b32_e32 v34, 0xffff0000, v18
	v_lshlrev_b32_e32 v35, 16, v11
	v_max_f32_e32 v34, v34, v34
	v_max_f32_e32 v35, v35, v35
	v_min_f32_e32 v120, v34, v35
	v_max_f32_e32 v34, v34, v35
	v_cndmask_b32_e32 v35, v34, v120, vcc
	v_and_b32_e32 v34, 0x7f800000, v35
	v_cmp_ne_u32_e64 s[26:27], s68, v34
                                        ; implicit-def: $vgpr34
	s_and_saveexec_b64 s[42:43], s[26:27]
	s_xor_b64 s[26:27], exec, s[42:43]
; %bb.881:                              ;   in Loop: Header=BB20_760 Depth=2
	v_bfe_u32 v34, v35, 16, 1
	v_add3_u32 v34, v35, v34, s69
                                        ; implicit-def: $vgpr35
; %bb.882:                              ;   in Loop: Header=BB20_760 Depth=2
	s_andn2_saveexec_b64 s[42:43], s[26:27]
; %bb.883:                              ;   in Loop: Header=BB20_760 Depth=2
	v_or_b32_e32 v34, 0x10000, v35
	v_cmp_eq_u32_sdwa s[26:27], v35, v3 src0_sel:WORD_0 src1_sel:DWORD
	s_nop 1
	v_cndmask_b32_e64 v34, v34, v35, s[26:27]
; %bb.884:                              ;   in Loop: Header=BB20_760 Depth=2
	s_or_b64 exec, exec, s[42:43]
	v_and_b32_e32 v35, 0xffff0000, v11
	v_and_b32_e32 v11, 0xffff0000, v19
	v_max_f32_e32 v19, v35, v35
	v_max_f32_e32 v35, v11, v11
	v_min_f32_e32 v120, v35, v19
	v_max_f32_e32 v19, v35, v19
	v_cndmask_b32_e32 v35, v19, v120, vcc
	v_and_b32_e32 v19, 0x7f800000, v35
	v_cmp_ne_u32_e64 s[26:27], s68, v19
                                        ; implicit-def: $vgpr19
	s_and_saveexec_b64 s[42:43], s[26:27]
	s_xor_b64 s[26:27], exec, s[42:43]
; %bb.885:                              ;   in Loop: Header=BB20_760 Depth=2
	v_bfe_u32 v19, v35, 16, 1
	v_add3_u32 v19, v35, v19, s69
                                        ; implicit-def: $vgpr35
; %bb.886:                              ;   in Loop: Header=BB20_760 Depth=2
	s_andn2_saveexec_b64 s[42:43], s[26:27]
	s_cbranch_execz .LBB20_759
; %bb.887:                              ;   in Loop: Header=BB20_760 Depth=2
	v_or_b32_e32 v19, 0x10000, v35
	v_cmp_eq_u32_sdwa s[26:27], v35, v3 src0_sel:WORD_0 src1_sel:DWORD
	s_nop 1
	v_cndmask_b32_e64 v19, v19, v35, s[26:27]
	s_branch .LBB20_759
.LBB20_888:                             ;   in Loop: Header=BB20_47 Depth=1
	s_or_b64 exec, exec, s[46:47]
	s_and_saveexec_b64 s[46:47], s[56:57]
	s_xor_b64 s[46:47], exec, s[46:47]
	s_cbranch_execz .LBB20_890
; %bb.889:                              ;   in Loop: Header=BB20_47 Depth=1
	ds_write_b32 v0, v95
	s_trap 2
.LBB20_890:                             ;   in Loop: Header=BB20_47 Depth=1
	s_or_b64 exec, exec, s[44:45]
	;;#ASMSTART
	s_wakeup
	;;#ASMEND
.LBB20_891:                             ;   in Loop: Header=BB20_47 Depth=1
	s_or_b64 exec, exec, s[42:43]
.LBB20_892:                             ;   in Loop: Header=BB20_47 Depth=1
	s_andn2_saveexec_b64 s[40:41], s[40:41]
	s_cbranch_execz .LBB20_894
; %bb.893:                              ;   in Loop: Header=BB20_47 Depth=1
	;;#ASMSTART
	s_waitcnt lgkmcnt(0) vmcnt(0)
	;;#ASMEND
	s_barrier
.LBB20_894:                             ;   in Loop: Header=BB20_47 Depth=1
	s_or_b64 exec, exec, s[40:41]
	v_and_b32_e32 v2, 16, v92
.LBB20_895:                             ;   in Loop: Header=BB20_47 Depth=1
	s_or_b64 exec, exec, s[26:27]
	v_cmp_ne_u32_e32 vcc, 0, v2
	s_xor_b64 s[26:27], s[10:11], -1
	s_and_b64 s[40:41], vcc, s[26:27]
	s_and_saveexec_b64 s[26:27], s[40:41]
	s_cbranch_execz .LBB20_897
; %bb.896:                              ;   in Loop: Header=BB20_47 Depth=1
	flat_store_dword v[68:69], v95 sc0 sc1
.LBB20_897:                             ;   in Loop: Header=BB20_47 Depth=1
	s_or_b64 exec, exec, s[26:27]
	v_and_b32_e32 v2, 48, v92
	v_cmp_ne_u32_e32 vcc, 0, v2
	s_and_saveexec_b64 s[26:27], vcc
	s_cbranch_execz .LBB20_899
; %bb.898:                              ;   in Loop: Header=BB20_47 Depth=1
	v_lshl_add_u64 v[58:59], v[58:59], 0, 4
	flat_store_dwordx2 v[64:65], v[58:59] sc0 sc1
.LBB20_899:                             ;   in Loop: Header=BB20_47 Depth=1
	s_or_b64 exec, exec, s[26:27]
	s_or_b64 exec, exec, s[28:29]
	s_and_b64 vcc, exec, s[24:25]
	s_cbranch_vccnz .LBB20_1826
	s_branch .LBB20_1318
.LBB20_900:                             ;   in Loop: Header=BB20_47 Depth=1
	s_or_b64 exec, exec, s[40:41]
.LBB20_901:                             ;   in Loop: Header=BB20_47 Depth=1
	s_or_b64 exec, exec, s[28:29]
	v_lshlrev_b32_e32 v34, 11, v110
	v_cmp_ne_u32_e32 vcc, v109, v34
	s_mov_b64 s[26:27], 0
	v_mov_b32_e32 v18, 0
                                        ; implicit-def: $vgpr19
	s_and_saveexec_b64 s[50:51], vcc
	s_cbranch_execz .LBB20_941
; %bb.902:                              ;   in Loop: Header=BB20_47 Depth=1
	v_lshlrev_b32_e32 v2, 6, v2
	v_sub_u32_e32 v2, v93, v2
	v_ashrrev_i32_e32 v9, 31, v2
	v_lshrrev_b32_e32 v9, 26, v9
	v_add_u32_e32 v9, v2, v9
	v_sub_u32_e32 v8, v109, v34
	v_ashrrev_i32_e32 v10, 6, v9
	v_and_b32_e32 v9, 0xffffffc0, v9
	v_sub_u32_e32 v35, v2, v9
	v_ashrrev_i32_e32 v9, 31, v8
	v_lshrrev_b32_e32 v9, 22, v9
	v_add_u32_e32 v9, v8, v9
	v_and_b32_e32 v74, 0xfffffc00, v9
	v_lshlrev_b32_e32 v2, 4, v35
	v_sub_u32_e32 v75, v8, v74
	v_lshl_add_u32 v2, v10, 10, v2
	v_ashrrev_i32_e32 v11, 10, v9
	v_cmp_lt_i32_e64 s[26:27], 15, v75
	v_sub_u32_e32 v77, v8, v2
	s_nop 0
	v_addc_co_u32_e64 v8, vcc, 0, v11, s[26:27]
	v_sub_u32_e32 v76, v8, v10
	v_cmp_lt_i32_e32 vcc, 15, v77
	s_and_saveexec_b64 s[52:53], vcc
	s_cbranch_execz .LBB20_940
; %bb.903:                              ;   in Loop: Header=BB20_47 Depth=1
	s_trap 2
	ds_read_b64 v[10:11], v0
	v_add_u32_e32 v8, v2, v34
	s_and_b32 s76, s87, 1
	v_ashrrev_i32_e32 v9, 31, v8
	s_cmp_eq_u64 s[76:77], 0
	s_waitcnt lgkmcnt(0)
	v_lshl_add_u64 v[20:21], v[8:9], 0, v[72:73]
	v_lshl_add_u64 v[22:23], v[8:9], 0, v[38:39]
	;; [unrolled: 1-line block ×5, first 2 shown]
	s_mov_b64 s[54:55], 0
	s_cselect_b64 s[28:29], -1, 0
.LBB20_904:                             ;   Parent Loop BB20_47 Depth=1
                                        ; =>  This Loop Header: Depth=2
                                        ;       Child Loop BB20_937 Depth 3
	global_load_dwordx4 v[12:15], v[32:33], off nt
	global_load_dwordx4 v[16:19], v[26:27], off nt
	;; [unrolled: 1-line block ×3, first 2 shown]
	s_waitcnt vmcnt(0)
	v_lshlrev_b32_e32 v2, 16, v12
	v_lshlrev_b32_e32 v78, 16, v16
	v_max_f32_e32 v2, v2, v2
	v_max_f32_e32 v78, v78, v78
	v_min_f32_e32 v79, v78, v2
	v_max_f32_e32 v2, v78, v2
	v_cndmask_b32_e64 v2, v2, v79, s[28:29]
	v_and_b32_e32 v78, 0x7f800000, v2
	v_cmp_ne_u32_e32 vcc, s68, v78
                                        ; implicit-def: $vgpr78
	s_and_saveexec_b64 s[40:41], vcc
	s_xor_b64 s[40:41], exec, s[40:41]
; %bb.905:                              ;   in Loop: Header=BB20_904 Depth=2
	v_bfe_u32 v78, v2, 16, 1
	v_add3_u32 v78, v2, v78, s69
                                        ; implicit-def: $vgpr2
; %bb.906:                              ;   in Loop: Header=BB20_904 Depth=2
	s_andn2_saveexec_b64 s[40:41], s[40:41]
; %bb.907:                              ;   in Loop: Header=BB20_904 Depth=2
	v_or_b32_e32 v78, 0x10000, v2
	v_cmp_eq_u32_sdwa vcc, v2, v3 src0_sel:WORD_0 src1_sel:DWORD
	s_nop 1
	v_cndmask_b32_e32 v78, v78, v2, vcc
; %bb.908:                              ;   in Loop: Header=BB20_904 Depth=2
	s_or_b64 exec, exec, s[40:41]
	v_and_b32_e32 v2, 0xffff0000, v12
	v_and_b32_e32 v12, 0xffff0000, v16
	v_max_f32_e32 v2, v2, v2
	v_max_f32_e32 v12, v12, v12
	v_min_f32_e32 v16, v12, v2
	v_max_f32_e32 v2, v12, v2
	v_cndmask_b32_e64 v12, v2, v16, s[28:29]
	v_and_b32_e32 v2, 0x7f800000, v12
	v_cmp_ne_u32_e32 vcc, s68, v2
                                        ; implicit-def: $vgpr2
	s_and_saveexec_b64 s[40:41], vcc
	s_xor_b64 s[40:41], exec, s[40:41]
; %bb.909:                              ;   in Loop: Header=BB20_904 Depth=2
	v_bfe_u32 v2, v12, 16, 1
	v_add3_u32 v2, v12, v2, s69
                                        ; implicit-def: $vgpr12
; %bb.910:                              ;   in Loop: Header=BB20_904 Depth=2
	s_andn2_saveexec_b64 s[40:41], s[40:41]
; %bb.911:                              ;   in Loop: Header=BB20_904 Depth=2
	v_or_b32_e32 v2, 0x10000, v12
	v_cmp_eq_u32_sdwa vcc, v12, v3 src0_sel:WORD_0 src1_sel:DWORD
	s_nop 1
	v_cndmask_b32_e32 v2, v2, v12, vcc
; %bb.912:                              ;   in Loop: Header=BB20_904 Depth=2
	s_or_b64 exec, exec, s[40:41]
	v_lshlrev_b32_e32 v12, 16, v13
	v_lshlrev_b32_e32 v16, 16, v17
	v_max_f32_e32 v12, v12, v12
	v_max_f32_e32 v16, v16, v16
	v_min_f32_e32 v79, v16, v12
	v_max_f32_e32 v12, v16, v12
	v_cndmask_b32_e64 v12, v12, v79, s[28:29]
	v_and_b32_e32 v16, 0x7f800000, v12
	v_cmp_ne_u32_e32 vcc, s68, v16
                                        ; implicit-def: $vgpr16
	s_and_saveexec_b64 s[40:41], vcc
	s_xor_b64 s[40:41], exec, s[40:41]
; %bb.913:                              ;   in Loop: Header=BB20_904 Depth=2
	v_bfe_u32 v16, v12, 16, 1
	v_add3_u32 v16, v12, v16, s69
                                        ; implicit-def: $vgpr12
; %bb.914:                              ;   in Loop: Header=BB20_904 Depth=2
	s_andn2_saveexec_b64 s[40:41], s[40:41]
; %bb.915:                              ;   in Loop: Header=BB20_904 Depth=2
	v_or_b32_e32 v16, 0x10000, v12
	v_cmp_eq_u32_sdwa vcc, v12, v3 src0_sel:WORD_0 src1_sel:DWORD
	s_nop 1
	v_cndmask_b32_e32 v16, v16, v12, vcc
; %bb.916:                              ;   in Loop: Header=BB20_904 Depth=2
	s_or_b64 exec, exec, s[40:41]
	v_and_b32_e32 v12, 0xffff0000, v17
	v_and_b32_e32 v13, 0xffff0000, v13
	v_max_f32_e32 v13, v13, v13
	v_max_f32_e32 v12, v12, v12
	v_min_f32_e32 v17, v12, v13
	v_max_f32_e32 v12, v12, v13
	v_cndmask_b32_e64 v13, v12, v17, s[28:29]
	v_and_b32_e32 v12, 0x7f800000, v13
	v_cmp_ne_u32_e32 vcc, s68, v12
                                        ; implicit-def: $vgpr12
	s_and_saveexec_b64 s[40:41], vcc
	s_xor_b64 s[40:41], exec, s[40:41]
; %bb.917:                              ;   in Loop: Header=BB20_904 Depth=2
	v_bfe_u32 v12, v13, 16, 1
	v_add3_u32 v12, v13, v12, s69
                                        ; implicit-def: $vgpr13
; %bb.918:                              ;   in Loop: Header=BB20_904 Depth=2
	s_andn2_saveexec_b64 s[40:41], s[40:41]
; %bb.919:                              ;   in Loop: Header=BB20_904 Depth=2
	v_or_b32_e32 v12, 0x10000, v13
	v_cmp_eq_u32_sdwa vcc, v13, v3 src0_sel:WORD_0 src1_sel:DWORD
	s_nop 1
	v_cndmask_b32_e32 v12, v12, v13, vcc
; %bb.920:                              ;   in Loop: Header=BB20_904 Depth=2
	s_or_b64 exec, exec, s[40:41]
	v_lshlrev_b32_e32 v13, 16, v14
	v_lshlrev_b32_e32 v17, 16, v18
	v_max_f32_e32 v13, v13, v13
	v_max_f32_e32 v17, v17, v17
	v_min_f32_e32 v79, v17, v13
	v_max_f32_e32 v13, v17, v13
	v_cndmask_b32_e64 v13, v13, v79, s[28:29]
	v_and_b32_e32 v17, 0x7f800000, v13
	v_cmp_ne_u32_e32 vcc, s68, v17
                                        ; implicit-def: $vgpr17
	s_and_saveexec_b64 s[40:41], vcc
	s_xor_b64 s[40:41], exec, s[40:41]
; %bb.921:                              ;   in Loop: Header=BB20_904 Depth=2
	v_bfe_u32 v17, v13, 16, 1
	v_add3_u32 v17, v13, v17, s69
                                        ; implicit-def: $vgpr13
; %bb.922:                              ;   in Loop: Header=BB20_904 Depth=2
	s_andn2_saveexec_b64 s[40:41], s[40:41]
; %bb.923:                              ;   in Loop: Header=BB20_904 Depth=2
	v_or_b32_e32 v17, 0x10000, v13
	v_cmp_eq_u32_sdwa vcc, v13, v3 src0_sel:WORD_0 src1_sel:DWORD
	s_nop 1
	v_cndmask_b32_e32 v17, v17, v13, vcc
; %bb.924:                              ;   in Loop: Header=BB20_904 Depth=2
	s_or_b64 exec, exec, s[40:41]
	v_and_b32_e32 v13, 0xffff0000, v18
	v_and_b32_e32 v14, 0xffff0000, v14
	v_max_f32_e32 v14, v14, v14
	v_max_f32_e32 v13, v13, v13
	v_min_f32_e32 v18, v13, v14
	v_max_f32_e32 v13, v13, v14
	v_cndmask_b32_e64 v13, v13, v18, s[28:29]
	v_and_b32_e32 v14, 0x7f800000, v13
	v_cmp_ne_u32_e32 vcc, s68, v14
                                        ; implicit-def: $vgpr18
	s_and_saveexec_b64 s[40:41], vcc
	s_xor_b64 s[40:41], exec, s[40:41]
; %bb.925:                              ;   in Loop: Header=BB20_904 Depth=2
	v_bfe_u32 v14, v13, 16, 1
	v_add3_u32 v18, v13, v14, s69
                                        ; implicit-def: $vgpr13
; %bb.926:                              ;   in Loop: Header=BB20_904 Depth=2
	s_andn2_saveexec_b64 s[40:41], s[40:41]
; %bb.927:                              ;   in Loop: Header=BB20_904 Depth=2
	v_or_b32_e32 v14, 0x10000, v13
	v_cmp_eq_u32_sdwa vcc, v13, v3 src0_sel:WORD_0 src1_sel:DWORD
	s_nop 1
	v_cndmask_b32_e32 v18, v14, v13, vcc
; %bb.928:                              ;   in Loop: Header=BB20_904 Depth=2
	s_or_b64 exec, exec, s[40:41]
	v_lshlrev_b32_e32 v13, 16, v15
	v_lshlrev_b32_e32 v14, 16, v19
	v_max_f32_e32 v13, v13, v13
	v_max_f32_e32 v14, v14, v14
	v_min_f32_e32 v79, v14, v13
	v_max_f32_e32 v13, v14, v13
	v_cndmask_b32_e64 v13, v13, v79, s[28:29]
	v_and_b32_e32 v14, 0x7f800000, v13
	v_cmp_ne_u32_e32 vcc, s68, v14
                                        ; implicit-def: $vgpr14
	s_and_saveexec_b64 s[40:41], vcc
	s_xor_b64 s[40:41], exec, s[40:41]
; %bb.929:                              ;   in Loop: Header=BB20_904 Depth=2
	v_bfe_u32 v14, v13, 16, 1
	v_add3_u32 v14, v13, v14, s69
                                        ; implicit-def: $vgpr13
; %bb.930:                              ;   in Loop: Header=BB20_904 Depth=2
	s_andn2_saveexec_b64 s[40:41], s[40:41]
; %bb.931:                              ;   in Loop: Header=BB20_904 Depth=2
	v_or_b32_e32 v14, 0x10000, v13
	v_cmp_eq_u32_sdwa vcc, v13, v3 src0_sel:WORD_0 src1_sel:DWORD
	s_nop 1
	v_cndmask_b32_e32 v14, v14, v13, vcc
; %bb.932:                              ;   in Loop: Header=BB20_904 Depth=2
	s_or_b64 exec, exec, s[40:41]
	v_and_b32_e32 v13, 0xffff0000, v19
	v_and_b32_e32 v15, 0xffff0000, v15
	v_max_f32_e32 v15, v15, v15
	v_max_f32_e32 v13, v13, v13
	v_min_f32_e32 v19, v13, v15
	v_max_f32_e32 v13, v13, v15
	v_cndmask_b32_e64 v13, v13, v19, s[28:29]
	v_and_b32_e32 v15, 0x7f800000, v13
	v_cmp_ne_u32_e32 vcc, s68, v15
                                        ; implicit-def: $vgpr15
	s_and_saveexec_b64 s[40:41], vcc
	s_xor_b64 s[40:41], exec, s[40:41]
; %bb.933:                              ;   in Loop: Header=BB20_904 Depth=2
	v_bfe_u32 v15, v13, 16, 1
	v_add3_u32 v15, v13, v15, s69
                                        ; implicit-def: $vgpr13
; %bb.934:                              ;   in Loop: Header=BB20_904 Depth=2
	s_andn2_saveexec_b64 s[40:41], s[40:41]
; %bb.935:                              ;   in Loop: Header=BB20_904 Depth=2
	v_or_b32_e32 v15, 0x10000, v13
	v_cmp_eq_u32_sdwa vcc, v13, v3 src0_sel:WORD_0 src1_sel:DWORD
	s_nop 1
	v_cndmask_b32_e32 v15, v15, v13, vcc
; %bb.936:                              ;   in Loop: Header=BB20_904 Depth=2
	s_or_b64 exec, exec, s[40:41]
	v_and_b32_e32 v79, 0xffff0000, v2
	v_or_b32_sdwa v2, v79, v78 dst_sel:DWORD dst_unused:UNUSED_PAD src0_sel:DWORD src1_sel:WORD_1
	v_and_b32_e32 v89, 0xffff0000, v8
	v_and_b32_e32 v78, 0xffff0000, v78
	v_lshlrev_b32_e32 v8, 16, v8
	v_max_f32_e32 v78, v78, v78
	v_max_f32_e32 v8, v8, v8
	v_min_f32_e32 v90, v78, v8
	v_max_f32_e32 v8, v78, v8
	v_cndmask_b32_e64 v8, v8, v90, s[28:29]
	v_and_b32_e32 v78, 0x7f800000, v8
	v_cmp_eq_u32_e32 vcc, s68, v78
	v_bfe_u32 v78, v8, 16, 1
	v_cmp_eq_u32_sdwa s[40:41], v8, v3 src0_sel:WORD_0 src1_sel:DWORD
	v_or_b32_e32 v90, 0x10000, v8
	v_max_f32_e32 v79, v79, v79
	v_max_f32_e32 v89, v89, v89
	v_add3_u32 v78, v8, v78, s69
	v_cndmask_b32_e64 v8, v90, v8, s[40:41]
	v_min_f32_e32 v90, v79, v89
	v_max_f32_e32 v79, v79, v89
	v_cndmask_b32_e64 v79, v79, v90, s[28:29]
	v_and_b32_e32 v89, 0x7f800000, v79
	v_and_b32_e32 v19, 0xffff0000, v12
	v_cmp_eq_u32_e64 s[40:41], s68, v89
	v_bfe_u32 v89, v79, 16, 1
	v_cmp_eq_u32_sdwa s[42:43], v79, v3 src0_sel:WORD_0 src1_sel:DWORD
	v_or_b32_e32 v90, 0x10000, v79
	v_or_b32_sdwa v13, v19, v16 dst_sel:DWORD dst_unused:UNUSED_PAD src0_sel:DWORD src1_sel:WORD_1
	v_add3_u32 v89, v79, v89, s69
	v_cndmask_b32_e64 v79, v90, v79, s[42:43]
	v_and_b32_e32 v90, 0xffff0000, v9
	v_and_b32_e32 v16, 0xffff0000, v16
	v_lshlrev_b32_e32 v9, 16, v9
	v_max_f32_e32 v16, v16, v16
	v_max_f32_e32 v9, v9, v9
	v_min_f32_e32 v91, v16, v9
	v_max_f32_e32 v9, v16, v9
	v_cndmask_b32_e64 v9, v9, v91, s[28:29]
	v_and_b32_e32 v16, 0x7f800000, v9
	v_cmp_eq_u32_e64 s[42:43], s68, v16
	v_bfe_u32 v16, v9, 16, 1
	v_cmp_eq_u32_sdwa s[44:45], v9, v3 src0_sel:WORD_0 src1_sel:DWORD
	v_or_b32_e32 v91, 0x10000, v9
	v_max_f32_e32 v19, v19, v19
	v_max_f32_e32 v90, v90, v90
	v_add3_u32 v16, v9, v16, s69
	v_cndmask_b32_e64 v9, v91, v9, s[44:45]
	v_min_f32_e32 v91, v19, v90
	v_max_f32_e32 v19, v19, v90
	v_cndmask_b32_e64 v19, v19, v91, s[28:29]
	v_and_b32_e32 v90, 0x7f800000, v19
	v_and_b32_e32 v18, 0xffff0000, v18
	v_cmp_eq_u32_e64 s[44:45], s68, v90
	v_bfe_u32 v90, v19, 16, 1
	v_cmp_eq_u32_sdwa s[46:47], v19, v3 src0_sel:WORD_0 src1_sel:DWORD
	v_or_b32_e32 v91, 0x10000, v19
	v_or_b32_sdwa v12, v18, v17 dst_sel:DWORD dst_unused:UNUSED_PAD src0_sel:DWORD src1_sel:WORD_1
	v_add3_u32 v90, v19, v90, s69
	v_cndmask_b32_e64 v19, v91, v19, s[46:47]
	v_and_b32_e32 v91, 0xffff0000, v10
	v_and_b32_e32 v17, 0xffff0000, v17
	v_lshlrev_b32_e32 v10, 16, v10
	v_max_f32_e32 v17, v17, v17
	v_max_f32_e32 v10, v10, v10
	v_min_f32_e32 v110, v17, v10
	v_max_f32_e32 v10, v17, v10
	v_cndmask_b32_e64 v10, v10, v110, s[28:29]
	v_and_b32_e32 v17, 0x7f800000, v10
	v_cmp_eq_u32_e64 s[46:47], s68, v17
	;; [unrolled: 29-line block ×3, first 2 shown]
	v_bfe_u32 v14, v11, 16, 1
	v_cmp_eq_u32_sdwa s[60:61], v11, v3 src0_sel:WORD_0 src1_sel:DWORD
	v_or_b32_e32 v111, 0x10000, v11
	v_max_f32_e32 v88, v88, v88
	v_max_f32_e32 v110, v110, v110
	v_add3_u32 v14, v11, v14, s69
	v_cndmask_b32_e64 v11, v111, v11, s[60:61]
	v_min_f32_e32 v111, v88, v110
	v_max_f32_e32 v88, v88, v110
	v_cndmask_b32_e64 v88, v88, v111, s[28:29]
	v_and_b32_e32 v110, 0x7f800000, v88
	v_cmp_eq_u32_e64 s[60:61], s68, v110
	v_bfe_u32 v110, v88, 16, 1
	v_cmp_eq_u32_sdwa s[62:63], v88, v3 src0_sel:WORD_0 src1_sel:DWORD
	v_or_b32_e32 v111, 0x10000, v88
	v_add3_u32 v110, v88, v110, s69
	v_cndmask_b32_e64 v88, v111, v88, s[62:63]
	v_cndmask_b32_e32 v8, v78, v8, vcc
	v_cndmask_b32_e64 v9, v16, v9, s[42:43]
	v_cndmask_b32_e64 v10, v17, v10, s[46:47]
	;; [unrolled: 1-line block ×7, first 2 shown]
	v_lshrrev_b32_e32 v9, 16, v9
	v_lshrrev_b32_e32 v8, 16, v8
	;; [unrolled: 1-line block ×4, first 2 shown]
	v_and_or_b32 v9, v16, s70, v9
	v_and_or_b32 v8, v78, s70, v8
	;; [unrolled: 1-line block ×4, first 2 shown]
	s_mov_b64 s[46:47], 0
	s_mov_b64 s[44:45], -1
.LBB20_937:                             ;   Parent Loop BB20_47 Depth=1
                                        ;     Parent Loop BB20_904 Depth=2
                                        ; =>    This Inner Loop Header: Depth=3
	v_cndmask_b32_e64 v14, 0, 1, s[44:45]
	s_cmp_eq_u32 s46, 1
	v_cmp_ne_u32_e32 vcc, 1, v14
	s_cselect_b64 s[40:41], -1, 0
	v_cndmask_b32_e64 v17, v13, v9, s[44:45]
	v_cndmask_b32_e64 v16, v2, v8, s[44:45]
	;; [unrolled: 1-line block ×4, first 2 shown]
	v_cndmask_b32_e32 v79, v23, v25, vcc
	v_cndmask_b32_e64 v89, v23, v25, s[40:41]
	s_cmp_eq_u32 s46, 0
	v_cndmask_b32_e32 v78, v22, v24, vcc
	v_cndmask_b32_e64 v88, v22, v24, s[40:41]
	global_store_dwordx4 v[78:79], v[16:19], off
	s_cselect_b64 vcc, -1, 0
	s_and_b64 s[42:43], exec, s[44:45]
	v_lshl_add_u64 v[16:17], v[88:89], 0, s[90:91]
	s_mov_b64 s[46:47], 1
	s_mov_b64 s[44:45], 0
	v_cndmask_b32_e64 v25, v25, v17, s[40:41]
	v_cndmask_b32_e64 v24, v24, v16, s[40:41]
	v_cndmask_b32_e32 v23, v23, v17, vcc
	v_cndmask_b32_e32 v22, v22, v16, vcc
	s_mov_b64 vcc, s[42:43]
	s_cbranch_vccnz .LBB20_937
; %bb.938:                              ;   in Loop: Header=BB20_904 Depth=2
	v_sub_u32_e32 v77, v77, v100
	v_cmp_gt_i32_e32 vcc, 16, v77
	v_lshl_add_u64 v[26:27], v[26:27], 0, v[44:45]
	v_lshl_add_u64 v[32:33], v[32:33], 0, v[44:45]
	;; [unrolled: 1-line block ×5, first 2 shown]
	s_or_b64 s[54:55], vcc, s[54:55]
	v_sub_u32_e32 v76, v76, v84
	s_andn2_b64 exec, exec, s[54:55]
	s_cbranch_execnz .LBB20_904
; %bb.939:                              ;   in Loop: Header=BB20_47 Depth=1
	s_or_b64 exec, exec, s[54:55]
.LBB20_940:                             ;   in Loop: Header=BB20_47 Depth=1
	s_or_b64 exec, exec, s[52:53]
	v_and_b32_e32 v2, 14, v109
	v_cmp_lt_i32_e32 vcc, 0, v76
	v_sub_u32_e32 v8, v75, v2
	v_cndmask_b32_e64 v109, v75, v2, s[26:27]
	v_cndmask_b32_e32 v2, 0, v84, vcc
	v_cndmask_b32_e64 v8, 0, v8, s[26:27]
	v_sub_u32_e32 v2, v2, v76
	v_cmp_ne_u32_e32 vcc, 0, v109
	v_add3_u32 v18, v74, v34, v8
	v_lshl_add_u32 v19, v2, 6, v35
	s_and_b64 s[26:27], vcc, exec
.LBB20_941:                             ;   in Loop: Header=BB20_47 Depth=1
	s_or_b64 exec, exec, s[50:51]
	s_and_saveexec_b64 s[42:43], s[26:27]
	s_cbranch_execz .LBB20_1020
.LBB20_942:                             ;   in Loop: Header=BB20_47 Depth=1
	v_ashrrev_i32_e32 v2, 31, v19
	v_ashrrev_i32_e32 v9, 31, v109
	v_lshrrev_b32_e32 v2, 26, v2
	v_lshrrev_b32_e32 v9, 22, v9
	v_add_u32_e32 v8, v19, v2
	v_add_u32_e32 v9, v109, v9
	v_ashrrev_i32_e32 v2, 6, v8
	v_ashrrev_i32_e32 v21, 10, v9
	v_sub_u32_e32 v20, v21, v2
	v_cmp_lt_i32_e32 vcc, 0, v20
	s_and_saveexec_b64 s[28:29], vcc
	s_cbranch_execz .LBB20_1010
; %bb.943:                              ;   in Loop: Header=BB20_47 Depth=1
	v_and_b32_e32 v8, 0x7fffffc0, v8
	s_trap 2
	ds_read_b64 v[14:15], v0
	v_sub_u32_e32 v8, v19, v8
	v_lshlrev_b32_e32 v8, 1, v8
	v_lshlrev_b32_e32 v9, 10, v2
	v_add3_u32 v16, v8, v18, v9
	s_and_b32 s76, s87, 1
	v_ashrrev_i32_e32 v17, 31, v16
	s_cmp_eq_u64 s[76:77], 0
	s_waitcnt lgkmcnt(0)
	v_lshl_add_u64 v[22:23], v[72:73], 0, s[36:37]
	v_lshl_add_u64 v[8:9], v[16:17], 0, v[38:39]
	;; [unrolled: 1-line block ×5, first 2 shown]
	s_mov_b64 s[40:41], 0
	s_cselect_b64 s[26:27], -1, 0
	v_lshl_add_u64 v[16:17], v[22:23], 0, v[16:17]
	s_branch .LBB20_945
.LBB20_944:                             ;   in Loop: Header=BB20_945 Depth=2
	s_or_b64 exec, exec, s[44:45]
	v_sub_u32_e32 v20, v20, v84
	v_cmp_gt_i32_e32 vcc, 1, v20
	flat_store_short_d16_hi v[8:9], v25 offset:896 nt
	flat_store_short_d16_hi v[10:11], v22 nt
	flat_store_short_d16_hi v[10:11], v24 offset:128 nt
	flat_store_short_d16_hi v[10:11], v26 offset:256 nt
	flat_store_short_d16_hi v[10:11], v33 offset:384 nt
	flat_store_short_d16_hi v[10:11], v35 offset:512 nt
	flat_store_short_d16_hi v[10:11], v75 offset:640 nt
	flat_store_short_d16_hi v[10:11], v78 offset:768 nt
	flat_store_short_d16_hi v[10:11], v79 offset:896 nt
	v_lshl_add_u64 v[12:13], v[12:13], 0, v[100:101]
	v_lshl_add_u64 v[14:15], v[14:15], 0, v[100:101]
	;; [unrolled: 1-line block ×4, first 2 shown]
	s_or_b64 s[40:41], vcc, s[40:41]
	v_lshl_add_u64 v[16:17], v[16:17], 0, v[100:101]
	s_andn2_b64 exec, exec, s[40:41]
	s_cbranch_execz .LBB20_1009
.LBB20_945:                             ;   Parent Loop BB20_47 Depth=1
                                        ; =>  This Inner Loop Header: Depth=2
	v_add_co_u32_e32 v22, vcc, 0xfffffc80, v16
	s_nop 1
	v_addc_co_u32_e32 v23, vcc, -1, v17, vcc
	flat_load_ushort v77, v[22:23] nt
	v_add_co_u32_e32 v22, vcc, 0xfffffd00, v16
	s_nop 1
	v_addc_co_u32_e32 v23, vcc, -1, v17, vcc
	flat_load_ushort v76, v[22:23] nt
	;; [unrolled: 4-line block ×5, first 2 shown]
	flat_load_ushort v24, v[12:13] offset:128 nt
	flat_load_ushort v26, v[12:13] offset:256 nt
	;; [unrolled: 1-line block ×7, first 2 shown]
	flat_load_ushort v121, v[12:13] nt
	flat_load_ushort v120, v[14:15] offset:128 nt
	flat_load_ushort v111, v[14:15] offset:256 nt
	;; [unrolled: 1-line block ×7, first 2 shown]
	flat_load_ushort v126, v[14:15] nt
	v_add_co_u32_e32 v122, vcc, 0xffffff00, v16
	s_nop 1
	v_addc_co_u32_e32 v123, vcc, -1, v17, vcc
	v_add_co_u32_e32 v22, vcc, s66, v16
	s_nop 1
	v_addc_co_u32_e32 v23, vcc, -1, v17, vcc
	flat_load_ushort v25, v[22:23] nt
	s_nop 0
	flat_load_ushort v23, v[16:17] nt
	flat_load_ushort v32, v[122:123] nt
	s_waitcnt vmcnt(0) lgkmcnt(0)
	v_lshlrev_b32_e32 v22, 16, v121
	v_max_f32_e32 v22, v22, v22
	v_lshlrev_b32_e32 v121, 16, v126
	v_max_f32_e32 v121, v121, v121
	v_min_f32_e32 v122, v22, v121
	v_max_f32_e32 v22, v22, v121
	v_cndmask_b32_e64 v121, v22, v122, s[26:27]
	v_and_b32_e32 v22, 0x7f800000, v121
	v_cmp_ne_u32_e32 vcc, s68, v22
                                        ; implicit-def: $vgpr22
	s_and_saveexec_b64 s[44:45], vcc
	s_xor_b64 s[44:45], exec, s[44:45]
; %bb.946:                              ;   in Loop: Header=BB20_945 Depth=2
	v_bfe_u32 v22, v121, 16, 1
	v_add3_u32 v22, v121, v22, s69
                                        ; implicit-def: $vgpr121
; %bb.947:                              ;   in Loop: Header=BB20_945 Depth=2
	s_andn2_saveexec_b64 s[44:45], s[44:45]
; %bb.948:                              ;   in Loop: Header=BB20_945 Depth=2
	v_or_b32_e32 v22, 0x10000, v121
	v_cmp_eq_u32_sdwa vcc, v121, v3 src0_sel:WORD_0 src1_sel:DWORD
	s_nop 1
	v_cndmask_b32_e32 v22, v22, v121, vcc
; %bb.949:                              ;   in Loop: Header=BB20_945 Depth=2
	s_or_b64 exec, exec, s[44:45]
	v_lshlrev_b32_e32 v24, 16, v24
	v_lshlrev_b32_e32 v120, 16, v120
	v_max_f32_e32 v120, v120, v120
	v_max_f32_e32 v24, v24, v24
	v_min_f32_e32 v121, v24, v120
	v_max_f32_e32 v24, v24, v120
	v_cndmask_b32_e64 v120, v24, v121, s[26:27]
	v_and_b32_e32 v24, 0x7f800000, v120
	v_cmp_ne_u32_e32 vcc, s68, v24
                                        ; implicit-def: $vgpr24
	s_and_saveexec_b64 s[44:45], vcc
	s_xor_b64 s[44:45], exec, s[44:45]
; %bb.950:                              ;   in Loop: Header=BB20_945 Depth=2
	v_bfe_u32 v24, v120, 16, 1
	v_add3_u32 v24, v120, v24, s69
                                        ; implicit-def: $vgpr120
; %bb.951:                              ;   in Loop: Header=BB20_945 Depth=2
	s_andn2_saveexec_b64 s[44:45], s[44:45]
; %bb.952:                              ;   in Loop: Header=BB20_945 Depth=2
	v_or_b32_e32 v24, 0x10000, v120
	v_cmp_eq_u32_sdwa vcc, v120, v3 src0_sel:WORD_0 src1_sel:DWORD
	s_nop 1
	v_cndmask_b32_e32 v24, v24, v120, vcc
; %bb.953:                              ;   in Loop: Header=BB20_945 Depth=2
	s_or_b64 exec, exec, s[44:45]
	v_lshlrev_b32_e32 v26, 16, v26
	v_lshlrev_b32_e32 v111, 16, v111
	v_max_f32_e32 v111, v111, v111
	v_max_f32_e32 v26, v26, v26
	v_min_f32_e32 v120, v26, v111
	v_max_f32_e32 v26, v26, v111
	v_cndmask_b32_e64 v111, v26, v120, s[26:27]
	v_and_b32_e32 v26, 0x7f800000, v111
	v_cmp_ne_u32_e32 vcc, s68, v26
                                        ; implicit-def: $vgpr26
	s_and_saveexec_b64 s[44:45], vcc
	s_xor_b64 s[44:45], exec, s[44:45]
; %bb.954:                              ;   in Loop: Header=BB20_945 Depth=2
	v_bfe_u32 v26, v111, 16, 1
	v_add3_u32 v26, v111, v26, s69
                                        ; implicit-def: $vgpr111
; %bb.955:                              ;   in Loop: Header=BB20_945 Depth=2
	s_andn2_saveexec_b64 s[44:45], s[44:45]
; %bb.956:                              ;   in Loop: Header=BB20_945 Depth=2
	v_or_b32_e32 v26, 0x10000, v111
	v_cmp_eq_u32_sdwa vcc, v111, v3 src0_sel:WORD_0 src1_sel:DWORD
	s_nop 1
	v_cndmask_b32_e32 v26, v26, v111, vcc
; %bb.957:                              ;   in Loop: Header=BB20_945 Depth=2
	s_or_b64 exec, exec, s[44:45]
	v_lshlrev_b32_e32 v33, 16, v33
	v_lshlrev_b32_e32 v110, 16, v110
	v_max_f32_e32 v110, v110, v110
	v_max_f32_e32 v33, v33, v33
	v_min_f32_e32 v111, v33, v110
	v_max_f32_e32 v33, v33, v110
	v_cndmask_b32_e64 v110, v33, v111, s[26:27]
	v_and_b32_e32 v33, 0x7f800000, v110
	v_cmp_ne_u32_e32 vcc, s68, v33
                                        ; implicit-def: $vgpr33
	s_and_saveexec_b64 s[44:45], vcc
	s_xor_b64 s[44:45], exec, s[44:45]
; %bb.958:                              ;   in Loop: Header=BB20_945 Depth=2
	v_bfe_u32 v33, v110, 16, 1
	v_add3_u32 v33, v110, v33, s69
                                        ; implicit-def: $vgpr110
; %bb.959:                              ;   in Loop: Header=BB20_945 Depth=2
	s_andn2_saveexec_b64 s[44:45], s[44:45]
; %bb.960:                              ;   in Loop: Header=BB20_945 Depth=2
	v_or_b32_e32 v33, 0x10000, v110
	v_cmp_eq_u32_sdwa vcc, v110, v3 src0_sel:WORD_0 src1_sel:DWORD
	s_nop 1
	v_cndmask_b32_e32 v33, v33, v110, vcc
; %bb.961:                              ;   in Loop: Header=BB20_945 Depth=2
	s_or_b64 exec, exec, s[44:45]
	v_lshlrev_b32_e32 v35, 16, v35
	v_lshlrev_b32_e32 v91, 16, v91
	v_max_f32_e32 v91, v91, v91
	v_max_f32_e32 v35, v35, v35
	v_min_f32_e32 v110, v35, v91
	v_max_f32_e32 v35, v35, v91
	v_cndmask_b32_e64 v91, v35, v110, s[26:27]
	v_and_b32_e32 v35, 0x7f800000, v91
	v_cmp_ne_u32_e32 vcc, s68, v35
                                        ; implicit-def: $vgpr35
	s_and_saveexec_b64 s[44:45], vcc
	s_xor_b64 s[44:45], exec, s[44:45]
; %bb.962:                              ;   in Loop: Header=BB20_945 Depth=2
	v_bfe_u32 v35, v91, 16, 1
	v_add3_u32 v35, v91, v35, s69
                                        ; implicit-def: $vgpr91
; %bb.963:                              ;   in Loop: Header=BB20_945 Depth=2
	s_andn2_saveexec_b64 s[44:45], s[44:45]
; %bb.964:                              ;   in Loop: Header=BB20_945 Depth=2
	v_or_b32_e32 v35, 0x10000, v91
	v_cmp_eq_u32_sdwa vcc, v91, v3 src0_sel:WORD_0 src1_sel:DWORD
	s_nop 1
	v_cndmask_b32_e32 v35, v35, v91, vcc
; %bb.965:                              ;   in Loop: Header=BB20_945 Depth=2
	s_or_b64 exec, exec, s[44:45]
	v_lshlrev_b32_e32 v75, 16, v75
	v_lshlrev_b32_e32 v90, 16, v90
	v_max_f32_e32 v90, v90, v90
	v_max_f32_e32 v75, v75, v75
	v_min_f32_e32 v91, v75, v90
	v_max_f32_e32 v75, v75, v90
	v_cndmask_b32_e64 v90, v75, v91, s[26:27]
	v_and_b32_e32 v75, 0x7f800000, v90
	v_cmp_ne_u32_e32 vcc, s68, v75
                                        ; implicit-def: $vgpr75
	s_and_saveexec_b64 s[44:45], vcc
	s_xor_b64 s[44:45], exec, s[44:45]
; %bb.966:                              ;   in Loop: Header=BB20_945 Depth=2
	v_bfe_u32 v75, v90, 16, 1
	v_add3_u32 v75, v90, v75, s69
                                        ; implicit-def: $vgpr90
; %bb.967:                              ;   in Loop: Header=BB20_945 Depth=2
	s_andn2_saveexec_b64 s[44:45], s[44:45]
; %bb.968:                              ;   in Loop: Header=BB20_945 Depth=2
	v_or_b32_e32 v75, 0x10000, v90
	v_cmp_eq_u32_sdwa vcc, v90, v3 src0_sel:WORD_0 src1_sel:DWORD
	s_nop 1
	v_cndmask_b32_e32 v75, v75, v90, vcc
; %bb.969:                              ;   in Loop: Header=BB20_945 Depth=2
	s_or_b64 exec, exec, s[44:45]
	v_lshlrev_b32_e32 v78, 16, v78
	v_lshlrev_b32_e32 v89, 16, v89
	v_max_f32_e32 v89, v89, v89
	v_max_f32_e32 v78, v78, v78
	v_min_f32_e32 v90, v78, v89
	v_max_f32_e32 v78, v78, v89
	v_cndmask_b32_e64 v89, v78, v90, s[26:27]
	v_and_b32_e32 v78, 0x7f800000, v89
	v_cmp_ne_u32_e32 vcc, s68, v78
                                        ; implicit-def: $vgpr78
	s_and_saveexec_b64 s[44:45], vcc
	s_xor_b64 s[44:45], exec, s[44:45]
; %bb.970:                              ;   in Loop: Header=BB20_945 Depth=2
	v_bfe_u32 v78, v89, 16, 1
	v_add3_u32 v78, v89, v78, s69
                                        ; implicit-def: $vgpr89
; %bb.971:                              ;   in Loop: Header=BB20_945 Depth=2
	s_andn2_saveexec_b64 s[44:45], s[44:45]
; %bb.972:                              ;   in Loop: Header=BB20_945 Depth=2
	v_or_b32_e32 v78, 0x10000, v89
	v_cmp_eq_u32_sdwa vcc, v89, v3 src0_sel:WORD_0 src1_sel:DWORD
	s_nop 1
	v_cndmask_b32_e32 v78, v78, v89, vcc
; %bb.973:                              ;   in Loop: Header=BB20_945 Depth=2
	s_or_b64 exec, exec, s[44:45]
	v_lshlrev_b32_e32 v79, 16, v79
	v_lshlrev_b32_e32 v88, 16, v88
	v_max_f32_e32 v88, v88, v88
	v_max_f32_e32 v79, v79, v79
	v_min_f32_e32 v89, v79, v88
	v_max_f32_e32 v79, v79, v88
	v_cndmask_b32_e64 v88, v79, v89, s[26:27]
	v_and_b32_e32 v79, 0x7f800000, v88
	v_cmp_ne_u32_e32 vcc, s68, v79
                                        ; implicit-def: $vgpr79
	s_and_saveexec_b64 s[44:45], vcc
	s_xor_b64 s[44:45], exec, s[44:45]
; %bb.974:                              ;   in Loop: Header=BB20_945 Depth=2
	v_bfe_u32 v79, v88, 16, 1
	v_add3_u32 v79, v88, v79, s69
                                        ; implicit-def: $vgpr88
; %bb.975:                              ;   in Loop: Header=BB20_945 Depth=2
	s_andn2_saveexec_b64 s[44:45], s[44:45]
; %bb.976:                              ;   in Loop: Header=BB20_945 Depth=2
	v_or_b32_e32 v79, 0x10000, v88
	v_cmp_eq_u32_sdwa vcc, v88, v3 src0_sel:WORD_0 src1_sel:DWORD
	s_nop 1
	v_cndmask_b32_e32 v79, v79, v88, vcc
; %bb.977:                              ;   in Loop: Header=BB20_945 Depth=2
	s_or_b64 exec, exec, s[44:45]
	v_and_b32_e32 v88, 0xffff0000, v22
	v_lshlrev_b32_e32 v77, 16, v77
	v_max_f32_e32 v88, v88, v88
	v_max_f32_e32 v77, v77, v77
	v_min_f32_e32 v89, v88, v77
	v_max_f32_e32 v77, v88, v77
	v_cndmask_b32_e64 v77, v77, v89, s[26:27]
	v_and_b32_e32 v88, 0x7f800000, v77
	v_cmp_ne_u32_e32 vcc, s68, v88
                                        ; implicit-def: $vgpr88
	s_and_saveexec_b64 s[44:45], vcc
	s_xor_b64 s[44:45], exec, s[44:45]
; %bb.978:                              ;   in Loop: Header=BB20_945 Depth=2
	v_bfe_u32 v88, v77, 16, 1
	v_add3_u32 v88, v77, v88, s69
                                        ; implicit-def: $vgpr77
; %bb.979:                              ;   in Loop: Header=BB20_945 Depth=2
	s_andn2_saveexec_b64 s[44:45], s[44:45]
; %bb.980:                              ;   in Loop: Header=BB20_945 Depth=2
	v_or_b32_e32 v88, 0x10000, v77
	v_cmp_eq_u32_sdwa vcc, v77, v3 src0_sel:WORD_0 src1_sel:DWORD
	s_nop 1
	v_cndmask_b32_e32 v88, v88, v77, vcc
; %bb.981:                              ;   in Loop: Header=BB20_945 Depth=2
	s_or_b64 exec, exec, s[44:45]
	v_and_b32_e32 v77, 0xffff0000, v24
	v_lshlrev_b32_e32 v76, 16, v76
	v_max_f32_e32 v77, v77, v77
	v_max_f32_e32 v76, v76, v76
	flat_store_short_d16_hi v[8:9], v88 nt
	v_min_f32_e32 v88, v77, v76
	v_max_f32_e32 v76, v77, v76
	v_cndmask_b32_e64 v76, v76, v88, s[26:27]
	v_and_b32_e32 v77, 0x7f800000, v76
	v_cmp_ne_u32_e32 vcc, s68, v77
                                        ; implicit-def: $vgpr77
	s_and_saveexec_b64 s[44:45], vcc
	s_xor_b64 s[44:45], exec, s[44:45]
; %bb.982:                              ;   in Loop: Header=BB20_945 Depth=2
	v_bfe_u32 v77, v76, 16, 1
	v_add3_u32 v77, v76, v77, s69
                                        ; implicit-def: $vgpr76
; %bb.983:                              ;   in Loop: Header=BB20_945 Depth=2
	s_andn2_saveexec_b64 s[44:45], s[44:45]
; %bb.984:                              ;   in Loop: Header=BB20_945 Depth=2
	v_or_b32_e32 v77, 0x10000, v76
	v_cmp_eq_u32_sdwa vcc, v76, v3 src0_sel:WORD_0 src1_sel:DWORD
	s_nop 1
	v_cndmask_b32_e32 v77, v77, v76, vcc
; %bb.985:                              ;   in Loop: Header=BB20_945 Depth=2
	s_or_b64 exec, exec, s[44:45]
	v_and_b32_e32 v76, 0xffff0000, v26
	v_lshlrev_b32_e32 v74, 16, v74
	v_max_f32_e32 v76, v76, v76
	v_max_f32_e32 v74, v74, v74
	flat_store_short_d16_hi v[8:9], v77 offset:128 nt
	v_min_f32_e32 v77, v76, v74
	v_max_f32_e32 v74, v76, v74
	v_cndmask_b32_e64 v74, v74, v77, s[26:27]
	v_and_b32_e32 v76, 0x7f800000, v74
	v_cmp_ne_u32_e32 vcc, s68, v76
                                        ; implicit-def: $vgpr76
	s_and_saveexec_b64 s[44:45], vcc
	s_xor_b64 s[44:45], exec, s[44:45]
; %bb.986:                              ;   in Loop: Header=BB20_945 Depth=2
	v_bfe_u32 v76, v74, 16, 1
	v_add3_u32 v76, v74, v76, s69
                                        ; implicit-def: $vgpr74
; %bb.987:                              ;   in Loop: Header=BB20_945 Depth=2
	s_andn2_saveexec_b64 s[44:45], s[44:45]
; %bb.988:                              ;   in Loop: Header=BB20_945 Depth=2
	v_or_b32_e32 v76, 0x10000, v74
	v_cmp_eq_u32_sdwa vcc, v74, v3 src0_sel:WORD_0 src1_sel:DWORD
	s_nop 1
	v_cndmask_b32_e32 v76, v76, v74, vcc
; %bb.989:                              ;   in Loop: Header=BB20_945 Depth=2
	s_or_b64 exec, exec, s[44:45]
	v_and_b32_e32 v74, 0xffff0000, v33
	v_lshlrev_b32_e32 v34, 16, v34
	v_max_f32_e32 v74, v74, v74
	v_max_f32_e32 v34, v34, v34
	flat_store_short_d16_hi v[8:9], v76 offset:256 nt
	v_min_f32_e32 v76, v74, v34
	v_max_f32_e32 v34, v74, v34
	v_cndmask_b32_e64 v34, v34, v76, s[26:27]
	v_and_b32_e32 v74, 0x7f800000, v34
	v_cmp_ne_u32_e32 vcc, s68, v74
                                        ; implicit-def: $vgpr74
	s_and_saveexec_b64 s[44:45], vcc
	s_xor_b64 s[44:45], exec, s[44:45]
; %bb.990:                              ;   in Loop: Header=BB20_945 Depth=2
	v_bfe_u32 v74, v34, 16, 1
	v_add3_u32 v74, v34, v74, s69
                                        ; implicit-def: $vgpr34
; %bb.991:                              ;   in Loop: Header=BB20_945 Depth=2
	s_andn2_saveexec_b64 s[44:45], s[44:45]
; %bb.992:                              ;   in Loop: Header=BB20_945 Depth=2
	v_or_b32_e32 v74, 0x10000, v34
	v_cmp_eq_u32_sdwa vcc, v34, v3 src0_sel:WORD_0 src1_sel:DWORD
	s_nop 1
	v_cndmask_b32_e32 v74, v74, v34, vcc
; %bb.993:                              ;   in Loop: Header=BB20_945 Depth=2
	s_or_b64 exec, exec, s[44:45]
	v_and_b32_e32 v34, 0xffff0000, v35
	v_lshlrev_b32_e32 v27, 16, v27
	v_max_f32_e32 v34, v34, v34
	v_max_f32_e32 v27, v27, v27
	flat_store_short_d16_hi v[8:9], v74 offset:384 nt
	v_min_f32_e32 v74, v34, v27
	v_max_f32_e32 v27, v34, v27
	v_cndmask_b32_e64 v27, v27, v74, s[26:27]
	v_and_b32_e32 v34, 0x7f800000, v27
	v_cmp_ne_u32_e32 vcc, s68, v34
                                        ; implicit-def: $vgpr34
	s_and_saveexec_b64 s[44:45], vcc
	s_xor_b64 s[44:45], exec, s[44:45]
; %bb.994:                              ;   in Loop: Header=BB20_945 Depth=2
	v_bfe_u32 v34, v27, 16, 1
	v_add3_u32 v34, v27, v34, s69
                                        ; implicit-def: $vgpr27
; %bb.995:                              ;   in Loop: Header=BB20_945 Depth=2
	s_andn2_saveexec_b64 s[44:45], s[44:45]
; %bb.996:                              ;   in Loop: Header=BB20_945 Depth=2
	v_or_b32_e32 v34, 0x10000, v27
	v_cmp_eq_u32_sdwa vcc, v27, v3 src0_sel:WORD_0 src1_sel:DWORD
	s_nop 1
	v_cndmask_b32_e32 v34, v34, v27, vcc
; %bb.997:                              ;   in Loop: Header=BB20_945 Depth=2
	s_or_b64 exec, exec, s[44:45]
	v_and_b32_e32 v27, 0xffff0000, v75
	v_lshlrev_b32_e32 v32, 16, v32
	v_max_f32_e32 v27, v27, v27
	v_max_f32_e32 v32, v32, v32
	flat_store_short_d16_hi v[8:9], v34 offset:512 nt
	v_min_f32_e32 v34, v27, v32
	v_max_f32_e32 v27, v27, v32
	v_cndmask_b32_e64 v27, v27, v34, s[26:27]
	v_and_b32_e32 v32, 0x7f800000, v27
	v_cmp_ne_u32_e32 vcc, s68, v32
                                        ; implicit-def: $vgpr32
	s_and_saveexec_b64 s[44:45], vcc
	s_xor_b64 s[44:45], exec, s[44:45]
; %bb.998:                              ;   in Loop: Header=BB20_945 Depth=2
	v_bfe_u32 v32, v27, 16, 1
	v_add3_u32 v32, v27, v32, s69
                                        ; implicit-def: $vgpr27
; %bb.999:                              ;   in Loop: Header=BB20_945 Depth=2
	s_andn2_saveexec_b64 s[44:45], s[44:45]
; %bb.1000:                             ;   in Loop: Header=BB20_945 Depth=2
	v_or_b32_e32 v32, 0x10000, v27
	v_cmp_eq_u32_sdwa vcc, v27, v3 src0_sel:WORD_0 src1_sel:DWORD
	s_nop 1
	v_cndmask_b32_e32 v32, v32, v27, vcc
; %bb.1001:                             ;   in Loop: Header=BB20_945 Depth=2
	s_or_b64 exec, exec, s[44:45]
	v_and_b32_e32 v27, 0xffff0000, v78
	v_lshlrev_b32_e32 v25, 16, v25
	v_max_f32_e32 v27, v27, v27
	v_max_f32_e32 v25, v25, v25
	flat_store_short_d16_hi v[8:9], v32 offset:640 nt
	v_min_f32_e32 v32, v27, v25
	v_max_f32_e32 v25, v27, v25
	v_cndmask_b32_e64 v25, v25, v32, s[26:27]
	v_and_b32_e32 v27, 0x7f800000, v25
	v_cmp_ne_u32_e32 vcc, s68, v27
                                        ; implicit-def: $vgpr27
	s_and_saveexec_b64 s[44:45], vcc
	s_xor_b64 s[44:45], exec, s[44:45]
; %bb.1002:                             ;   in Loop: Header=BB20_945 Depth=2
	v_bfe_u32 v27, v25, 16, 1
	v_add3_u32 v27, v25, v27, s69
                                        ; implicit-def: $vgpr25
; %bb.1003:                             ;   in Loop: Header=BB20_945 Depth=2
	s_andn2_saveexec_b64 s[44:45], s[44:45]
; %bb.1004:                             ;   in Loop: Header=BB20_945 Depth=2
	v_or_b32_e32 v27, 0x10000, v25
	v_cmp_eq_u32_sdwa vcc, v25, v3 src0_sel:WORD_0 src1_sel:DWORD
	s_nop 1
	v_cndmask_b32_e32 v27, v27, v25, vcc
; %bb.1005:                             ;   in Loop: Header=BB20_945 Depth=2
	s_or_b64 exec, exec, s[44:45]
	v_and_b32_e32 v25, 0xffff0000, v79
	v_lshlrev_b32_e32 v23, 16, v23
	v_max_f32_e32 v25, v25, v25
	v_max_f32_e32 v23, v23, v23
	flat_store_short_d16_hi v[8:9], v27 offset:768 nt
	v_min_f32_e32 v27, v25, v23
	v_max_f32_e32 v23, v25, v23
	v_cndmask_b32_e64 v23, v23, v27, s[26:27]
	v_and_b32_e32 v25, 0x7f800000, v23
	v_cmp_ne_u32_e32 vcc, s68, v25
                                        ; implicit-def: $vgpr25
	s_and_saveexec_b64 s[44:45], vcc
	s_xor_b64 s[44:45], exec, s[44:45]
; %bb.1006:                             ;   in Loop: Header=BB20_945 Depth=2
	v_bfe_u32 v25, v23, 16, 1
	v_add3_u32 v25, v23, v25, s69
                                        ; implicit-def: $vgpr23
; %bb.1007:                             ;   in Loop: Header=BB20_945 Depth=2
	s_andn2_saveexec_b64 s[44:45], s[44:45]
	s_cbranch_execz .LBB20_944
; %bb.1008:                             ;   in Loop: Header=BB20_945 Depth=2
	v_or_b32_e32 v25, 0x10000, v23
	v_cmp_eq_u32_sdwa vcc, v23, v3 src0_sel:WORD_0 src1_sel:DWORD
	s_nop 1
	v_cndmask_b32_e32 v25, v25, v23, vcc
	s_branch .LBB20_944
.LBB20_1009:                            ;   in Loop: Header=BB20_47 Depth=1
	s_or_b64 exec, exec, s[40:41]
.LBB20_1010:                            ;   in Loop: Header=BB20_47 Depth=1
	s_or_b64 exec, exec, s[28:29]
	v_lshlrev_b32_e32 v8, 10, v21
	v_cmp_ne_u32_e32 vcc, v109, v8
	s_and_b64 exec, exec, vcc
	s_cbranch_execz .LBB20_1020
; %bb.1011:                             ;   in Loop: Header=BB20_47 Depth=1
	v_lshlrev_b32_e32 v2, 6, v2
	v_sub_u32_e32 v2, v19, v2
	v_lshlrev_b32_e32 v9, 6, v20
	v_sub_u32_e32 v2, v2, v9
	v_ashrrev_i32_e32 v9, 31, v2
	v_lshrrev_b32_e32 v9, 26, v9
	v_add_u32_e32 v9, v2, v9
	v_and_b32_e32 v10, 0x7fffffc0, v9
	v_sub_u32_e32 v2, v2, v10
	v_lshlrev_b32_e32 v9, 1, v9
	v_and_b32_e32 v9, 0xffffff80, v9
	v_lshlrev_b32_e32 v2, 1, v2
	v_add3_u32 v8, v9, v2, v8
	v_sub_u32_e32 v2, v109, v8
	v_cmp_lt_i32_e32 vcc, 1, v2
	s_and_b64 exec, exec, vcc
	s_cbranch_execz .LBB20_1020
; %bb.1012:                             ;   in Loop: Header=BB20_47 Depth=1
	v_add_u32_e32 v16, v8, v18
	s_trap 2
	ds_read_b64 v[18:19], v0
	s_and_b32 s76, s87, 1
	v_ashrrev_i32_e32 v17, 31, v16
	s_cmp_eq_u64 s[76:77], 0
	s_waitcnt lgkmcnt(0)
	v_lshl_add_u64 v[8:9], v[16:17], 0, v[72:73]
	v_lshl_add_u64 v[10:11], v[16:17], 0, v[38:39]
	;; [unrolled: 1-line block ×5, first 2 shown]
	s_mov_b64 s[44:45], 0
	s_cselect_b64 s[26:27], -1, 0
.LBB20_1013:                            ;   Parent Loop BB20_47 Depth=1
                                        ; =>  This Loop Header: Depth=2
                                        ;       Child Loop BB20_1018 Depth 3
	flat_load_ushort v18, v[16:17] nt
	flat_load_ushort v20, v[14:15] nt
	;; [unrolled: 1-line block ×3, first 2 shown]
	s_waitcnt vmcnt(0) lgkmcnt(0)
	v_lshlrev_b32_e32 v18, 16, v18
	v_lshlrev_b32_e32 v20, 16, v20
	v_max_f32_e32 v18, v18, v18
	v_max_f32_e32 v20, v20, v20
	v_min_f32_e32 v21, v20, v18
	v_max_f32_e32 v18, v20, v18
	v_cndmask_b32_e64 v20, v18, v21, s[26:27]
	v_and_b32_e32 v18, 0x7f800000, v20
	v_cmp_ne_u32_e32 vcc, s68, v18
                                        ; implicit-def: $vgpr18
	s_and_saveexec_b64 s[28:29], vcc
	s_xor_b64 s[28:29], exec, s[28:29]
; %bb.1014:                             ;   in Loop: Header=BB20_1013 Depth=2
	v_bfe_u32 v18, v20, 16, 1
	v_add3_u32 v18, v20, v18, s69
                                        ; implicit-def: $vgpr20
; %bb.1015:                             ;   in Loop: Header=BB20_1013 Depth=2
	s_andn2_saveexec_b64 s[28:29], s[28:29]
; %bb.1016:                             ;   in Loop: Header=BB20_1013 Depth=2
	v_or_b32_e32 v18, 0x10000, v20
	v_cmp_eq_u32_sdwa vcc, v20, v3 src0_sel:WORD_0 src1_sel:DWORD
	s_nop 1
	v_cndmask_b32_e32 v18, v18, v20, vcc
; %bb.1017:                             ;   in Loop: Header=BB20_1013 Depth=2
	s_or_b64 exec, exec, s[28:29]
	v_and_b32_e32 v20, 0xffff0000, v18
	v_lshlrev_b32_e32 v19, 16, v19
	v_max_f32_e32 v20, v20, v20
	v_max_f32_e32 v19, v19, v19
	v_min_f32_e32 v21, v20, v19
	v_max_f32_e32 v19, v20, v19
	v_cndmask_b32_e64 v19, v19, v21, s[26:27]
	v_and_b32_e32 v20, 0x7f800000, v19
	v_bfe_u32 v21, v19, 16, 1
	v_or_b32_e32 v22, 0x10000, v19
	v_cmp_eq_u32_sdwa vcc, v19, v3 src0_sel:WORD_0 src1_sel:DWORD
	v_add3_u32 v21, v19, v21, s69
	s_mov_b64 s[56:57], 0
	v_cndmask_b32_e32 v19, v22, v19, vcc
	v_cmp_eq_u32_e32 vcc, s68, v20
	s_mov_b64 s[46:47], -1
	s_nop 0
	v_cndmask_b32_e32 v19, v21, v19, vcc
.LBB20_1018:                            ;   Parent Loop BB20_47 Depth=1
                                        ;     Parent Loop BB20_1013 Depth=2
                                        ; =>    This Inner Loop Header: Depth=3
	v_cndmask_b32_e64 v20, 0, 1, s[46:47]
	s_cmp_eq_u32 s56, 1
	v_cmp_ne_u32_e32 vcc, 1, v20
	s_cselect_b64 s[28:29], -1, 0
	v_cndmask_b32_e64 v24, v18, v19, s[46:47]
	v_cndmask_b32_e32 v21, v11, v13, vcc
	v_cndmask_b32_e64 v23, v11, v13, s[28:29]
	s_cmp_eq_u32 s56, 0
	v_cndmask_b32_e32 v20, v10, v12, vcc
	v_cndmask_b32_e64 v22, v10, v12, s[28:29]
	flat_store_short_d16_hi v[20:21], v24 nt
	v_lshl_add_u64 v[20:21], v[22:23], 0, s[92:93]
	s_cselect_b64 vcc, -1, 0
	s_and_b64 s[40:41], exec, s[46:47]
	s_mov_b64 s[56:57], 1
	s_mov_b64 s[46:47], 0
	v_cndmask_b32_e64 v13, v13, v21, s[28:29]
	v_cndmask_b32_e64 v12, v12, v20, s[28:29]
	v_cndmask_b32_e32 v11, v11, v21, vcc
	v_cndmask_b32_e32 v10, v10, v20, vcc
	s_mov_b64 vcc, s[40:41]
	s_cbranch_vccnz .LBB20_1018
; %bb.1019:                             ;   in Loop: Header=BB20_1013 Depth=2
	v_sub_u32_e32 v2, v2, v102
	v_cmp_gt_i32_e32 vcc, 2, v2
	v_lshl_add_u64 v[14:15], v[14:15], 0, v[46:47]
	v_lshl_add_u64 v[16:17], v[16:17], 0, v[46:47]
	;; [unrolled: 1-line block ×4, first 2 shown]
	s_or_b64 s[44:45], vcc, s[44:45]
	v_lshl_add_u64 v[8:9], v[8:9], 0, v[46:47]
	s_andn2_b64 exec, exec, s[44:45]
	s_cbranch_execnz .LBB20_1013
.LBB20_1020:                            ;   in Loop: Header=BB20_47 Depth=1
	s_or_b64 exec, exec, s[42:43]
	s_branch .LBB20_756
.LBB20_1021:                            ;   in Loop: Header=BB20_47 Depth=1
	s_mov_b64 s[28:29], -1
	s_and_saveexec_b64 s[26:27], s[20:21]
	s_cbranch_execz .LBB20_1023
; %bb.1022:                             ;   in Loop: Header=BB20_47 Depth=1
	ds_read_b32 v2, v0 offset:720
	s_waitcnt lgkmcnt(0)
	v_and_b32_e32 v2, 15, v2
	v_cmp_eq_u32_e32 vcc, 0, v2
	s_orn2_b64 s[28:29], vcc, exec
.LBB20_1023:                            ;   in Loop: Header=BB20_47 Depth=1
	s_or_b64 exec, exec, s[26:27]
	s_and_saveexec_b64 s[26:27], s[16:17]
	s_cbranch_execz .LBB20_1025
; %bb.1024:                             ;   in Loop: Header=BB20_47 Depth=1
	ds_read_b32 v2, v0 offset:784
	s_waitcnt lgkmcnt(0)
	v_and_b32_e32 v2, 15, v2
	v_cmp_eq_u32_e32 vcc, 0, v2
	s_and_b64 s[40:41], s[28:29], vcc
	s_andn2_b64 s[28:29], s[28:29], exec
	s_and_b64 s[40:41], s[40:41], exec
	s_or_b64 s[28:29], s[28:29], s[40:41]
.LBB20_1025:                            ;   in Loop: Header=BB20_47 Depth=1
	s_or_b64 exec, exec, s[26:27]
	s_xor_b64 s[28:29], s[28:29], -1
	v_cndmask_b32_e64 v8, 0, 1, s[28:29]
	v_lshlrev_b32_e32 v2, 1, v37
	s_mov_b64 s[26:27], -1
	v_mov_b32_e32 v16, 0
	v_cmp_ne_u32_e32 vcc, 0, v8
	s_cbranch_vccz .LBB20_1027
; %bb.1026:                             ;   in Loop: Header=BB20_47 Depth=1
	v_mov_b32_e32 v17, v0
	s_and_saveexec_b64 s[28:29], s[26:27]
	s_cbranch_execnz .LBB20_1198
	s_branch .LBB20_1274
.LBB20_1027:                            ;   in Loop: Header=BB20_47 Depth=1
	v_ashrrev_i32_e32 v8, 31, v2
	v_lshrrev_b32_e32 v8, 21, v8
	v_add_u32_e32 v8, v2, v8
	v_ashrrev_i32_e32 v77, 11, v8
	v_sub_u32_e32 v76, v77, v94
	v_cmp_lt_i32_e32 vcc, 0, v76
	s_and_saveexec_b64 s[28:29], vcc
	s_cbranch_execz .LBB20_1159
; %bb.1028:                             ;   in Loop: Header=BB20_47 Depth=1
	s_trap 2
	ds_read_b64 v[8:9], v0
	s_and_b32 s76, s87, 1
	s_cmp_eq_u64 s[76:77], 0
	v_lshl_add_u64 v[50:51], v[48:49], 0, v[112:113]
	s_mov_b64 s[40:41], 0
	s_waitcnt lgkmcnt(0)
	v_lshl_add_u64 v[72:73], v[8:9], 0, v[112:113]
	s_cselect_b64 vcc, -1, 0
	v_mov_b64_e32 v[74:75], v[112:113]
	s_branch .LBB20_1030
.LBB20_1029:                            ;   in Loop: Header=BB20_1030 Depth=2
	s_or_b64 exec, exec, s[42:43]
	v_lshrrev_b32_e32 v14, 16, v14
	v_and_or_b32 v8, v8, s70, v14
	v_lshrrev_b32_e32 v14, 16, v16
	v_sub_u32_e32 v76, v76, v84
	v_lshrrev_b32_e32 v15, 16, v15
	v_and_or_b32 v10, v10, s70, v14
	v_lshrrev_b32_e32 v14, 16, v17
	v_cmp_gt_i32_e64 s[26:27], 1, v76
	v_and_or_b32 v9, v9, s70, v15
	v_and_or_b32 v11, v11, s70, v14
	v_lshl_add_u64 v[50:51], v[50:51], 0, v[114:115]
	v_lshl_add_u64 v[72:73], v[72:73], 0, v[114:115]
	s_or_b64 s[40:41], s[26:27], s[40:41]
	v_lshl_add_u64 v[74:75], v[74:75], 0, v[114:115]
	global_store_dwordx4 v[12:13], v[8:11], off offset:1024
	s_andn2_b64 exec, exec, s[40:41]
	s_cbranch_execz .LBB20_1158
.LBB20_1030:                            ;   Parent Loop BB20_47 Depth=1
                                        ; =>  This Inner Loop Header: Depth=2
	global_load_dwordx4 v[24:27], v[50:51], off nt
	global_load_dwordx4 v[32:35], v[72:73], off nt
	global_load_dwordx4 v[16:19], v[50:51], off offset:1024 nt
	global_load_dwordx4 v[12:15], v[74:75], off nt
	global_load_dwordx4 v[8:11], v[74:75], off offset:1024 nt
	global_load_dwordx4 v[20:23], v[72:73], off offset:1024 nt
	s_waitcnt vmcnt(0)
	v_lshlrev_b32_e32 v78, 16, v24
	v_lshlrev_b32_e32 v79, 16, v32
	v_max_f32_e32 v79, v79, v79
	v_max_f32_e32 v78, v78, v78
	v_min_f32_e32 v88, v78, v79
	v_max_f32_e32 v78, v78, v79
	v_cndmask_b32_e32 v79, v78, v88, vcc
	v_and_b32_e32 v78, 0x7f800000, v79
	v_cmp_ne_u32_e64 s[26:27], s68, v78
                                        ; implicit-def: $vgpr78
	s_and_saveexec_b64 s[42:43], s[26:27]
	s_xor_b64 s[26:27], exec, s[42:43]
; %bb.1031:                             ;   in Loop: Header=BB20_1030 Depth=2
	v_bfe_u32 v78, v79, 16, 1
	v_add3_u32 v78, v79, v78, s69
                                        ; implicit-def: $vgpr79
; %bb.1032:                             ;   in Loop: Header=BB20_1030 Depth=2
	s_andn2_saveexec_b64 s[42:43], s[26:27]
; %bb.1033:                             ;   in Loop: Header=BB20_1030 Depth=2
	v_or_b32_e32 v78, 0x10000, v79
	v_cmp_eq_u32_sdwa s[26:27], v79, v3 src0_sel:WORD_0 src1_sel:DWORD
	s_nop 1
	v_cndmask_b32_e64 v78, v78, v79, s[26:27]
; %bb.1034:                             ;   in Loop: Header=BB20_1030 Depth=2
	s_or_b64 exec, exec, s[42:43]
	v_and_b32_e32 v24, 0xffff0000, v24
	v_and_b32_e32 v32, 0xffff0000, v32
	v_max_f32_e32 v32, v32, v32
	v_max_f32_e32 v24, v24, v24
	v_min_f32_e32 v79, v24, v32
	v_max_f32_e32 v24, v24, v32
	v_cndmask_b32_e32 v32, v24, v79, vcc
	v_and_b32_e32 v24, 0x7f800000, v32
	v_cmp_ne_u32_e64 s[26:27], s68, v24
                                        ; implicit-def: $vgpr24
	s_and_saveexec_b64 s[42:43], s[26:27]
	s_xor_b64 s[26:27], exec, s[42:43]
; %bb.1035:                             ;   in Loop: Header=BB20_1030 Depth=2
	v_bfe_u32 v24, v32, 16, 1
	v_add3_u32 v24, v32, v24, s69
                                        ; implicit-def: $vgpr32
; %bb.1036:                             ;   in Loop: Header=BB20_1030 Depth=2
	s_andn2_saveexec_b64 s[42:43], s[26:27]
; %bb.1037:                             ;   in Loop: Header=BB20_1030 Depth=2
	v_or_b32_e32 v24, 0x10000, v32
	v_cmp_eq_u32_sdwa s[26:27], v32, v3 src0_sel:WORD_0 src1_sel:DWORD
	s_nop 1
	v_cndmask_b32_e64 v24, v24, v32, s[26:27]
; %bb.1038:                             ;   in Loop: Header=BB20_1030 Depth=2
	s_or_b64 exec, exec, s[42:43]
	v_lshlrev_b32_e32 v32, 16, v25
	v_lshlrev_b32_e32 v79, 16, v33
	v_max_f32_e32 v79, v79, v79
	v_max_f32_e32 v32, v32, v32
	v_min_f32_e32 v88, v32, v79
	v_max_f32_e32 v32, v32, v79
	v_cndmask_b32_e32 v79, v32, v88, vcc
	v_and_b32_e32 v32, 0x7f800000, v79
	v_cmp_ne_u32_e64 s[26:27], s68, v32
                                        ; implicit-def: $vgpr32
	s_and_saveexec_b64 s[42:43], s[26:27]
	s_xor_b64 s[26:27], exec, s[42:43]
; %bb.1039:                             ;   in Loop: Header=BB20_1030 Depth=2
	v_bfe_u32 v32, v79, 16, 1
	v_add3_u32 v32, v79, v32, s69
                                        ; implicit-def: $vgpr79
; %bb.1040:                             ;   in Loop: Header=BB20_1030 Depth=2
	s_andn2_saveexec_b64 s[42:43], s[26:27]
; %bb.1041:                             ;   in Loop: Header=BB20_1030 Depth=2
	v_or_b32_e32 v32, 0x10000, v79
	v_cmp_eq_u32_sdwa s[26:27], v79, v3 src0_sel:WORD_0 src1_sel:DWORD
	s_nop 1
	v_cndmask_b32_e64 v32, v32, v79, s[26:27]
; %bb.1042:                             ;   in Loop: Header=BB20_1030 Depth=2
	s_or_b64 exec, exec, s[42:43]
	v_and_b32_e32 v25, 0xffff0000, v25
	v_and_b32_e32 v33, 0xffff0000, v33
	v_max_f32_e32 v33, v33, v33
	v_max_f32_e32 v25, v25, v25
	v_min_f32_e32 v79, v25, v33
	v_max_f32_e32 v25, v25, v33
	v_cndmask_b32_e32 v33, v25, v79, vcc
	v_and_b32_e32 v25, 0x7f800000, v33
	v_cmp_ne_u32_e64 s[26:27], s68, v25
                                        ; implicit-def: $vgpr25
	s_and_saveexec_b64 s[42:43], s[26:27]
	s_xor_b64 s[26:27], exec, s[42:43]
; %bb.1043:                             ;   in Loop: Header=BB20_1030 Depth=2
	v_bfe_u32 v25, v33, 16, 1
	v_add3_u32 v25, v33, v25, s69
                                        ; implicit-def: $vgpr33
; %bb.1044:                             ;   in Loop: Header=BB20_1030 Depth=2
	s_andn2_saveexec_b64 s[42:43], s[26:27]
; %bb.1045:                             ;   in Loop: Header=BB20_1030 Depth=2
	v_or_b32_e32 v25, 0x10000, v33
	v_cmp_eq_u32_sdwa s[26:27], v33, v3 src0_sel:WORD_0 src1_sel:DWORD
	s_nop 1
	v_cndmask_b32_e64 v25, v25, v33, s[26:27]
; %bb.1046:                             ;   in Loop: Header=BB20_1030 Depth=2
	s_or_b64 exec, exec, s[42:43]
	v_lshlrev_b32_e32 v33, 16, v26
	v_lshlrev_b32_e32 v79, 16, v34
	v_max_f32_e32 v79, v79, v79
	v_max_f32_e32 v33, v33, v33
	v_min_f32_e32 v88, v33, v79
	v_max_f32_e32 v33, v33, v79
	v_cndmask_b32_e32 v79, v33, v88, vcc
	v_and_b32_e32 v33, 0x7f800000, v79
	v_cmp_ne_u32_e64 s[26:27], s68, v33
                                        ; implicit-def: $vgpr33
	s_and_saveexec_b64 s[42:43], s[26:27]
	s_xor_b64 s[26:27], exec, s[42:43]
; %bb.1047:                             ;   in Loop: Header=BB20_1030 Depth=2
	v_bfe_u32 v33, v79, 16, 1
	v_add3_u32 v33, v79, v33, s69
                                        ; implicit-def: $vgpr79
; %bb.1048:                             ;   in Loop: Header=BB20_1030 Depth=2
	s_andn2_saveexec_b64 s[42:43], s[26:27]
; %bb.1049:                             ;   in Loop: Header=BB20_1030 Depth=2
	v_or_b32_e32 v33, 0x10000, v79
	v_cmp_eq_u32_sdwa s[26:27], v79, v3 src0_sel:WORD_0 src1_sel:DWORD
	s_nop 1
	v_cndmask_b32_e64 v33, v33, v79, s[26:27]
; %bb.1050:                             ;   in Loop: Header=BB20_1030 Depth=2
	s_or_b64 exec, exec, s[42:43]
	v_and_b32_e32 v26, 0xffff0000, v26
	v_and_b32_e32 v34, 0xffff0000, v34
	v_max_f32_e32 v34, v34, v34
	v_max_f32_e32 v26, v26, v26
	v_min_f32_e32 v79, v26, v34
	v_max_f32_e32 v26, v26, v34
	v_cndmask_b32_e32 v34, v26, v79, vcc
	v_and_b32_e32 v26, 0x7f800000, v34
	v_cmp_ne_u32_e64 s[26:27], s68, v26
                                        ; implicit-def: $vgpr26
	s_and_saveexec_b64 s[42:43], s[26:27]
	s_xor_b64 s[26:27], exec, s[42:43]
; %bb.1051:                             ;   in Loop: Header=BB20_1030 Depth=2
	v_bfe_u32 v26, v34, 16, 1
	v_add3_u32 v26, v34, v26, s69
                                        ; implicit-def: $vgpr34
; %bb.1052:                             ;   in Loop: Header=BB20_1030 Depth=2
	s_andn2_saveexec_b64 s[42:43], s[26:27]
; %bb.1053:                             ;   in Loop: Header=BB20_1030 Depth=2
	v_or_b32_e32 v26, 0x10000, v34
	v_cmp_eq_u32_sdwa s[26:27], v34, v3 src0_sel:WORD_0 src1_sel:DWORD
	s_nop 1
	v_cndmask_b32_e64 v26, v26, v34, s[26:27]
; %bb.1054:                             ;   in Loop: Header=BB20_1030 Depth=2
	s_or_b64 exec, exec, s[42:43]
	v_lshlrev_b32_e32 v34, 16, v27
	v_lshlrev_b32_e32 v79, 16, v35
	v_max_f32_e32 v79, v79, v79
	v_max_f32_e32 v34, v34, v34
	v_min_f32_e32 v88, v34, v79
	v_max_f32_e32 v34, v34, v79
	v_cndmask_b32_e32 v79, v34, v88, vcc
	v_and_b32_e32 v34, 0x7f800000, v79
	v_cmp_ne_u32_e64 s[26:27], s68, v34
                                        ; implicit-def: $vgpr34
	s_and_saveexec_b64 s[42:43], s[26:27]
	s_xor_b64 s[26:27], exec, s[42:43]
; %bb.1055:                             ;   in Loop: Header=BB20_1030 Depth=2
	v_bfe_u32 v34, v79, 16, 1
	v_add3_u32 v34, v79, v34, s69
                                        ; implicit-def: $vgpr79
; %bb.1056:                             ;   in Loop: Header=BB20_1030 Depth=2
	s_andn2_saveexec_b64 s[42:43], s[26:27]
; %bb.1057:                             ;   in Loop: Header=BB20_1030 Depth=2
	v_or_b32_e32 v34, 0x10000, v79
	v_cmp_eq_u32_sdwa s[26:27], v79, v3 src0_sel:WORD_0 src1_sel:DWORD
	s_nop 1
	v_cndmask_b32_e64 v34, v34, v79, s[26:27]
; %bb.1058:                             ;   in Loop: Header=BB20_1030 Depth=2
	s_or_b64 exec, exec, s[42:43]
	v_and_b32_e32 v27, 0xffff0000, v27
	v_and_b32_e32 v35, 0xffff0000, v35
	v_max_f32_e32 v35, v35, v35
	v_max_f32_e32 v27, v27, v27
	v_min_f32_e32 v79, v27, v35
	v_max_f32_e32 v27, v27, v35
	v_cndmask_b32_e32 v35, v27, v79, vcc
	v_and_b32_e32 v27, 0x7f800000, v35
	v_cmp_ne_u32_e64 s[26:27], s68, v27
                                        ; implicit-def: $vgpr27
	s_and_saveexec_b64 s[42:43], s[26:27]
	s_xor_b64 s[26:27], exec, s[42:43]
; %bb.1059:                             ;   in Loop: Header=BB20_1030 Depth=2
	v_bfe_u32 v27, v35, 16, 1
	v_add3_u32 v27, v35, v27, s69
                                        ; implicit-def: $vgpr35
; %bb.1060:                             ;   in Loop: Header=BB20_1030 Depth=2
	s_andn2_saveexec_b64 s[42:43], s[26:27]
; %bb.1061:                             ;   in Loop: Header=BB20_1030 Depth=2
	v_or_b32_e32 v27, 0x10000, v35
	v_cmp_eq_u32_sdwa s[26:27], v35, v3 src0_sel:WORD_0 src1_sel:DWORD
	s_nop 1
	v_cndmask_b32_e64 v27, v27, v35, s[26:27]
; %bb.1062:                             ;   in Loop: Header=BB20_1030 Depth=2
	s_or_b64 exec, exec, s[42:43]
	v_lshlrev_b32_e32 v35, 16, v16
	v_lshlrev_b32_e32 v79, 16, v20
	v_max_f32_e32 v79, v79, v79
	v_max_f32_e32 v35, v35, v35
	v_min_f32_e32 v88, v35, v79
	v_max_f32_e32 v35, v35, v79
	v_cndmask_b32_e32 v79, v35, v88, vcc
	v_and_b32_e32 v35, 0x7f800000, v79
	v_cmp_ne_u32_e64 s[26:27], s68, v35
                                        ; implicit-def: $vgpr35
	s_and_saveexec_b64 s[42:43], s[26:27]
	s_xor_b64 s[26:27], exec, s[42:43]
; %bb.1063:                             ;   in Loop: Header=BB20_1030 Depth=2
	v_bfe_u32 v35, v79, 16, 1
	v_add3_u32 v35, v79, v35, s69
                                        ; implicit-def: $vgpr79
; %bb.1064:                             ;   in Loop: Header=BB20_1030 Depth=2
	s_andn2_saveexec_b64 s[42:43], s[26:27]
; %bb.1065:                             ;   in Loop: Header=BB20_1030 Depth=2
	v_or_b32_e32 v35, 0x10000, v79
	v_cmp_eq_u32_sdwa s[26:27], v79, v3 src0_sel:WORD_0 src1_sel:DWORD
	s_nop 1
	v_cndmask_b32_e64 v35, v35, v79, s[26:27]
; %bb.1066:                             ;   in Loop: Header=BB20_1030 Depth=2
	s_or_b64 exec, exec, s[42:43]
	v_and_b32_e32 v16, 0xffff0000, v16
	v_and_b32_e32 v20, 0xffff0000, v20
	v_max_f32_e32 v20, v20, v20
	v_max_f32_e32 v16, v16, v16
	v_min_f32_e32 v79, v16, v20
	v_max_f32_e32 v16, v16, v20
	v_cndmask_b32_e32 v20, v16, v79, vcc
	v_and_b32_e32 v16, 0x7f800000, v20
	v_cmp_ne_u32_e64 s[26:27], s68, v16
                                        ; implicit-def: $vgpr16
	s_and_saveexec_b64 s[42:43], s[26:27]
	s_xor_b64 s[26:27], exec, s[42:43]
; %bb.1067:                             ;   in Loop: Header=BB20_1030 Depth=2
	v_bfe_u32 v16, v20, 16, 1
	v_add3_u32 v16, v20, v16, s69
                                        ; implicit-def: $vgpr20
; %bb.1068:                             ;   in Loop: Header=BB20_1030 Depth=2
	s_andn2_saveexec_b64 s[42:43], s[26:27]
; %bb.1069:                             ;   in Loop: Header=BB20_1030 Depth=2
	v_or_b32_e32 v16, 0x10000, v20
	v_cmp_eq_u32_sdwa s[26:27], v20, v3 src0_sel:WORD_0 src1_sel:DWORD
	s_nop 1
	v_cndmask_b32_e64 v16, v16, v20, s[26:27]
; %bb.1070:                             ;   in Loop: Header=BB20_1030 Depth=2
	s_or_b64 exec, exec, s[42:43]
	v_lshlrev_b32_e32 v20, 16, v17
	v_lshlrev_b32_e32 v79, 16, v21
	v_max_f32_e32 v79, v79, v79
	v_max_f32_e32 v20, v20, v20
	v_min_f32_e32 v88, v20, v79
	v_max_f32_e32 v20, v20, v79
	v_cndmask_b32_e32 v79, v20, v88, vcc
	v_and_b32_e32 v20, 0x7f800000, v79
	v_cmp_ne_u32_e64 s[26:27], s68, v20
                                        ; implicit-def: $vgpr20
	s_and_saveexec_b64 s[42:43], s[26:27]
	s_xor_b64 s[26:27], exec, s[42:43]
; %bb.1071:                             ;   in Loop: Header=BB20_1030 Depth=2
	v_bfe_u32 v20, v79, 16, 1
	v_add3_u32 v20, v79, v20, s69
                                        ; implicit-def: $vgpr79
; %bb.1072:                             ;   in Loop: Header=BB20_1030 Depth=2
	s_andn2_saveexec_b64 s[42:43], s[26:27]
; %bb.1073:                             ;   in Loop: Header=BB20_1030 Depth=2
	v_or_b32_e32 v20, 0x10000, v79
	v_cmp_eq_u32_sdwa s[26:27], v79, v3 src0_sel:WORD_0 src1_sel:DWORD
	s_nop 1
	v_cndmask_b32_e64 v20, v20, v79, s[26:27]
; %bb.1074:                             ;   in Loop: Header=BB20_1030 Depth=2
	s_or_b64 exec, exec, s[42:43]
	v_and_b32_e32 v17, 0xffff0000, v17
	v_and_b32_e32 v21, 0xffff0000, v21
	v_max_f32_e32 v21, v21, v21
	v_max_f32_e32 v17, v17, v17
	v_min_f32_e32 v79, v17, v21
	v_max_f32_e32 v17, v17, v21
	v_cndmask_b32_e32 v21, v17, v79, vcc
	v_and_b32_e32 v17, 0x7f800000, v21
	v_cmp_ne_u32_e64 s[26:27], s68, v17
                                        ; implicit-def: $vgpr17
	s_and_saveexec_b64 s[42:43], s[26:27]
	s_xor_b64 s[26:27], exec, s[42:43]
; %bb.1075:                             ;   in Loop: Header=BB20_1030 Depth=2
	v_bfe_u32 v17, v21, 16, 1
	v_add3_u32 v17, v21, v17, s69
                                        ; implicit-def: $vgpr21
; %bb.1076:                             ;   in Loop: Header=BB20_1030 Depth=2
	s_andn2_saveexec_b64 s[42:43], s[26:27]
; %bb.1077:                             ;   in Loop: Header=BB20_1030 Depth=2
	v_or_b32_e32 v17, 0x10000, v21
	v_cmp_eq_u32_sdwa s[26:27], v21, v3 src0_sel:WORD_0 src1_sel:DWORD
	s_nop 1
	v_cndmask_b32_e64 v17, v17, v21, s[26:27]
; %bb.1078:                             ;   in Loop: Header=BB20_1030 Depth=2
	s_or_b64 exec, exec, s[42:43]
	v_lshlrev_b32_e32 v21, 16, v18
	v_lshlrev_b32_e32 v79, 16, v22
	v_max_f32_e32 v79, v79, v79
	v_max_f32_e32 v21, v21, v21
	v_min_f32_e32 v88, v21, v79
	v_max_f32_e32 v21, v21, v79
	v_cndmask_b32_e32 v79, v21, v88, vcc
	v_and_b32_e32 v21, 0x7f800000, v79
	v_cmp_ne_u32_e64 s[26:27], s68, v21
                                        ; implicit-def: $vgpr21
	s_and_saveexec_b64 s[42:43], s[26:27]
	s_xor_b64 s[26:27], exec, s[42:43]
; %bb.1079:                             ;   in Loop: Header=BB20_1030 Depth=2
	v_bfe_u32 v21, v79, 16, 1
	v_add3_u32 v21, v79, v21, s69
                                        ; implicit-def: $vgpr79
; %bb.1080:                             ;   in Loop: Header=BB20_1030 Depth=2
	s_andn2_saveexec_b64 s[42:43], s[26:27]
; %bb.1081:                             ;   in Loop: Header=BB20_1030 Depth=2
	v_or_b32_e32 v21, 0x10000, v79
	v_cmp_eq_u32_sdwa s[26:27], v79, v3 src0_sel:WORD_0 src1_sel:DWORD
	s_nop 1
	v_cndmask_b32_e64 v21, v21, v79, s[26:27]
; %bb.1082:                             ;   in Loop: Header=BB20_1030 Depth=2
	s_or_b64 exec, exec, s[42:43]
	v_and_b32_e32 v18, 0xffff0000, v18
	v_and_b32_e32 v22, 0xffff0000, v22
	v_max_f32_e32 v22, v22, v22
	v_max_f32_e32 v18, v18, v18
	v_min_f32_e32 v79, v18, v22
	v_max_f32_e32 v18, v18, v22
	v_cndmask_b32_e32 v22, v18, v79, vcc
	v_and_b32_e32 v18, 0x7f800000, v22
	v_cmp_ne_u32_e64 s[26:27], s68, v18
                                        ; implicit-def: $vgpr18
	s_and_saveexec_b64 s[42:43], s[26:27]
	s_xor_b64 s[26:27], exec, s[42:43]
; %bb.1083:                             ;   in Loop: Header=BB20_1030 Depth=2
	v_bfe_u32 v18, v22, 16, 1
	v_add3_u32 v18, v22, v18, s69
                                        ; implicit-def: $vgpr22
; %bb.1084:                             ;   in Loop: Header=BB20_1030 Depth=2
	s_andn2_saveexec_b64 s[42:43], s[26:27]
; %bb.1085:                             ;   in Loop: Header=BB20_1030 Depth=2
	v_or_b32_e32 v18, 0x10000, v22
	v_cmp_eq_u32_sdwa s[26:27], v22, v3 src0_sel:WORD_0 src1_sel:DWORD
	s_nop 1
	v_cndmask_b32_e64 v18, v18, v22, s[26:27]
; %bb.1086:                             ;   in Loop: Header=BB20_1030 Depth=2
	s_or_b64 exec, exec, s[42:43]
	v_lshlrev_b32_e32 v22, 16, v19
	v_lshlrev_b32_e32 v79, 16, v23
	v_max_f32_e32 v79, v79, v79
	v_max_f32_e32 v22, v22, v22
	v_min_f32_e32 v88, v22, v79
	v_max_f32_e32 v22, v22, v79
	v_cndmask_b32_e32 v79, v22, v88, vcc
	v_and_b32_e32 v22, 0x7f800000, v79
	v_cmp_ne_u32_e64 s[26:27], s68, v22
                                        ; implicit-def: $vgpr22
	s_and_saveexec_b64 s[42:43], s[26:27]
	s_xor_b64 s[26:27], exec, s[42:43]
; %bb.1087:                             ;   in Loop: Header=BB20_1030 Depth=2
	v_bfe_u32 v22, v79, 16, 1
	v_add3_u32 v22, v79, v22, s69
                                        ; implicit-def: $vgpr79
; %bb.1088:                             ;   in Loop: Header=BB20_1030 Depth=2
	s_andn2_saveexec_b64 s[42:43], s[26:27]
; %bb.1089:                             ;   in Loop: Header=BB20_1030 Depth=2
	v_or_b32_e32 v22, 0x10000, v79
	v_cmp_eq_u32_sdwa s[26:27], v79, v3 src0_sel:WORD_0 src1_sel:DWORD
	s_nop 1
	v_cndmask_b32_e64 v22, v22, v79, s[26:27]
; %bb.1090:                             ;   in Loop: Header=BB20_1030 Depth=2
	s_or_b64 exec, exec, s[42:43]
	v_and_b32_e32 v19, 0xffff0000, v19
	v_and_b32_e32 v23, 0xffff0000, v23
	v_max_f32_e32 v23, v23, v23
	v_max_f32_e32 v19, v19, v19
	v_min_f32_e32 v79, v19, v23
	v_max_f32_e32 v19, v19, v23
	v_cndmask_b32_e32 v23, v19, v79, vcc
	v_and_b32_e32 v19, 0x7f800000, v23
	v_cmp_ne_u32_e64 s[26:27], s68, v19
                                        ; implicit-def: $vgpr19
	s_and_saveexec_b64 s[42:43], s[26:27]
	s_xor_b64 s[26:27], exec, s[42:43]
; %bb.1091:                             ;   in Loop: Header=BB20_1030 Depth=2
	v_bfe_u32 v19, v23, 16, 1
	v_add3_u32 v19, v23, v19, s69
                                        ; implicit-def: $vgpr23
; %bb.1092:                             ;   in Loop: Header=BB20_1030 Depth=2
	s_andn2_saveexec_b64 s[42:43], s[26:27]
; %bb.1093:                             ;   in Loop: Header=BB20_1030 Depth=2
	v_or_b32_e32 v19, 0x10000, v23
	v_cmp_eq_u32_sdwa s[26:27], v23, v3 src0_sel:WORD_0 src1_sel:DWORD
	s_nop 1
	v_cndmask_b32_e64 v19, v19, v23, s[26:27]
; %bb.1094:                             ;   in Loop: Header=BB20_1030 Depth=2
	s_or_b64 exec, exec, s[42:43]
	v_and_b32_e32 v23, 0xffff0000, v78
	v_lshlrev_b32_e32 v78, 16, v12
	v_max_f32_e32 v23, v23, v23
	v_max_f32_e32 v78, v78, v78
	v_min_f32_e32 v79, v23, v78
	v_max_f32_e32 v23, v23, v78
	v_cndmask_b32_e32 v78, v23, v79, vcc
	v_and_b32_e32 v23, 0x7f800000, v78
	v_cmp_ne_u32_e64 s[26:27], s68, v23
                                        ; implicit-def: $vgpr23
	s_and_saveexec_b64 s[42:43], s[26:27]
	s_xor_b64 s[26:27], exec, s[42:43]
; %bb.1095:                             ;   in Loop: Header=BB20_1030 Depth=2
	v_bfe_u32 v23, v78, 16, 1
	v_add3_u32 v23, v78, v23, s69
                                        ; implicit-def: $vgpr78
; %bb.1096:                             ;   in Loop: Header=BB20_1030 Depth=2
	s_andn2_saveexec_b64 s[42:43], s[26:27]
; %bb.1097:                             ;   in Loop: Header=BB20_1030 Depth=2
	v_or_b32_e32 v23, 0x10000, v78
	v_cmp_eq_u32_sdwa s[26:27], v78, v3 src0_sel:WORD_0 src1_sel:DWORD
	s_nop 1
	v_cndmask_b32_e64 v23, v23, v78, s[26:27]
; %bb.1098:                             ;   in Loop: Header=BB20_1030 Depth=2
	s_or_b64 exec, exec, s[42:43]
	v_and_b32_e32 v12, 0xffff0000, v12
	v_and_b32_e32 v24, 0xffff0000, v24
	v_max_f32_e32 v12, v12, v12
	v_max_f32_e32 v24, v24, v24
	v_min_f32_e32 v78, v24, v12
	v_max_f32_e32 v12, v24, v12
	v_cndmask_b32_e32 v12, v12, v78, vcc
	v_and_b32_e32 v24, 0x7f800000, v12
	v_cmp_ne_u32_e64 s[26:27], s68, v24
                                        ; implicit-def: $vgpr24
	s_and_saveexec_b64 s[42:43], s[26:27]
	s_xor_b64 s[26:27], exec, s[42:43]
; %bb.1099:                             ;   in Loop: Header=BB20_1030 Depth=2
	v_bfe_u32 v24, v12, 16, 1
	v_add3_u32 v24, v12, v24, s69
                                        ; implicit-def: $vgpr12
; %bb.1100:                             ;   in Loop: Header=BB20_1030 Depth=2
	s_andn2_saveexec_b64 s[42:43], s[26:27]
; %bb.1101:                             ;   in Loop: Header=BB20_1030 Depth=2
	v_or_b32_e32 v24, 0x10000, v12
	v_cmp_eq_u32_sdwa s[26:27], v12, v3 src0_sel:WORD_0 src1_sel:DWORD
	s_nop 1
	v_cndmask_b32_e64 v24, v24, v12, s[26:27]
; %bb.1102:                             ;   in Loop: Header=BB20_1030 Depth=2
	s_or_b64 exec, exec, s[42:43]
	v_and_b32_e32 v12, 0xffff0000, v32
	v_lshlrev_b32_e32 v32, 16, v13
	v_max_f32_e32 v12, v12, v12
	v_max_f32_e32 v32, v32, v32
	v_min_f32_e32 v78, v12, v32
	v_max_f32_e32 v12, v12, v32
	v_cndmask_b32_e32 v12, v12, v78, vcc
	v_and_b32_e32 v32, 0x7f800000, v12
	v_cmp_ne_u32_e64 s[26:27], s68, v32
                                        ; implicit-def: $vgpr32
	s_and_saveexec_b64 s[42:43], s[26:27]
	s_xor_b64 s[26:27], exec, s[42:43]
; %bb.1103:                             ;   in Loop: Header=BB20_1030 Depth=2
	v_bfe_u32 v32, v12, 16, 1
	v_add3_u32 v32, v12, v32, s69
                                        ; implicit-def: $vgpr12
; %bb.1104:                             ;   in Loop: Header=BB20_1030 Depth=2
	s_andn2_saveexec_b64 s[42:43], s[26:27]
; %bb.1105:                             ;   in Loop: Header=BB20_1030 Depth=2
	v_or_b32_e32 v32, 0x10000, v12
	v_cmp_eq_u32_sdwa s[26:27], v12, v3 src0_sel:WORD_0 src1_sel:DWORD
	s_nop 1
	v_cndmask_b32_e64 v32, v32, v12, s[26:27]
; %bb.1106:                             ;   in Loop: Header=BB20_1030 Depth=2
	s_or_b64 exec, exec, s[42:43]
	v_and_b32_e32 v12, 0xffff0000, v13
	v_and_b32_e32 v13, 0xffff0000, v25
	v_max_f32_e32 v12, v12, v12
	v_max_f32_e32 v13, v13, v13
	v_min_f32_e32 v25, v13, v12
	v_max_f32_e32 v12, v13, v12
	v_cndmask_b32_e32 v12, v12, v25, vcc
	v_and_b32_e32 v13, 0x7f800000, v12
	v_cmp_ne_u32_e64 s[26:27], s68, v13
                                        ; implicit-def: $vgpr25
	s_and_saveexec_b64 s[42:43], s[26:27]
	s_xor_b64 s[26:27], exec, s[42:43]
; %bb.1107:                             ;   in Loop: Header=BB20_1030 Depth=2
	v_bfe_u32 v13, v12, 16, 1
	v_add3_u32 v25, v12, v13, s69
                                        ; implicit-def: $vgpr12
; %bb.1108:                             ;   in Loop: Header=BB20_1030 Depth=2
	s_andn2_saveexec_b64 s[42:43], s[26:27]
; %bb.1109:                             ;   in Loop: Header=BB20_1030 Depth=2
	v_or_b32_e32 v13, 0x10000, v12
	v_cmp_eq_u32_sdwa s[26:27], v12, v3 src0_sel:WORD_0 src1_sel:DWORD
	s_nop 1
	v_cndmask_b32_e64 v25, v13, v12, s[26:27]
; %bb.1110:                             ;   in Loop: Header=BB20_1030 Depth=2
	s_or_b64 exec, exec, s[42:43]
	v_and_b32_e32 v12, 0xffff0000, v33
	v_lshlrev_b32_e32 v13, 16, v14
	v_max_f32_e32 v12, v12, v12
	v_max_f32_e32 v13, v13, v13
	v_min_f32_e32 v33, v12, v13
	v_max_f32_e32 v12, v12, v13
	v_cndmask_b32_e32 v12, v12, v33, vcc
	v_and_b32_e32 v13, 0x7f800000, v12
	v_cmp_ne_u32_e64 s[26:27], s68, v13
                                        ; implicit-def: $vgpr33
	s_and_saveexec_b64 s[42:43], s[26:27]
	s_xor_b64 s[26:27], exec, s[42:43]
; %bb.1111:                             ;   in Loop: Header=BB20_1030 Depth=2
	v_bfe_u32 v13, v12, 16, 1
	v_add3_u32 v33, v12, v13, s69
                                        ; implicit-def: $vgpr12
; %bb.1112:                             ;   in Loop: Header=BB20_1030 Depth=2
	s_andn2_saveexec_b64 s[42:43], s[26:27]
; %bb.1113:                             ;   in Loop: Header=BB20_1030 Depth=2
	v_or_b32_e32 v13, 0x10000, v12
	v_cmp_eq_u32_sdwa s[26:27], v12, v3 src0_sel:WORD_0 src1_sel:DWORD
	s_nop 1
	v_cndmask_b32_e64 v33, v13, v12, s[26:27]
; %bb.1114:                             ;   in Loop: Header=BB20_1030 Depth=2
	s_or_b64 exec, exec, s[42:43]
	v_and_b32_e32 v12, 0xffff0000, v14
	v_and_b32_e32 v13, 0xffff0000, v26
	v_max_f32_e32 v12, v12, v12
	v_max_f32_e32 v13, v13, v13
	v_min_f32_e32 v14, v13, v12
	v_max_f32_e32 v12, v13, v12
	v_cndmask_b32_e32 v12, v12, v14, vcc
	v_and_b32_e32 v13, 0x7f800000, v12
	v_cmp_ne_u32_e64 s[26:27], s68, v13
                                        ; implicit-def: $vgpr14
	s_and_saveexec_b64 s[42:43], s[26:27]
	s_xor_b64 s[26:27], exec, s[42:43]
; %bb.1115:                             ;   in Loop: Header=BB20_1030 Depth=2
	v_bfe_u32 v13, v12, 16, 1
	v_add3_u32 v14, v12, v13, s69
                                        ; implicit-def: $vgpr12
; %bb.1116:                             ;   in Loop: Header=BB20_1030 Depth=2
	s_andn2_saveexec_b64 s[42:43], s[26:27]
; %bb.1117:                             ;   in Loop: Header=BB20_1030 Depth=2
	v_or_b32_e32 v13, 0x10000, v12
	v_cmp_eq_u32_sdwa s[26:27], v12, v3 src0_sel:WORD_0 src1_sel:DWORD
	s_nop 1
	v_cndmask_b32_e64 v14, v13, v12, s[26:27]
; %bb.1118:                             ;   in Loop: Header=BB20_1030 Depth=2
	s_or_b64 exec, exec, s[42:43]
	v_and_b32_e32 v12, 0xffff0000, v34
	v_lshlrev_b32_e32 v13, 16, v15
	v_max_f32_e32 v12, v12, v12
	v_max_f32_e32 v13, v13, v13
	v_min_f32_e32 v26, v12, v13
	v_max_f32_e32 v12, v12, v13
	v_cndmask_b32_e32 v12, v12, v26, vcc
	v_and_b32_e32 v13, 0x7f800000, v12
	v_cmp_ne_u32_e64 s[26:27], s68, v13
                                        ; implicit-def: $vgpr26
	s_and_saveexec_b64 s[42:43], s[26:27]
	s_xor_b64 s[26:27], exec, s[42:43]
; %bb.1119:                             ;   in Loop: Header=BB20_1030 Depth=2
	v_bfe_u32 v13, v12, 16, 1
	v_add3_u32 v26, v12, v13, s69
                                        ; implicit-def: $vgpr12
; %bb.1120:                             ;   in Loop: Header=BB20_1030 Depth=2
	s_andn2_saveexec_b64 s[42:43], s[26:27]
; %bb.1121:                             ;   in Loop: Header=BB20_1030 Depth=2
	v_or_b32_e32 v13, 0x10000, v12
	v_cmp_eq_u32_sdwa s[26:27], v12, v3 src0_sel:WORD_0 src1_sel:DWORD
	s_nop 1
	v_cndmask_b32_e64 v26, v13, v12, s[26:27]
; %bb.1122:                             ;   in Loop: Header=BB20_1030 Depth=2
	s_or_b64 exec, exec, s[42:43]
	v_and_b32_e32 v12, 0xffff0000, v15
	v_and_b32_e32 v13, 0xffff0000, v27
	v_max_f32_e32 v12, v12, v12
	v_max_f32_e32 v13, v13, v13
	v_min_f32_e32 v15, v13, v12
	v_max_f32_e32 v12, v13, v12
	v_cndmask_b32_e32 v12, v12, v15, vcc
	v_and_b32_e32 v13, 0x7f800000, v12
	v_cmp_ne_u32_e64 s[26:27], s68, v13
                                        ; implicit-def: $vgpr15
	s_and_saveexec_b64 s[42:43], s[26:27]
	s_xor_b64 s[26:27], exec, s[42:43]
; %bb.1123:                             ;   in Loop: Header=BB20_1030 Depth=2
	v_bfe_u32 v13, v12, 16, 1
	v_add3_u32 v15, v12, v13, s69
                                        ; implicit-def: $vgpr12
; %bb.1124:                             ;   in Loop: Header=BB20_1030 Depth=2
	s_andn2_saveexec_b64 s[42:43], s[26:27]
; %bb.1125:                             ;   in Loop: Header=BB20_1030 Depth=2
	v_or_b32_e32 v13, 0x10000, v12
	v_cmp_eq_u32_sdwa s[26:27], v12, v3 src0_sel:WORD_0 src1_sel:DWORD
	s_nop 1
	v_cndmask_b32_e64 v15, v13, v12, s[26:27]
; %bb.1126:                             ;   in Loop: Header=BB20_1030 Depth=2
	s_or_b64 exec, exec, s[42:43]
	v_lshrrev_b32_e32 v23, 16, v23
	v_and_or_b32 v88, v24, s70, v23
	v_lshrrev_b32_e32 v23, 16, v33
	v_and_or_b32 v90, v14, s70, v23
	v_lshrrev_b32_e32 v14, 16, v26
	v_and_b32_e32 v27, 0xffff0000, v35
	v_and_or_b32 v91, v15, s70, v14
	v_lshlrev_b32_e32 v14, 16, v8
	v_max_f32_e32 v15, v27, v27
	v_max_f32_e32 v14, v14, v14
	v_min_f32_e32 v23, v15, v14
	v_max_f32_e32 v14, v15, v14
	v_cndmask_b32_e32 v15, v14, v23, vcc
	v_lshrrev_b32_e32 v32, 16, v32
	v_and_b32_e32 v14, 0x7f800000, v15
	v_lshl_add_u64 v[12:13], v[38:39], 0, v[74:75]
	v_and_or_b32 v89, v25, s70, v32
	v_cmp_ne_u32_e64 s[26:27], s68, v14
	global_store_dwordx4 v[12:13], v[88:91], off
                                        ; implicit-def: $vgpr14
	s_and_saveexec_b64 s[42:43], s[26:27]
	s_xor_b64 s[26:27], exec, s[42:43]
; %bb.1127:                             ;   in Loop: Header=BB20_1030 Depth=2
	v_bfe_u32 v14, v15, 16, 1
	v_add3_u32 v14, v15, v14, s69
                                        ; implicit-def: $vgpr15
; %bb.1128:                             ;   in Loop: Header=BB20_1030 Depth=2
	s_andn2_saveexec_b64 s[42:43], s[26:27]
; %bb.1129:                             ;   in Loop: Header=BB20_1030 Depth=2
	v_or_b32_e32 v14, 0x10000, v15
	v_cmp_eq_u32_sdwa s[26:27], v15, v3 src0_sel:WORD_0 src1_sel:DWORD
	s_nop 1
	v_cndmask_b32_e64 v14, v14, v15, s[26:27]
; %bb.1130:                             ;   in Loop: Header=BB20_1030 Depth=2
	s_or_b64 exec, exec, s[42:43]
	v_and_b32_e32 v8, 0xffff0000, v8
	v_and_b32_e32 v15, 0xffff0000, v16
	v_max_f32_e32 v8, v8, v8
	v_max_f32_e32 v15, v15, v15
	v_min_f32_e32 v16, v15, v8
	v_max_f32_e32 v8, v15, v8
	v_cndmask_b32_e32 v15, v8, v16, vcc
	v_and_b32_e32 v8, 0x7f800000, v15
	v_cmp_ne_u32_e64 s[26:27], s68, v8
                                        ; implicit-def: $vgpr8
	s_and_saveexec_b64 s[42:43], s[26:27]
	s_xor_b64 s[26:27], exec, s[42:43]
; %bb.1131:                             ;   in Loop: Header=BB20_1030 Depth=2
	v_bfe_u32 v8, v15, 16, 1
	v_add3_u32 v8, v15, v8, s69
                                        ; implicit-def: $vgpr15
; %bb.1132:                             ;   in Loop: Header=BB20_1030 Depth=2
	s_andn2_saveexec_b64 s[42:43], s[26:27]
; %bb.1133:                             ;   in Loop: Header=BB20_1030 Depth=2
	v_or_b32_e32 v8, 0x10000, v15
	v_cmp_eq_u32_sdwa s[26:27], v15, v3 src0_sel:WORD_0 src1_sel:DWORD
	s_nop 1
	v_cndmask_b32_e64 v8, v8, v15, s[26:27]
; %bb.1134:                             ;   in Loop: Header=BB20_1030 Depth=2
	s_or_b64 exec, exec, s[42:43]
	v_and_b32_e32 v15, 0xffff0000, v20
	v_lshlrev_b32_e32 v16, 16, v9
	v_max_f32_e32 v15, v15, v15
	v_max_f32_e32 v16, v16, v16
	v_min_f32_e32 v20, v15, v16
	v_max_f32_e32 v15, v15, v16
	v_cndmask_b32_e32 v16, v15, v20, vcc
	v_and_b32_e32 v15, 0x7f800000, v16
	v_cmp_ne_u32_e64 s[26:27], s68, v15
                                        ; implicit-def: $vgpr15
	s_and_saveexec_b64 s[42:43], s[26:27]
	s_xor_b64 s[26:27], exec, s[42:43]
; %bb.1135:                             ;   in Loop: Header=BB20_1030 Depth=2
	v_bfe_u32 v15, v16, 16, 1
	v_add3_u32 v15, v16, v15, s69
                                        ; implicit-def: $vgpr16
; %bb.1136:                             ;   in Loop: Header=BB20_1030 Depth=2
	s_andn2_saveexec_b64 s[42:43], s[26:27]
; %bb.1137:                             ;   in Loop: Header=BB20_1030 Depth=2
	v_or_b32_e32 v15, 0x10000, v16
	v_cmp_eq_u32_sdwa s[26:27], v16, v3 src0_sel:WORD_0 src1_sel:DWORD
	s_nop 1
	v_cndmask_b32_e64 v15, v15, v16, s[26:27]
; %bb.1138:                             ;   in Loop: Header=BB20_1030 Depth=2
	s_or_b64 exec, exec, s[42:43]
	v_and_b32_e32 v9, 0xffff0000, v9
	v_and_b32_e32 v16, 0xffff0000, v17
	v_max_f32_e32 v9, v9, v9
	v_max_f32_e32 v16, v16, v16
	v_min_f32_e32 v17, v16, v9
	v_max_f32_e32 v9, v16, v9
	v_cndmask_b32_e32 v16, v9, v17, vcc
	v_and_b32_e32 v9, 0x7f800000, v16
	v_cmp_ne_u32_e64 s[26:27], s68, v9
                                        ; implicit-def: $vgpr9
	s_and_saveexec_b64 s[42:43], s[26:27]
	s_xor_b64 s[26:27], exec, s[42:43]
; %bb.1139:                             ;   in Loop: Header=BB20_1030 Depth=2
	v_bfe_u32 v9, v16, 16, 1
	v_add3_u32 v9, v16, v9, s69
                                        ; implicit-def: $vgpr16
; %bb.1140:                             ;   in Loop: Header=BB20_1030 Depth=2
	s_andn2_saveexec_b64 s[42:43], s[26:27]
; %bb.1141:                             ;   in Loop: Header=BB20_1030 Depth=2
	v_or_b32_e32 v9, 0x10000, v16
	v_cmp_eq_u32_sdwa s[26:27], v16, v3 src0_sel:WORD_0 src1_sel:DWORD
	s_nop 1
	v_cndmask_b32_e64 v9, v9, v16, s[26:27]
; %bb.1142:                             ;   in Loop: Header=BB20_1030 Depth=2
	s_or_b64 exec, exec, s[42:43]
	v_and_b32_e32 v16, 0xffff0000, v21
	v_lshlrev_b32_e32 v17, 16, v10
	v_max_f32_e32 v16, v16, v16
	v_max_f32_e32 v17, v17, v17
	v_min_f32_e32 v20, v16, v17
	v_max_f32_e32 v16, v16, v17
	v_cndmask_b32_e32 v17, v16, v20, vcc
	v_and_b32_e32 v16, 0x7f800000, v17
	v_cmp_ne_u32_e64 s[26:27], s68, v16
                                        ; implicit-def: $vgpr16
	s_and_saveexec_b64 s[42:43], s[26:27]
	s_xor_b64 s[26:27], exec, s[42:43]
; %bb.1143:                             ;   in Loop: Header=BB20_1030 Depth=2
	v_bfe_u32 v16, v17, 16, 1
	v_add3_u32 v16, v17, v16, s69
                                        ; implicit-def: $vgpr17
; %bb.1144:                             ;   in Loop: Header=BB20_1030 Depth=2
	s_andn2_saveexec_b64 s[42:43], s[26:27]
; %bb.1145:                             ;   in Loop: Header=BB20_1030 Depth=2
	v_or_b32_e32 v16, 0x10000, v17
	v_cmp_eq_u32_sdwa s[26:27], v17, v3 src0_sel:WORD_0 src1_sel:DWORD
	s_nop 1
	v_cndmask_b32_e64 v16, v16, v17, s[26:27]
; %bb.1146:                             ;   in Loop: Header=BB20_1030 Depth=2
	s_or_b64 exec, exec, s[42:43]
	v_and_b32_e32 v10, 0xffff0000, v10
	v_and_b32_e32 v17, 0xffff0000, v18
	v_max_f32_e32 v10, v10, v10
	v_max_f32_e32 v17, v17, v17
	v_min_f32_e32 v18, v17, v10
	v_max_f32_e32 v10, v17, v10
	v_cndmask_b32_e32 v17, v10, v18, vcc
	v_and_b32_e32 v10, 0x7f800000, v17
	v_cmp_ne_u32_e64 s[26:27], s68, v10
                                        ; implicit-def: $vgpr10
	s_and_saveexec_b64 s[42:43], s[26:27]
	s_xor_b64 s[26:27], exec, s[42:43]
; %bb.1147:                             ;   in Loop: Header=BB20_1030 Depth=2
	v_bfe_u32 v10, v17, 16, 1
	v_add3_u32 v10, v17, v10, s69
                                        ; implicit-def: $vgpr17
; %bb.1148:                             ;   in Loop: Header=BB20_1030 Depth=2
	s_andn2_saveexec_b64 s[42:43], s[26:27]
; %bb.1149:                             ;   in Loop: Header=BB20_1030 Depth=2
	v_or_b32_e32 v10, 0x10000, v17
	v_cmp_eq_u32_sdwa s[26:27], v17, v3 src0_sel:WORD_0 src1_sel:DWORD
	s_nop 1
	v_cndmask_b32_e64 v10, v10, v17, s[26:27]
; %bb.1150:                             ;   in Loop: Header=BB20_1030 Depth=2
	s_or_b64 exec, exec, s[42:43]
	v_and_b32_e32 v17, 0xffff0000, v22
	v_lshlrev_b32_e32 v18, 16, v11
	v_max_f32_e32 v17, v17, v17
	v_max_f32_e32 v18, v18, v18
	v_min_f32_e32 v20, v17, v18
	v_max_f32_e32 v17, v17, v18
	v_cndmask_b32_e32 v18, v17, v20, vcc
	v_and_b32_e32 v17, 0x7f800000, v18
	v_cmp_ne_u32_e64 s[26:27], s68, v17
                                        ; implicit-def: $vgpr17
	s_and_saveexec_b64 s[42:43], s[26:27]
	s_xor_b64 s[26:27], exec, s[42:43]
; %bb.1151:                             ;   in Loop: Header=BB20_1030 Depth=2
	v_bfe_u32 v17, v18, 16, 1
	v_add3_u32 v17, v18, v17, s69
                                        ; implicit-def: $vgpr18
; %bb.1152:                             ;   in Loop: Header=BB20_1030 Depth=2
	s_andn2_saveexec_b64 s[42:43], s[26:27]
; %bb.1153:                             ;   in Loop: Header=BB20_1030 Depth=2
	v_or_b32_e32 v17, 0x10000, v18
	v_cmp_eq_u32_sdwa s[26:27], v18, v3 src0_sel:WORD_0 src1_sel:DWORD
	s_nop 1
	v_cndmask_b32_e64 v17, v17, v18, s[26:27]
; %bb.1154:                             ;   in Loop: Header=BB20_1030 Depth=2
	s_or_b64 exec, exec, s[42:43]
	v_and_b32_e32 v11, 0xffff0000, v11
	v_and_b32_e32 v18, 0xffff0000, v19
	v_max_f32_e32 v11, v11, v11
	v_max_f32_e32 v18, v18, v18
	v_min_f32_e32 v19, v18, v11
	v_max_f32_e32 v11, v18, v11
	v_cndmask_b32_e32 v18, v11, v19, vcc
	v_and_b32_e32 v11, 0x7f800000, v18
	v_cmp_ne_u32_e64 s[26:27], s68, v11
                                        ; implicit-def: $vgpr11
	s_and_saveexec_b64 s[42:43], s[26:27]
	s_xor_b64 s[26:27], exec, s[42:43]
; %bb.1155:                             ;   in Loop: Header=BB20_1030 Depth=2
	v_bfe_u32 v11, v18, 16, 1
	v_add3_u32 v11, v18, v11, s69
                                        ; implicit-def: $vgpr18
; %bb.1156:                             ;   in Loop: Header=BB20_1030 Depth=2
	s_andn2_saveexec_b64 s[42:43], s[26:27]
	s_cbranch_execz .LBB20_1029
; %bb.1157:                             ;   in Loop: Header=BB20_1030 Depth=2
	v_or_b32_e32 v11, 0x10000, v18
	v_cmp_eq_u32_sdwa s[26:27], v18, v3 src0_sel:WORD_0 src1_sel:DWORD
	s_nop 1
	v_cndmask_b32_e64 v11, v11, v18, s[26:27]
	s_branch .LBB20_1029
.LBB20_1158:                            ;   in Loop: Header=BB20_47 Depth=1
	s_or_b64 exec, exec, s[40:41]
.LBB20_1159:                            ;   in Loop: Header=BB20_47 Depth=1
	s_or_b64 exec, exec, s[28:29]
	v_lshlrev_b32_e32 v26, 11, v77
	v_cmp_ne_u32_e32 vcc, v2, v26
	s_mov_b64 s[26:27], 0
	v_mov_b32_e32 v16, 0
                                        ; implicit-def: $vgpr17
	s_and_saveexec_b64 s[40:41], vcc
	s_cbranch_execz .LBB20_1197
; %bb.1160:                             ;   in Loop: Header=BB20_47 Depth=1
	v_lshlrev_b32_e32 v8, 6, v76
	v_sub_u32_e32 v8, v93, v8
	v_ashrrev_i32_e32 v10, 31, v8
	v_lshrrev_b32_e32 v10, 26, v10
	v_add_u32_e32 v10, v8, v10
	v_sub_u32_e32 v9, v2, v26
	v_ashrrev_i32_e32 v11, 6, v10
	v_and_b32_e32 v10, 0xffffffc0, v10
	v_sub_u32_e32 v27, v8, v10
	v_ashrrev_i32_e32 v10, 31, v9
	v_lshrrev_b32_e32 v10, 22, v10
	v_add_u32_e32 v10, v9, v10
	v_and_b32_e32 v32, 0xfffffc00, v10
	v_lshlrev_b32_e32 v8, 4, v27
	v_sub_u32_e32 v33, v9, v32
	v_lshl_add_u32 v8, v11, 10, v8
	v_ashrrev_i32_e32 v12, 10, v10
	v_cmp_lt_i32_e32 vcc, 15, v33
	v_sub_u32_e32 v35, v9, v8
	s_nop 0
	v_addc_co_u32_e64 v9, s[26:27], 0, v12, vcc
	v_sub_u32_e32 v34, v9, v11
	v_cmp_lt_i32_e64 s[26:27], 15, v35
	s_and_saveexec_b64 s[42:43], s[26:27]
	s_cbranch_execz .LBB20_1196
; %bb.1161:                             ;   in Loop: Header=BB20_47 Depth=1
	s_trap 2
	ds_read_b64 v[10:11], v0
	v_add_u32_e32 v20, v8, v26
	s_and_b32 s76, s87, 1
	v_ashrrev_i32_e32 v21, 31, v20
	s_cmp_eq_u64 s[76:77], 0
	v_lshl_add_u64 v[22:23], v[20:21], 0, v[48:49]
	s_waitcnt lgkmcnt(0)
	v_lshl_add_u64 v[24:25], v[10:11], 0, v[20:21]
	s_mov_b64 s[44:45], 0
	s_cselect_b64 s[26:27], -1, 0
	s_branch .LBB20_1163
.LBB20_1162:                            ;   in Loop: Header=BB20_1163 Depth=2
	s_or_b64 exec, exec, s[46:47]
	v_and_b32_e32 v19, 0xffff0000, v51
	v_and_b32_e32 v50, 0xffff0000, v50
	;; [unrolled: 1-line block ×4, first 2 shown]
	v_lshlrev_b32_e32 v8, 16, v8
	v_max_f32_e32 v50, v50, v50
	v_max_f32_e32 v8, v8, v8
	v_min_f32_e32 v73, v50, v8
	v_max_f32_e32 v8, v50, v8
	v_and_b32_e32 v16, 0xffff0000, v16
	v_cndmask_b32_e64 v8, v8, v73, s[26:27]
	v_bfe_u32 v73, v8, 16, 1
	v_or_b32_e32 v74, 0x10000, v8
	v_cmp_eq_u32_sdwa s[28:29], v8, v3 src0_sel:WORD_0 src1_sel:DWORD
	v_max_f32_e32 v16, v16, v16
	v_max_f32_e32 v72, v72, v72
	v_and_b32_e32 v50, 0x7f800000, v8
	v_add3_u32 v73, v8, v73, s69
	v_cndmask_b32_e64 v8, v74, v8, s[28:29]
	v_min_f32_e32 v74, v16, v72
	v_max_f32_e32 v16, v16, v72
	v_cndmask_b32_e64 v16, v16, v74, s[26:27]
	v_bfe_u32 v74, v16, 16, 1
	v_or_b32_e32 v75, 0x10000, v16
	v_cmp_eq_u32_sdwa s[28:29], v16, v3 src0_sel:WORD_0 src1_sel:DWORD
	v_and_b32_e32 v72, 0x7f800000, v16
	v_add3_u32 v74, v16, v74, s69
	v_cndmask_b32_e64 v16, v75, v16, s[28:29]
	v_and_b32_e32 v75, 0xffff0000, v9
	v_lshlrev_b32_e32 v9, 16, v9
	v_max_f32_e32 v19, v19, v19
	v_max_f32_e32 v9, v9, v9
	v_min_f32_e32 v76, v19, v9
	v_max_f32_e32 v9, v19, v9
	v_and_b32_e32 v17, 0xffff0000, v17
	v_cndmask_b32_e64 v9, v9, v76, s[26:27]
	v_bfe_u32 v76, v9, 16, 1
	v_or_b32_e32 v77, 0x10000, v9
	v_cmp_eq_u32_sdwa s[28:29], v9, v3 src0_sel:WORD_0 src1_sel:DWORD
	v_max_f32_e32 v17, v17, v17
	v_max_f32_e32 v75, v75, v75
	v_and_b32_e32 v19, 0x7f800000, v9
	v_add3_u32 v76, v9, v76, s69
	v_cndmask_b32_e64 v9, v77, v9, s[28:29]
	v_min_f32_e32 v77, v17, v75
	v_max_f32_e32 v17, v17, v75
	v_cndmask_b32_e64 v17, v17, v77, s[26:27]
	v_bfe_u32 v77, v17, 16, 1
	v_or_b32_e32 v78, 0x10000, v17
	v_cmp_eq_u32_sdwa s[28:29], v17, v3 src0_sel:WORD_0 src1_sel:DWORD
	v_and_b32_e32 v75, 0x7f800000, v17
	v_add3_u32 v77, v17, v77, s69
	v_cndmask_b32_e64 v17, v78, v17, s[28:29]
	v_and_b32_e32 v78, 0xffff0000, v10
	v_lshlrev_b32_e32 v10, 16, v10
	v_max_f32_e32 v51, v51, v51
	v_max_f32_e32 v10, v10, v10
	v_min_f32_e32 v79, v51, v10
	v_max_f32_e32 v10, v51, v10
	v_and_b32_e32 v14, 0xffff0000, v14
	v_cndmask_b32_e64 v10, v10, v79, s[26:27]
	v_bfe_u32 v79, v10, 16, 1
	v_or_b32_e32 v88, 0x10000, v10
	v_cmp_eq_u32_sdwa s[28:29], v10, v3 src0_sel:WORD_0 src1_sel:DWORD
	v_max_f32_e32 v14, v14, v14
	v_max_f32_e32 v78, v78, v78
	v_and_b32_e32 v51, 0x7f800000, v10
	v_add3_u32 v79, v10, v79, s69
	v_cndmask_b32_e64 v10, v88, v10, s[28:29]
	v_min_f32_e32 v88, v14, v78
	v_max_f32_e32 v14, v14, v78
	v_cndmask_b32_e64 v14, v14, v88, s[26:27]
	v_bfe_u32 v88, v14, 16, 1
	v_or_b32_e32 v89, 0x10000, v14
	v_cmp_eq_u32_sdwa s[28:29], v14, v3 src0_sel:WORD_0 src1_sel:DWORD
	v_and_b32_e32 v18, 0xffff0000, v18
	v_and_b32_e32 v78, 0x7f800000, v14
	v_add3_u32 v88, v14, v88, s69
	v_cndmask_b32_e64 v14, v89, v14, s[28:29]
	v_and_b32_e32 v89, 0xffff0000, v11
	v_lshlrev_b32_e32 v11, 16, v11
	v_max_f32_e32 v18, v18, v18
	v_max_f32_e32 v11, v11, v11
	v_min_f32_e32 v90, v18, v11
	v_max_f32_e32 v11, v18, v11
	v_and_b32_e32 v15, 0xffff0000, v15
	v_cndmask_b32_e64 v11, v11, v90, s[26:27]
	v_bfe_u32 v90, v11, 16, 1
	v_or_b32_e32 v91, 0x10000, v11
	v_cmp_eq_u32_sdwa s[28:29], v11, v3 src0_sel:WORD_0 src1_sel:DWORD
	v_max_f32_e32 v15, v15, v15
	v_max_f32_e32 v89, v89, v89
	v_and_b32_e32 v18, 0x7f800000, v11
	v_add3_u32 v90, v11, v90, s69
	v_cndmask_b32_e64 v11, v91, v11, s[28:29]
	v_min_f32_e32 v91, v15, v89
	v_max_f32_e32 v15, v15, v89
	v_cndmask_b32_e64 v15, v15, v91, s[26:27]
	v_bfe_u32 v91, v15, 16, 1
	v_or_b32_e32 v109, 0x10000, v15
	v_cmp_eq_u32_sdwa s[28:29], v15, v3 src0_sel:WORD_0 src1_sel:DWORD
	v_and_b32_e32 v89, 0x7f800000, v15
	v_add3_u32 v91, v15, v91, s69
	v_cndmask_b32_e64 v15, v109, v15, s[28:29]
	v_cmp_eq_u32_e64 s[28:29], s68, v50
	v_sub_u32_e32 v35, v35, v100
	v_lshl_add_u64 v[12:13], v[38:39], 0, v[20:21]
	v_cndmask_b32_e64 v8, v73, v8, s[28:29]
	v_cmp_eq_u32_e64 s[28:29], s68, v72
	v_lshrrev_b32_e32 v8, 16, v8
	v_lshl_add_u64 v[22:23], v[22:23], 0, v[100:101]
	v_cndmask_b32_e64 v16, v74, v16, s[28:29]
	v_cmp_eq_u32_e64 s[28:29], s68, v19
	v_and_or_b32 v8, v16, s70, v8
	v_lshl_add_u64 v[24:25], v[24:25], 0, v[100:101]
	v_cndmask_b32_e64 v9, v76, v9, s[28:29]
	v_cmp_eq_u32_e64 s[28:29], s68, v75
	v_lshrrev_b32_e32 v9, 16, v9
	v_lshl_add_u64 v[20:21], v[20:21], 0, v[100:101]
	v_cndmask_b32_e64 v17, v77, v17, s[28:29]
	v_cmp_eq_u32_e64 s[28:29], s68, v51
	v_and_or_b32 v9, v17, s70, v9
	v_sub_u32_e32 v34, v34, v84
	v_cndmask_b32_e64 v10, v79, v10, s[28:29]
	v_cmp_eq_u32_e64 s[28:29], s68, v78
	v_lshrrev_b32_e32 v10, 16, v10
	s_nop 0
	v_cndmask_b32_e64 v14, v88, v14, s[28:29]
	v_cmp_eq_u32_e64 s[28:29], s68, v18
	v_and_or_b32 v10, v14, s70, v10
	s_nop 0
	v_cndmask_b32_e64 v11, v90, v11, s[28:29]
	v_cmp_eq_u32_e64 s[28:29], s68, v89
	v_lshrrev_b32_e32 v11, 16, v11
	s_nop 0
	v_cndmask_b32_e64 v15, v91, v15, s[28:29]
	v_cmp_gt_i32_e64 s[28:29], 16, v35
	v_and_or_b32 v11, v15, s70, v11
	s_or_b64 s[44:45], s[28:29], s[44:45]
	global_store_dwordx4 v[12:13], v[8:11], off
	s_andn2_b64 exec, exec, s[44:45]
	s_cbranch_execz .LBB20_1195
.LBB20_1163:                            ;   Parent Loop BB20_47 Depth=1
                                        ; =>  This Inner Loop Header: Depth=2
	global_load_dwordx4 v[12:15], v[24:25], off nt
	global_load_dwordx4 v[16:19], v[22:23], off nt
	;; [unrolled: 1-line block ×3, first 2 shown]
	s_waitcnt vmcnt(0)
	v_lshlrev_b32_e32 v50, 16, v12
	v_lshlrev_b32_e32 v51, 16, v16
	v_max_f32_e32 v50, v50, v50
	v_max_f32_e32 v51, v51, v51
	v_min_f32_e32 v72, v51, v50
	v_max_f32_e32 v50, v51, v50
	v_cndmask_b32_e64 v51, v50, v72, s[26:27]
	v_and_b32_e32 v50, 0x7f800000, v51
	v_cmp_ne_u32_e64 s[28:29], s68, v50
                                        ; implicit-def: $vgpr50
	s_and_saveexec_b64 s[46:47], s[28:29]
	s_xor_b64 s[28:29], exec, s[46:47]
; %bb.1164:                             ;   in Loop: Header=BB20_1163 Depth=2
	v_bfe_u32 v50, v51, 16, 1
	v_add3_u32 v50, v51, v50, s69
                                        ; implicit-def: $vgpr51
; %bb.1165:                             ;   in Loop: Header=BB20_1163 Depth=2
	s_andn2_saveexec_b64 s[46:47], s[28:29]
; %bb.1166:                             ;   in Loop: Header=BB20_1163 Depth=2
	v_or_b32_e32 v50, 0x10000, v51
	v_cmp_eq_u32_sdwa s[28:29], v51, v3 src0_sel:WORD_0 src1_sel:DWORD
	s_nop 1
	v_cndmask_b32_e64 v50, v50, v51, s[28:29]
; %bb.1167:                             ;   in Loop: Header=BB20_1163 Depth=2
	s_or_b64 exec, exec, s[46:47]
	v_and_b32_e32 v12, 0xffff0000, v12
	v_and_b32_e32 v16, 0xffff0000, v16
	v_max_f32_e32 v12, v12, v12
	v_max_f32_e32 v16, v16, v16
	v_min_f32_e32 v51, v16, v12
	v_max_f32_e32 v12, v16, v12
	v_cndmask_b32_e64 v12, v12, v51, s[26:27]
	v_and_b32_e32 v16, 0x7f800000, v12
	v_cmp_ne_u32_e64 s[28:29], s68, v16
                                        ; implicit-def: $vgpr16
	s_and_saveexec_b64 s[46:47], s[28:29]
	s_xor_b64 s[28:29], exec, s[46:47]
; %bb.1168:                             ;   in Loop: Header=BB20_1163 Depth=2
	v_bfe_u32 v16, v12, 16, 1
	v_add3_u32 v16, v12, v16, s69
                                        ; implicit-def: $vgpr12
; %bb.1169:                             ;   in Loop: Header=BB20_1163 Depth=2
	s_andn2_saveexec_b64 s[46:47], s[28:29]
; %bb.1170:                             ;   in Loop: Header=BB20_1163 Depth=2
	v_or_b32_e32 v16, 0x10000, v12
	v_cmp_eq_u32_sdwa s[28:29], v12, v3 src0_sel:WORD_0 src1_sel:DWORD
	s_nop 1
	v_cndmask_b32_e64 v16, v16, v12, s[28:29]
; %bb.1171:                             ;   in Loop: Header=BB20_1163 Depth=2
	s_or_b64 exec, exec, s[46:47]
	v_lshlrev_b32_e32 v12, 16, v13
	v_lshlrev_b32_e32 v51, 16, v17
	v_max_f32_e32 v12, v12, v12
	v_max_f32_e32 v51, v51, v51
	v_min_f32_e32 v72, v51, v12
	v_max_f32_e32 v12, v51, v12
	v_cndmask_b32_e64 v12, v12, v72, s[26:27]
	v_and_b32_e32 v51, 0x7f800000, v12
	v_cmp_ne_u32_e64 s[28:29], s68, v51
                                        ; implicit-def: $vgpr51
	s_and_saveexec_b64 s[46:47], s[28:29]
	s_xor_b64 s[28:29], exec, s[46:47]
; %bb.1172:                             ;   in Loop: Header=BB20_1163 Depth=2
	v_bfe_u32 v51, v12, 16, 1
	v_add3_u32 v51, v12, v51, s69
                                        ; implicit-def: $vgpr12
; %bb.1173:                             ;   in Loop: Header=BB20_1163 Depth=2
	s_andn2_saveexec_b64 s[46:47], s[28:29]
; %bb.1174:                             ;   in Loop: Header=BB20_1163 Depth=2
	v_or_b32_e32 v51, 0x10000, v12
	v_cmp_eq_u32_sdwa s[28:29], v12, v3 src0_sel:WORD_0 src1_sel:DWORD
	s_nop 1
	v_cndmask_b32_e64 v51, v51, v12, s[28:29]
; %bb.1175:                             ;   in Loop: Header=BB20_1163 Depth=2
	s_or_b64 exec, exec, s[46:47]
	v_and_b32_e32 v12, 0xffff0000, v17
	v_and_b32_e32 v13, 0xffff0000, v13
	v_max_f32_e32 v13, v13, v13
	v_max_f32_e32 v12, v12, v12
	v_min_f32_e32 v17, v12, v13
	v_max_f32_e32 v12, v12, v13
	v_cndmask_b32_e64 v12, v12, v17, s[26:27]
	v_and_b32_e32 v13, 0x7f800000, v12
	v_cmp_ne_u32_e64 s[28:29], s68, v13
                                        ; implicit-def: $vgpr17
	s_and_saveexec_b64 s[46:47], s[28:29]
	s_xor_b64 s[28:29], exec, s[46:47]
; %bb.1176:                             ;   in Loop: Header=BB20_1163 Depth=2
	v_bfe_u32 v13, v12, 16, 1
	v_add3_u32 v17, v12, v13, s69
                                        ; implicit-def: $vgpr12
; %bb.1177:                             ;   in Loop: Header=BB20_1163 Depth=2
	s_andn2_saveexec_b64 s[46:47], s[28:29]
; %bb.1178:                             ;   in Loop: Header=BB20_1163 Depth=2
	v_or_b32_e32 v13, 0x10000, v12
	v_cmp_eq_u32_sdwa s[28:29], v12, v3 src0_sel:WORD_0 src1_sel:DWORD
	s_nop 1
	v_cndmask_b32_e64 v17, v13, v12, s[28:29]
; %bb.1179:                             ;   in Loop: Header=BB20_1163 Depth=2
	s_or_b64 exec, exec, s[46:47]
	v_lshlrev_b32_e32 v12, 16, v14
	v_lshlrev_b32_e32 v13, 16, v18
	v_max_f32_e32 v12, v12, v12
	v_max_f32_e32 v13, v13, v13
	v_min_f32_e32 v72, v13, v12
	v_max_f32_e32 v12, v13, v12
	v_cndmask_b32_e64 v12, v12, v72, s[26:27]
	v_and_b32_e32 v13, 0x7f800000, v12
	v_cmp_ne_u32_e64 s[28:29], s68, v13
                                        ; implicit-def: $vgpr72
	s_and_saveexec_b64 s[46:47], s[28:29]
	s_xor_b64 s[28:29], exec, s[46:47]
; %bb.1180:                             ;   in Loop: Header=BB20_1163 Depth=2
	v_bfe_u32 v13, v12, 16, 1
	v_add3_u32 v72, v12, v13, s69
                                        ; implicit-def: $vgpr12
; %bb.1181:                             ;   in Loop: Header=BB20_1163 Depth=2
	s_andn2_saveexec_b64 s[46:47], s[28:29]
; %bb.1182:                             ;   in Loop: Header=BB20_1163 Depth=2
	v_or_b32_e32 v13, 0x10000, v12
	v_cmp_eq_u32_sdwa s[28:29], v12, v3 src0_sel:WORD_0 src1_sel:DWORD
	s_nop 1
	v_cndmask_b32_e64 v72, v13, v12, s[28:29]
; %bb.1183:                             ;   in Loop: Header=BB20_1163 Depth=2
	s_or_b64 exec, exec, s[46:47]
	v_and_b32_e32 v12, 0xffff0000, v18
	v_and_b32_e32 v13, 0xffff0000, v14
	v_max_f32_e32 v13, v13, v13
	v_max_f32_e32 v12, v12, v12
	v_min_f32_e32 v14, v12, v13
	v_max_f32_e32 v12, v12, v13
	v_cndmask_b32_e64 v12, v12, v14, s[26:27]
	v_and_b32_e32 v13, 0x7f800000, v12
	v_cmp_ne_u32_e64 s[28:29], s68, v13
                                        ; implicit-def: $vgpr14
	s_and_saveexec_b64 s[46:47], s[28:29]
	s_xor_b64 s[28:29], exec, s[46:47]
; %bb.1184:                             ;   in Loop: Header=BB20_1163 Depth=2
	v_bfe_u32 v13, v12, 16, 1
	v_add3_u32 v14, v12, v13, s69
                                        ; implicit-def: $vgpr12
; %bb.1185:                             ;   in Loop: Header=BB20_1163 Depth=2
	s_andn2_saveexec_b64 s[46:47], s[28:29]
; %bb.1186:                             ;   in Loop: Header=BB20_1163 Depth=2
	v_or_b32_e32 v13, 0x10000, v12
	v_cmp_eq_u32_sdwa s[28:29], v12, v3 src0_sel:WORD_0 src1_sel:DWORD
	s_nop 1
	v_cndmask_b32_e64 v14, v13, v12, s[28:29]
; %bb.1187:                             ;   in Loop: Header=BB20_1163 Depth=2
	s_or_b64 exec, exec, s[46:47]
	v_lshlrev_b32_e32 v12, 16, v15
	v_lshlrev_b32_e32 v13, 16, v19
	v_max_f32_e32 v12, v12, v12
	v_max_f32_e32 v13, v13, v13
	v_min_f32_e32 v18, v13, v12
	v_max_f32_e32 v12, v13, v12
	v_cndmask_b32_e64 v12, v12, v18, s[26:27]
	v_and_b32_e32 v13, 0x7f800000, v12
	v_cmp_ne_u32_e64 s[28:29], s68, v13
                                        ; implicit-def: $vgpr18
	s_and_saveexec_b64 s[46:47], s[28:29]
	s_xor_b64 s[28:29], exec, s[46:47]
; %bb.1188:                             ;   in Loop: Header=BB20_1163 Depth=2
	v_bfe_u32 v13, v12, 16, 1
	v_add3_u32 v18, v12, v13, s69
                                        ; implicit-def: $vgpr12
; %bb.1189:                             ;   in Loop: Header=BB20_1163 Depth=2
	s_andn2_saveexec_b64 s[46:47], s[28:29]
; %bb.1190:                             ;   in Loop: Header=BB20_1163 Depth=2
	v_or_b32_e32 v13, 0x10000, v12
	v_cmp_eq_u32_sdwa s[28:29], v12, v3 src0_sel:WORD_0 src1_sel:DWORD
	s_nop 1
	v_cndmask_b32_e64 v18, v13, v12, s[28:29]
; %bb.1191:                             ;   in Loop: Header=BB20_1163 Depth=2
	s_or_b64 exec, exec, s[46:47]
	v_and_b32_e32 v12, 0xffff0000, v19
	v_and_b32_e32 v13, 0xffff0000, v15
	v_max_f32_e32 v13, v13, v13
	v_max_f32_e32 v12, v12, v12
	v_min_f32_e32 v15, v12, v13
	v_max_f32_e32 v12, v12, v13
	v_cndmask_b32_e64 v12, v12, v15, s[26:27]
	v_and_b32_e32 v13, 0x7f800000, v12
	v_cmp_ne_u32_e64 s[28:29], s68, v13
                                        ; implicit-def: $vgpr15
	s_and_saveexec_b64 s[46:47], s[28:29]
	s_xor_b64 s[28:29], exec, s[46:47]
; %bb.1192:                             ;   in Loop: Header=BB20_1163 Depth=2
	v_bfe_u32 v13, v12, 16, 1
	v_add3_u32 v15, v12, v13, s69
                                        ; implicit-def: $vgpr12
; %bb.1193:                             ;   in Loop: Header=BB20_1163 Depth=2
	s_andn2_saveexec_b64 s[46:47], s[28:29]
	s_cbranch_execz .LBB20_1162
; %bb.1194:                             ;   in Loop: Header=BB20_1163 Depth=2
	v_or_b32_e32 v13, 0x10000, v12
	v_cmp_eq_u32_sdwa s[28:29], v12, v3 src0_sel:WORD_0 src1_sel:DWORD
	s_nop 1
	v_cndmask_b32_e64 v15, v13, v12, s[28:29]
	s_branch .LBB20_1162
.LBB20_1195:                            ;   in Loop: Header=BB20_47 Depth=1
	s_or_b64 exec, exec, s[44:45]
.LBB20_1196:                            ;   in Loop: Header=BB20_47 Depth=1
	s_or_b64 exec, exec, s[42:43]
	v_and_b32_e32 v2, 14, v2
	v_sub_u32_e32 v8, v33, v2
	v_cndmask_b32_e32 v8, 0, v8, vcc
	v_cndmask_b32_e32 v2, v33, v2, vcc
	v_cmp_lt_i32_e32 vcc, 0, v34
	v_add3_u32 v16, v32, v26, v8
	s_nop 0
	v_cndmask_b32_e32 v8, 0, v84, vcc
	v_sub_u32_e32 v8, v8, v34
	v_cmp_ne_u32_e32 vcc, 0, v2
	v_lshl_add_u32 v17, v8, 6, v27
	s_and_b64 s[26:27], vcc, exec
.LBB20_1197:                            ;   in Loop: Header=BB20_47 Depth=1
	s_or_b64 exec, exec, s[40:41]
	s_and_saveexec_b64 s[28:29], s[26:27]
	s_cbranch_execz .LBB20_1274
.LBB20_1198:                            ;   in Loop: Header=BB20_47 Depth=1
	v_ashrrev_i32_e32 v8, 31, v17
	v_ashrrev_i32_e32 v9, 31, v2
	v_lshrrev_b32_e32 v8, 26, v8
	v_lshrrev_b32_e32 v9, 22, v9
	v_add_u32_e32 v8, v17, v8
	v_add_u32_e32 v9, v2, v9
	v_ashrrev_i32_e32 v18, 6, v8
	v_ashrrev_i32_e32 v20, 10, v9
	v_sub_u32_e32 v19, v20, v18
	v_cmp_lt_i32_e32 vcc, 0, v19
	s_and_saveexec_b64 s[40:41], vcc
	s_cbranch_execz .LBB20_1266
; %bb.1199:                             ;   in Loop: Header=BB20_47 Depth=1
	v_and_b32_e32 v8, 0x7fffffc0, v8
	s_trap 2
	ds_read_b64 v[10:11], v0
	v_sub_u32_e32 v8, v17, v8
	v_lshlrev_b32_e32 v8, 1, v8
	v_lshlrev_b32_e32 v9, 10, v18
	v_add3_u32 v12, v8, v16, v9
	s_and_b32 s76, s87, 1
	v_ashrrev_i32_e32 v13, 31, v12
	s_cmp_eq_u64 s[76:77], 0
	v_lshl_add_u64 v[8:9], v[12:13], 0, v[48:49]
	s_waitcnt lgkmcnt(0)
	v_lshl_add_u64 v[10:11], v[10:11], 0, v[12:13]
	s_mov_b64 s[42:43], 0
	s_cselect_b64 s[26:27], -1, 0
	v_lshl_add_u64 v[12:13], v[12:13], 0, s[36:37]
	s_branch .LBB20_1201
.LBB20_1200:                            ;   in Loop: Header=BB20_1201 Depth=2
	s_or_b64 exec, exec, s[44:45]
	v_sub_u32_e32 v19, v19, v84
	v_cmp_gt_i32_e32 vcc, 1, v19
	v_lshl_add_u64 v[8:9], v[8:9], 0, v[100:101]
	v_lshl_add_u64 v[10:11], v[10:11], 0, v[100:101]
	s_or_b64 s[42:43], vcc, s[42:43]
	v_lshl_add_u64 v[12:13], v[12:13], 0, v[100:101]
	flat_store_short_d16_hi v[14:15], v22 nt
	s_andn2_b64 exec, exec, s[42:43]
	s_cbranch_execz .LBB20_1265
.LBB20_1201:                            ;   Parent Loop BB20_47 Depth=1
                                        ; =>  This Inner Loop Header: Depth=2
	v_add_co_u32_e32 v14, vcc, 0xfffffc80, v12
	s_nop 1
	v_addc_co_u32_e32 v15, vcc, -1, v13, vcc
	v_add_co_u32_e32 v22, vcc, 0xfffffd00, v12
	flat_load_ushort v14, v[14:15] nt
	s_nop 0
	v_addc_co_u32_e32 v23, vcc, -1, v13, vcc
	flat_load_ushort v27, v[22:23] nt
	v_add_co_u32_e32 v22, vcc, 0xfffffd80, v12
	s_nop 1
	v_addc_co_u32_e32 v23, vcc, -1, v13, vcc
	flat_load_ushort v26, v[22:23] nt
	v_add_co_u32_e32 v22, vcc, 0xfffffe00, v12
	;; [unrolled: 4-line block ×3, first 2 shown]
	s_nop 1
	v_addc_co_u32_e32 v23, vcc, -1, v13, vcc
	flat_load_ushort v24, v[22:23] nt
	flat_load_ushort v73, v[8:9] offset:128 nt
	flat_load_ushort v51, v[8:9] offset:256 nt
	;; [unrolled: 1-line block ×7, first 2 shown]
	flat_load_ushort v72, v[8:9] nt
	flat_load_ushort v79, v[10:11] offset:128 nt
	flat_load_ushort v78, v[10:11] offset:256 nt
	flat_load_ushort v77, v[10:11] offset:384 nt
	flat_load_ushort v76, v[10:11] offset:512 nt
	flat_load_ushort v75, v[10:11] offset:640 nt
	flat_load_ushort v74, v[10:11] offset:768 nt
	flat_load_ushort v32, v[10:11] offset:896 nt
	flat_load_ushort v90, v[10:11] nt
	v_add_co_u32_e32 v88, vcc, 0xffffff00, v12
	s_waitcnt vmcnt(0) lgkmcnt(0)
	v_lshlrev_b32_e32 v72, 16, v72
	v_addc_co_u32_e32 v89, vcc, -1, v13, vcc
	v_add_co_u32_e32 v22, vcc, s66, v12
	v_max_f32_e32 v72, v72, v72
	s_nop 0
	v_addc_co_u32_e32 v23, vcc, -1, v13, vcc
	flat_load_ushort v22, v[22:23] nt
	s_nop 0
	flat_load_ushort v21, v[12:13] nt
	flat_load_ushort v23, v[88:89] nt
	v_lshlrev_b32_e32 v88, 16, v90
	v_max_f32_e32 v88, v88, v88
	v_min_f32_e32 v89, v72, v88
	v_max_f32_e32 v72, v72, v88
	v_cndmask_b32_e64 v88, v72, v89, s[26:27]
	v_and_b32_e32 v72, 0x7f800000, v88
	v_cmp_ne_u32_e32 vcc, s68, v72
                                        ; implicit-def: $vgpr72
	s_and_saveexec_b64 s[44:45], vcc
	s_xor_b64 s[44:45], exec, s[44:45]
; %bb.1202:                             ;   in Loop: Header=BB20_1201 Depth=2
	v_bfe_u32 v72, v88, 16, 1
	v_add3_u32 v72, v88, v72, s69
                                        ; implicit-def: $vgpr88
; %bb.1203:                             ;   in Loop: Header=BB20_1201 Depth=2
	s_andn2_saveexec_b64 s[44:45], s[44:45]
; %bb.1204:                             ;   in Loop: Header=BB20_1201 Depth=2
	v_or_b32_e32 v72, 0x10000, v88
	v_cmp_eq_u32_sdwa vcc, v88, v3 src0_sel:WORD_0 src1_sel:DWORD
	s_nop 1
	v_cndmask_b32_e32 v72, v72, v88, vcc
; %bb.1205:                             ;   in Loop: Header=BB20_1201 Depth=2
	s_or_b64 exec, exec, s[44:45]
	v_lshlrev_b32_e32 v73, 16, v73
	v_lshlrev_b32_e32 v79, 16, v79
	v_max_f32_e32 v79, v79, v79
	v_max_f32_e32 v73, v73, v73
	v_min_f32_e32 v88, v73, v79
	v_max_f32_e32 v73, v73, v79
	v_cndmask_b32_e64 v79, v73, v88, s[26:27]
	v_and_b32_e32 v73, 0x7f800000, v79
	v_cmp_ne_u32_e32 vcc, s68, v73
                                        ; implicit-def: $vgpr73
	s_and_saveexec_b64 s[44:45], vcc
	s_xor_b64 s[44:45], exec, s[44:45]
; %bb.1206:                             ;   in Loop: Header=BB20_1201 Depth=2
	v_bfe_u32 v73, v79, 16, 1
	v_add3_u32 v73, v79, v73, s69
                                        ; implicit-def: $vgpr79
; %bb.1207:                             ;   in Loop: Header=BB20_1201 Depth=2
	s_andn2_saveexec_b64 s[44:45], s[44:45]
; %bb.1208:                             ;   in Loop: Header=BB20_1201 Depth=2
	v_or_b32_e32 v73, 0x10000, v79
	v_cmp_eq_u32_sdwa vcc, v79, v3 src0_sel:WORD_0 src1_sel:DWORD
	s_nop 1
	v_cndmask_b32_e32 v73, v73, v79, vcc
; %bb.1209:                             ;   in Loop: Header=BB20_1201 Depth=2
	s_or_b64 exec, exec, s[44:45]
	v_lshlrev_b32_e32 v51, 16, v51
	v_lshlrev_b32_e32 v78, 16, v78
	v_max_f32_e32 v78, v78, v78
	v_max_f32_e32 v51, v51, v51
	v_min_f32_e32 v79, v51, v78
	v_max_f32_e32 v51, v51, v78
	v_cndmask_b32_e64 v78, v51, v79, s[26:27]
	v_and_b32_e32 v51, 0x7f800000, v78
	v_cmp_ne_u32_e32 vcc, s68, v51
                                        ; implicit-def: $vgpr51
	s_and_saveexec_b64 s[44:45], vcc
	s_xor_b64 s[44:45], exec, s[44:45]
; %bb.1210:                             ;   in Loop: Header=BB20_1201 Depth=2
	v_bfe_u32 v51, v78, 16, 1
	v_add3_u32 v51, v78, v51, s69
                                        ; implicit-def: $vgpr78
; %bb.1211:                             ;   in Loop: Header=BB20_1201 Depth=2
	s_andn2_saveexec_b64 s[44:45], s[44:45]
; %bb.1212:                             ;   in Loop: Header=BB20_1201 Depth=2
	v_or_b32_e32 v51, 0x10000, v78
	v_cmp_eq_u32_sdwa vcc, v78, v3 src0_sel:WORD_0 src1_sel:DWORD
	s_nop 1
	v_cndmask_b32_e32 v51, v51, v78, vcc
; %bb.1213:                             ;   in Loop: Header=BB20_1201 Depth=2
	s_or_b64 exec, exec, s[44:45]
	v_lshlrev_b32_e32 v50, 16, v50
	v_lshlrev_b32_e32 v77, 16, v77
	v_max_f32_e32 v77, v77, v77
	v_max_f32_e32 v50, v50, v50
	v_min_f32_e32 v78, v50, v77
	v_max_f32_e32 v50, v50, v77
	v_cndmask_b32_e64 v77, v50, v78, s[26:27]
	v_and_b32_e32 v50, 0x7f800000, v77
	v_cmp_ne_u32_e32 vcc, s68, v50
                                        ; implicit-def: $vgpr50
	s_and_saveexec_b64 s[44:45], vcc
	s_xor_b64 s[44:45], exec, s[44:45]
; %bb.1214:                             ;   in Loop: Header=BB20_1201 Depth=2
	v_bfe_u32 v50, v77, 16, 1
	v_add3_u32 v50, v77, v50, s69
                                        ; implicit-def: $vgpr77
; %bb.1215:                             ;   in Loop: Header=BB20_1201 Depth=2
	s_andn2_saveexec_b64 s[44:45], s[44:45]
; %bb.1216:                             ;   in Loop: Header=BB20_1201 Depth=2
	v_or_b32_e32 v50, 0x10000, v77
	v_cmp_eq_u32_sdwa vcc, v77, v3 src0_sel:WORD_0 src1_sel:DWORD
	s_nop 1
	v_cndmask_b32_e32 v50, v50, v77, vcc
; %bb.1217:                             ;   in Loop: Header=BB20_1201 Depth=2
	s_or_b64 exec, exec, s[44:45]
	v_lshlrev_b32_e32 v35, 16, v35
	v_lshlrev_b32_e32 v76, 16, v76
	v_max_f32_e32 v76, v76, v76
	v_max_f32_e32 v35, v35, v35
	v_min_f32_e32 v77, v35, v76
	v_max_f32_e32 v35, v35, v76
	v_cndmask_b32_e64 v76, v35, v77, s[26:27]
	v_and_b32_e32 v35, 0x7f800000, v76
	v_cmp_ne_u32_e32 vcc, s68, v35
                                        ; implicit-def: $vgpr35
	s_and_saveexec_b64 s[44:45], vcc
	s_xor_b64 s[44:45], exec, s[44:45]
; %bb.1218:                             ;   in Loop: Header=BB20_1201 Depth=2
	v_bfe_u32 v35, v76, 16, 1
	v_add3_u32 v35, v76, v35, s69
                                        ; implicit-def: $vgpr76
; %bb.1219:                             ;   in Loop: Header=BB20_1201 Depth=2
	s_andn2_saveexec_b64 s[44:45], s[44:45]
; %bb.1220:                             ;   in Loop: Header=BB20_1201 Depth=2
	v_or_b32_e32 v35, 0x10000, v76
	v_cmp_eq_u32_sdwa vcc, v76, v3 src0_sel:WORD_0 src1_sel:DWORD
	s_nop 1
	v_cndmask_b32_e32 v35, v35, v76, vcc
; %bb.1221:                             ;   in Loop: Header=BB20_1201 Depth=2
	s_or_b64 exec, exec, s[44:45]
	v_lshlrev_b32_e32 v34, 16, v34
	v_lshlrev_b32_e32 v75, 16, v75
	v_max_f32_e32 v75, v75, v75
	v_max_f32_e32 v34, v34, v34
	v_min_f32_e32 v76, v34, v75
	v_max_f32_e32 v34, v34, v75
	v_cndmask_b32_e64 v75, v34, v76, s[26:27]
	v_and_b32_e32 v34, 0x7f800000, v75
	v_cmp_ne_u32_e32 vcc, s68, v34
                                        ; implicit-def: $vgpr34
	s_and_saveexec_b64 s[44:45], vcc
	s_xor_b64 s[44:45], exec, s[44:45]
; %bb.1222:                             ;   in Loop: Header=BB20_1201 Depth=2
	v_bfe_u32 v34, v75, 16, 1
	v_add3_u32 v34, v75, v34, s69
                                        ; implicit-def: $vgpr75
; %bb.1223:                             ;   in Loop: Header=BB20_1201 Depth=2
	s_andn2_saveexec_b64 s[44:45], s[44:45]
; %bb.1224:                             ;   in Loop: Header=BB20_1201 Depth=2
	v_or_b32_e32 v34, 0x10000, v75
	v_cmp_eq_u32_sdwa vcc, v75, v3 src0_sel:WORD_0 src1_sel:DWORD
	s_nop 1
	v_cndmask_b32_e32 v34, v34, v75, vcc
; %bb.1225:                             ;   in Loop: Header=BB20_1201 Depth=2
	s_or_b64 exec, exec, s[44:45]
	v_lshlrev_b32_e32 v33, 16, v33
	v_lshlrev_b32_e32 v74, 16, v74
	v_max_f32_e32 v74, v74, v74
	v_max_f32_e32 v33, v33, v33
	v_min_f32_e32 v75, v33, v74
	v_max_f32_e32 v33, v33, v74
	v_cndmask_b32_e64 v74, v33, v75, s[26:27]
	v_and_b32_e32 v33, 0x7f800000, v74
	v_cmp_ne_u32_e32 vcc, s68, v33
                                        ; implicit-def: $vgpr33
	s_and_saveexec_b64 s[44:45], vcc
	s_xor_b64 s[44:45], exec, s[44:45]
; %bb.1226:                             ;   in Loop: Header=BB20_1201 Depth=2
	v_bfe_u32 v33, v74, 16, 1
	v_add3_u32 v33, v74, v33, s69
                                        ; implicit-def: $vgpr74
; %bb.1227:                             ;   in Loop: Header=BB20_1201 Depth=2
	s_andn2_saveexec_b64 s[44:45], s[44:45]
; %bb.1228:                             ;   in Loop: Header=BB20_1201 Depth=2
	v_or_b32_e32 v33, 0x10000, v74
	v_cmp_eq_u32_sdwa vcc, v74, v3 src0_sel:WORD_0 src1_sel:DWORD
	s_nop 1
	v_cndmask_b32_e32 v33, v33, v74, vcc
; %bb.1229:                             ;   in Loop: Header=BB20_1201 Depth=2
	s_or_b64 exec, exec, s[44:45]
	v_lshlrev_b32_e32 v15, 16, v15
	v_lshlrev_b32_e32 v32, 16, v32
	v_max_f32_e32 v32, v32, v32
	v_max_f32_e32 v15, v15, v15
	v_min_f32_e32 v74, v15, v32
	v_max_f32_e32 v15, v15, v32
	v_cndmask_b32_e64 v15, v15, v74, s[26:27]
	v_and_b32_e32 v32, 0x7f800000, v15
	v_cmp_ne_u32_e32 vcc, s68, v32
                                        ; implicit-def: $vgpr32
	s_and_saveexec_b64 s[44:45], vcc
	s_xor_b64 s[44:45], exec, s[44:45]
; %bb.1230:                             ;   in Loop: Header=BB20_1201 Depth=2
	v_bfe_u32 v32, v15, 16, 1
	v_add3_u32 v32, v15, v32, s69
                                        ; implicit-def: $vgpr15
; %bb.1231:                             ;   in Loop: Header=BB20_1201 Depth=2
	s_andn2_saveexec_b64 s[44:45], s[44:45]
; %bb.1232:                             ;   in Loop: Header=BB20_1201 Depth=2
	v_or_b32_e32 v32, 0x10000, v15
	v_cmp_eq_u32_sdwa vcc, v15, v3 src0_sel:WORD_0 src1_sel:DWORD
	s_nop 1
	v_cndmask_b32_e32 v32, v32, v15, vcc
; %bb.1233:                             ;   in Loop: Header=BB20_1201 Depth=2
	s_or_b64 exec, exec, s[44:45]
	v_and_b32_e32 v15, 0xffff0000, v72
	v_lshlrev_b32_e32 v14, 16, v14
	v_max_f32_e32 v15, v15, v15
	v_max_f32_e32 v14, v14, v14
	v_min_f32_e32 v72, v15, v14
	v_max_f32_e32 v14, v15, v14
	v_cndmask_b32_e64 v14, v14, v72, s[26:27]
	v_and_b32_e32 v15, 0x7f800000, v14
	v_cmp_ne_u32_e32 vcc, s68, v15
                                        ; implicit-def: $vgpr72
	s_and_saveexec_b64 s[44:45], vcc
	s_xor_b64 s[44:45], exec, s[44:45]
; %bb.1234:                             ;   in Loop: Header=BB20_1201 Depth=2
	v_bfe_u32 v15, v14, 16, 1
	v_add3_u32 v72, v14, v15, s69
                                        ; implicit-def: $vgpr14
; %bb.1235:                             ;   in Loop: Header=BB20_1201 Depth=2
	s_andn2_saveexec_b64 s[44:45], s[44:45]
; %bb.1236:                             ;   in Loop: Header=BB20_1201 Depth=2
	v_or_b32_e32 v15, 0x10000, v14
	v_cmp_eq_u32_sdwa vcc, v14, v3 src0_sel:WORD_0 src1_sel:DWORD
	s_nop 1
	v_cndmask_b32_e32 v72, v15, v14, vcc
; %bb.1237:                             ;   in Loop: Header=BB20_1201 Depth=2
	s_or_b64 exec, exec, s[44:45]
	v_lshl_add_u64 v[14:15], v[38:39], 0, v[12:13]
	v_add_co_u32_e32 v74, vcc, 0xfffffc80, v14
	v_and_b32_e32 v73, 0xffff0000, v73
	s_nop 0
	v_addc_co_u32_e32 v75, vcc, -1, v15, vcc
	v_lshlrev_b32_e32 v27, 16, v27
	flat_store_short_d16_hi v[74:75], v72 nt
	v_max_f32_e32 v72, v73, v73
	v_max_f32_e32 v27, v27, v27
	v_min_f32_e32 v73, v72, v27
	v_max_f32_e32 v27, v72, v27
	v_cndmask_b32_e64 v72, v27, v73, s[26:27]
	v_and_b32_e32 v27, 0x7f800000, v72
	v_cmp_ne_u32_e32 vcc, s68, v27
                                        ; implicit-def: $vgpr27
	s_and_saveexec_b64 s[44:45], vcc
	s_xor_b64 s[44:45], exec, s[44:45]
; %bb.1238:                             ;   in Loop: Header=BB20_1201 Depth=2
	v_bfe_u32 v27, v72, 16, 1
	v_add3_u32 v27, v72, v27, s69
                                        ; implicit-def: $vgpr72
; %bb.1239:                             ;   in Loop: Header=BB20_1201 Depth=2
	s_andn2_saveexec_b64 s[44:45], s[44:45]
; %bb.1240:                             ;   in Loop: Header=BB20_1201 Depth=2
	v_or_b32_e32 v27, 0x10000, v72
	v_cmp_eq_u32_sdwa vcc, v72, v3 src0_sel:WORD_0 src1_sel:DWORD
	s_nop 1
	v_cndmask_b32_e32 v27, v27, v72, vcc
; %bb.1241:                             ;   in Loop: Header=BB20_1201 Depth=2
	s_or_b64 exec, exec, s[44:45]
	v_add_co_u32_e32 v72, vcc, 0xfffffd00, v14
	v_and_b32_e32 v51, 0xffff0000, v51
	s_nop 0
	v_addc_co_u32_e32 v73, vcc, -1, v15, vcc
	v_lshlrev_b32_e32 v26, 16, v26
	flat_store_short_d16_hi v[72:73], v27 nt
	v_max_f32_e32 v27, v51, v51
	v_max_f32_e32 v26, v26, v26
	v_min_f32_e32 v51, v27, v26
	v_max_f32_e32 v26, v27, v26
	v_cndmask_b32_e64 v27, v26, v51, s[26:27]
	v_and_b32_e32 v26, 0x7f800000, v27
	v_cmp_ne_u32_e32 vcc, s68, v26
                                        ; implicit-def: $vgpr26
	s_and_saveexec_b64 s[44:45], vcc
	s_xor_b64 s[44:45], exec, s[44:45]
; %bb.1242:                             ;   in Loop: Header=BB20_1201 Depth=2
	v_bfe_u32 v26, v27, 16, 1
	v_add3_u32 v26, v27, v26, s69
                                        ; implicit-def: $vgpr27
; %bb.1243:                             ;   in Loop: Header=BB20_1201 Depth=2
	s_andn2_saveexec_b64 s[44:45], s[44:45]
; %bb.1244:                             ;   in Loop: Header=BB20_1201 Depth=2
	v_or_b32_e32 v26, 0x10000, v27
	v_cmp_eq_u32_sdwa vcc, v27, v3 src0_sel:WORD_0 src1_sel:DWORD
	s_nop 1
	v_cndmask_b32_e32 v26, v26, v27, vcc
; %bb.1245:                             ;   in Loop: Header=BB20_1201 Depth=2
	s_or_b64 exec, exec, s[44:45]
	v_and_b32_e32 v27, 0xffff0000, v50
	v_add_co_u32_e32 v50, vcc, 0xfffffd80, v14
	v_lshlrev_b32_e32 v25, 16, v25
	s_nop 0
	v_addc_co_u32_e32 v51, vcc, -1, v15, vcc
	flat_store_short_d16_hi v[50:51], v26 nt
	v_max_f32_e32 v26, v27, v27
	v_max_f32_e32 v25, v25, v25
	v_min_f32_e32 v27, v26, v25
	v_max_f32_e32 v25, v26, v25
	v_cndmask_b32_e64 v26, v25, v27, s[26:27]
	v_and_b32_e32 v25, 0x7f800000, v26
	v_cmp_ne_u32_e32 vcc, s68, v25
                                        ; implicit-def: $vgpr25
	s_and_saveexec_b64 s[44:45], vcc
	s_xor_b64 s[44:45], exec, s[44:45]
; %bb.1246:                             ;   in Loop: Header=BB20_1201 Depth=2
	v_bfe_u32 v25, v26, 16, 1
	v_add3_u32 v25, v26, v25, s69
                                        ; implicit-def: $vgpr26
; %bb.1247:                             ;   in Loop: Header=BB20_1201 Depth=2
	s_andn2_saveexec_b64 s[44:45], s[44:45]
; %bb.1248:                             ;   in Loop: Header=BB20_1201 Depth=2
	v_or_b32_e32 v25, 0x10000, v26
	v_cmp_eq_u32_sdwa vcc, v26, v3 src0_sel:WORD_0 src1_sel:DWORD
	s_nop 1
	v_cndmask_b32_e32 v25, v25, v26, vcc
; %bb.1249:                             ;   in Loop: Header=BB20_1201 Depth=2
	s_or_b64 exec, exec, s[44:45]
	v_add_co_u32_e32 v26, vcc, 0xfffffe00, v14
	v_and_b32_e32 v35, 0xffff0000, v35
	s_nop 0
	v_addc_co_u32_e32 v27, vcc, -1, v15, vcc
	v_lshlrev_b32_e32 v24, 16, v24
	flat_store_short_d16_hi v[26:27], v25 nt
	v_max_f32_e32 v25, v35, v35
	v_max_f32_e32 v24, v24, v24
	v_min_f32_e32 v26, v25, v24
	v_max_f32_e32 v24, v25, v24
	v_cndmask_b32_e64 v25, v24, v26, s[26:27]
	v_and_b32_e32 v24, 0x7f800000, v25
	v_cmp_ne_u32_e32 vcc, s68, v24
                                        ; implicit-def: $vgpr24
	s_and_saveexec_b64 s[44:45], vcc
	s_xor_b64 s[44:45], exec, s[44:45]
; %bb.1250:                             ;   in Loop: Header=BB20_1201 Depth=2
	v_bfe_u32 v24, v25, 16, 1
	v_add3_u32 v24, v25, v24, s69
                                        ; implicit-def: $vgpr25
; %bb.1251:                             ;   in Loop: Header=BB20_1201 Depth=2
	s_andn2_saveexec_b64 s[44:45], s[44:45]
; %bb.1252:                             ;   in Loop: Header=BB20_1201 Depth=2
	v_or_b32_e32 v24, 0x10000, v25
	v_cmp_eq_u32_sdwa vcc, v25, v3 src0_sel:WORD_0 src1_sel:DWORD
	s_nop 1
	v_cndmask_b32_e32 v24, v24, v25, vcc
; %bb.1253:                             ;   in Loop: Header=BB20_1201 Depth=2
	s_or_b64 exec, exec, s[44:45]
	v_add_co_u32_e32 v26, vcc, 0xfffffe80, v14
	v_and_b32_e32 v25, 0xffff0000, v34
	s_nop 0
	v_addc_co_u32_e32 v27, vcc, -1, v15, vcc
	s_waitcnt vmcnt(0) lgkmcnt(0)
	v_lshlrev_b32_e32 v23, 16, v23
	flat_store_short_d16_hi v[26:27], v24 nt
	v_max_f32_e32 v24, v25, v25
	v_max_f32_e32 v23, v23, v23
	v_min_f32_e32 v25, v24, v23
	v_max_f32_e32 v23, v24, v23
	v_cndmask_b32_e64 v24, v23, v25, s[26:27]
	v_and_b32_e32 v23, 0x7f800000, v24
	v_cmp_ne_u32_e32 vcc, s68, v23
                                        ; implicit-def: $vgpr23
	s_and_saveexec_b64 s[44:45], vcc
	s_xor_b64 s[44:45], exec, s[44:45]
; %bb.1254:                             ;   in Loop: Header=BB20_1201 Depth=2
	v_bfe_u32 v23, v24, 16, 1
	v_add3_u32 v23, v24, v23, s69
                                        ; implicit-def: $vgpr24
; %bb.1255:                             ;   in Loop: Header=BB20_1201 Depth=2
	s_andn2_saveexec_b64 s[44:45], s[44:45]
; %bb.1256:                             ;   in Loop: Header=BB20_1201 Depth=2
	v_or_b32_e32 v23, 0x10000, v24
	v_cmp_eq_u32_sdwa vcc, v24, v3 src0_sel:WORD_0 src1_sel:DWORD
	s_nop 1
	v_cndmask_b32_e32 v23, v23, v24, vcc
; %bb.1257:                             ;   in Loop: Header=BB20_1201 Depth=2
	s_or_b64 exec, exec, s[44:45]
	v_add_co_u32_e32 v24, vcc, 0xffffff00, v14
	v_and_b32_e32 v26, 0xffff0000, v33
	s_nop 0
	v_addc_co_u32_e32 v25, vcc, -1, v15, vcc
	v_lshlrev_b32_e32 v22, 16, v22
	flat_store_short_d16_hi v[24:25], v23 nt
	v_max_f32_e32 v23, v26, v26
	v_max_f32_e32 v22, v22, v22
	v_min_f32_e32 v24, v23, v22
	v_max_f32_e32 v22, v23, v22
	v_cndmask_b32_e64 v23, v22, v24, s[26:27]
	v_and_b32_e32 v22, 0x7f800000, v23
	v_cmp_ne_u32_e32 vcc, s68, v22
                                        ; implicit-def: $vgpr22
	s_and_saveexec_b64 s[44:45], vcc
	s_xor_b64 s[44:45], exec, s[44:45]
; %bb.1258:                             ;   in Loop: Header=BB20_1201 Depth=2
	v_bfe_u32 v22, v23, 16, 1
	v_add3_u32 v22, v23, v22, s69
                                        ; implicit-def: $vgpr23
; %bb.1259:                             ;   in Loop: Header=BB20_1201 Depth=2
	s_andn2_saveexec_b64 s[44:45], s[44:45]
; %bb.1260:                             ;   in Loop: Header=BB20_1201 Depth=2
	v_or_b32_e32 v22, 0x10000, v23
	v_cmp_eq_u32_sdwa vcc, v23, v3 src0_sel:WORD_0 src1_sel:DWORD
	s_nop 1
	v_cndmask_b32_e32 v22, v22, v23, vcc
; %bb.1261:                             ;   in Loop: Header=BB20_1201 Depth=2
	s_or_b64 exec, exec, s[44:45]
	v_add_co_u32_e32 v24, vcc, 0xffffff80, v14
	v_and_b32_e32 v23, 0xffff0000, v32
	s_nop 0
	v_addc_co_u32_e32 v25, vcc, -1, v15, vcc
	v_lshlrev_b32_e32 v21, 16, v21
	flat_store_short_d16_hi v[24:25], v22 nt
	v_max_f32_e32 v22, v23, v23
	v_max_f32_e32 v21, v21, v21
	v_min_f32_e32 v23, v22, v21
	v_max_f32_e32 v21, v22, v21
	v_cndmask_b32_e64 v21, v21, v23, s[26:27]
	v_and_b32_e32 v22, 0x7f800000, v21
	v_cmp_ne_u32_e32 vcc, s68, v22
                                        ; implicit-def: $vgpr22
	s_and_saveexec_b64 s[44:45], vcc
	s_xor_b64 s[44:45], exec, s[44:45]
; %bb.1262:                             ;   in Loop: Header=BB20_1201 Depth=2
	v_bfe_u32 v22, v21, 16, 1
	v_add3_u32 v22, v21, v22, s69
                                        ; implicit-def: $vgpr21
; %bb.1263:                             ;   in Loop: Header=BB20_1201 Depth=2
	s_andn2_saveexec_b64 s[44:45], s[44:45]
	s_cbranch_execz .LBB20_1200
; %bb.1264:                             ;   in Loop: Header=BB20_1201 Depth=2
	v_or_b32_e32 v22, 0x10000, v21
	v_cmp_eq_u32_sdwa vcc, v21, v3 src0_sel:WORD_0 src1_sel:DWORD
	s_nop 1
	v_cndmask_b32_e32 v22, v22, v21, vcc
	s_branch .LBB20_1200
.LBB20_1265:                            ;   in Loop: Header=BB20_47 Depth=1
	s_or_b64 exec, exec, s[42:43]
.LBB20_1266:                            ;   in Loop: Header=BB20_47 Depth=1
	s_or_b64 exec, exec, s[40:41]
	v_lshlrev_b32_e32 v8, 10, v20
	v_cmp_ne_u32_e32 vcc, v2, v8
	s_and_b64 exec, exec, vcc
	s_cbranch_execz .LBB20_1274
; %bb.1267:                             ;   in Loop: Header=BB20_47 Depth=1
	v_lshlrev_b32_e32 v9, 6, v18
	v_sub_u32_e32 v9, v17, v9
	v_lshlrev_b32_e32 v10, 6, v19
	v_sub_u32_e32 v9, v9, v10
	v_ashrrev_i32_e32 v10, 31, v9
	v_lshrrev_b32_e32 v10, 26, v10
	v_add_u32_e32 v10, v9, v10
	v_and_b32_e32 v11, 0x7fffffc0, v10
	v_sub_u32_e32 v9, v9, v11
	v_lshlrev_b32_e32 v10, 1, v10
	v_and_b32_e32 v10, 0xffffff80, v10
	v_lshlrev_b32_e32 v9, 1, v9
	v_add3_u32 v8, v10, v9, v8
	v_sub_u32_e32 v2, v2, v8
	v_cmp_lt_i32_e32 vcc, 1, v2
	s_and_b64 exec, exec, vcc
	s_cbranch_execz .LBB20_1274
; %bb.1268:                             ;   in Loop: Header=BB20_47 Depth=1
	s_trap 2
	ds_read_b64 v[12:13], v0
	v_add_u32_e32 v8, v8, v16
	s_and_b32 s76, s87, 1
	v_ashrrev_i32_e32 v9, 31, v8
	s_cmp_eq_u64 s[76:77], 0
	v_lshl_add_u64 v[10:11], v[8:9], 0, v[48:49]
	s_waitcnt lgkmcnt(0)
	v_lshl_add_u64 v[12:13], v[12:13], 0, v[8:9]
	s_mov_b64 s[40:41], 0
	s_cselect_b64 vcc, -1, 0
	s_branch .LBB20_1270
.LBB20_1269:                            ;   in Loop: Header=BB20_1270 Depth=2
	s_or_b64 exec, exec, s[42:43]
	v_and_b32_e32 v15, 0xffff0000, v16
	v_lshlrev_b32_e32 v14, 16, v14
	v_max_f32_e32 v15, v15, v15
	v_max_f32_e32 v14, v14, v14
	v_min_f32_e32 v16, v15, v14
	v_max_f32_e32 v14, v15, v14
	v_cndmask_b32_e32 v14, v14, v16, vcc
	v_and_b32_e32 v15, 0x7f800000, v14
	v_bfe_u32 v16, v14, 16, 1
	v_or_b32_e32 v17, 0x10000, v14
	v_cmp_eq_u32_sdwa s[26:27], v14, v3 src0_sel:WORD_0 src1_sel:DWORD
	v_add3_u32 v16, v14, v16, s69
	v_sub_u32_e32 v2, v2, v102
	v_cndmask_b32_e64 v14, v17, v14, s[26:27]
	v_cmp_eq_u32_e64 s[26:27], s68, v15
	v_lshl_add_u64 v[18:19], v[38:39], 0, v[8:9]
	v_lshl_add_u64 v[10:11], v[10:11], 0, v[102:103]
	v_cndmask_b32_e64 v14, v16, v14, s[26:27]
	v_cmp_gt_i32_e64 s[26:27], 2, v2
	v_lshl_add_u64 v[12:13], v[12:13], 0, v[102:103]
	s_or_b64 s[40:41], s[26:27], s[40:41]
	v_lshl_add_u64 v[8:9], v[8:9], 0, v[102:103]
	flat_store_short_d16_hi v[18:19], v14 nt
	s_andn2_b64 exec, exec, s[40:41]
	s_cbranch_execz .LBB20_1274
.LBB20_1270:                            ;   Parent Loop BB20_47 Depth=1
                                        ; =>  This Inner Loop Header: Depth=2
	flat_load_ushort v15, v[12:13] nt
	flat_load_ushort v16, v[10:11] nt
	;; [unrolled: 1-line block ×3, first 2 shown]
	s_waitcnt vmcnt(0) lgkmcnt(0)
	v_lshlrev_b32_e32 v15, 16, v15
	v_lshlrev_b32_e32 v16, 16, v16
	v_max_f32_e32 v15, v15, v15
	v_max_f32_e32 v16, v16, v16
	v_min_f32_e32 v17, v16, v15
	v_max_f32_e32 v15, v16, v15
	v_cndmask_b32_e32 v15, v15, v17, vcc
	v_and_b32_e32 v16, 0x7f800000, v15
	v_cmp_ne_u32_e64 s[26:27], s68, v16
                                        ; implicit-def: $vgpr16
	s_and_saveexec_b64 s[42:43], s[26:27]
	s_xor_b64 s[26:27], exec, s[42:43]
; %bb.1271:                             ;   in Loop: Header=BB20_1270 Depth=2
	v_bfe_u32 v16, v15, 16, 1
	v_add3_u32 v16, v15, v16, s69
                                        ; implicit-def: $vgpr15
; %bb.1272:                             ;   in Loop: Header=BB20_1270 Depth=2
	s_andn2_saveexec_b64 s[42:43], s[26:27]
	s_cbranch_execz .LBB20_1269
; %bb.1273:                             ;   in Loop: Header=BB20_1270 Depth=2
	v_or_b32_e32 v16, 0x10000, v15
	v_cmp_eq_u32_sdwa s[26:27], v15, v3 src0_sel:WORD_0 src1_sel:DWORD
	s_nop 1
	v_cndmask_b32_e64 v16, v16, v15, s[26:27]
	s_branch .LBB20_1269
.LBB20_1274:                            ;   in Loop: Header=BB20_47 Depth=1
	s_or_b64 exec, exec, s[28:29]
	v_cmp_lt_i32_e64 s[26:27], 0, v37
	s_and_saveexec_b64 s[28:29], s[6:7]
	s_cbranch_execz .LBB20_751
.LBB20_1275:                            ;   in Loop: Header=BB20_47 Depth=1
	s_and_saveexec_b64 s[40:41], s[78:79]
	s_xor_b64 s[40:41], exec, s[40:41]
	s_cbranch_execz .LBB20_1290
; %bb.1276:                             ;   in Loop: Header=BB20_47 Depth=1
	s_and_saveexec_b64 s[42:43], s[14:15]
	s_cbranch_execz .LBB20_1289
; %bb.1277:                             ;   in Loop: Header=BB20_47 Depth=1
	s_mov_b64 s[46:47], exec
	v_mbcnt_lo_u32_b32 v2, s46, 0
	v_mbcnt_hi_u32_b32 v2, s47, v2
	v_cmp_eq_u32_e32 vcc, 0, v2
	s_waitcnt lgkmcnt(0)
	s_and_saveexec_b64 s[44:45], vcc
	s_cbranch_execz .LBB20_1279
; %bb.1278:                             ;   in Loop: Header=BB20_47 Depth=1
	s_bcnt1_i32_b64 s46, s[46:47]
	v_mov_b32_e32 v2, s46
	ds_add_u64 v0, v[2:3]
	s_trap 2
.LBB20_1279:                            ;   in Loop: Header=BB20_47 Depth=1
	s_or_b64 exec, exec, s[44:45]
	s_trap 2
	ds_read_b64 v[8:9], v0
	s_waitcnt lgkmcnt(0)
	v_lshl_add_u64 v[70:71], v[70:71], 0, v[84:85]
	v_cmp_lt_u64_e32 vcc, v[8:9], v[70:71]
	s_and_saveexec_b64 s[44:45], vcc
	s_cbranch_execz .LBB20_1288
; %bb.1280:                             ;   in Loop: Header=BB20_47 Depth=1
	s_mov_b32 s76, 0
	s_mov_b64 s[46:47], 0
                                        ; implicit-def: $sgpr56_sgpr57
                                        ; implicit-def: $sgpr58_sgpr59
	s_branch .LBB20_1282
.LBB20_1281:                            ;   in Loop: Header=BB20_1282 Depth=2
	s_or_b64 exec, exec, s[62:63]
	s_and_b64 s[60:61], exec, vcc
	s_or_b64 s[46:47], s[60:61], s[46:47]
	s_andn2_b64 s[56:57], s[56:57], exec
	s_and_b64 s[60:61], s[58:59], exec
	s_or_b64 s[56:57], s[56:57], s[60:61]
	s_andn2_b64 exec, exec, s[46:47]
	s_cbranch_execz .LBB20_1286
.LBB20_1282:                            ;   Parent Loop BB20_47 Depth=1
                                        ; =>  This Inner Loop Header: Depth=2
	s_add_i32 s76, s76, 1
	s_cmpk_lg_i32 s76, 0x2710
	s_cselect_b64 s[60:61], -1, 0
	s_and_b64 vcc, exec, s[60:61]
	s_cbranch_vccz .LBB20_1284
; %bb.1283:                             ;   in Loop: Header=BB20_1282 Depth=2
	s_mov_b64 vcc, -1
	s_or_b64 s[58:59], s[58:59], exec
	s_and_saveexec_b64 s[62:63], s[60:61]
	s_cbranch_execz .LBB20_1281
	s_branch .LBB20_1285
.LBB20_1284:                            ;   in Loop: Header=BB20_1282 Depth=2
	s_trap 2
	ds_read_b64 v[8:9], v0
	s_andn2_b64 s[60:61], s[60:61], exec
	s_mov_b32 s76, 0
	s_waitcnt vmcnt(0) lgkmcnt(0)
	flat_load_dword v2, v[8:9] sc0 sc1
	s_waitcnt vmcnt(0) lgkmcnt(0)
	buffer_inv sc0 sc1
	v_cmp_eq_u32_e32 vcc, 0, v2
	s_and_b64 s[62:63], vcc, exec
	s_or_b64 s[60:61], s[60:61], s[62:63]
	s_mov_b64 vcc, -1
	s_or_b64 s[58:59], s[58:59], exec
	s_and_saveexec_b64 s[62:63], s[60:61]
	s_cbranch_execz .LBB20_1281
.LBB20_1285:                            ;   in Loop: Header=BB20_1282 Depth=2
	s_sleep 1
	s_trap 2
	ds_read_b64 v[8:9], v0
	s_waitcnt lgkmcnt(0)
	s_andn2_b64 s[58:59], s[58:59], exec
	v_cmp_ge_u64_e32 vcc, v[8:9], v[70:71]
	s_orn2_b64 vcc, vcc, exec
	s_branch .LBB20_1281
.LBB20_1286:                            ;   in Loop: Header=BB20_47 Depth=1
	s_or_b64 exec, exec, s[46:47]
	s_and_saveexec_b64 s[46:47], s[56:57]
	s_xor_b64 s[46:47], exec, s[46:47]
	s_cbranch_execz .LBB20_1288
; %bb.1287:                             ;   in Loop: Header=BB20_47 Depth=1
	ds_write_b32 v0, v95
	s_trap 2
.LBB20_1288:                            ;   in Loop: Header=BB20_47 Depth=1
	s_or_b64 exec, exec, s[44:45]
	;;#ASMSTART
	s_wakeup
	;;#ASMEND
.LBB20_1289:                            ;   in Loop: Header=BB20_47 Depth=1
	s_or_b64 exec, exec, s[42:43]
.LBB20_1290:                            ;   in Loop: Header=BB20_47 Depth=1
	s_andn2_saveexec_b64 s[40:41], s[40:41]
	s_cbranch_execz .LBB20_1292
; %bb.1291:                             ;   in Loop: Header=BB20_47 Depth=1
	s_waitcnt lgkmcnt(0)
	s_barrier
.LBB20_1292:                            ;   in Loop: Header=BB20_47 Depth=1
	s_or_b64 exec, exec, s[40:41]
	s_or_b64 exec, exec, s[28:29]
                                        ; implicit-def: $vgpr2
	s_and_saveexec_b64 s[28:29], s[22:23]
	s_xor_b64 s[28:29], exec, s[28:29]
	s_cbranch_execnz .LBB20_752
.LBB20_1293:                            ;   in Loop: Header=BB20_47 Depth=1
	s_andn2_saveexec_b64 s[26:27], s[28:29]
	s_cbranch_execz .LBB20_1312
.LBB20_1294:                            ;   in Loop: Header=BB20_47 Depth=1
	s_and_saveexec_b64 s[28:29], s[78:79]
	s_xor_b64 s[28:29], exec, s[28:29]
	s_cbranch_execz .LBB20_1309
; %bb.1295:                             ;   in Loop: Header=BB20_47 Depth=1
	s_and_saveexec_b64 s[40:41], s[14:15]
	s_cbranch_execz .LBB20_1308
; %bb.1296:                             ;   in Loop: Header=BB20_47 Depth=1
	s_mov_b64 s[44:45], exec
	v_mbcnt_lo_u32_b32 v2, s44, 0
	v_mbcnt_hi_u32_b32 v2, s45, v2
	v_cmp_eq_u32_e32 vcc, 0, v2
	;;#ASMSTART
	s_waitcnt lgkmcnt(0) vmcnt(0)
	;;#ASMEND
	s_and_saveexec_b64 s[42:43], vcc
	s_cbranch_execz .LBB20_1298
; %bb.1297:                             ;   in Loop: Header=BB20_47 Depth=1
	s_bcnt1_i32_b64 s44, s[44:45]
	v_mov_b32_e32 v2, s44
	s_waitcnt lgkmcnt(0)
	ds_add_u64 v0, v[2:3]
	s_trap 2
.LBB20_1298:                            ;   in Loop: Header=BB20_47 Depth=1
	s_or_b64 exec, exec, s[42:43]
	s_trap 2
	ds_read_b64 v[8:9], v0
	s_waitcnt lgkmcnt(0)
	v_lshl_add_u64 v[70:71], v[70:71], 0, v[84:85]
	v_cmp_lt_u64_e32 vcc, v[8:9], v[70:71]
	s_and_saveexec_b64 s[42:43], vcc
	s_cbranch_execz .LBB20_1307
; %bb.1299:                             ;   in Loop: Header=BB20_47 Depth=1
	s_mov_b32 s76, 0
	s_mov_b64 s[44:45], 0
                                        ; implicit-def: $sgpr46_sgpr47
                                        ; implicit-def: $sgpr56_sgpr57
	s_branch .LBB20_1301
.LBB20_1300:                            ;   in Loop: Header=BB20_1301 Depth=2
	s_or_b64 exec, exec, s[60:61]
	s_and_b64 s[58:59], exec, s[62:63]
	s_or_b64 s[44:45], s[58:59], s[44:45]
	s_andn2_b64 s[46:47], s[46:47], exec
	s_and_b64 s[58:59], s[56:57], exec
	s_or_b64 s[46:47], s[46:47], s[58:59]
	s_andn2_b64 exec, exec, s[44:45]
	s_cbranch_execz .LBB20_1305
.LBB20_1301:                            ;   Parent Loop BB20_47 Depth=1
                                        ; =>  This Inner Loop Header: Depth=2
	s_add_i32 s76, s76, 1
	s_cmpk_lg_i32 s76, 0x2710
	s_cselect_b64 s[58:59], -1, 0
	s_and_b64 vcc, exec, s[58:59]
	s_cbranch_vccz .LBB20_1303
; %bb.1302:                             ;   in Loop: Header=BB20_1301 Depth=2
	s_mov_b64 s[62:63], -1
	s_or_b64 s[56:57], s[56:57], exec
	s_and_saveexec_b64 s[60:61], s[58:59]
	s_cbranch_execz .LBB20_1300
	s_branch .LBB20_1304
.LBB20_1303:                            ;   in Loop: Header=BB20_1301 Depth=2
	s_trap 2
	ds_read_b64 v[8:9], v0
	s_andn2_b64 s[58:59], s[58:59], exec
	s_mov_b32 s76, 0
	s_waitcnt vmcnt(0) lgkmcnt(0)
	flat_load_dword v2, v[8:9] sc0 sc1
	s_waitcnt vmcnt(0) lgkmcnt(0)
	buffer_inv sc0 sc1
	v_cmp_eq_u32_e32 vcc, 0, v2
	s_and_b64 s[60:61], vcc, exec
	s_or_b64 s[58:59], s[58:59], s[60:61]
	s_mov_b64 s[62:63], -1
	s_or_b64 s[56:57], s[56:57], exec
	s_and_saveexec_b64 s[60:61], s[58:59]
	s_cbranch_execz .LBB20_1300
.LBB20_1304:                            ;   in Loop: Header=BB20_1301 Depth=2
	s_sleep 1
	s_trap 2
	ds_read_b64 v[8:9], v0
	s_waitcnt lgkmcnt(0)
	s_andn2_b64 s[56:57], s[56:57], exec
	v_cmp_ge_u64_e32 vcc, v[8:9], v[70:71]
	s_orn2_b64 s[62:63], vcc, exec
	s_branch .LBB20_1300
.LBB20_1305:                            ;   in Loop: Header=BB20_47 Depth=1
	s_or_b64 exec, exec, s[44:45]
	s_and_saveexec_b64 s[44:45], s[46:47]
	s_xor_b64 s[44:45], exec, s[44:45]
	s_cbranch_execz .LBB20_1307
; %bb.1306:                             ;   in Loop: Header=BB20_47 Depth=1
	ds_write_b32 v0, v95
	s_trap 2
.LBB20_1307:                            ;   in Loop: Header=BB20_47 Depth=1
	s_or_b64 exec, exec, s[42:43]
	;;#ASMSTART
	s_wakeup
	;;#ASMEND
.LBB20_1308:                            ;   in Loop: Header=BB20_47 Depth=1
	s_or_b64 exec, exec, s[40:41]
.LBB20_1309:                            ;   in Loop: Header=BB20_47 Depth=1
	s_andn2_saveexec_b64 s[28:29], s[28:29]
	s_cbranch_execz .LBB20_1311
; %bb.1310:                             ;   in Loop: Header=BB20_47 Depth=1
	;;#ASMSTART
	s_waitcnt lgkmcnt(0) vmcnt(0)
	;;#ASMEND
	s_barrier
.LBB20_1311:                            ;   in Loop: Header=BB20_47 Depth=1
	s_or_b64 exec, exec, s[28:29]
	v_and_b32_e32 v2, 16, v92
.LBB20_1312:                            ;   in Loop: Header=BB20_47 Depth=1
	s_or_b64 exec, exec, s[26:27]
	v_cmp_ne_u32_e32 vcc, 0, v2
	s_xor_b64 s[26:27], s[10:11], -1
	s_and_b64 s[28:29], vcc, s[26:27]
	s_and_saveexec_b64 s[26:27], s[28:29]
	s_cbranch_execz .LBB20_1314
; %bb.1313:                             ;   in Loop: Header=BB20_47 Depth=1
	flat_store_dword v[68:69], v95 sc0 sc1
.LBB20_1314:                            ;   in Loop: Header=BB20_47 Depth=1
	s_or_b64 exec, exec, s[26:27]
	v_and_b32_e32 v2, 48, v92
	v_cmp_ne_u32_e32 vcc, 0, v2
	s_and_saveexec_b64 s[26:27], vcc
	s_cbranch_execz .LBB20_1316
; %bb.1315:                             ;   in Loop: Header=BB20_47 Depth=1
	v_lshl_add_u64 v[58:59], v[58:59], 0, 4
	flat_store_dwordx2 v[64:65], v[58:59] sc0 sc1
.LBB20_1316:                            ;   in Loop: Header=BB20_47 Depth=1
	s_or_b64 exec, exec, s[26:27]
	v_mov_b32_e32 v2, v36
	s_or_b64 exec, exec, s[48:49]
	s_and_saveexec_b64 s[28:29], s[38:39]
	s_cbranch_execnz .LBB20_619
.LBB20_1317:                            ;   in Loop: Header=BB20_47 Depth=1
	s_or_b64 exec, exec, s[28:29]
	s_and_b64 vcc, exec, s[24:25]
	s_cbranch_vccnz .LBB20_1826
.LBB20_1318:                            ;   in Loop: Header=BB20_47 Depth=1
	s_mov_b32 s54, 1
.LBB20_1319:                            ;   Parent Loop BB20_47 Depth=1
                                        ; =>  This Loop Header: Depth=2
                                        ;       Child Loop BB20_1332 Depth 3
                                        ;       Child Loop BB20_1372 Depth 3
	;; [unrolled: 1-line block ×9, first 2 shown]
                                        ;         Child Loop BB20_1548 Depth 4
                                        ;       Child Loop BB20_1556 Depth 3
                                        ;       Child Loop BB20_1592 Depth 3
                                        ;         Child Loop BB20_1593 Depth 4
                                        ;       Child Loop BB20_1789 Depth 3
                                        ;       Child Loop BB20_1808 Depth 3
	;; [unrolled: 1-line block ×5, first 2 shown]
	s_sub_i32 s24, s71, s54
	s_cmp_ge_i32 s24, s64
	s_cselect_b32 s25, s64, 0
	s_sub_i32 s24, s24, s25
	s_ashr_i32 s25, s24, 31
	v_mul_lo_u32 v2, v56, s25
	v_mul_lo_u32 v10, v57, s24
	v_mad_u64_u32 v[8:9], s[24:25], v56, s24, 0
	v_add3_u32 v9, v9, v2, v10
	v_sub_co_u32_e32 v10, vcc, v60, v8
	s_nop 1
	v_subb_co_u32_e32 v11, vcc, v61, v9, vcc
	v_cmp_lt_i64_e32 vcc, v[56:57], v[10:11]
	s_nop 1
	v_cndmask_b32_e32 v2, v10, v56, vcc
	v_max_i32_e32 v88, 0, v2
	v_add_u32_e32 v10, 15, v88
	v_ashrrev_i32_e32 v11, 31, v10
	v_lshrrev_b32_e32 v11, 28, v11
	v_add_u32_e32 v10, v10, v11
	v_cmp_gt_i32_e32 vcc, 1, v2
	v_and_b32_e32 v10, -16, v10
	s_or_b64 s[62:63], s[2:3], vcc
	s_waitcnt lgkmcnt(0)
	v_max_i32_e32 v72, s82, v10
	s_xor_b64 s[24:25], s[62:63], -1
	v_mov_b32_e32 v2, 0
	s_and_saveexec_b64 s[38:39], s[24:25]
	s_cbranch_execz .LBB20_1325
; %bb.1320:                             ;   in Loop: Header=BB20_1319 Depth=2
	s_and_saveexec_b64 s[24:25], s[0:1]
	s_cbranch_execz .LBB20_1322
; %bb.1321:                             ;   in Loop: Header=BB20_1319 Depth=2
	s_trap 2
	ds_read_b128 v[10:13], v0
	v_lshl_add_u64 v[8:9], v[8:9], 0, v[62:63]
	v_lshlrev_b64 v[8:9], 1, v[8:9]
	s_waitcnt lgkmcnt(0)
	v_lshl_add_u64 v[10:11], v[10:11], 0, v[8:9]
	v_lshl_add_u64 v[8:9], v[12:13], 0, v[8:9]
	v_cmp_ne_u64_e32 vcc, 0, v[12:13]
	ds_write_b64 v0, v[10:11]
	s_nop 0
	v_cndmask_b32_e32 v9, 0, v9, vcc
	v_cndmask_b32_e32 v8, 0, v8, vcc
	ds_write_b64 v0, v[8:9]
.LBB20_1322:                            ;   in Loop: Header=BB20_1319 Depth=2
	s_or_b64 exec, exec, s[24:25]
	v_and_b32_e32 v2, 12, v92
	v_min_i32_e32 v72, v72, v88
	v_cmp_ne_u32_e32 vcc, 0, v2
	s_and_saveexec_b64 s[26:27], vcc
	s_cbranch_execz .LBB20_1364
; %bb.1323:                             ;   in Loop: Header=BB20_1319 Depth=2
	v_and_b32_e32 v2, 8, v92
	s_waitcnt vmcnt(0)
	v_lshl_add_u64 v[10:11], v[80:81], 0, v[2:3]
	v_lshl_add_u64 v[8:9], v[58:59], 0, 4
	v_cmp_lt_u64_e32 vcc, v[10:11], v[8:9]
	s_and_saveexec_b64 s[28:29], vcc
	s_cbranch_execz .LBB20_1351
; %bb.1324:                             ;   in Loop: Header=BB20_1319 Depth=2
	v_and_b32_e32 v10, 64, v92
	s_mov_b32 s76, 0
	v_cmp_eq_u32_e32 vcc, 0, v10
	s_mov_b64 s[40:41], 0
                                        ; implicit-def: $sgpr42_sgpr43
                                        ; implicit-def: $sgpr44_sgpr45
                                        ; implicit-def: $sgpr46_sgpr47
	s_branch .LBB20_1332
.LBB20_1325:                            ;   in Loop: Header=BB20_1319 Depth=2
	s_or_b64 exec, exec, s[38:39]
	s_and_saveexec_b64 s[26:27], s[62:63]
	s_cbranch_execz .LBB20_1824
.LBB20_1326:                            ;   in Loop: Header=BB20_1319 Depth=2
	v_sub_u32_e32 v2, v88, v2
	v_min_i32_e32 v8, v72, v2
	v_and_b32_e32 v2, 12, v92
	v_cmp_ne_u32_e32 vcc, 0, v2
	s_and_saveexec_b64 s[28:29], vcc
	s_cbranch_execz .LBB20_1343
; %bb.1327:                             ;   in Loop: Header=BB20_1319 Depth=2
	v_and_b32_e32 v2, 8, v92
	s_waitcnt vmcnt(0)
	v_lshl_add_u64 v[12:13], v[80:81], 0, v[2:3]
	v_lshl_add_u64 v[10:11], v[58:59], 0, 4
	v_cmp_lt_u64_e32 vcc, v[12:13], v[10:11]
	s_and_saveexec_b64 s[40:41], vcc
	s_cbranch_execz .LBB20_1379
; %bb.1328:                             ;   in Loop: Header=BB20_1319 Depth=2
	v_and_b32_e32 v9, 64, v92
	s_mov_b32 s76, 0
	v_cmp_eq_u32_e32 vcc, 0, v9
	s_mov_b64 s[42:43], 0
                                        ; implicit-def: $sgpr44_sgpr45
                                        ; implicit-def: $sgpr46_sgpr47
                                        ; implicit-def: $sgpr56_sgpr57
	s_branch .LBB20_1339
.LBB20_1329:                            ;   in Loop: Header=BB20_1332 Depth=3
	s_waitcnt vmcnt(0) lgkmcnt(0)
	v_lshl_add_u64 v[12:13], v[80:81], 0, v[2:3]
	v_cmp_ge_u64_e64 s[24:25], v[12:13], v[8:9]
	s_or_b64 s[60:61], s[60:61], exec
	s_orn2_b64 s[58:59], s[24:25], exec
.LBB20_1330:                            ;   in Loop: Header=BB20_1332 Depth=3
	s_or_b64 exec, exec, s[50:51]
	s_andn2_b64 s[24:25], s[46:47], exec
	s_and_b64 s[46:47], s[60:61], exec
	s_or_b64 s[46:47], s[24:25], s[46:47]
	s_andn2_b64 s[24:25], s[44:45], exec
	s_and_b64 s[44:45], s[58:59], exec
	s_or_b64 s[44:45], s[24:25], s[44:45]
.LBB20_1331:                            ;   in Loop: Header=BB20_1332 Depth=3
	s_or_b64 exec, exec, s[56:57]
	s_and_b64 s[24:25], exec, s[44:45]
	s_or_b64 s[40:41], s[24:25], s[40:41]
	s_andn2_b64 s[24:25], s[42:43], exec
	s_and_b64 s[42:43], s[46:47], exec
	s_or_b64 s[42:43], s[24:25], s[42:43]
	s_andn2_b64 exec, exec, s[40:41]
	s_cbranch_execz .LBB20_1348
.LBB20_1332:                            ;   Parent Loop BB20_47 Depth=1
                                        ;     Parent Loop BB20_1319 Depth=2
                                        ; =>    This Inner Loop Header: Depth=3
	s_sleep 1
	s_waitcnt vmcnt(0) lgkmcnt(0)
	flat_load_dwordx2 v[80:81], v[64:65] sc0 sc1
	s_or_b64 s[46:47], s[46:47], exec
	s_or_b64 s[44:45], s[44:45], exec
                                        ; implicit-def: $vgpr10
	s_and_saveexec_b64 s[56:57], vcc
	s_cbranch_execz .LBB20_1331
; %bb.1333:                             ;   in Loop: Header=BB20_1332 Depth=3
	s_cmpk_lt_i32 s76, 0x270f
	s_cselect_b64 s[48:49], -1, 0
	s_cmpk_gt_i32 s76, 0x270e
	s_mov_b64 s[58:59], -1
	s_cbranch_scc0 .LBB20_1335
; %bb.1334:                             ;   in Loop: Header=BB20_1332 Depth=3
	s_trap 2
	ds_read_b64 v[10:11], v0
	s_andn2_b64 s[48:49], s[48:49], exec
	s_mov_b32 s76, 0
	s_mov_b64 s[60:61], 0
	s_waitcnt vmcnt(0) lgkmcnt(0)
	flat_load_dword v10, v[10:11] sc0 sc1
	s_waitcnt vmcnt(0) lgkmcnt(0)
	buffer_inv sc0 sc1
	v_cmp_eq_u32_e64 s[24:25], 0, v10
	s_and_b64 s[24:25], s[24:25], exec
	s_or_b64 s[48:49], s[48:49], s[24:25]
	s_and_saveexec_b64 s[50:51], s[48:49]
	s_cbranch_execz .LBB20_1330
	s_branch .LBB20_1329
.LBB20_1335:                            ;   in Loop: Header=BB20_1332 Depth=3
	s_add_i32 s76, s76, 1
	s_mov_b64 s[60:61], -1
                                        ; implicit-def: $vgpr10
	s_and_saveexec_b64 s[50:51], s[48:49]
	s_cbranch_execz .LBB20_1330
	s_branch .LBB20_1329
.LBB20_1336:                            ;   in Loop: Header=BB20_1339 Depth=3
	s_waitcnt vmcnt(0) lgkmcnt(0)
	v_lshl_add_u64 v[12:13], v[80:81], 0, v[2:3]
	v_cmp_ge_u64_e64 s[24:25], v[12:13], v[10:11]
	s_or_b64 s[62:63], s[62:63], exec
	s_orn2_b64 s[60:61], s[24:25], exec
.LBB20_1337:                            ;   in Loop: Header=BB20_1339 Depth=3
	s_or_b64 exec, exec, s[48:49]
	s_andn2_b64 s[24:25], s[56:57], exec
	s_and_b64 s[56:57], s[62:63], exec
	s_or_b64 s[56:57], s[24:25], s[56:57]
	s_andn2_b64 s[24:25], s[46:47], exec
	s_and_b64 s[46:47], s[60:61], exec
	s_or_b64 s[46:47], s[24:25], s[46:47]
.LBB20_1338:                            ;   in Loop: Header=BB20_1339 Depth=3
	s_or_b64 exec, exec, s[58:59]
	s_and_b64 s[24:25], exec, s[46:47]
	s_or_b64 s[42:43], s[24:25], s[42:43]
	s_andn2_b64 s[24:25], s[44:45], exec
	s_and_b64 s[44:45], s[56:57], exec
	s_or_b64 s[44:45], s[24:25], s[44:45]
	s_andn2_b64 exec, exec, s[42:43]
	s_cbranch_execz .LBB20_1376
.LBB20_1339:                            ;   Parent Loop BB20_47 Depth=1
                                        ;     Parent Loop BB20_1319 Depth=2
                                        ; =>    This Inner Loop Header: Depth=3
	s_sleep 1
	s_waitcnt vmcnt(0) lgkmcnt(0)
	flat_load_dwordx2 v[80:81], v[64:65] sc0 sc1
	s_or_b64 s[56:57], s[56:57], exec
	s_or_b64 s[46:47], s[46:47], exec
                                        ; implicit-def: $vgpr9
	s_and_saveexec_b64 s[58:59], vcc
	s_cbranch_execz .LBB20_1338
; %bb.1340:                             ;   in Loop: Header=BB20_1339 Depth=3
	s_cmpk_lt_i32 s76, 0x270f
	s_cselect_b64 s[38:39], -1, 0
	s_cmpk_gt_i32 s76, 0x270e
	s_mov_b64 s[60:61], -1
	s_cbranch_scc0 .LBB20_1342
; %bb.1341:                             ;   in Loop: Header=BB20_1339 Depth=3
	s_trap 2
	ds_read_b64 v[12:13], v0
	s_andn2_b64 s[38:39], s[38:39], exec
	s_mov_b32 s76, 0
	s_mov_b64 s[62:63], 0
	s_waitcnt vmcnt(0) lgkmcnt(0)
	flat_load_dword v9, v[12:13] sc0 sc1
	s_waitcnt vmcnt(0) lgkmcnt(0)
	buffer_inv sc0 sc1
	v_cmp_eq_u32_e64 s[24:25], 0, v9
	s_and_b64 s[24:25], s[24:25], exec
	s_or_b64 s[38:39], s[38:39], s[24:25]
	s_and_saveexec_b64 s[48:49], s[38:39]
	s_cbranch_execz .LBB20_1337
	s_branch .LBB20_1336
.LBB20_1342:                            ;   in Loop: Header=BB20_1339 Depth=3
	s_add_i32 s76, s76, 1
	s_mov_b64 s[62:63], -1
                                        ; implicit-def: $vgpr9
	s_and_saveexec_b64 s[48:49], s[38:39]
	s_cbranch_execz .LBB20_1337
	s_branch .LBB20_1336
.LBB20_1343:                            ;   in Loop: Header=BB20_1319 Depth=2
	s_or_b64 exec, exec, s[28:29]
	s_and_saveexec_b64 s[24:25], s[6:7]
	s_cbranch_execnz .LBB20_1392
.LBB20_1344:                            ;   in Loop: Header=BB20_1319 Depth=2
	s_or_b64 exec, exec, s[24:25]
                                        ; implicit-def: $vgpr2
	s_and_saveexec_b64 s[24:25], s[22:23]
	s_xor_b64 s[24:25], exec, s[24:25]
	s_cbranch_execz .LBB20_1429
.LBB20_1345:                            ;   in Loop: Header=BB20_1319 Depth=2
	s_trap 2
	ds_read_b32 v9, v0
	v_cmp_lt_i32_e32 vcc, 0, v8
	v_and_b32_e32 v8, 16, v92
	v_and_b32_e32 v2, 16, v92
	s_waitcnt lgkmcnt(0)
	v_readfirstlane_b32 s28, v9
	s_cmp_eq_u32 s28, 0
	s_cselect_b64 s[28:29], -1, 0
	s_and_b64 s[28:29], vcc, s[28:29]
	v_cmp_ne_u32_e32 vcc, 0, v8
	s_and_b64 s[40:41], vcc, s[28:29]
	s_and_saveexec_b64 s[28:29], s[40:41]
	s_cbranch_execz .LBB20_1347
; %bb.1346:                             ;   in Loop: Header=BB20_1319 Depth=2
	v_mov_b32_e32 v2, 1
	buffer_wbl2 sc1
	s_waitcnt vmcnt(0)
	buffer_inv sc1
.LBB20_1347:                            ;   in Loop: Header=BB20_1319 Depth=2
	s_or_b64 exec, exec, s[28:29]
	s_andn2_saveexec_b64 s[24:25], s[24:25]
	s_cbranch_execz .LBB20_1538
	s_branch .LBB20_1430
.LBB20_1348:                            ;   in Loop: Header=BB20_1319 Depth=2
	s_or_b64 exec, exec, s[40:41]
	s_xor_b64 s[24:25], s[42:43], -1
	s_and_saveexec_b64 s[40:41], s[24:25]
	s_xor_b64 s[24:25], exec, s[40:41]
	s_cbranch_execz .LBB20_1350
; %bb.1349:                             ;   in Loop: Header=BB20_1319 Depth=2
	v_or_b32_e32 v92, 64, v92
	s_waitcnt lgkmcnt(0)
	ds_write_b32 v0, v10
	s_trap 2
.LBB20_1350:                            ;   in Loop: Header=BB20_1319 Depth=2
	s_or_b64 exec, exec, s[24:25]
.LBB20_1351:                            ;   in Loop: Header=BB20_1319 Depth=2
	s_or_b64 exec, exec, s[28:29]
	v_and_b32_e32 v10, 0x108, v92
	v_cmp_ne_u32_e32 vcc, s67, v10
	;;#ASMSTART
	s_wakeup
	;;#ASMEND
                                        ; implicit-def: $vgpr10_vgpr11
	s_and_saveexec_b64 s[24:25], vcc
	s_xor_b64 s[24:25], exec, s[24:25]
; %bb.1352:                             ;   in Loop: Header=BB20_1319 Depth=2
	v_and_b32_e32 v10, 7, v58
	v_mov_b32_e32 v11, v3
                                        ; implicit-def: $vgpr58_vgpr59
; %bb.1353:                             ;   in Loop: Header=BB20_1319 Depth=2
	s_andn2_saveexec_b64 s[24:25], s[24:25]
	s_cbranch_execz .LBB20_1355
; %bb.1354:                             ;   in Loop: Header=BB20_1319 Depth=2
	v_and_b32_e32 v10, 7, v58
	v_ashrrev_i32_e32 v73, 31, v72
	v_mov_b32_e32 v11, v3
	v_mad_u64_u32 v[12:13], s[28:29], v10, 24, v[6:7]
	v_lshlrev_b64 v[14:15], 1, v[72:73]
	flat_store_dwordx2 v[12:13], v[14:15] offset:8
.LBB20_1355:                            ;   in Loop: Header=BB20_1319 Depth=2
	s_or_b64 exec, exec, s[24:25]
	v_and_b32_e32 v12, 0x100, v92
	v_cmp_ne_u32_e32 vcc, 0, v12
	s_mov_b64 s[24:25], -1
                                        ; implicit-def: $vgpr12_vgpr13
	s_and_saveexec_b64 s[28:29], vcc
	s_cbranch_execz .LBB20_1359
; %bb.1356:                             ;   in Loop: Header=BB20_1319 Depth=2
	v_mad_u64_u32 v[14:15], s[24:25], v10, 24, v[6:7]
	v_mov_b32_e32 v12, v15
	v_mad_u64_u32 v[12:13], s[24:25], v11, 24, v[12:13]
	v_mov_b32_e32 v15, v12
	flat_load_dword v12, v[14:15]
	s_waitcnt vmcnt(0) lgkmcnt(0)
	v_cmp_ne_u32_e32 vcc, 1, v12
	v_cmp_eq_u32_e64 s[24:25], 1, v12
                                        ; implicit-def: $vgpr12_vgpr13
	s_and_saveexec_b64 s[40:41], s[24:25]
	s_cbranch_execz .LBB20_1358
; %bb.1357:                             ;   in Loop: Header=BB20_1319 Depth=2
	flat_load_dword v12, v[14:15] offset:4 sc0 sc1
	s_waitcnt vmcnt(0) lgkmcnt(0)
	v_ashrrev_i32_e32 v13, 31, v12
	v_lshrrev_b64 v[12:13], 1, v[12:13]
.LBB20_1358:                            ;   in Loop: Header=BB20_1319 Depth=2
	s_or_b64 exec, exec, s[40:41]
	s_orn2_b64 s[24:25], vcc, exec
.LBB20_1359:                            ;   in Loop: Header=BB20_1319 Depth=2
	s_or_b64 exec, exec, s[28:29]
	s_and_saveexec_b64 s[28:29], s[24:25]
; %bb.1360:                             ;   in Loop: Header=BB20_1319 Depth=2
	v_mul_lo_u32 v11, v11, v30
	v_mul_lo_u32 v14, v10, v83
	v_mad_u64_u32 v[12:13], s[24:25], v10, v30, 0
	v_add3_u32 v13, v13, v14, v11
; %bb.1361:                             ;   in Loop: Header=BB20_1319 Depth=2
	s_or_b64 exec, exec, s[28:29]
	v_cmp_eq_u32_e32 vcc, 0, v2
	v_lshl_add_u64 v[10:11], v[12:13], 1, v[66:67]
	s_nop 0
	v_cndmask_b32_e32 v2, v106, v107, vcc
	v_add_u32_e32 v2, v0, v2
	ds_write_b64 v2, v[10:11] offset:584
	v_and_b32_e32 v2, 0x2000, v92
	v_cmp_ne_u32_e32 vcc, 0, v2
	s_and_saveexec_b64 s[24:25], vcc
	s_cbranch_execz .LBB20_1363
; %bb.1362:                             ;   in Loop: Header=BB20_1319 Depth=2
	ds_read_b64 v[10:11], v0 offset:872
	s_waitcnt lgkmcnt(0)
	v_lshl_add_u64 v[10:11], v[10:11], 0, 1
	ds_write_b64 v0, v[10:11] offset:872
.LBB20_1363:                            ;   in Loop: Header=BB20_1319 Depth=2
	s_or_b64 exec, exec, s[24:25]
	v_mov_b64_e32 v[58:59], v[8:9]
.LBB20_1364:                            ;   in Loop: Header=BB20_1319 Depth=2
	s_or_b64 exec, exec, s[26:27]
	s_and_saveexec_b64 s[24:25], s[6:7]
	s_cbranch_execz .LBB20_1410
; %bb.1365:                             ;   in Loop: Header=BB20_1319 Depth=2
	s_and_saveexec_b64 s[26:27], s[78:79]
	s_xor_b64 s[26:27], exec, s[26:27]
	s_cbranch_execz .LBB20_1407
; %bb.1366:                             ;   in Loop: Header=BB20_1319 Depth=2
	s_and_saveexec_b64 s[28:29], s[14:15]
	s_cbranch_execz .LBB20_1406
; %bb.1367:                             ;   in Loop: Header=BB20_1319 Depth=2
	s_mov_b64 s[42:43], exec
	v_mbcnt_lo_u32_b32 v2, s42, 0
	v_mbcnt_hi_u32_b32 v2, s43, v2
	v_cmp_eq_u32_e32 vcc, 0, v2
	s_waitcnt lgkmcnt(0)
	s_and_saveexec_b64 s[40:41], vcc
	s_cbranch_execz .LBB20_1369
; %bb.1368:                             ;   in Loop: Header=BB20_1319 Depth=2
	s_bcnt1_i32_b64 s42, s[42:43]
	v_mov_b32_e32 v2, s42
	ds_add_u64 v0, v[2:3]
	s_trap 2
.LBB20_1369:                            ;   in Loop: Header=BB20_1319 Depth=2
	s_or_b64 exec, exec, s[40:41]
	s_trap 2
	ds_read_b64 v[8:9], v0
	s_waitcnt lgkmcnt(0)
	v_lshl_add_u64 v[70:71], v[70:71], 0, v[84:85]
	v_cmp_lt_u64_e32 vcc, v[8:9], v[70:71]
	s_and_saveexec_b64 s[40:41], vcc
	s_cbranch_execz .LBB20_1405
; %bb.1370:                             ;   in Loop: Header=BB20_1319 Depth=2
	s_mov_b32 s76, 0
	s_mov_b64 s[42:43], 0
                                        ; implicit-def: $sgpr44_sgpr45
                                        ; implicit-def: $sgpr46_sgpr47
	s_branch .LBB20_1372
.LBB20_1371:                            ;   in Loop: Header=BB20_1372 Depth=3
	s_or_b64 exec, exec, s[58:59]
	s_and_b64 s[56:57], exec, s[60:61]
	s_or_b64 s[42:43], s[56:57], s[42:43]
	s_andn2_b64 s[44:45], s[44:45], exec
	s_and_b64 s[56:57], s[46:47], exec
	s_or_b64 s[44:45], s[44:45], s[56:57]
	s_andn2_b64 exec, exec, s[42:43]
	s_cbranch_execz .LBB20_1403
.LBB20_1372:                            ;   Parent Loop BB20_47 Depth=1
                                        ;     Parent Loop BB20_1319 Depth=2
                                        ; =>    This Inner Loop Header: Depth=3
	s_add_i32 s76, s76, 1
	s_cmpk_lg_i32 s76, 0x2710
	s_cselect_b64 s[56:57], -1, 0
	s_and_b64 vcc, exec, s[56:57]
	s_cbranch_vccz .LBB20_1374
; %bb.1373:                             ;   in Loop: Header=BB20_1372 Depth=3
	s_mov_b64 s[60:61], -1
	s_or_b64 s[46:47], s[46:47], exec
	s_and_saveexec_b64 s[58:59], s[56:57]
	s_cbranch_execz .LBB20_1371
	s_branch .LBB20_1375
.LBB20_1374:                            ;   in Loop: Header=BB20_1372 Depth=3
	s_trap 2
	ds_read_b64 v[8:9], v0
	s_andn2_b64 s[56:57], s[56:57], exec
	s_mov_b32 s76, 0
	s_waitcnt vmcnt(0) lgkmcnt(0)
	flat_load_dword v2, v[8:9] sc0 sc1
	s_waitcnt vmcnt(0) lgkmcnt(0)
	buffer_inv sc0 sc1
	v_cmp_eq_u32_e32 vcc, 0, v2
	s_and_b64 s[58:59], vcc, exec
	s_or_b64 s[56:57], s[56:57], s[58:59]
	s_mov_b64 s[60:61], -1
	s_or_b64 s[46:47], s[46:47], exec
	s_and_saveexec_b64 s[58:59], s[56:57]
	s_cbranch_execz .LBB20_1371
.LBB20_1375:                            ;   in Loop: Header=BB20_1372 Depth=3
	s_sleep 1
	s_trap 2
	ds_read_b64 v[8:9], v0
	s_waitcnt lgkmcnt(0)
	s_andn2_b64 s[46:47], s[46:47], exec
	v_cmp_ge_u64_e32 vcc, v[8:9], v[70:71]
	s_orn2_b64 s[60:61], vcc, exec
	s_branch .LBB20_1371
.LBB20_1376:                            ;   in Loop: Header=BB20_1319 Depth=2
	s_or_b64 exec, exec, s[42:43]
	s_xor_b64 s[24:25], s[44:45], -1
	s_and_saveexec_b64 s[42:43], s[24:25]
	s_xor_b64 s[24:25], exec, s[42:43]
	s_cbranch_execz .LBB20_1378
; %bb.1377:                             ;   in Loop: Header=BB20_1319 Depth=2
	v_or_b32_e32 v92, 64, v92
	s_waitcnt lgkmcnt(0)
	ds_write_b32 v0, v9
	s_trap 2
.LBB20_1378:                            ;   in Loop: Header=BB20_1319 Depth=2
	s_or_b64 exec, exec, s[24:25]
.LBB20_1379:                            ;   in Loop: Header=BB20_1319 Depth=2
	s_or_b64 exec, exec, s[40:41]
	v_and_b32_e32 v9, 0x108, v92
	v_cmp_ne_u32_e32 vcc, s67, v9
	;;#ASMSTART
	s_wakeup
	;;#ASMEND
                                        ; implicit-def: $vgpr12_vgpr13
	s_and_saveexec_b64 s[24:25], vcc
	s_xor_b64 s[24:25], exec, s[24:25]
; %bb.1380:                             ;   in Loop: Header=BB20_1319 Depth=2
	v_and_b32_e32 v12, 7, v58
	v_mov_b32_e32 v13, v3
                                        ; implicit-def: $vgpr58_vgpr59
; %bb.1381:                             ;   in Loop: Header=BB20_1319 Depth=2
	s_andn2_saveexec_b64 s[24:25], s[24:25]
	s_cbranch_execz .LBB20_1383
; %bb.1382:                             ;   in Loop: Header=BB20_1319 Depth=2
	v_and_b32_e32 v12, 7, v58
	v_ashrrev_i32_e32 v9, 31, v8
	v_mov_b32_e32 v13, v3
	v_mad_u64_u32 v[14:15], s[40:41], v12, 24, v[6:7]
	v_lshlrev_b64 v[16:17], 1, v[8:9]
	flat_store_dwordx2 v[14:15], v[16:17] offset:8
.LBB20_1383:                            ;   in Loop: Header=BB20_1319 Depth=2
	s_or_b64 exec, exec, s[24:25]
	v_and_b32_e32 v9, 0x100, v92
	v_cmp_ne_u32_e32 vcc, 0, v9
	s_mov_b64 s[24:25], -1
                                        ; implicit-def: $vgpr14_vgpr15
	s_and_saveexec_b64 s[40:41], vcc
	s_cbranch_execz .LBB20_1387
; %bb.1384:                             ;   in Loop: Header=BB20_1319 Depth=2
	v_mad_u64_u32 v[16:17], s[24:25], v12, 24, v[6:7]
	v_mov_b32_e32 v14, v17
	v_mad_u64_u32 v[14:15], s[24:25], v13, 24, v[14:15]
	v_mov_b32_e32 v17, v14
	flat_load_dword v9, v[16:17]
                                        ; implicit-def: $vgpr14_vgpr15
	s_waitcnt vmcnt(0) lgkmcnt(0)
	v_cmp_ne_u32_e32 vcc, 1, v9
	v_cmp_eq_u32_e64 s[24:25], 1, v9
	s_and_saveexec_b64 s[42:43], s[24:25]
	s_cbranch_execz .LBB20_1386
; %bb.1385:                             ;   in Loop: Header=BB20_1319 Depth=2
	flat_load_dword v14, v[16:17] offset:4 sc0 sc1
	s_waitcnt vmcnt(0) lgkmcnt(0)
	v_ashrrev_i32_e32 v15, 31, v14
	v_lshrrev_b64 v[14:15], 1, v[14:15]
.LBB20_1386:                            ;   in Loop: Header=BB20_1319 Depth=2
	s_or_b64 exec, exec, s[42:43]
	s_orn2_b64 s[24:25], vcc, exec
.LBB20_1387:                            ;   in Loop: Header=BB20_1319 Depth=2
	s_or_b64 exec, exec, s[40:41]
	s_and_saveexec_b64 s[40:41], s[24:25]
; %bb.1388:                             ;   in Loop: Header=BB20_1319 Depth=2
	v_mul_lo_u32 v9, v13, v30
	v_mul_lo_u32 v13, v12, v83
	v_mad_u64_u32 v[14:15], s[24:25], v12, v30, 0
	v_add3_u32 v15, v15, v13, v9
; %bb.1389:                             ;   in Loop: Header=BB20_1319 Depth=2
	s_or_b64 exec, exec, s[40:41]
	v_cmp_eq_u32_e32 vcc, 0, v2
	v_lshl_add_u64 v[12:13], v[14:15], 1, v[66:67]
	s_nop 0
	v_cndmask_b32_e32 v2, v106, v107, vcc
	v_add_u32_e32 v2, v0, v2
	ds_write_b64 v2, v[12:13] offset:584
	v_and_b32_e32 v2, 0x2000, v92
	v_cmp_ne_u32_e32 vcc, 0, v2
	s_and_saveexec_b64 s[24:25], vcc
	s_cbranch_execz .LBB20_1391
; %bb.1390:                             ;   in Loop: Header=BB20_1319 Depth=2
	ds_read_b64 v[12:13], v0 offset:872
	s_waitcnt lgkmcnt(0)
	v_lshl_add_u64 v[12:13], v[12:13], 0, 1
	ds_write_b64 v0, v[12:13] offset:872
.LBB20_1391:                            ;   in Loop: Header=BB20_1319 Depth=2
	s_or_b64 exec, exec, s[24:25]
	v_mov_b64_e32 v[58:59], v[10:11]
	s_or_b64 exec, exec, s[28:29]
	s_and_saveexec_b64 s[24:25], s[6:7]
	s_cbranch_execz .LBB20_1344
.LBB20_1392:                            ;   in Loop: Header=BB20_1319 Depth=2
	s_and_saveexec_b64 s[28:29], s[78:79]
	s_xor_b64 s[28:29], exec, s[28:29]
	s_cbranch_execz .LBB20_1426
; %bb.1393:                             ;   in Loop: Header=BB20_1319 Depth=2
	s_and_saveexec_b64 s[40:41], s[14:15]
	s_cbranch_execz .LBB20_1425
; %bb.1394:                             ;   in Loop: Header=BB20_1319 Depth=2
	s_mov_b64 s[44:45], exec
	v_mbcnt_lo_u32_b32 v2, s44, 0
	v_mbcnt_hi_u32_b32 v2, s45, v2
	v_cmp_eq_u32_e32 vcc, 0, v2
	s_waitcnt lgkmcnt(0)
	s_and_saveexec_b64 s[42:43], vcc
	s_cbranch_execz .LBB20_1396
; %bb.1395:                             ;   in Loop: Header=BB20_1319 Depth=2
	s_bcnt1_i32_b64 s44, s[44:45]
	v_mov_b32_e32 v2, s44
	ds_add_u64 v0, v[2:3]
	s_trap 2
.LBB20_1396:                            ;   in Loop: Header=BB20_1319 Depth=2
	s_or_b64 exec, exec, s[42:43]
	s_trap 2
	ds_read_b64 v[10:11], v0
	s_waitcnt lgkmcnt(0)
	v_lshl_add_u64 v[70:71], v[70:71], 0, v[84:85]
	v_cmp_lt_u64_e32 vcc, v[10:11], v[70:71]
	s_and_saveexec_b64 s[42:43], vcc
	s_cbranch_execz .LBB20_1424
; %bb.1397:                             ;   in Loop: Header=BB20_1319 Depth=2
	s_mov_b32 s76, 0
	s_mov_b64 s[44:45], 0
                                        ; implicit-def: $sgpr46_sgpr47
                                        ; implicit-def: $sgpr56_sgpr57
	s_branch .LBB20_1399
.LBB20_1398:                            ;   in Loop: Header=BB20_1399 Depth=3
	s_or_b64 exec, exec, s[60:61]
	s_and_b64 s[58:59], exec, s[62:63]
	s_or_b64 s[44:45], s[58:59], s[44:45]
	s_andn2_b64 s[46:47], s[46:47], exec
	s_and_b64 s[58:59], s[56:57], exec
	s_or_b64 s[46:47], s[46:47], s[58:59]
	s_andn2_b64 exec, exec, s[44:45]
	s_cbranch_execz .LBB20_1422
.LBB20_1399:                            ;   Parent Loop BB20_47 Depth=1
                                        ;     Parent Loop BB20_1319 Depth=2
                                        ; =>    This Inner Loop Header: Depth=3
	s_add_i32 s76, s76, 1
	s_cmpk_lg_i32 s76, 0x2710
	s_cselect_b64 s[58:59], -1, 0
	s_and_b64 vcc, exec, s[58:59]
	s_cbranch_vccz .LBB20_1401
; %bb.1400:                             ;   in Loop: Header=BB20_1399 Depth=3
	s_mov_b64 s[62:63], -1
	s_or_b64 s[56:57], s[56:57], exec
	s_and_saveexec_b64 s[60:61], s[58:59]
	s_cbranch_execz .LBB20_1398
	s_branch .LBB20_1402
.LBB20_1401:                            ;   in Loop: Header=BB20_1399 Depth=3
	s_trap 2
	ds_read_b64 v[10:11], v0
	s_andn2_b64 s[58:59], s[58:59], exec
	s_mov_b32 s76, 0
	s_waitcnt vmcnt(0) lgkmcnt(0)
	flat_load_dword v2, v[10:11] sc0 sc1
	s_waitcnt vmcnt(0) lgkmcnt(0)
	buffer_inv sc0 sc1
	v_cmp_eq_u32_e32 vcc, 0, v2
	s_and_b64 s[60:61], vcc, exec
	s_or_b64 s[58:59], s[58:59], s[60:61]
	s_mov_b64 s[62:63], -1
	s_or_b64 s[56:57], s[56:57], exec
	s_and_saveexec_b64 s[60:61], s[58:59]
	s_cbranch_execz .LBB20_1398
.LBB20_1402:                            ;   in Loop: Header=BB20_1399 Depth=3
	s_sleep 1
	s_trap 2
	ds_read_b64 v[10:11], v0
	s_waitcnt lgkmcnt(0)
	s_andn2_b64 s[56:57], s[56:57], exec
	v_cmp_ge_u64_e32 vcc, v[10:11], v[70:71]
	s_orn2_b64 s[62:63], vcc, exec
	s_branch .LBB20_1398
.LBB20_1403:                            ;   in Loop: Header=BB20_1319 Depth=2
	s_or_b64 exec, exec, s[42:43]
	s_and_saveexec_b64 s[42:43], s[44:45]
	s_xor_b64 s[42:43], exec, s[42:43]
	s_cbranch_execz .LBB20_1405
; %bb.1404:                             ;   in Loop: Header=BB20_1319 Depth=2
	ds_write_b32 v0, v95
	s_trap 2
.LBB20_1405:                            ;   in Loop: Header=BB20_1319 Depth=2
	s_or_b64 exec, exec, s[40:41]
	;;#ASMSTART
	s_wakeup
	;;#ASMEND
.LBB20_1406:                            ;   in Loop: Header=BB20_1319 Depth=2
	s_or_b64 exec, exec, s[28:29]
.LBB20_1407:                            ;   in Loop: Header=BB20_1319 Depth=2
	s_andn2_saveexec_b64 s[26:27], s[26:27]
	s_cbranch_execz .LBB20_1409
; %bb.1408:                             ;   in Loop: Header=BB20_1319 Depth=2
	s_waitcnt lgkmcnt(0)
	s_barrier
.LBB20_1409:                            ;   in Loop: Header=BB20_1319 Depth=2
	s_or_b64 exec, exec, s[26:27]
.LBB20_1410:                            ;   in Loop: Header=BB20_1319 Depth=2
	s_or_b64 exec, exec, s[24:25]
	s_trap 2
	ds_read_b32 v8, v0
	v_and_b32_e32 v2, 0x4000, v92
	v_cmp_ne_u32_e32 vcc, 0, v2
	s_xor_b64 s[24:25], s[4:5], -1
	s_and_b64 s[26:27], s[24:25], vcc
	s_and_saveexec_b64 s[24:25], s[26:27]
	s_cbranch_execz .LBB20_1448
; %bb.1411:                             ;   in Loop: Header=BB20_1319 Depth=2
	s_and_saveexec_b64 s[26:27], s[78:79]
	s_xor_b64 s[26:27], exec, s[26:27]
	s_cbranch_execz .LBB20_1445
; %bb.1412:                             ;   in Loop: Header=BB20_1319 Depth=2
	s_and_saveexec_b64 s[28:29], s[14:15]
	s_cbranch_execz .LBB20_1444
; %bb.1413:                             ;   in Loop: Header=BB20_1319 Depth=2
	s_mov_b64 s[42:43], exec
	v_mbcnt_lo_u32_b32 v2, s42, 0
	v_mbcnt_hi_u32_b32 v2, s43, v2
	v_cmp_eq_u32_e32 vcc, 0, v2
	s_waitcnt lgkmcnt(0)
	s_and_saveexec_b64 s[40:41], vcc
	s_cbranch_execz .LBB20_1415
; %bb.1414:                             ;   in Loop: Header=BB20_1319 Depth=2
	s_bcnt1_i32_b64 s42, s[42:43]
	v_mov_b32_e32 v2, s42
	ds_add_u64 v0, v[2:3]
	s_trap 2
.LBB20_1415:                            ;   in Loop: Header=BB20_1319 Depth=2
	s_or_b64 exec, exec, s[40:41]
	s_trap 2
	ds_read_b64 v[10:11], v0
	s_waitcnt lgkmcnt(0)
	v_lshl_add_u64 v[70:71], v[70:71], 0, v[84:85]
	v_cmp_lt_u64_e32 vcc, v[10:11], v[70:71]
	s_and_saveexec_b64 s[40:41], vcc
	s_cbranch_execz .LBB20_1443
; %bb.1416:                             ;   in Loop: Header=BB20_1319 Depth=2
	s_mov_b32 s76, 0
	s_mov_b64 s[42:43], 0
                                        ; implicit-def: $sgpr44_sgpr45
                                        ; implicit-def: $sgpr46_sgpr47
	s_branch .LBB20_1418
.LBB20_1417:                            ;   in Loop: Header=BB20_1418 Depth=3
	s_or_b64 exec, exec, s[58:59]
	s_and_b64 s[56:57], exec, s[60:61]
	s_or_b64 s[42:43], s[56:57], s[42:43]
	s_andn2_b64 s[44:45], s[44:45], exec
	s_and_b64 s[56:57], s[46:47], exec
	s_or_b64 s[44:45], s[44:45], s[56:57]
	s_andn2_b64 exec, exec, s[42:43]
	s_cbranch_execz .LBB20_1441
.LBB20_1418:                            ;   Parent Loop BB20_47 Depth=1
                                        ;     Parent Loop BB20_1319 Depth=2
                                        ; =>    This Inner Loop Header: Depth=3
	s_add_i32 s76, s76, 1
	s_cmpk_lg_i32 s76, 0x2710
	s_cselect_b64 s[56:57], -1, 0
	s_and_b64 vcc, exec, s[56:57]
	s_cbranch_vccz .LBB20_1420
; %bb.1419:                             ;   in Loop: Header=BB20_1418 Depth=3
	s_mov_b64 s[60:61], -1
	s_or_b64 s[46:47], s[46:47], exec
	s_and_saveexec_b64 s[58:59], s[56:57]
	s_cbranch_execz .LBB20_1417
	s_branch .LBB20_1421
.LBB20_1420:                            ;   in Loop: Header=BB20_1418 Depth=3
	s_trap 2
	ds_read_b64 v[10:11], v0
	s_andn2_b64 s[56:57], s[56:57], exec
	s_mov_b32 s76, 0
	s_waitcnt vmcnt(0) lgkmcnt(0)
	flat_load_dword v2, v[10:11] sc0 sc1
	s_waitcnt vmcnt(0) lgkmcnt(0)
	buffer_inv sc0 sc1
	v_cmp_eq_u32_e32 vcc, 0, v2
	s_and_b64 s[58:59], vcc, exec
	s_or_b64 s[56:57], s[56:57], s[58:59]
	s_mov_b64 s[60:61], -1
	s_or_b64 s[46:47], s[46:47], exec
	s_and_saveexec_b64 s[58:59], s[56:57]
	s_cbranch_execz .LBB20_1417
.LBB20_1421:                            ;   in Loop: Header=BB20_1418 Depth=3
	s_sleep 1
	s_trap 2
	ds_read_b64 v[10:11], v0
	s_waitcnt lgkmcnt(0)
	s_andn2_b64 s[46:47], s[46:47], exec
	v_cmp_ge_u64_e32 vcc, v[10:11], v[70:71]
	s_orn2_b64 s[60:61], vcc, exec
	s_branch .LBB20_1417
.LBB20_1422:                            ;   in Loop: Header=BB20_1319 Depth=2
	s_or_b64 exec, exec, s[44:45]
	s_and_saveexec_b64 s[44:45], s[46:47]
	s_xor_b64 s[44:45], exec, s[44:45]
	s_cbranch_execz .LBB20_1424
; %bb.1423:                             ;   in Loop: Header=BB20_1319 Depth=2
	ds_write_b32 v0, v95
	s_trap 2
.LBB20_1424:                            ;   in Loop: Header=BB20_1319 Depth=2
	s_or_b64 exec, exec, s[42:43]
	;;#ASMSTART
	s_wakeup
	;;#ASMEND
.LBB20_1425:                            ;   in Loop: Header=BB20_1319 Depth=2
	s_or_b64 exec, exec, s[40:41]
.LBB20_1426:                            ;   in Loop: Header=BB20_1319 Depth=2
	s_andn2_saveexec_b64 s[28:29], s[28:29]
	s_cbranch_execz .LBB20_1428
; %bb.1427:                             ;   in Loop: Header=BB20_1319 Depth=2
	s_waitcnt lgkmcnt(0)
	s_barrier
.LBB20_1428:                            ;   in Loop: Header=BB20_1319 Depth=2
	s_or_b64 exec, exec, s[28:29]
	s_or_b64 exec, exec, s[24:25]
                                        ; implicit-def: $vgpr2
	s_and_saveexec_b64 s[24:25], s[22:23]
	s_xor_b64 s[24:25], exec, s[24:25]
	s_cbranch_execnz .LBB20_1345
.LBB20_1429:                            ;   in Loop: Header=BB20_1319 Depth=2
	s_andn2_saveexec_b64 s[24:25], s[24:25]
	s_cbranch_execz .LBB20_1538
.LBB20_1430:                            ;   in Loop: Header=BB20_1319 Depth=2
	s_and_saveexec_b64 s[28:29], s[78:79]
	s_xor_b64 s[28:29], exec, s[28:29]
	s_cbranch_execz .LBB20_1535
; %bb.1431:                             ;   in Loop: Header=BB20_1319 Depth=2
	s_and_saveexec_b64 s[40:41], s[14:15]
	s_cbranch_execz .LBB20_1534
; %bb.1432:                             ;   in Loop: Header=BB20_1319 Depth=2
	s_mov_b64 s[44:45], exec
	v_mbcnt_lo_u32_b32 v2, s44, 0
	v_mbcnt_hi_u32_b32 v2, s45, v2
	v_cmp_eq_u32_e32 vcc, 0, v2
	;;#ASMSTART
	s_waitcnt lgkmcnt(0) vmcnt(0)
	;;#ASMEND
	s_and_saveexec_b64 s[42:43], vcc
	s_cbranch_execz .LBB20_1434
; %bb.1433:                             ;   in Loop: Header=BB20_1319 Depth=2
	s_bcnt1_i32_b64 s44, s[44:45]
	v_mov_b32_e32 v2, s44
	s_waitcnt lgkmcnt(0)
	ds_add_u64 v0, v[2:3]
	s_trap 2
.LBB20_1434:                            ;   in Loop: Header=BB20_1319 Depth=2
	s_or_b64 exec, exec, s[42:43]
	s_trap 2
	ds_read_b64 v[8:9], v0
	s_waitcnt lgkmcnt(0)
	v_lshl_add_u64 v[70:71], v[70:71], 0, v[84:85]
	v_cmp_lt_u64_e32 vcc, v[8:9], v[70:71]
	s_and_saveexec_b64 s[42:43], vcc
	s_cbranch_execz .LBB20_1533
; %bb.1435:                             ;   in Loop: Header=BB20_1319 Depth=2
	s_mov_b32 s76, 0
	s_mov_b64 s[44:45], 0
                                        ; implicit-def: $sgpr46_sgpr47
                                        ; implicit-def: $sgpr56_sgpr57
	s_branch .LBB20_1437
.LBB20_1436:                            ;   in Loop: Header=BB20_1437 Depth=3
	s_or_b64 exec, exec, s[60:61]
	s_and_b64 s[58:59], exec, s[62:63]
	s_or_b64 s[44:45], s[58:59], s[44:45]
	s_andn2_b64 s[46:47], s[46:47], exec
	s_and_b64 s[58:59], s[56:57], exec
	s_or_b64 s[46:47], s[46:47], s[58:59]
	s_andn2_b64 exec, exec, s[44:45]
	s_cbranch_execz .LBB20_1531
.LBB20_1437:                            ;   Parent Loop BB20_47 Depth=1
                                        ;     Parent Loop BB20_1319 Depth=2
                                        ; =>    This Inner Loop Header: Depth=3
	s_add_i32 s76, s76, 1
	s_cmpk_lg_i32 s76, 0x2710
	s_cselect_b64 s[58:59], -1, 0
	s_and_b64 vcc, exec, s[58:59]
	s_cbranch_vccz .LBB20_1439
; %bb.1438:                             ;   in Loop: Header=BB20_1437 Depth=3
	s_mov_b64 s[62:63], -1
	s_or_b64 s[56:57], s[56:57], exec
	s_and_saveexec_b64 s[60:61], s[58:59]
	s_cbranch_execz .LBB20_1436
	s_branch .LBB20_1440
.LBB20_1439:                            ;   in Loop: Header=BB20_1437 Depth=3
	s_trap 2
	ds_read_b64 v[8:9], v0
	s_andn2_b64 s[58:59], s[58:59], exec
	s_mov_b32 s76, 0
	s_waitcnt vmcnt(0) lgkmcnt(0)
	flat_load_dword v2, v[8:9] sc0 sc1
	s_waitcnt vmcnt(0) lgkmcnt(0)
	buffer_inv sc0 sc1
	v_cmp_eq_u32_e32 vcc, 0, v2
	s_and_b64 s[60:61], vcc, exec
	s_or_b64 s[58:59], s[58:59], s[60:61]
	s_mov_b64 s[62:63], -1
	s_or_b64 s[56:57], s[56:57], exec
	s_and_saveexec_b64 s[60:61], s[58:59]
	s_cbranch_execz .LBB20_1436
.LBB20_1440:                            ;   in Loop: Header=BB20_1437 Depth=3
	s_sleep 1
	s_trap 2
	ds_read_b64 v[8:9], v0
	s_waitcnt lgkmcnt(0)
	s_andn2_b64 s[56:57], s[56:57], exec
	v_cmp_ge_u64_e32 vcc, v[8:9], v[70:71]
	s_orn2_b64 s[62:63], vcc, exec
	s_branch .LBB20_1436
.LBB20_1441:                            ;   in Loop: Header=BB20_1319 Depth=2
	s_or_b64 exec, exec, s[42:43]
	s_and_saveexec_b64 s[42:43], s[44:45]
	s_xor_b64 s[42:43], exec, s[42:43]
	s_cbranch_execz .LBB20_1443
; %bb.1442:                             ;   in Loop: Header=BB20_1319 Depth=2
	ds_write_b32 v0, v95
	s_trap 2
.LBB20_1443:                            ;   in Loop: Header=BB20_1319 Depth=2
	s_or_b64 exec, exec, s[40:41]
	;;#ASMSTART
	s_wakeup
	;;#ASMEND
.LBB20_1444:                            ;   in Loop: Header=BB20_1319 Depth=2
	s_or_b64 exec, exec, s[28:29]
.LBB20_1445:                            ;   in Loop: Header=BB20_1319 Depth=2
	s_andn2_saveexec_b64 s[26:27], s[26:27]
	s_cbranch_execz .LBB20_1447
; %bb.1446:                             ;   in Loop: Header=BB20_1319 Depth=2
	s_waitcnt lgkmcnt(0)
	s_barrier
.LBB20_1447:                            ;   in Loop: Header=BB20_1319 Depth=2
	s_or_b64 exec, exec, s[26:27]
.LBB20_1448:                            ;   in Loop: Header=BB20_1319 Depth=2
	s_or_b64 exec, exec, s[24:25]
	s_trap 2
	ds_read_b64 v[74:75], v0
	s_waitcnt lgkmcnt(0)
	v_cmp_eq_u64_e32 vcc, 0, v[74:75]
	s_cbranch_vccnz .LBB20_1457
; %bb.1449:                             ;   in Loop: Header=BB20_1319 Depth=2
	s_trap 2
	ds_read_b64 v[76:77], v0
	s_waitcnt lgkmcnt(0)
	v_cmp_eq_u64_e32 vcc, 0, v[76:77]
	s_cbranch_vccnz .LBB20_1457
; %bb.1450:                             ;   in Loop: Header=BB20_1319 Depth=2
	s_trap 2
	ds_read_b64 v[24:25], v0
	v_cmp_eq_u32_e32 vcc, 0, v8
	s_waitcnt lgkmcnt(0)
	v_readfirstlane_b32 s55, v24
	v_cndmask_b32_e32 v73, 0, v72, vcc
	v_cmp_ne_u64_e32 vcc, 0, v[24:25]
	s_cbranch_vccz .LBB20_1462
; %bb.1451:                             ;   in Loop: Header=BB20_1319 Depth=2
	s_trap 2
	ds_read_b64 v[26:27], v0
	s_mov_b64 s[26:27], -1
	s_and_saveexec_b64 s[24:25], s[18:19]
	s_cbranch_execz .LBB20_1453
; %bb.1452:                             ;   in Loop: Header=BB20_1319 Depth=2
	ds_read_b32 v2, v0 offset:720
	s_waitcnt lgkmcnt(0)
	v_and_b32_e32 v2, 15, v2
	v_cmp_eq_u32_e32 vcc, 0, v2
	s_orn2_b64 s[26:27], vcc, exec
.LBB20_1453:                            ;   in Loop: Header=BB20_1319 Depth=2
	s_or_b64 exec, exec, s[24:25]
	s_and_saveexec_b64 s[24:25], s[20:21]
	s_cbranch_execz .LBB20_1455
; %bb.1454:                             ;   in Loop: Header=BB20_1319 Depth=2
	ds_read_b32 v2, v0 offset:784
	s_waitcnt lgkmcnt(0)
	v_and_b32_e32 v2, 15, v2
	v_cmp_eq_u32_e32 vcc, 0, v2
	s_and_b64 s[28:29], s[26:27], vcc
	s_andn2_b64 s[26:27], s[26:27], exec
	s_and_b64 s[28:29], s[28:29], exec
	s_or_b64 s[26:27], s[26:27], s[28:29]
.LBB20_1455:                            ;   in Loop: Header=BB20_1319 Depth=2
	s_or_b64 exec, exec, s[24:25]
	s_xor_b64 s[26:27], s[26:27], -1
	v_cndmask_b32_e64 v2, 0, 1, s[26:27]
	v_lshlrev_b32_e32 v38, 1, v73
	s_mov_b64 s[24:25], -1
	v_mov_b32_e32 v18, 0
	v_cmp_ne_u32_e32 vcc, 0, v2
	s_cbranch_vccz .LBB20_1464
; %bb.1456:                             ;   in Loop: Header=BB20_1319 Depth=2
	v_mov_b32_e32 v19, v0
	s_and_saveexec_b64 s[42:43], s[24:25]
	s_cbranch_execnz .LBB20_1553
	s_branch .LBB20_1595
.LBB20_1457:                            ;   in Loop: Header=BB20_1319 Depth=2
	s_mov_b64 s[24:25], 0
	s_and_saveexec_b64 s[26:27], s[6:7]
	s_cbranch_execnz .LBB20_1782
.LBB20_1458:                            ;   in Loop: Header=BB20_1319 Depth=2
	s_or_b64 exec, exec, s[26:27]
                                        ; implicit-def: $vgpr2
	s_and_saveexec_b64 s[26:27], s[22:23]
	s_xor_b64 s[26:27], exec, s[26:27]
	s_cbranch_execz .LBB20_1800
.LBB20_1459:                            ;   in Loop: Header=BB20_1319 Depth=2
	v_and_b32_e32 v8, 16, v92
	v_cmp_ne_u32_e32 vcc, 0, v8
	v_and_b32_e32 v2, 16, v92
	s_and_b64 s[28:29], vcc, s[24:25]
	s_and_saveexec_b64 s[24:25], s[28:29]
	s_cbranch_execz .LBB20_1461
; %bb.1460:                             ;   in Loop: Header=BB20_1319 Depth=2
	v_mov_b32_e32 v2, 1
	buffer_wbl2 sc1
	s_waitcnt vmcnt(0) lgkmcnt(0)
	buffer_inv sc1
.LBB20_1461:                            ;   in Loop: Header=BB20_1319 Depth=2
	s_or_b64 exec, exec, s[24:25]
	s_andn2_saveexec_b64 s[24:25], s[26:27]
	s_cbranch_execz .LBB20_1819
	s_branch .LBB20_1801
.LBB20_1462:                            ;   in Loop: Header=BB20_1319 Depth=2
	s_cbranch_execnz .LBB20_1596
.LBB20_1463:                            ;   in Loop: Header=BB20_1319 Depth=2
	v_cmp_lt_i32_e64 s[24:25], 0, v73
	s_and_saveexec_b64 s[26:27], s[6:7]
	s_cbranch_execnz .LBB20_1782
	s_branch .LBB20_1458
.LBB20_1464:                            ;   in Loop: Header=BB20_1319 Depth=2
	v_ashrrev_i32_e32 v2, 31, v38
	v_lshrrev_b32_e32 v2, 21, v2
	v_add_u32_e32 v2, v38, v2
	v_ashrrev_i32_e32 v39, 11, v2
	v_sub_u32_e32 v2, v39, v94
	v_cmp_lt_i32_e32 vcc, 0, v2
	s_and_saveexec_b64 s[26:27], vcc
	s_cbranch_execz .LBB20_1544
; %bb.1465:                             ;   in Loop: Header=BB20_1319 Depth=2
	s_and_b32 s76, s55, 1
	s_cmp_eq_u64 s[76:77], 0
	v_lshl_add_u64 v[32:33], v[76:77], 0, v[112:113]
	v_lshl_add_u64 v[34:35], v[24:25], 0, v[112:113]
	s_mov_b64 s[28:29], 0
	s_cselect_b64 vcc, -1, 0
	v_mov_b64_e32 v[36:37], v[112:113]
	s_branch .LBB20_1467
.LBB20_1466:                            ;   in Loop: Header=BB20_1467 Depth=3
	s_or_b64 exec, exec, s[40:41]
	v_lshrrev_b32_e32 v20, 16, v20
	v_and_or_b32 v16, v16, s70, v20
	v_lshrrev_b32_e32 v20, 16, v22
	v_lshrrev_b32_e32 v21, 16, v21
	v_and_or_b32 v18, v18, s70, v20
	v_lshrrev_b32_e32 v20, 16, v23
	v_sub_u32_e32 v2, v2, v84
	v_and_or_b32 v17, v17, s70, v21
	v_and_or_b32 v19, v19, s70, v20
	v_cmp_gt_i32_e64 s[24:25], 1, v2
	global_store_dwordx4 v[32:33], v[16:19], off offset:1024
	global_store_dwordx4 v[34:35], v[12:15], off
	global_store_dwordx4 v[34:35], v[8:11], off offset:1024
	v_lshl_add_u64 v[32:33], v[32:33], 0, v[114:115]
	v_lshl_add_u64 v[34:35], v[34:35], 0, v[114:115]
	s_or_b64 s[28:29], s[24:25], s[28:29]
	v_lshl_add_u64 v[36:37], v[36:37], 0, v[114:115]
	s_andn2_b64 exec, exec, s[28:29]
	s_cbranch_execz .LBB20_1543
.LBB20_1467:                            ;   Parent Loop BB20_47 Depth=1
                                        ;     Parent Loop BB20_1319 Depth=2
                                        ; =>    This Inner Loop Header: Depth=3
	s_waitcnt lgkmcnt(0)
	v_lshl_add_u64 v[16:17], v[26:27], 0, v[36:37]
	v_lshl_add_u64 v[8:9], v[74:75], 0, v[36:37]
	global_load_dwordx4 v[12:15], v[8:9], off nt
	global_load_dwordx4 v[20:23], v[16:17], off nt
	s_nop 0
	global_load_dwordx4 v[8:11], v[8:9], off offset:1024 nt
	s_nop 0
	global_load_dwordx4 v[16:19], v[16:17], off offset:1024 nt
	s_waitcnt vmcnt(0)
	v_lshlrev_b32_e32 v48, 16, v12
	v_lshlrev_b32_e32 v49, 16, v20
	v_max_f32_e32 v49, v49, v49
	v_max_f32_e32 v48, v48, v48
	v_min_f32_e32 v50, v48, v49
	v_max_f32_e32 v48, v48, v49
	v_cndmask_b32_e32 v49, v48, v50, vcc
	v_and_b32_e32 v48, 0x7f800000, v49
	v_cmp_ne_u32_e64 s[24:25], s68, v48
                                        ; implicit-def: $vgpr48
	s_and_saveexec_b64 s[40:41], s[24:25]
	s_xor_b64 s[24:25], exec, s[40:41]
; %bb.1468:                             ;   in Loop: Header=BB20_1467 Depth=3
	v_bfe_u32 v48, v49, 16, 1
	v_add3_u32 v48, v49, v48, s69
                                        ; implicit-def: $vgpr49
; %bb.1469:                             ;   in Loop: Header=BB20_1467 Depth=3
	s_andn2_saveexec_b64 s[40:41], s[24:25]
; %bb.1470:                             ;   in Loop: Header=BB20_1467 Depth=3
	v_or_b32_e32 v48, 0x10000, v49
	v_cmp_eq_u32_sdwa s[24:25], v49, v3 src0_sel:WORD_0 src1_sel:DWORD
	s_nop 1
	v_cndmask_b32_e64 v48, v48, v49, s[24:25]
; %bb.1471:                             ;   in Loop: Header=BB20_1467 Depth=3
	s_or_b64 exec, exec, s[40:41]
	v_and_b32_e32 v49, 0xffff0000, v12
	v_and_b32_e32 v20, 0xffff0000, v20
	v_max_f32_e32 v20, v20, v20
	v_max_f32_e32 v49, v49, v49
	v_min_f32_e32 v50, v49, v20
	v_max_f32_e32 v20, v49, v20
	v_cndmask_b32_e32 v49, v20, v50, vcc
	v_and_b32_e32 v20, 0x7f800000, v49
	v_cmp_ne_u32_e64 s[24:25], s68, v20
                                        ; implicit-def: $vgpr20
	s_and_saveexec_b64 s[40:41], s[24:25]
	s_xor_b64 s[24:25], exec, s[40:41]
; %bb.1472:                             ;   in Loop: Header=BB20_1467 Depth=3
	v_bfe_u32 v20, v49, 16, 1
	v_add3_u32 v20, v49, v20, s69
                                        ; implicit-def: $vgpr49
; %bb.1473:                             ;   in Loop: Header=BB20_1467 Depth=3
	s_andn2_saveexec_b64 s[40:41], s[24:25]
; %bb.1474:                             ;   in Loop: Header=BB20_1467 Depth=3
	v_or_b32_e32 v20, 0x10000, v49
	v_cmp_eq_u32_sdwa s[24:25], v49, v3 src0_sel:WORD_0 src1_sel:DWORD
	s_nop 1
	v_cndmask_b32_e64 v20, v20, v49, s[24:25]
; %bb.1475:                             ;   in Loop: Header=BB20_1467 Depth=3
	s_or_b64 exec, exec, s[40:41]
	v_lshlrev_b32_e32 v49, 16, v13
	v_lshlrev_b32_e32 v50, 16, v21
	v_max_f32_e32 v50, v50, v50
	v_max_f32_e32 v49, v49, v49
	v_min_f32_e32 v51, v49, v50
	v_max_f32_e32 v49, v49, v50
	v_cndmask_b32_e32 v50, v49, v51, vcc
	v_and_b32_e32 v49, 0x7f800000, v50
	v_cmp_ne_u32_e64 s[24:25], s68, v49
                                        ; implicit-def: $vgpr49
	s_and_saveexec_b64 s[40:41], s[24:25]
	s_xor_b64 s[24:25], exec, s[40:41]
; %bb.1476:                             ;   in Loop: Header=BB20_1467 Depth=3
	v_bfe_u32 v49, v50, 16, 1
	v_add3_u32 v49, v50, v49, s69
                                        ; implicit-def: $vgpr50
; %bb.1477:                             ;   in Loop: Header=BB20_1467 Depth=3
	s_andn2_saveexec_b64 s[40:41], s[24:25]
; %bb.1478:                             ;   in Loop: Header=BB20_1467 Depth=3
	v_or_b32_e32 v49, 0x10000, v50
	v_cmp_eq_u32_sdwa s[24:25], v50, v3 src0_sel:WORD_0 src1_sel:DWORD
	s_nop 1
	v_cndmask_b32_e64 v49, v49, v50, s[24:25]
; %bb.1479:                             ;   in Loop: Header=BB20_1467 Depth=3
	s_or_b64 exec, exec, s[40:41]
	v_and_b32_e32 v50, 0xffff0000, v13
	v_and_b32_e32 v21, 0xffff0000, v21
	v_max_f32_e32 v21, v21, v21
	v_max_f32_e32 v50, v50, v50
	v_min_f32_e32 v51, v50, v21
	v_max_f32_e32 v21, v50, v21
	v_cndmask_b32_e32 v50, v21, v51, vcc
	v_and_b32_e32 v21, 0x7f800000, v50
	v_cmp_ne_u32_e64 s[24:25], s68, v21
                                        ; implicit-def: $vgpr21
	s_and_saveexec_b64 s[40:41], s[24:25]
	s_xor_b64 s[24:25], exec, s[40:41]
; %bb.1480:                             ;   in Loop: Header=BB20_1467 Depth=3
	v_bfe_u32 v21, v50, 16, 1
	v_add3_u32 v21, v50, v21, s69
                                        ; implicit-def: $vgpr50
; %bb.1481:                             ;   in Loop: Header=BB20_1467 Depth=3
	s_andn2_saveexec_b64 s[40:41], s[24:25]
; %bb.1482:                             ;   in Loop: Header=BB20_1467 Depth=3
	v_or_b32_e32 v21, 0x10000, v50
	v_cmp_eq_u32_sdwa s[24:25], v50, v3 src0_sel:WORD_0 src1_sel:DWORD
	s_nop 1
	v_cndmask_b32_e64 v21, v21, v50, s[24:25]
; %bb.1483:                             ;   in Loop: Header=BB20_1467 Depth=3
	s_or_b64 exec, exec, s[40:41]
	v_lshlrev_b32_e32 v50, 16, v14
	v_lshlrev_b32_e32 v51, 16, v22
	v_max_f32_e32 v51, v51, v51
	v_max_f32_e32 v50, v50, v50
	v_min_f32_e32 v78, v50, v51
	v_max_f32_e32 v50, v50, v51
	v_cndmask_b32_e32 v51, v50, v78, vcc
	v_and_b32_e32 v50, 0x7f800000, v51
	v_cmp_ne_u32_e64 s[24:25], s68, v50
                                        ; implicit-def: $vgpr50
	s_and_saveexec_b64 s[40:41], s[24:25]
	s_xor_b64 s[24:25], exec, s[40:41]
; %bb.1484:                             ;   in Loop: Header=BB20_1467 Depth=3
	v_bfe_u32 v50, v51, 16, 1
	v_add3_u32 v50, v51, v50, s69
                                        ; implicit-def: $vgpr51
; %bb.1485:                             ;   in Loop: Header=BB20_1467 Depth=3
	s_andn2_saveexec_b64 s[40:41], s[24:25]
; %bb.1486:                             ;   in Loop: Header=BB20_1467 Depth=3
	v_or_b32_e32 v50, 0x10000, v51
	v_cmp_eq_u32_sdwa s[24:25], v51, v3 src0_sel:WORD_0 src1_sel:DWORD
	s_nop 1
	v_cndmask_b32_e64 v50, v50, v51, s[24:25]
; %bb.1487:                             ;   in Loop: Header=BB20_1467 Depth=3
	s_or_b64 exec, exec, s[40:41]
	v_and_b32_e32 v51, 0xffff0000, v14
	v_and_b32_e32 v22, 0xffff0000, v22
	v_max_f32_e32 v22, v22, v22
	v_max_f32_e32 v51, v51, v51
	v_min_f32_e32 v78, v51, v22
	v_max_f32_e32 v22, v51, v22
	v_cndmask_b32_e32 v51, v22, v78, vcc
	v_and_b32_e32 v22, 0x7f800000, v51
	v_cmp_ne_u32_e64 s[24:25], s68, v22
                                        ; implicit-def: $vgpr22
	s_and_saveexec_b64 s[40:41], s[24:25]
	s_xor_b64 s[24:25], exec, s[40:41]
; %bb.1488:                             ;   in Loop: Header=BB20_1467 Depth=3
	v_bfe_u32 v22, v51, 16, 1
	v_add3_u32 v22, v51, v22, s69
                                        ; implicit-def: $vgpr51
; %bb.1489:                             ;   in Loop: Header=BB20_1467 Depth=3
	s_andn2_saveexec_b64 s[40:41], s[24:25]
; %bb.1490:                             ;   in Loop: Header=BB20_1467 Depth=3
	v_or_b32_e32 v22, 0x10000, v51
	v_cmp_eq_u32_sdwa s[24:25], v51, v3 src0_sel:WORD_0 src1_sel:DWORD
	s_nop 1
	v_cndmask_b32_e64 v22, v22, v51, s[24:25]
; %bb.1491:                             ;   in Loop: Header=BB20_1467 Depth=3
	s_or_b64 exec, exec, s[40:41]
	v_lshlrev_b32_e32 v51, 16, v15
	v_lshlrev_b32_e32 v78, 16, v23
	v_max_f32_e32 v78, v78, v78
	v_max_f32_e32 v51, v51, v51
	v_min_f32_e32 v79, v51, v78
	v_max_f32_e32 v51, v51, v78
	v_cndmask_b32_e32 v78, v51, v79, vcc
	v_and_b32_e32 v51, 0x7f800000, v78
	v_cmp_ne_u32_e64 s[24:25], s68, v51
                                        ; implicit-def: $vgpr51
	s_and_saveexec_b64 s[40:41], s[24:25]
	s_xor_b64 s[24:25], exec, s[40:41]
; %bb.1492:                             ;   in Loop: Header=BB20_1467 Depth=3
	v_bfe_u32 v51, v78, 16, 1
	v_add3_u32 v51, v78, v51, s69
                                        ; implicit-def: $vgpr78
; %bb.1493:                             ;   in Loop: Header=BB20_1467 Depth=3
	s_andn2_saveexec_b64 s[40:41], s[24:25]
; %bb.1494:                             ;   in Loop: Header=BB20_1467 Depth=3
	v_or_b32_e32 v51, 0x10000, v78
	v_cmp_eq_u32_sdwa s[24:25], v78, v3 src0_sel:WORD_0 src1_sel:DWORD
	s_nop 1
	v_cndmask_b32_e64 v51, v51, v78, s[24:25]
; %bb.1495:                             ;   in Loop: Header=BB20_1467 Depth=3
	s_or_b64 exec, exec, s[40:41]
	v_and_b32_e32 v78, 0xffff0000, v15
	v_and_b32_e32 v23, 0xffff0000, v23
	v_max_f32_e32 v23, v23, v23
	v_max_f32_e32 v78, v78, v78
	v_min_f32_e32 v79, v78, v23
	v_max_f32_e32 v23, v78, v23
	v_cndmask_b32_e32 v78, v23, v79, vcc
	v_and_b32_e32 v23, 0x7f800000, v78
	v_cmp_ne_u32_e64 s[24:25], s68, v23
                                        ; implicit-def: $vgpr23
	s_and_saveexec_b64 s[40:41], s[24:25]
	s_xor_b64 s[24:25], exec, s[40:41]
; %bb.1496:                             ;   in Loop: Header=BB20_1467 Depth=3
	v_bfe_u32 v23, v78, 16, 1
	v_add3_u32 v23, v78, v23, s69
                                        ; implicit-def: $vgpr78
; %bb.1497:                             ;   in Loop: Header=BB20_1467 Depth=3
	s_andn2_saveexec_b64 s[40:41], s[24:25]
; %bb.1498:                             ;   in Loop: Header=BB20_1467 Depth=3
	v_or_b32_e32 v23, 0x10000, v78
	v_cmp_eq_u32_sdwa s[24:25], v78, v3 src0_sel:WORD_0 src1_sel:DWORD
	s_nop 1
	v_cndmask_b32_e64 v23, v23, v78, s[24:25]
; %bb.1499:                             ;   in Loop: Header=BB20_1467 Depth=3
	s_or_b64 exec, exec, s[40:41]
	v_lshrrev_b32_e32 v48, 16, v48
	v_and_or_b32 v20, v20, s70, v48
	v_lshrrev_b32_e32 v48, 16, v50
	v_lshrrev_b32_e32 v49, 16, v49
	v_and_or_b32 v22, v22, s70, v48
	v_lshrrev_b32_e32 v48, 16, v51
	v_and_or_b32 v21, v21, s70, v49
	v_and_or_b32 v23, v23, s70, v48
	global_store_dwordx4 v[32:33], v[20:23], off
	s_nop 1
	v_lshlrev_b32_e32 v20, 16, v8
	v_lshlrev_b32_e32 v21, 16, v16
	v_max_f32_e32 v21, v21, v21
	v_max_f32_e32 v20, v20, v20
	v_min_f32_e32 v22, v20, v21
	v_max_f32_e32 v20, v20, v21
	v_cndmask_b32_e32 v21, v20, v22, vcc
	v_and_b32_e32 v20, 0x7f800000, v21
	v_cmp_ne_u32_e64 s[24:25], s68, v20
                                        ; implicit-def: $vgpr20
	s_and_saveexec_b64 s[40:41], s[24:25]
	s_xor_b64 s[24:25], exec, s[40:41]
; %bb.1500:                             ;   in Loop: Header=BB20_1467 Depth=3
	v_bfe_u32 v20, v21, 16, 1
	v_add3_u32 v20, v21, v20, s69
                                        ; implicit-def: $vgpr21
; %bb.1501:                             ;   in Loop: Header=BB20_1467 Depth=3
	s_andn2_saveexec_b64 s[40:41], s[24:25]
; %bb.1502:                             ;   in Loop: Header=BB20_1467 Depth=3
	v_or_b32_e32 v20, 0x10000, v21
	v_cmp_eq_u32_sdwa s[24:25], v21, v3 src0_sel:WORD_0 src1_sel:DWORD
	s_nop 1
	v_cndmask_b32_e64 v20, v20, v21, s[24:25]
; %bb.1503:                             ;   in Loop: Header=BB20_1467 Depth=3
	s_or_b64 exec, exec, s[40:41]
	v_and_b32_e32 v21, 0xffff0000, v8
	v_and_b32_e32 v16, 0xffff0000, v16
	v_max_f32_e32 v16, v16, v16
	v_max_f32_e32 v21, v21, v21
	v_min_f32_e32 v22, v21, v16
	v_max_f32_e32 v16, v21, v16
	v_cndmask_b32_e32 v21, v16, v22, vcc
	v_and_b32_e32 v16, 0x7f800000, v21
	v_cmp_ne_u32_e64 s[24:25], s68, v16
                                        ; implicit-def: $vgpr16
	s_and_saveexec_b64 s[40:41], s[24:25]
	s_xor_b64 s[24:25], exec, s[40:41]
; %bb.1504:                             ;   in Loop: Header=BB20_1467 Depth=3
	v_bfe_u32 v16, v21, 16, 1
	v_add3_u32 v16, v21, v16, s69
                                        ; implicit-def: $vgpr21
; %bb.1505:                             ;   in Loop: Header=BB20_1467 Depth=3
	s_andn2_saveexec_b64 s[40:41], s[24:25]
; %bb.1506:                             ;   in Loop: Header=BB20_1467 Depth=3
	v_or_b32_e32 v16, 0x10000, v21
	v_cmp_eq_u32_sdwa s[24:25], v21, v3 src0_sel:WORD_0 src1_sel:DWORD
	s_nop 1
	v_cndmask_b32_e64 v16, v16, v21, s[24:25]
; %bb.1507:                             ;   in Loop: Header=BB20_1467 Depth=3
	s_or_b64 exec, exec, s[40:41]
	v_lshlrev_b32_e32 v21, 16, v9
	v_lshlrev_b32_e32 v22, 16, v17
	v_max_f32_e32 v22, v22, v22
	v_max_f32_e32 v21, v21, v21
	v_min_f32_e32 v23, v21, v22
	v_max_f32_e32 v21, v21, v22
	v_cndmask_b32_e32 v22, v21, v23, vcc
	v_and_b32_e32 v21, 0x7f800000, v22
	v_cmp_ne_u32_e64 s[24:25], s68, v21
                                        ; implicit-def: $vgpr21
	s_and_saveexec_b64 s[40:41], s[24:25]
	s_xor_b64 s[24:25], exec, s[40:41]
; %bb.1508:                             ;   in Loop: Header=BB20_1467 Depth=3
	v_bfe_u32 v21, v22, 16, 1
	v_add3_u32 v21, v22, v21, s69
                                        ; implicit-def: $vgpr22
; %bb.1509:                             ;   in Loop: Header=BB20_1467 Depth=3
	s_andn2_saveexec_b64 s[40:41], s[24:25]
; %bb.1510:                             ;   in Loop: Header=BB20_1467 Depth=3
	v_or_b32_e32 v21, 0x10000, v22
	v_cmp_eq_u32_sdwa s[24:25], v22, v3 src0_sel:WORD_0 src1_sel:DWORD
	s_nop 1
	v_cndmask_b32_e64 v21, v21, v22, s[24:25]
; %bb.1511:                             ;   in Loop: Header=BB20_1467 Depth=3
	s_or_b64 exec, exec, s[40:41]
	v_and_b32_e32 v22, 0xffff0000, v9
	v_and_b32_e32 v17, 0xffff0000, v17
	v_max_f32_e32 v17, v17, v17
	v_max_f32_e32 v22, v22, v22
	v_min_f32_e32 v23, v22, v17
	v_max_f32_e32 v17, v22, v17
	v_cndmask_b32_e32 v22, v17, v23, vcc
	v_and_b32_e32 v17, 0x7f800000, v22
	v_cmp_ne_u32_e64 s[24:25], s68, v17
                                        ; implicit-def: $vgpr17
	s_and_saveexec_b64 s[40:41], s[24:25]
	s_xor_b64 s[24:25], exec, s[40:41]
; %bb.1512:                             ;   in Loop: Header=BB20_1467 Depth=3
	v_bfe_u32 v17, v22, 16, 1
	v_add3_u32 v17, v22, v17, s69
                                        ; implicit-def: $vgpr22
; %bb.1513:                             ;   in Loop: Header=BB20_1467 Depth=3
	s_andn2_saveexec_b64 s[40:41], s[24:25]
; %bb.1514:                             ;   in Loop: Header=BB20_1467 Depth=3
	v_or_b32_e32 v17, 0x10000, v22
	v_cmp_eq_u32_sdwa s[24:25], v22, v3 src0_sel:WORD_0 src1_sel:DWORD
	s_nop 1
	v_cndmask_b32_e64 v17, v17, v22, s[24:25]
; %bb.1515:                             ;   in Loop: Header=BB20_1467 Depth=3
	s_or_b64 exec, exec, s[40:41]
	v_lshlrev_b32_e32 v22, 16, v10
	v_lshlrev_b32_e32 v23, 16, v18
	v_max_f32_e32 v23, v23, v23
	v_max_f32_e32 v22, v22, v22
	v_min_f32_e32 v48, v22, v23
	v_max_f32_e32 v22, v22, v23
	v_cndmask_b32_e32 v23, v22, v48, vcc
	v_and_b32_e32 v22, 0x7f800000, v23
	v_cmp_ne_u32_e64 s[24:25], s68, v22
                                        ; implicit-def: $vgpr22
	s_and_saveexec_b64 s[40:41], s[24:25]
	s_xor_b64 s[24:25], exec, s[40:41]
; %bb.1516:                             ;   in Loop: Header=BB20_1467 Depth=3
	v_bfe_u32 v22, v23, 16, 1
	v_add3_u32 v22, v23, v22, s69
                                        ; implicit-def: $vgpr23
; %bb.1517:                             ;   in Loop: Header=BB20_1467 Depth=3
	s_andn2_saveexec_b64 s[40:41], s[24:25]
; %bb.1518:                             ;   in Loop: Header=BB20_1467 Depth=3
	v_or_b32_e32 v22, 0x10000, v23
	v_cmp_eq_u32_sdwa s[24:25], v23, v3 src0_sel:WORD_0 src1_sel:DWORD
	s_nop 1
	v_cndmask_b32_e64 v22, v22, v23, s[24:25]
; %bb.1519:                             ;   in Loop: Header=BB20_1467 Depth=3
	s_or_b64 exec, exec, s[40:41]
	v_and_b32_e32 v23, 0xffff0000, v10
	v_and_b32_e32 v18, 0xffff0000, v18
	v_max_f32_e32 v18, v18, v18
	v_max_f32_e32 v23, v23, v23
	v_min_f32_e32 v48, v23, v18
	v_max_f32_e32 v18, v23, v18
	v_cndmask_b32_e32 v23, v18, v48, vcc
	v_and_b32_e32 v18, 0x7f800000, v23
	v_cmp_ne_u32_e64 s[24:25], s68, v18
                                        ; implicit-def: $vgpr18
	s_and_saveexec_b64 s[40:41], s[24:25]
	s_xor_b64 s[24:25], exec, s[40:41]
; %bb.1520:                             ;   in Loop: Header=BB20_1467 Depth=3
	v_bfe_u32 v18, v23, 16, 1
	v_add3_u32 v18, v23, v18, s69
                                        ; implicit-def: $vgpr23
; %bb.1521:                             ;   in Loop: Header=BB20_1467 Depth=3
	s_andn2_saveexec_b64 s[40:41], s[24:25]
; %bb.1522:                             ;   in Loop: Header=BB20_1467 Depth=3
	v_or_b32_e32 v18, 0x10000, v23
	v_cmp_eq_u32_sdwa s[24:25], v23, v3 src0_sel:WORD_0 src1_sel:DWORD
	s_nop 1
	v_cndmask_b32_e64 v18, v18, v23, s[24:25]
; %bb.1523:                             ;   in Loop: Header=BB20_1467 Depth=3
	s_or_b64 exec, exec, s[40:41]
	v_lshlrev_b32_e32 v23, 16, v11
	v_lshlrev_b32_e32 v48, 16, v19
	v_max_f32_e32 v48, v48, v48
	v_max_f32_e32 v23, v23, v23
	v_min_f32_e32 v49, v23, v48
	v_max_f32_e32 v23, v23, v48
	v_cndmask_b32_e32 v48, v23, v49, vcc
	v_and_b32_e32 v23, 0x7f800000, v48
	v_cmp_ne_u32_e64 s[24:25], s68, v23
                                        ; implicit-def: $vgpr23
	s_and_saveexec_b64 s[40:41], s[24:25]
	s_xor_b64 s[24:25], exec, s[40:41]
; %bb.1524:                             ;   in Loop: Header=BB20_1467 Depth=3
	v_bfe_u32 v23, v48, 16, 1
	v_add3_u32 v23, v48, v23, s69
                                        ; implicit-def: $vgpr48
; %bb.1525:                             ;   in Loop: Header=BB20_1467 Depth=3
	s_andn2_saveexec_b64 s[40:41], s[24:25]
; %bb.1526:                             ;   in Loop: Header=BB20_1467 Depth=3
	v_or_b32_e32 v23, 0x10000, v48
	v_cmp_eq_u32_sdwa s[24:25], v48, v3 src0_sel:WORD_0 src1_sel:DWORD
	s_nop 1
	v_cndmask_b32_e64 v23, v23, v48, s[24:25]
; %bb.1527:                             ;   in Loop: Header=BB20_1467 Depth=3
	s_or_b64 exec, exec, s[40:41]
	v_and_b32_e32 v48, 0xffff0000, v11
	v_and_b32_e32 v19, 0xffff0000, v19
	v_max_f32_e32 v19, v19, v19
	v_max_f32_e32 v48, v48, v48
	v_min_f32_e32 v49, v48, v19
	v_max_f32_e32 v19, v48, v19
	v_cndmask_b32_e32 v48, v19, v49, vcc
	v_and_b32_e32 v19, 0x7f800000, v48
	v_cmp_ne_u32_e64 s[24:25], s68, v19
                                        ; implicit-def: $vgpr19
	s_and_saveexec_b64 s[40:41], s[24:25]
	s_xor_b64 s[24:25], exec, s[40:41]
; %bb.1528:                             ;   in Loop: Header=BB20_1467 Depth=3
	v_bfe_u32 v19, v48, 16, 1
	v_add3_u32 v19, v48, v19, s69
                                        ; implicit-def: $vgpr48
; %bb.1529:                             ;   in Loop: Header=BB20_1467 Depth=3
	s_andn2_saveexec_b64 s[40:41], s[24:25]
	s_cbranch_execz .LBB20_1466
; %bb.1530:                             ;   in Loop: Header=BB20_1467 Depth=3
	v_or_b32_e32 v19, 0x10000, v48
	v_cmp_eq_u32_sdwa s[24:25], v48, v3 src0_sel:WORD_0 src1_sel:DWORD
	s_nop 1
	v_cndmask_b32_e64 v19, v19, v48, s[24:25]
	s_branch .LBB20_1466
.LBB20_1531:                            ;   in Loop: Header=BB20_1319 Depth=2
	s_or_b64 exec, exec, s[44:45]
	s_and_saveexec_b64 s[44:45], s[46:47]
	s_xor_b64 s[44:45], exec, s[44:45]
	s_cbranch_execz .LBB20_1533
; %bb.1532:                             ;   in Loop: Header=BB20_1319 Depth=2
	ds_write_b32 v0, v95
	s_trap 2
.LBB20_1533:                            ;   in Loop: Header=BB20_1319 Depth=2
	s_or_b64 exec, exec, s[42:43]
	;;#ASMSTART
	s_wakeup
	;;#ASMEND
.LBB20_1534:                            ;   in Loop: Header=BB20_1319 Depth=2
	s_or_b64 exec, exec, s[40:41]
.LBB20_1535:                            ;   in Loop: Header=BB20_1319 Depth=2
	s_andn2_saveexec_b64 s[28:29], s[28:29]
	s_cbranch_execz .LBB20_1537
; %bb.1536:                             ;   in Loop: Header=BB20_1319 Depth=2
	;;#ASMSTART
	s_waitcnt lgkmcnt(0) vmcnt(0)
	;;#ASMEND
	s_barrier
.LBB20_1537:                            ;   in Loop: Header=BB20_1319 Depth=2
	s_or_b64 exec, exec, s[28:29]
	v_and_b32_e32 v2, 16, v92
.LBB20_1538:                            ;   in Loop: Header=BB20_1319 Depth=2
	s_or_b64 exec, exec, s[24:25]
	v_cmp_ne_u32_e32 vcc, 0, v2
	s_xor_b64 s[24:25], s[10:11], -1
	s_and_b64 s[28:29], vcc, s[24:25]
	s_and_saveexec_b64 s[24:25], s[28:29]
	s_cbranch_execz .LBB20_1540
; %bb.1539:                             ;   in Loop: Header=BB20_1319 Depth=2
	flat_store_dword v[68:69], v95 sc0 sc1
.LBB20_1540:                            ;   in Loop: Header=BB20_1319 Depth=2
	s_or_b64 exec, exec, s[24:25]
	v_and_b32_e32 v2, 48, v92
	v_cmp_ne_u32_e32 vcc, 0, v2
	s_and_saveexec_b64 s[24:25], vcc
	s_cbranch_execz .LBB20_1542
; %bb.1541:                             ;   in Loop: Header=BB20_1319 Depth=2
	v_lshl_add_u64 v[58:59], v[58:59], 0, 4
	flat_store_dwordx2 v[64:65], v[58:59] sc0 sc1
.LBB20_1542:                            ;   in Loop: Header=BB20_1319 Depth=2
	s_or_b64 exec, exec, s[24:25]
	s_or_b64 exec, exec, s[26:27]
	s_add_i32 s24, s54, 1
	s_cmp_eq_u32 s54, s83
	s_cbranch_scc0 .LBB20_1825
	s_branch .LBB20_1826
.LBB20_1543:                            ;   in Loop: Header=BB20_1319 Depth=2
	s_or_b64 exec, exec, s[28:29]
.LBB20_1544:                            ;   in Loop: Header=BB20_1319 Depth=2
	s_or_b64 exec, exec, s[26:27]
	v_lshlrev_b32_e32 v32, 11, v39
	v_cmp_ne_u32_e32 vcc, v38, v32
	s_mov_b64 s[24:25], 0
	v_mov_b32_e32 v18, 0
                                        ; implicit-def: $vgpr19
	s_and_saveexec_b64 s[48:49], vcc
	s_cbranch_execz .LBB20_1552
; %bb.1545:                             ;   in Loop: Header=BB20_1319 Depth=2
	v_lshlrev_b32_e32 v2, 6, v2
	v_sub_u32_e32 v2, v93, v2
	v_ashrrev_i32_e32 v9, 31, v2
	v_lshrrev_b32_e32 v9, 26, v9
	v_add_u32_e32 v9, v2, v9
	v_sub_u32_e32 v8, v38, v32
	v_ashrrev_i32_e32 v10, 6, v9
	v_and_b32_e32 v9, 0xffffffc0, v9
	v_sub_u32_e32 v33, v2, v9
	v_ashrrev_i32_e32 v9, 31, v8
	v_lshrrev_b32_e32 v9, 22, v9
	v_add_u32_e32 v9, v8, v9
	v_and_b32_e32 v34, 0xfffffc00, v9
	v_lshlrev_b32_e32 v2, 4, v33
	v_sub_u32_e32 v35, v8, v34
	v_lshl_add_u32 v2, v10, 10, v2
	v_ashrrev_i32_e32 v11, 10, v9
	v_cmp_lt_i32_e64 s[24:25], 15, v35
	v_sub_u32_e32 v37, v8, v2
	s_nop 0
	v_addc_co_u32_e64 v8, vcc, 0, v11, s[24:25]
	v_sub_u32_e32 v36, v8, v10
	v_cmp_lt_i32_e32 vcc, 15, v37
	s_and_saveexec_b64 s[50:51], vcc
	s_cbranch_execz .LBB20_1551
; %bb.1546:                             ;   in Loop: Header=BB20_1319 Depth=2
	v_add_u32_e32 v8, v2, v32
	s_and_b32 s76, s55, 1
	v_ashrrev_i32_e32 v9, 31, v8
	s_cmp_eq_u64 s[76:77], 0
	v_lshl_add_u64 v[16:17], v[8:9], 0, v[74:75]
	s_waitcnt lgkmcnt(0)
	v_lshl_add_u64 v[18:19], v[8:9], 0, v[26:27]
	v_lshl_add_u64 v[20:21], v[8:9], 0, v[76:77]
	;; [unrolled: 1-line block ×3, first 2 shown]
	s_mov_b64 s[52:53], 0
	s_cselect_b64 s[26:27], -1, 0
.LBB20_1547:                            ;   Parent Loop BB20_47 Depth=1
                                        ;     Parent Loop BB20_1319 Depth=2
                                        ; =>    This Loop Header: Depth=3
                                        ;         Child Loop BB20_1548 Depth 4
	global_load_dwordx4 v[8:11], v[16:17], off nt
	global_load_dwordx4 v[12:15], v[18:19], off nt
	s_waitcnt vmcnt(0)
	v_lshlrev_b32_e32 v2, 16, v8
	v_and_b32_e32 v48, 0xffff0000, v12
	v_lshlrev_b32_e32 v12, 16, v12
	v_max_f32_e32 v12, v12, v12
	v_max_f32_e32 v2, v2, v2
	v_min_f32_e32 v49, v2, v12
	v_max_f32_e32 v2, v2, v12
	v_cndmask_b32_e64 v12, v2, v49, s[26:27]
	v_and_b32_e32 v39, 0xffff0000, v8
	v_and_b32_e32 v2, 0x7f800000, v12
	v_cmp_eq_u32_e32 vcc, s68, v2
	v_bfe_u32 v2, v12, 16, 1
	v_cmp_eq_u32_sdwa s[28:29], v12, v3 src0_sel:WORD_0 src1_sel:DWORD
	v_or_b32_e32 v49, 0x10000, v12
	v_max_f32_e32 v48, v48, v48
	v_max_f32_e32 v39, v39, v39
	v_add3_u32 v2, v12, v2, s69
	v_cndmask_b32_e64 v12, v49, v12, s[28:29]
	v_min_f32_e32 v49, v39, v48
	v_max_f32_e32 v39, v39, v48
	v_cndmask_b32_e64 v48, v39, v49, s[26:27]
	v_and_b32_e32 v39, 0x7f800000, v48
	v_cmp_eq_u32_e64 s[28:29], s68, v39
	v_bfe_u32 v39, v48, 16, 1
	v_cmp_eq_u32_sdwa s[40:41], v48, v3 src0_sel:WORD_0 src1_sel:DWORD
	v_or_b32_e32 v49, 0x10000, v48
	v_add3_u32 v39, v48, v39, s69
	v_cndmask_b32_e64 v48, v49, v48, s[40:41]
	v_and_b32_e32 v51, 0xffff0000, v13
	v_lshlrev_b32_e32 v49, 16, v9
	v_lshlrev_b32_e32 v13, 16, v13
	v_max_f32_e32 v13, v13, v13
	v_max_f32_e32 v49, v49, v49
	v_min_f32_e32 v78, v49, v13
	v_max_f32_e32 v13, v49, v13
	v_cndmask_b32_e64 v49, v13, v78, s[26:27]
	v_and_b32_e32 v50, 0xffff0000, v9
	v_and_b32_e32 v13, 0x7f800000, v49
	v_cmp_eq_u32_e64 s[40:41], s68, v13
	v_bfe_u32 v13, v49, 16, 1
	v_cmp_eq_u32_sdwa s[42:43], v49, v3 src0_sel:WORD_0 src1_sel:DWORD
	v_or_b32_e32 v78, 0x10000, v49
	v_max_f32_e32 v51, v51, v51
	v_max_f32_e32 v50, v50, v50
	v_add3_u32 v13, v49, v13, s69
	v_cndmask_b32_e64 v49, v78, v49, s[42:43]
	v_min_f32_e32 v78, v50, v51
	v_max_f32_e32 v50, v50, v51
	v_cndmask_b32_e64 v51, v50, v78, s[26:27]
	v_and_b32_e32 v50, 0x7f800000, v51
	v_cmp_eq_u32_e64 s[42:43], s68, v50
	v_bfe_u32 v50, v51, 16, 1
	v_cmp_eq_u32_sdwa s[44:45], v51, v3 src0_sel:WORD_0 src1_sel:DWORD
	v_or_b32_e32 v78, 0x10000, v51
	v_add3_u32 v50, v51, v50, s69
	v_cndmask_b32_e64 v51, v78, v51, s[44:45]
	v_and_b32_e32 v89, 0xffff0000, v14
	v_lshlrev_b32_e32 v78, 16, v10
	v_lshlrev_b32_e32 v14, 16, v14
	v_max_f32_e32 v14, v14, v14
	v_max_f32_e32 v78, v78, v78
	v_min_f32_e32 v90, v78, v14
	v_max_f32_e32 v14, v78, v14
	v_cndmask_b32_e64 v78, v14, v90, s[26:27]
	v_and_b32_e32 v79, 0xffff0000, v10
	v_and_b32_e32 v14, 0x7f800000, v78
	v_cmp_eq_u32_e64 s[44:45], s68, v14
	v_bfe_u32 v14, v78, 16, 1
	v_cmp_eq_u32_sdwa s[46:47], v78, v3 src0_sel:WORD_0 src1_sel:DWORD
	v_or_b32_e32 v90, 0x10000, v78
	v_max_f32_e32 v89, v89, v89
	v_max_f32_e32 v79, v79, v79
	v_add3_u32 v14, v78, v14, s69
	v_cndmask_b32_e64 v78, v90, v78, s[46:47]
	v_min_f32_e32 v90, v79, v89
	v_max_f32_e32 v79, v79, v89
	v_and_b32_e32 v91, 0xffff0000, v15
	v_lshlrev_b32_e32 v108, 16, v11
	v_lshlrev_b32_e32 v15, 16, v15
	v_cndmask_b32_e64 v89, v79, v90, s[26:27]
	v_max_f32_e32 v15, v15, v15
	v_max_f32_e32 v108, v108, v108
	v_and_b32_e32 v79, 0x7f800000, v89
	v_min_f32_e32 v109, v108, v15
	v_max_f32_e32 v15, v108, v15
	v_cmp_eq_u32_e64 s[46:47], s68, v79
	v_bfe_u32 v79, v89, 16, 1
	v_cmp_eq_u32_sdwa s[56:57], v89, v3 src0_sel:WORD_0 src1_sel:DWORD
	v_or_b32_e32 v90, 0x10000, v89
	v_cndmask_b32_e64 v15, v15, v109, s[26:27]
	v_add3_u32 v79, v89, v79, s69
	v_cndmask_b32_e64 v89, v90, v89, s[56:57]
	v_and_b32_e32 v90, 0xffff0000, v11
	v_and_b32_e32 v108, 0x7f800000, v15
	v_cmp_eq_u32_e64 s[56:57], s68, v108
	v_bfe_u32 v108, v15, 16, 1
	v_cmp_eq_u32_sdwa s[58:59], v15, v3 src0_sel:WORD_0 src1_sel:DWORD
	v_or_b32_e32 v109, 0x10000, v15
	v_max_f32_e32 v91, v91, v91
	v_max_f32_e32 v90, v90, v90
	v_add3_u32 v108, v15, v108, s69
	v_cndmask_b32_e64 v15, v109, v15, s[58:59]
	v_min_f32_e32 v109, v90, v91
	v_max_f32_e32 v90, v90, v91
	v_cndmask_b32_e64 v90, v90, v109, s[26:27]
	v_and_b32_e32 v91, 0x7f800000, v90
	v_cmp_eq_u32_e64 s[58:59], s68, v91
	v_bfe_u32 v91, v90, 16, 1
	v_cmp_eq_u32_sdwa s[60:61], v90, v3 src0_sel:WORD_0 src1_sel:DWORD
	v_or_b32_e32 v109, 0x10000, v90
	v_cndmask_b32_e32 v2, v2, v12, vcc
	v_add3_u32 v91, v90, v91, s69
	v_cndmask_b32_e64 v90, v109, v90, s[60:61]
	v_cndmask_b32_e64 v12, v39, v48, s[28:29]
	;; [unrolled: 1-line block ×5, first 2 shown]
	v_lshrrev_b32_e32 v2, 16, v2
	v_cndmask_b32_e64 v39, v50, v51, s[42:43]
	v_cndmask_b32_e64 v48, v79, v89, s[46:47]
	;; [unrolled: 1-line block ×3, first 2 shown]
	v_lshrrev_b32_e32 v13, 16, v13
	v_and_or_b32 v2, v12, s70, v2
	v_lshrrev_b32_e32 v12, 16, v14
	v_lshrrev_b32_e32 v14, 16, v15
	v_and_or_b32 v13, v39, s70, v13
	v_and_or_b32 v12, v48, s70, v12
	;; [unrolled: 1-line block ×3, first 2 shown]
	s_mov_b64 s[42:43], -1
	s_mov_b64 s[44:45], 0
.LBB20_1548:                            ;   Parent Loop BB20_47 Depth=1
                                        ;     Parent Loop BB20_1319 Depth=2
                                        ;       Parent Loop BB20_1547 Depth=3
                                        ; =>      This Inner Loop Header: Depth=4
	v_cndmask_b32_e64 v14, 0, 1, s[42:43]
	s_cmp_eq_u32 s44, 1
	v_cmp_ne_u32_e32 vcc, 1, v14
	s_cselect_b64 s[28:29], -1, 0
	v_cndmask_b32_e64 v49, v9, v13, s[42:43]
	v_cndmask_b32_e64 v48, v8, v2, s[42:43]
	;; [unrolled: 1-line block ×4, first 2 shown]
	v_cndmask_b32_e32 v79, v21, v23, vcc
	v_cndmask_b32_e64 v91, v21, v23, s[28:29]
	s_cmp_eq_u32 s44, 0
	v_cndmask_b32_e32 v78, v20, v22, vcc
	v_cndmask_b32_e64 v90, v20, v22, s[28:29]
	global_store_dwordx4 v[78:79], v[48:51], off
	s_cselect_b64 vcc, -1, 0
	s_and_b64 s[40:41], exec, s[42:43]
	v_lshl_add_u64 v[48:49], v[90:91], 0, s[90:91]
	s_mov_b64 s[44:45], 1
	s_mov_b64 s[42:43], 0
	v_cndmask_b32_e64 v23, v23, v49, s[28:29]
	v_cndmask_b32_e64 v22, v22, v48, s[28:29]
	v_cndmask_b32_e32 v21, v21, v49, vcc
	v_cndmask_b32_e32 v20, v20, v48, vcc
	s_mov_b64 vcc, s[40:41]
	s_cbranch_vccnz .LBB20_1548
; %bb.1549:                             ;   in Loop: Header=BB20_1547 Depth=3
	v_sub_u32_e32 v37, v37, v100
	v_cmp_gt_i32_e32 vcc, 16, v37
	v_lshl_add_u64 v[20:21], v[20:21], 0, v[40:41]
	v_lshl_add_u64 v[22:23], v[22:23], 0, v[40:41]
	;; [unrolled: 1-line block ×4, first 2 shown]
	s_or_b64 s[52:53], vcc, s[52:53]
	v_sub_u32_e32 v36, v36, v84
	s_andn2_b64 exec, exec, s[52:53]
	s_cbranch_execnz .LBB20_1547
; %bb.1550:                             ;   in Loop: Header=BB20_1319 Depth=2
	s_or_b64 exec, exec, s[52:53]
.LBB20_1551:                            ;   in Loop: Header=BB20_1319 Depth=2
	s_or_b64 exec, exec, s[50:51]
	v_and_b32_e32 v2, 14, v38
	v_cmp_lt_i32_e32 vcc, 0, v36
	v_sub_u32_e32 v8, v35, v2
	v_cndmask_b32_e64 v38, v35, v2, s[24:25]
	v_cndmask_b32_e32 v2, 0, v84, vcc
	v_cndmask_b32_e64 v8, 0, v8, s[24:25]
	v_sub_u32_e32 v2, v2, v36
	v_cmp_ne_u32_e32 vcc, 0, v38
	v_add3_u32 v18, v34, v32, v8
	v_lshl_add_u32 v19, v2, 6, v33
	s_and_b64 s[24:25], vcc, exec
.LBB20_1552:                            ;   in Loop: Header=BB20_1319 Depth=2
	s_or_b64 exec, exec, s[48:49]
	s_and_saveexec_b64 s[42:43], s[24:25]
	s_cbranch_execz .LBB20_1595
.LBB20_1553:                            ;   in Loop: Header=BB20_1319 Depth=2
	v_ashrrev_i32_e32 v2, 31, v19
	v_ashrrev_i32_e32 v9, 31, v38
	v_lshrrev_b32_e32 v2, 26, v2
	v_lshrrev_b32_e32 v9, 22, v9
	v_add_u32_e32 v8, v19, v2
	v_add_u32_e32 v9, v38, v9
	v_ashrrev_i32_e32 v2, 6, v8
	v_ashrrev_i32_e32 v21, 10, v9
	v_sub_u32_e32 v20, v21, v2
	v_cmp_lt_i32_e32 vcc, 0, v20
	s_and_saveexec_b64 s[26:27], vcc
	s_cbranch_execz .LBB20_1589
; %bb.1554:                             ;   in Loop: Header=BB20_1319 Depth=2
	v_and_b32_e32 v8, 0x7fffffc0, v8
	v_sub_u32_e32 v8, v19, v8
	v_lshlrev_b32_e32 v8, 1, v8
	v_lshlrev_b32_e32 v9, 10, v2
	v_add3_u32 v8, v8, v18, v9
	s_and_b32 s76, s55, 1
	v_ashrrev_i32_e32 v9, 31, v8
	s_cmp_eq_u64 s[76:77], 0
	v_lshl_add_u64 v[10:11], v[8:9], 0, v[76:77]
	v_lshl_add_u64 v[12:13], v[8:9], 0, v[24:25]
	s_mov_b64 s[28:29], 0
	s_cselect_b64 vcc, -1, 0
	v_mov_b64_e32 v[14:15], v[74:75]
	s_waitcnt lgkmcnt(0)
	v_mov_b64_e32 v[16:17], v[26:27]
	s_branch .LBB20_1556
.LBB20_1555:                            ;   in Loop: Header=BB20_1556 Depth=3
	s_or_b64 exec, exec, s[40:41]
	v_sub_u32_e32 v20, v20, v84
	v_cmp_gt_i32_e64 s[24:25], 1, v20
	flat_store_short_d16_hi v[10:11], v48 offset:896 nt
	flat_store_short v[12:13], v22 nt
	flat_store_short v[12:13], v23 offset:128 nt
	flat_store_short v[12:13], v32 offset:256 nt
	;; [unrolled: 1-line block ×7, first 2 shown]
	v_lshl_add_u64 v[10:11], v[10:11], 0, v[100:101]
	v_lshl_add_u64 v[12:13], v[12:13], 0, v[100:101]
	;; [unrolled: 1-line block ×3, first 2 shown]
	s_or_b64 s[28:29], s[24:25], s[28:29]
	v_lshl_add_u64 v[14:15], v[14:15], 0, v[100:101]
	s_andn2_b64 exec, exec, s[28:29]
	s_cbranch_execz .LBB20_1588
.LBB20_1556:                            ;   Parent Loop BB20_47 Depth=1
                                        ;     Parent Loop BB20_1319 Depth=2
                                        ; =>    This Inner Loop Header: Depth=3
	v_lshl_add_u64 v[32:33], v[8:9], 0, v[16:17]
	v_lshl_add_u64 v[90:91], v[8:9], 0, v[14:15]
	flat_load_ushort v22, v[90:91] nt
	flat_load_ushort v78, v[32:33] offset:256 nt
	flat_load_ushort v51, v[32:33] offset:384 nt
	;; [unrolled: 1-line block ×6, first 2 shown]
	flat_load_ushort v89, v[32:33] nt
	flat_load_ushort v79, v[32:33] offset:128 nt
	flat_load_ushort v23, v[90:91] offset:128 nt
	s_nop 0
	flat_load_ushort v32, v[90:91] offset:256 nt
	flat_load_ushort v33, v[90:91] offset:384 nt
	;; [unrolled: 1-line block ×6, first 2 shown]
	s_waitcnt vmcnt(0) lgkmcnt(0)
	v_lshlrev_b32_e32 v90, 16, v22
	v_max_f32_e32 v90, v90, v90
	v_lshlrev_b32_e32 v89, 16, v89
	v_max_f32_e32 v89, v89, v89
	v_min_f32_e32 v91, v90, v89
	v_max_f32_e32 v89, v90, v89
	v_cndmask_b32_e32 v89, v89, v91, vcc
	v_and_b32_e32 v90, 0x7f800000, v89
	v_cmp_ne_u32_e64 s[24:25], s68, v90
                                        ; implicit-def: $vgpr90
	s_and_saveexec_b64 s[40:41], s[24:25]
	s_xor_b64 s[24:25], exec, s[40:41]
; %bb.1557:                             ;   in Loop: Header=BB20_1556 Depth=3
	v_bfe_u32 v90, v89, 16, 1
	v_add3_u32 v90, v89, v90, s69
                                        ; implicit-def: $vgpr89
; %bb.1558:                             ;   in Loop: Header=BB20_1556 Depth=3
	s_andn2_saveexec_b64 s[40:41], s[24:25]
; %bb.1559:                             ;   in Loop: Header=BB20_1556 Depth=3
	v_or_b32_e32 v90, 0x10000, v89
	v_cmp_eq_u32_sdwa s[24:25], v89, v3 src0_sel:WORD_0 src1_sel:DWORD
	s_nop 1
	v_cndmask_b32_e64 v90, v90, v89, s[24:25]
; %bb.1560:                             ;   in Loop: Header=BB20_1556 Depth=3
	s_or_b64 exec, exec, s[40:41]
	v_lshlrev_b32_e32 v89, 16, v23
	v_lshlrev_b32_e32 v79, 16, v79
	v_max_f32_e32 v79, v79, v79
	v_max_f32_e32 v89, v89, v89
	flat_store_short_d16_hi v[10:11], v90 nt
	v_min_f32_e32 v90, v89, v79
	v_max_f32_e32 v79, v89, v79
	v_cndmask_b32_e32 v79, v79, v90, vcc
	v_and_b32_e32 v89, 0x7f800000, v79
	v_cmp_ne_u32_e64 s[24:25], s68, v89
                                        ; implicit-def: $vgpr89
	s_and_saveexec_b64 s[40:41], s[24:25]
	s_xor_b64 s[24:25], exec, s[40:41]
; %bb.1561:                             ;   in Loop: Header=BB20_1556 Depth=3
	v_bfe_u32 v89, v79, 16, 1
	v_add3_u32 v89, v79, v89, s69
                                        ; implicit-def: $vgpr79
; %bb.1562:                             ;   in Loop: Header=BB20_1556 Depth=3
	s_andn2_saveexec_b64 s[40:41], s[24:25]
; %bb.1563:                             ;   in Loop: Header=BB20_1556 Depth=3
	v_or_b32_e32 v89, 0x10000, v79
	v_cmp_eq_u32_sdwa s[24:25], v79, v3 src0_sel:WORD_0 src1_sel:DWORD
	s_nop 1
	v_cndmask_b32_e64 v89, v89, v79, s[24:25]
; %bb.1564:                             ;   in Loop: Header=BB20_1556 Depth=3
	s_or_b64 exec, exec, s[40:41]
	v_lshlrev_b32_e32 v79, 16, v32
	v_lshlrev_b32_e32 v78, 16, v78
	v_max_f32_e32 v78, v78, v78
	v_max_f32_e32 v79, v79, v79
	flat_store_short_d16_hi v[10:11], v89 offset:128 nt
	v_min_f32_e32 v89, v79, v78
	v_max_f32_e32 v78, v79, v78
	v_cndmask_b32_e32 v78, v78, v89, vcc
	v_and_b32_e32 v79, 0x7f800000, v78
	v_cmp_ne_u32_e64 s[24:25], s68, v79
                                        ; implicit-def: $vgpr79
	s_and_saveexec_b64 s[40:41], s[24:25]
	s_xor_b64 s[24:25], exec, s[40:41]
; %bb.1565:                             ;   in Loop: Header=BB20_1556 Depth=3
	v_bfe_u32 v79, v78, 16, 1
	v_add3_u32 v79, v78, v79, s69
                                        ; implicit-def: $vgpr78
; %bb.1566:                             ;   in Loop: Header=BB20_1556 Depth=3
	s_andn2_saveexec_b64 s[40:41], s[24:25]
; %bb.1567:                             ;   in Loop: Header=BB20_1556 Depth=3
	v_or_b32_e32 v79, 0x10000, v78
	v_cmp_eq_u32_sdwa s[24:25], v78, v3 src0_sel:WORD_0 src1_sel:DWORD
	s_nop 1
	v_cndmask_b32_e64 v79, v79, v78, s[24:25]
; %bb.1568:                             ;   in Loop: Header=BB20_1556 Depth=3
	s_or_b64 exec, exec, s[40:41]
	v_lshlrev_b32_e32 v78, 16, v33
	v_lshlrev_b32_e32 v51, 16, v51
	v_max_f32_e32 v51, v51, v51
	v_max_f32_e32 v78, v78, v78
	flat_store_short_d16_hi v[10:11], v79 offset:256 nt
	v_min_f32_e32 v79, v78, v51
	v_max_f32_e32 v51, v78, v51
	v_cndmask_b32_e32 v51, v51, v79, vcc
	v_and_b32_e32 v78, 0x7f800000, v51
	v_cmp_ne_u32_e64 s[24:25], s68, v78
                                        ; implicit-def: $vgpr78
	s_and_saveexec_b64 s[40:41], s[24:25]
	s_xor_b64 s[24:25], exec, s[40:41]
; %bb.1569:                             ;   in Loop: Header=BB20_1556 Depth=3
	v_bfe_u32 v78, v51, 16, 1
	v_add3_u32 v78, v51, v78, s69
                                        ; implicit-def: $vgpr51
; %bb.1570:                             ;   in Loop: Header=BB20_1556 Depth=3
	s_andn2_saveexec_b64 s[40:41], s[24:25]
; %bb.1571:                             ;   in Loop: Header=BB20_1556 Depth=3
	v_or_b32_e32 v78, 0x10000, v51
	v_cmp_eq_u32_sdwa s[24:25], v51, v3 src0_sel:WORD_0 src1_sel:DWORD
	s_nop 1
	v_cndmask_b32_e64 v78, v78, v51, s[24:25]
; %bb.1572:                             ;   in Loop: Header=BB20_1556 Depth=3
	s_or_b64 exec, exec, s[40:41]
	v_lshlrev_b32_e32 v51, 16, v34
	v_lshlrev_b32_e32 v50, 16, v50
	v_max_f32_e32 v50, v50, v50
	v_max_f32_e32 v51, v51, v51
	flat_store_short_d16_hi v[10:11], v78 offset:384 nt
	v_min_f32_e32 v78, v51, v50
	v_max_f32_e32 v50, v51, v50
	v_cndmask_b32_e32 v50, v50, v78, vcc
	v_and_b32_e32 v51, 0x7f800000, v50
	v_cmp_ne_u32_e64 s[24:25], s68, v51
                                        ; implicit-def: $vgpr51
	s_and_saveexec_b64 s[40:41], s[24:25]
	s_xor_b64 s[24:25], exec, s[40:41]
; %bb.1573:                             ;   in Loop: Header=BB20_1556 Depth=3
	v_bfe_u32 v51, v50, 16, 1
	v_add3_u32 v51, v50, v51, s69
                                        ; implicit-def: $vgpr50
; %bb.1574:                             ;   in Loop: Header=BB20_1556 Depth=3
	s_andn2_saveexec_b64 s[40:41], s[24:25]
; %bb.1575:                             ;   in Loop: Header=BB20_1556 Depth=3
	v_or_b32_e32 v51, 0x10000, v50
	v_cmp_eq_u32_sdwa s[24:25], v50, v3 src0_sel:WORD_0 src1_sel:DWORD
	s_nop 1
	v_cndmask_b32_e64 v51, v51, v50, s[24:25]
; %bb.1576:                             ;   in Loop: Header=BB20_1556 Depth=3
	s_or_b64 exec, exec, s[40:41]
	v_lshlrev_b32_e32 v50, 16, v35
	v_lshlrev_b32_e32 v49, 16, v49
	v_max_f32_e32 v49, v49, v49
	v_max_f32_e32 v50, v50, v50
	flat_store_short_d16_hi v[10:11], v51 offset:512 nt
	v_min_f32_e32 v51, v50, v49
	v_max_f32_e32 v49, v50, v49
	v_cndmask_b32_e32 v49, v49, v51, vcc
	v_and_b32_e32 v50, 0x7f800000, v49
	v_cmp_ne_u32_e64 s[24:25], s68, v50
                                        ; implicit-def: $vgpr50
	s_and_saveexec_b64 s[40:41], s[24:25]
	s_xor_b64 s[24:25], exec, s[40:41]
; %bb.1577:                             ;   in Loop: Header=BB20_1556 Depth=3
	v_bfe_u32 v50, v49, 16, 1
	v_add3_u32 v50, v49, v50, s69
                                        ; implicit-def: $vgpr49
; %bb.1578:                             ;   in Loop: Header=BB20_1556 Depth=3
	s_andn2_saveexec_b64 s[40:41], s[24:25]
; %bb.1579:                             ;   in Loop: Header=BB20_1556 Depth=3
	v_or_b32_e32 v50, 0x10000, v49
	v_cmp_eq_u32_sdwa s[24:25], v49, v3 src0_sel:WORD_0 src1_sel:DWORD
	s_nop 1
	v_cndmask_b32_e64 v50, v50, v49, s[24:25]
; %bb.1580:                             ;   in Loop: Header=BB20_1556 Depth=3
	s_or_b64 exec, exec, s[40:41]
	v_lshlrev_b32_e32 v49, 16, v36
	v_lshlrev_b32_e32 v48, 16, v48
	v_max_f32_e32 v48, v48, v48
	v_max_f32_e32 v49, v49, v49
	flat_store_short_d16_hi v[10:11], v50 offset:640 nt
	v_min_f32_e32 v50, v49, v48
	v_max_f32_e32 v48, v49, v48
	v_cndmask_b32_e32 v48, v48, v50, vcc
	v_and_b32_e32 v49, 0x7f800000, v48
	v_cmp_ne_u32_e64 s[24:25], s68, v49
                                        ; implicit-def: $vgpr49
	s_and_saveexec_b64 s[40:41], s[24:25]
	s_xor_b64 s[24:25], exec, s[40:41]
; %bb.1581:                             ;   in Loop: Header=BB20_1556 Depth=3
	v_bfe_u32 v49, v48, 16, 1
	v_add3_u32 v49, v48, v49, s69
                                        ; implicit-def: $vgpr48
; %bb.1582:                             ;   in Loop: Header=BB20_1556 Depth=3
	s_andn2_saveexec_b64 s[40:41], s[24:25]
; %bb.1583:                             ;   in Loop: Header=BB20_1556 Depth=3
	v_or_b32_e32 v49, 0x10000, v48
	v_cmp_eq_u32_sdwa s[24:25], v48, v3 src0_sel:WORD_0 src1_sel:DWORD
	s_nop 1
	v_cndmask_b32_e64 v49, v49, v48, s[24:25]
; %bb.1584:                             ;   in Loop: Header=BB20_1556 Depth=3
	s_or_b64 exec, exec, s[40:41]
	v_lshlrev_b32_e32 v48, 16, v37
	v_lshlrev_b32_e32 v39, 16, v39
	v_max_f32_e32 v39, v39, v39
	v_max_f32_e32 v48, v48, v48
	flat_store_short_d16_hi v[10:11], v49 offset:768 nt
	v_min_f32_e32 v49, v48, v39
	v_max_f32_e32 v39, v48, v39
	v_cndmask_b32_e32 v39, v39, v49, vcc
	v_and_b32_e32 v48, 0x7f800000, v39
	v_cmp_ne_u32_e64 s[24:25], s68, v48
                                        ; implicit-def: $vgpr48
	s_and_saveexec_b64 s[40:41], s[24:25]
	s_xor_b64 s[24:25], exec, s[40:41]
; %bb.1585:                             ;   in Loop: Header=BB20_1556 Depth=3
	v_bfe_u32 v48, v39, 16, 1
	v_add3_u32 v48, v39, v48, s69
                                        ; implicit-def: $vgpr39
; %bb.1586:                             ;   in Loop: Header=BB20_1556 Depth=3
	s_andn2_saveexec_b64 s[40:41], s[24:25]
	s_cbranch_execz .LBB20_1555
; %bb.1587:                             ;   in Loop: Header=BB20_1556 Depth=3
	v_or_b32_e32 v48, 0x10000, v39
	v_cmp_eq_u32_sdwa s[24:25], v39, v3 src0_sel:WORD_0 src1_sel:DWORD
	s_nop 1
	v_cndmask_b32_e64 v48, v48, v39, s[24:25]
	s_branch .LBB20_1555
.LBB20_1588:                            ;   in Loop: Header=BB20_1319 Depth=2
	s_or_b64 exec, exec, s[28:29]
.LBB20_1589:                            ;   in Loop: Header=BB20_1319 Depth=2
	s_or_b64 exec, exec, s[26:27]
	v_lshlrev_b32_e32 v8, 10, v21
	v_cmp_ne_u32_e32 vcc, v38, v8
	s_and_b64 exec, exec, vcc
	s_cbranch_execz .LBB20_1595
; %bb.1590:                             ;   in Loop: Header=BB20_1319 Depth=2
	v_lshlrev_b32_e32 v2, 6, v2
	v_sub_u32_e32 v2, v19, v2
	v_lshlrev_b32_e32 v9, 6, v20
	v_sub_u32_e32 v2, v2, v9
	v_ashrrev_i32_e32 v9, 31, v2
	v_lshrrev_b32_e32 v9, 26, v9
	v_add_u32_e32 v9, v2, v9
	v_and_b32_e32 v10, 0x7fffffc0, v9
	v_sub_u32_e32 v2, v2, v10
	v_lshlrev_b32_e32 v9, 1, v9
	v_and_b32_e32 v9, 0xffffff80, v9
	v_lshlrev_b32_e32 v2, 1, v2
	v_add3_u32 v8, v9, v2, v8
	v_sub_u32_e32 v2, v38, v8
	v_cmp_lt_i32_e32 vcc, 1, v2
	s_and_b64 exec, exec, vcc
	s_cbranch_execz .LBB20_1595
; %bb.1591:                             ;   in Loop: Header=BB20_1319 Depth=2
	v_add_u32_e32 v14, v8, v18
	s_and_b32 s76, s55, 1
	v_ashrrev_i32_e32 v15, 31, v14
	s_cmp_eq_u64 s[76:77], 0
	v_lshl_add_u64 v[8:9], v[14:15], 0, v[74:75]
	s_waitcnt lgkmcnt(0)
	v_lshl_add_u64 v[10:11], v[14:15], 0, v[26:27]
	v_lshl_add_u64 v[12:13], v[14:15], 0, v[76:77]
	;; [unrolled: 1-line block ×3, first 2 shown]
	s_mov_b64 s[44:45], 0
	s_cselect_b64 s[24:25], -1, 0
.LBB20_1592:                            ;   Parent Loop BB20_47 Depth=1
                                        ;     Parent Loop BB20_1319 Depth=2
                                        ; =>    This Loop Header: Depth=3
                                        ;         Child Loop BB20_1593 Depth 4
	flat_load_ushort v16, v[8:9] nt
	flat_load_ushort v17, v[10:11] nt
	s_mov_b64 s[26:27], -1
	s_mov_b64 s[46:47], 0
	s_waitcnt vmcnt(0) lgkmcnt(0)
	v_lshlrev_b32_e32 v18, 16, v16
	v_lshlrev_b32_e32 v17, 16, v17
	v_max_f32_e32 v17, v17, v17
	v_max_f32_e32 v18, v18, v18
	v_min_f32_e32 v19, v18, v17
	v_max_f32_e32 v17, v18, v17
	v_cndmask_b32_e64 v17, v17, v19, s[24:25]
	v_and_b32_e32 v18, 0x7f800000, v17
	v_bfe_u32 v19, v17, 16, 1
	v_or_b32_e32 v20, 0x10000, v17
	v_cmp_eq_u32_sdwa vcc, v17, v3 src0_sel:WORD_0 src1_sel:DWORD
	v_add3_u32 v19, v17, v19, s69
	s_nop 0
	v_cndmask_b32_e32 v17, v20, v17, vcc
	v_cmp_eq_u32_e32 vcc, s68, v18
	s_nop 1
	v_cndmask_b32_e32 v17, v19, v17, vcc
.LBB20_1593:                            ;   Parent Loop BB20_47 Depth=1
                                        ;     Parent Loop BB20_1319 Depth=2
                                        ;       Parent Loop BB20_1592 Depth=3
                                        ; =>      This Inner Loop Header: Depth=4
	s_mov_b64 vcc, s[26:27]
	v_cndmask_b32_e64 v18, 0, 1, s[26:27]
	s_cmp_eq_u32 s46, 1
	v_cndmask_b32_sdwa v22, v16, v17, vcc dst_sel:DWORD dst_unused:UNUSED_PAD src0_sel:DWORD src1_sel:WORD_1
	v_cmp_ne_u32_e32 vcc, 1, v18
	s_cselect_b64 s[28:29], -1, 0
	v_cndmask_b32_e64 v21, v13, v15, s[28:29]
	v_cndmask_b32_e32 v19, v13, v15, vcc
	s_cmp_eq_u32 s46, 0
	v_cndmask_b32_e32 v18, v12, v14, vcc
	v_cndmask_b32_e64 v20, v12, v14, s[28:29]
	flat_store_short v[18:19], v22 nt
	v_lshl_add_u64 v[18:19], v[20:21], 0, s[92:93]
	s_cselect_b64 vcc, -1, 0
	s_and_b64 s[40:41], exec, s[26:27]
	s_mov_b64 s[46:47], 1
	s_mov_b64 s[26:27], 0
	v_cndmask_b32_e64 v15, v15, v19, s[28:29]
	v_cndmask_b32_e64 v14, v14, v18, s[28:29]
	v_cndmask_b32_e32 v13, v13, v19, vcc
	v_cndmask_b32_e32 v12, v12, v18, vcc
	s_mov_b64 vcc, s[40:41]
	s_cbranch_vccnz .LBB20_1593
; %bb.1594:                             ;   in Loop: Header=BB20_1592 Depth=3
	v_sub_u32_e32 v2, v2, v102
	v_cmp_gt_i32_e32 vcc, 2, v2
	v_lshl_add_u64 v[12:13], v[12:13], 0, v[42:43]
	v_lshl_add_u64 v[14:15], v[14:15], 0, v[42:43]
	;; [unrolled: 1-line block ×3, first 2 shown]
	s_or_b64 s[44:45], vcc, s[44:45]
	v_lshl_add_u64 v[10:11], v[10:11], 0, v[46:47]
	s_andn2_b64 exec, exec, s[44:45]
	s_cbranch_execnz .LBB20_1592
.LBB20_1595:                            ;   in Loop: Header=BB20_1319 Depth=2
	s_or_b64 exec, exec, s[42:43]
	s_branch .LBB20_1463
.LBB20_1596:                            ;   in Loop: Header=BB20_1319 Depth=2
	s_mov_b64 s[26:27], -1
	s_and_saveexec_b64 s[24:25], s[18:19]
	s_cbranch_execz .LBB20_1598
; %bb.1597:                             ;   in Loop: Header=BB20_1319 Depth=2
	ds_read_b32 v2, v0 offset:720
	s_waitcnt lgkmcnt(0)
	v_and_b32_e32 v2, 15, v2
	v_cmp_eq_u32_e32 vcc, 0, v2
	s_orn2_b64 s[26:27], vcc, exec
.LBB20_1598:                            ;   in Loop: Header=BB20_1319 Depth=2
	s_or_b64 exec, exec, s[24:25]
	s_and_saveexec_b64 s[24:25], s[16:17]
	s_cbranch_execz .LBB20_1600
; %bb.1599:                             ;   in Loop: Header=BB20_1319 Depth=2
	ds_read_b32 v2, v0 offset:784
	s_waitcnt lgkmcnt(0)
	v_and_b32_e32 v2, 15, v2
	v_cmp_eq_u32_e32 vcc, 0, v2
	s_and_b64 s[28:29], s[26:27], vcc
	s_andn2_b64 s[26:27], s[26:27], exec
	s_and_b64 s[28:29], s[28:29], exec
	s_or_b64 s[26:27], s[26:27], s[28:29]
.LBB20_1600:                            ;   in Loop: Header=BB20_1319 Depth=2
	s_or_b64 exec, exec, s[24:25]
	s_xor_b64 s[26:27], s[26:27], -1
	v_cndmask_b32_e64 v8, 0, 1, s[26:27]
	v_lshlrev_b32_e32 v2, 1, v73
	s_mov_b64 s[24:25], -1
	v_mov_b32_e32 v12, 0
	v_cmp_ne_u32_e32 vcc, 0, v8
	s_cbranch_vccz .LBB20_1602
; %bb.1601:                             ;   in Loop: Header=BB20_1319 Depth=2
	v_mov_b32_e32 v13, v0
	s_and_saveexec_b64 s[40:41], s[24:25]
	s_cbranch_execnz .LBB20_1741
	s_branch .LBB20_1781
.LBB20_1602:                            ;   in Loop: Header=BB20_1319 Depth=2
	v_ashrrev_i32_e32 v8, 31, v2
	v_lshrrev_b32_e32 v8, 20, v8
	v_add_u32_e32 v8, v2, v8
	v_ashrrev_i32_e32 v90, 12, v8
	v_sub_u32_e32 v89, v90, v94
	v_cmp_lt_i32_e32 vcc, 0, v89
	s_and_saveexec_b64 s[26:27], vcc
	s_cbranch_execz .LBB20_1734
; %bb.1603:                             ;   in Loop: Header=BB20_1319 Depth=2
	s_and_b32 s76, s55, 1
	s_cmp_eq_u64 s[76:77], 0
	s_mov_b64 s[28:29], 0
	s_cselect_b64 vcc, -1, 0
	v_mov_b64_e32 v[78:79], v[118:119]
	s_branch .LBB20_1605
.LBB20_1604:                            ;   in Loop: Header=BB20_1605 Depth=3
	s_or_b64 exec, exec, s[40:41]
	v_lshrrev_b32_e32 v12, 16, v12
	v_and_or_b32 v9, v9, s70, v12
	v_lshrrev_b32_e32 v12, 16, v16
	v_and_or_b32 v8, v8, s70, v12
	v_lshrrev_b32_e32 v12, 16, v13
	v_sub_u32_e32 v89, v89, v84
	v_and_or_b32 v10, v10, s70, v12
	v_lshrrev_b32_e32 v12, 16, v14
	v_cmp_gt_i32_e64 s[24:25], 1, v89
	v_and_or_b32 v11, v11, s70, v12
	s_or_b64 s[28:29], s[24:25], s[28:29]
	v_lshl_add_u64 v[78:79], v[78:79], 0, v[98:99]
	global_store_dwordx4 v[36:37], v[8:11], off
	s_andn2_b64 exec, exec, s[28:29]
	s_cbranch_execz .LBB20_1733
.LBB20_1605:                            ;   Parent Loop BB20_47 Depth=1
                                        ;     Parent Loop BB20_1319 Depth=2
                                        ; =>    This Inner Loop Header: Depth=3
	v_lshl_add_u64 v[12:13], v[74:75], 0, v[78:79]
	global_load_dwordx4 v[36:39], v[78:79], off offset:-3072 nt
	global_load_dwordx4 v[48:51], v[12:13], off offset:-3072 nt
	s_waitcnt lgkmcnt(0)
	global_load_dwordx4 v[24:27], v[78:79], off offset:-2048 nt
	global_load_dwordx4 v[16:19], v[78:79], off offset:-1024 nt
	global_load_dwordx4 v[8:11], v[78:79], off nt
	global_load_dwordx4 v[32:35], v[12:13], off offset:-2048 nt
	global_load_dwordx4 v[20:23], v[12:13], off offset:-1024 nt
	s_nop 0
	global_load_dwordx4 v[12:15], v[12:13], off nt
	s_waitcnt vmcnt(0)
	v_lshlrev_b32_e32 v91, 16, v36
	v_lshlrev_b32_e32 v108, 16, v48
	v_max_f32_e32 v91, v91, v91
	v_max_f32_e32 v108, v108, v108
	v_min_f32_e32 v109, v108, v91
	v_max_f32_e32 v91, v108, v91
	v_cndmask_b32_e32 v108, v91, v109, vcc
	v_and_b32_e32 v91, 0x7f800000, v108
	v_cmp_ne_u32_e64 s[24:25], s68, v91
                                        ; implicit-def: $vgpr91
	s_and_saveexec_b64 s[40:41], s[24:25]
	s_xor_b64 s[24:25], exec, s[40:41]
; %bb.1606:                             ;   in Loop: Header=BB20_1605 Depth=3
	v_bfe_u32 v91, v108, 16, 1
	v_add3_u32 v91, v108, v91, s69
                                        ; implicit-def: $vgpr108
; %bb.1607:                             ;   in Loop: Header=BB20_1605 Depth=3
	s_andn2_saveexec_b64 s[40:41], s[24:25]
; %bb.1608:                             ;   in Loop: Header=BB20_1605 Depth=3
	v_or_b32_e32 v91, 0x10000, v108
	v_cmp_eq_u32_sdwa s[24:25], v108, v3 src0_sel:WORD_0 src1_sel:DWORD
	s_nop 1
	v_cndmask_b32_e64 v91, v91, v108, s[24:25]
; %bb.1609:                             ;   in Loop: Header=BB20_1605 Depth=3
	s_or_b64 exec, exec, s[40:41]
	v_and_b32_e32 v48, 0xffff0000, v48
	v_and_b32_e32 v36, 0xffff0000, v36
	v_max_f32_e32 v36, v36, v36
	v_max_f32_e32 v48, v48, v48
	v_min_f32_e32 v108, v48, v36
	v_max_f32_e32 v36, v48, v36
	v_cndmask_b32_e32 v36, v36, v108, vcc
	v_and_b32_e32 v48, 0x7f800000, v36
	v_cmp_ne_u32_e64 s[24:25], s68, v48
                                        ; implicit-def: $vgpr48
	s_and_saveexec_b64 s[40:41], s[24:25]
	s_xor_b64 s[24:25], exec, s[40:41]
; %bb.1610:                             ;   in Loop: Header=BB20_1605 Depth=3
	v_bfe_u32 v48, v36, 16, 1
	v_add3_u32 v48, v36, v48, s69
                                        ; implicit-def: $vgpr36
; %bb.1611:                             ;   in Loop: Header=BB20_1605 Depth=3
	s_andn2_saveexec_b64 s[40:41], s[24:25]
; %bb.1612:                             ;   in Loop: Header=BB20_1605 Depth=3
	v_or_b32_e32 v48, 0x10000, v36
	v_cmp_eq_u32_sdwa s[24:25], v36, v3 src0_sel:WORD_0 src1_sel:DWORD
	s_nop 1
	v_cndmask_b32_e64 v48, v48, v36, s[24:25]
; %bb.1613:                             ;   in Loop: Header=BB20_1605 Depth=3
	s_or_b64 exec, exec, s[40:41]
	v_lshlrev_b32_e32 v36, 16, v49
	v_lshlrev_b32_e32 v108, 16, v37
	v_max_f32_e32 v108, v108, v108
	v_max_f32_e32 v36, v36, v36
	v_min_f32_e32 v109, v36, v108
	v_max_f32_e32 v36, v36, v108
	v_cndmask_b32_e32 v36, v36, v109, vcc
	v_and_b32_e32 v108, 0x7f800000, v36
	v_cmp_ne_u32_e64 s[24:25], s68, v108
                                        ; implicit-def: $vgpr108
	s_and_saveexec_b64 s[40:41], s[24:25]
	s_xor_b64 s[24:25], exec, s[40:41]
; %bb.1614:                             ;   in Loop: Header=BB20_1605 Depth=3
	v_bfe_u32 v108, v36, 16, 1
	v_add3_u32 v108, v36, v108, s69
                                        ; implicit-def: $vgpr36
; %bb.1615:                             ;   in Loop: Header=BB20_1605 Depth=3
	s_andn2_saveexec_b64 s[40:41], s[24:25]
; %bb.1616:                             ;   in Loop: Header=BB20_1605 Depth=3
	v_or_b32_e32 v108, 0x10000, v36
	v_cmp_eq_u32_sdwa s[24:25], v36, v3 src0_sel:WORD_0 src1_sel:DWORD
	s_nop 1
	v_cndmask_b32_e64 v108, v108, v36, s[24:25]
; %bb.1617:                             ;   in Loop: Header=BB20_1605 Depth=3
	s_or_b64 exec, exec, s[40:41]
	v_and_b32_e32 v36, 0xffff0000, v49
	v_and_b32_e32 v37, 0xffff0000, v37
	v_max_f32_e32 v37, v37, v37
	v_max_f32_e32 v36, v36, v36
	v_min_f32_e32 v49, v36, v37
	v_max_f32_e32 v36, v36, v37
	v_cndmask_b32_e32 v36, v36, v49, vcc
	v_and_b32_e32 v37, 0x7f800000, v36
	v_cmp_ne_u32_e64 s[24:25], s68, v37
                                        ; implicit-def: $vgpr49
	s_and_saveexec_b64 s[40:41], s[24:25]
	s_xor_b64 s[24:25], exec, s[40:41]
; %bb.1618:                             ;   in Loop: Header=BB20_1605 Depth=3
	v_bfe_u32 v37, v36, 16, 1
	v_add3_u32 v49, v36, v37, s69
                                        ; implicit-def: $vgpr36
; %bb.1619:                             ;   in Loop: Header=BB20_1605 Depth=3
	s_andn2_saveexec_b64 s[40:41], s[24:25]
; %bb.1620:                             ;   in Loop: Header=BB20_1605 Depth=3
	v_or_b32_e32 v37, 0x10000, v36
	v_cmp_eq_u32_sdwa s[24:25], v36, v3 src0_sel:WORD_0 src1_sel:DWORD
	s_nop 1
	v_cndmask_b32_e64 v49, v37, v36, s[24:25]
; %bb.1621:                             ;   in Loop: Header=BB20_1605 Depth=3
	s_or_b64 exec, exec, s[40:41]
	v_lshlrev_b32_e32 v36, 16, v50
	v_lshlrev_b32_e32 v37, 16, v38
	v_max_f32_e32 v37, v37, v37
	v_max_f32_e32 v36, v36, v36
	v_min_f32_e32 v109, v36, v37
	v_max_f32_e32 v36, v36, v37
	v_cndmask_b32_e32 v36, v36, v109, vcc
	v_and_b32_e32 v37, 0x7f800000, v36
	v_cmp_ne_u32_e64 s[24:25], s68, v37
                                        ; implicit-def: $vgpr109
	s_and_saveexec_b64 s[40:41], s[24:25]
	s_xor_b64 s[24:25], exec, s[40:41]
; %bb.1622:                             ;   in Loop: Header=BB20_1605 Depth=3
	v_bfe_u32 v37, v36, 16, 1
	v_add3_u32 v109, v36, v37, s69
                                        ; implicit-def: $vgpr36
; %bb.1623:                             ;   in Loop: Header=BB20_1605 Depth=3
	s_andn2_saveexec_b64 s[40:41], s[24:25]
; %bb.1624:                             ;   in Loop: Header=BB20_1605 Depth=3
	v_or_b32_e32 v37, 0x10000, v36
	v_cmp_eq_u32_sdwa s[24:25], v36, v3 src0_sel:WORD_0 src1_sel:DWORD
	s_nop 1
	v_cndmask_b32_e64 v109, v37, v36, s[24:25]
; %bb.1625:                             ;   in Loop: Header=BB20_1605 Depth=3
	s_or_b64 exec, exec, s[40:41]
	v_and_b32_e32 v36, 0xffff0000, v50
	v_and_b32_e32 v37, 0xffff0000, v38
	v_max_f32_e32 v37, v37, v37
	v_max_f32_e32 v36, v36, v36
	v_min_f32_e32 v38, v36, v37
	v_max_f32_e32 v36, v36, v37
	v_cndmask_b32_e32 v36, v36, v38, vcc
	v_and_b32_e32 v37, 0x7f800000, v36
	v_cmp_ne_u32_e64 s[24:25], s68, v37
                                        ; implicit-def: $vgpr38
	s_and_saveexec_b64 s[40:41], s[24:25]
	s_xor_b64 s[24:25], exec, s[40:41]
; %bb.1626:                             ;   in Loop: Header=BB20_1605 Depth=3
	v_bfe_u32 v37, v36, 16, 1
	v_add3_u32 v38, v36, v37, s69
                                        ; implicit-def: $vgpr36
; %bb.1627:                             ;   in Loop: Header=BB20_1605 Depth=3
	s_andn2_saveexec_b64 s[40:41], s[24:25]
; %bb.1628:                             ;   in Loop: Header=BB20_1605 Depth=3
	v_or_b32_e32 v37, 0x10000, v36
	v_cmp_eq_u32_sdwa s[24:25], v36, v3 src0_sel:WORD_0 src1_sel:DWORD
	s_nop 1
	v_cndmask_b32_e64 v38, v37, v36, s[24:25]
; %bb.1629:                             ;   in Loop: Header=BB20_1605 Depth=3
	s_or_b64 exec, exec, s[40:41]
	v_lshlrev_b32_e32 v36, 16, v51
	v_lshlrev_b32_e32 v37, 16, v39
	v_max_f32_e32 v37, v37, v37
	v_max_f32_e32 v36, v36, v36
	v_min_f32_e32 v50, v36, v37
	v_max_f32_e32 v36, v36, v37
	v_cndmask_b32_e32 v36, v36, v50, vcc
	v_and_b32_e32 v37, 0x7f800000, v36
	v_cmp_ne_u32_e64 s[24:25], s68, v37
                                        ; implicit-def: $vgpr50
	s_and_saveexec_b64 s[40:41], s[24:25]
	s_xor_b64 s[24:25], exec, s[40:41]
; %bb.1630:                             ;   in Loop: Header=BB20_1605 Depth=3
	v_bfe_u32 v37, v36, 16, 1
	v_add3_u32 v50, v36, v37, s69
                                        ; implicit-def: $vgpr36
; %bb.1631:                             ;   in Loop: Header=BB20_1605 Depth=3
	s_andn2_saveexec_b64 s[40:41], s[24:25]
; %bb.1632:                             ;   in Loop: Header=BB20_1605 Depth=3
	v_or_b32_e32 v37, 0x10000, v36
	v_cmp_eq_u32_sdwa s[24:25], v36, v3 src0_sel:WORD_0 src1_sel:DWORD
	s_nop 1
	v_cndmask_b32_e64 v50, v37, v36, s[24:25]
; %bb.1633:                             ;   in Loop: Header=BB20_1605 Depth=3
	s_or_b64 exec, exec, s[40:41]
	v_and_b32_e32 v36, 0xffff0000, v51
	v_and_b32_e32 v37, 0xffff0000, v39
	v_max_f32_e32 v37, v37, v37
	v_max_f32_e32 v36, v36, v36
	v_min_f32_e32 v39, v36, v37
	v_max_f32_e32 v36, v36, v37
	v_cndmask_b32_e32 v36, v36, v39, vcc
	v_and_b32_e32 v37, 0x7f800000, v36
	v_cmp_ne_u32_e64 s[24:25], s68, v37
                                        ; implicit-def: $vgpr39
	s_and_saveexec_b64 s[40:41], s[24:25]
	s_xor_b64 s[24:25], exec, s[40:41]
; %bb.1634:                             ;   in Loop: Header=BB20_1605 Depth=3
	v_bfe_u32 v37, v36, 16, 1
	v_add3_u32 v39, v36, v37, s69
                                        ; implicit-def: $vgpr36
; %bb.1635:                             ;   in Loop: Header=BB20_1605 Depth=3
	s_andn2_saveexec_b64 s[40:41], s[24:25]
; %bb.1636:                             ;   in Loop: Header=BB20_1605 Depth=3
	v_or_b32_e32 v37, 0x10000, v36
	v_cmp_eq_u32_sdwa s[24:25], v36, v3 src0_sel:WORD_0 src1_sel:DWORD
	s_nop 1
	v_cndmask_b32_e64 v39, v37, v36, s[24:25]
; %bb.1637:                             ;   in Loop: Header=BB20_1605 Depth=3
	s_or_b64 exec, exec, s[40:41]
	v_lshrrev_b32_e32 v51, 16, v108
	v_and_or_b32 v121, v49, s70, v51
	v_lshrrev_b32_e32 v49, 16, v91
	v_and_or_b32 v120, v48, s70, v49
	;; [unrolled: 2-line block ×4, first 2 shown]
	v_lshlrev_b32_e32 v38, 16, v32
	v_lshlrev_b32_e32 v39, 16, v24
	v_max_f32_e32 v39, v39, v39
	v_max_f32_e32 v38, v38, v38
	v_min_f32_e32 v48, v38, v39
	v_max_f32_e32 v38, v38, v39
	v_cndmask_b32_e32 v39, v38, v48, vcc
	v_and_b32_e32 v38, 0x7f800000, v39
	v_lshl_add_u64 v[36:37], v[76:77], 0, v[78:79]
	v_cmp_ne_u32_e64 s[24:25], s68, v38
	global_store_dwordx4 v[36:37], v[120:123], off offset:-3072
                                        ; implicit-def: $vgpr38
	s_and_saveexec_b64 s[40:41], s[24:25]
	s_xor_b64 s[24:25], exec, s[40:41]
; %bb.1638:                             ;   in Loop: Header=BB20_1605 Depth=3
	v_bfe_u32 v38, v39, 16, 1
	v_add3_u32 v38, v39, v38, s69
                                        ; implicit-def: $vgpr39
; %bb.1639:                             ;   in Loop: Header=BB20_1605 Depth=3
	s_andn2_saveexec_b64 s[40:41], s[24:25]
; %bb.1640:                             ;   in Loop: Header=BB20_1605 Depth=3
	v_or_b32_e32 v38, 0x10000, v39
	v_cmp_eq_u32_sdwa s[24:25], v39, v3 src0_sel:WORD_0 src1_sel:DWORD
	s_nop 1
	v_cndmask_b32_e64 v38, v38, v39, s[24:25]
; %bb.1641:                             ;   in Loop: Header=BB20_1605 Depth=3
	s_or_b64 exec, exec, s[40:41]
	v_and_b32_e32 v32, 0xffff0000, v32
	v_and_b32_e32 v24, 0xffff0000, v24
	v_max_f32_e32 v24, v24, v24
	v_max_f32_e32 v32, v32, v32
	v_min_f32_e32 v39, v32, v24
	v_max_f32_e32 v24, v32, v24
	v_cndmask_b32_e32 v32, v24, v39, vcc
	v_and_b32_e32 v24, 0x7f800000, v32
	v_cmp_ne_u32_e64 s[24:25], s68, v24
                                        ; implicit-def: $vgpr24
	s_and_saveexec_b64 s[40:41], s[24:25]
	s_xor_b64 s[24:25], exec, s[40:41]
; %bb.1642:                             ;   in Loop: Header=BB20_1605 Depth=3
	v_bfe_u32 v24, v32, 16, 1
	v_add3_u32 v24, v32, v24, s69
                                        ; implicit-def: $vgpr32
; %bb.1643:                             ;   in Loop: Header=BB20_1605 Depth=3
	s_andn2_saveexec_b64 s[40:41], s[24:25]
; %bb.1644:                             ;   in Loop: Header=BB20_1605 Depth=3
	v_or_b32_e32 v24, 0x10000, v32
	v_cmp_eq_u32_sdwa s[24:25], v32, v3 src0_sel:WORD_0 src1_sel:DWORD
	s_nop 1
	v_cndmask_b32_e64 v24, v24, v32, s[24:25]
; %bb.1645:                             ;   in Loop: Header=BB20_1605 Depth=3
	s_or_b64 exec, exec, s[40:41]
	v_lshlrev_b32_e32 v32, 16, v33
	v_lshlrev_b32_e32 v39, 16, v25
	v_max_f32_e32 v39, v39, v39
	v_max_f32_e32 v32, v32, v32
	v_min_f32_e32 v48, v32, v39
	v_max_f32_e32 v32, v32, v39
	v_cndmask_b32_e32 v39, v32, v48, vcc
	v_and_b32_e32 v32, 0x7f800000, v39
	v_cmp_ne_u32_e64 s[24:25], s68, v32
                                        ; implicit-def: $vgpr32
	s_and_saveexec_b64 s[40:41], s[24:25]
	s_xor_b64 s[24:25], exec, s[40:41]
; %bb.1646:                             ;   in Loop: Header=BB20_1605 Depth=3
	v_bfe_u32 v32, v39, 16, 1
	v_add3_u32 v32, v39, v32, s69
                                        ; implicit-def: $vgpr39
; %bb.1647:                             ;   in Loop: Header=BB20_1605 Depth=3
	s_andn2_saveexec_b64 s[40:41], s[24:25]
; %bb.1648:                             ;   in Loop: Header=BB20_1605 Depth=3
	v_or_b32_e32 v32, 0x10000, v39
	v_cmp_eq_u32_sdwa s[24:25], v39, v3 src0_sel:WORD_0 src1_sel:DWORD
	s_nop 1
	v_cndmask_b32_e64 v32, v32, v39, s[24:25]
; %bb.1649:                             ;   in Loop: Header=BB20_1605 Depth=3
	s_or_b64 exec, exec, s[40:41]
	v_and_b32_e32 v33, 0xffff0000, v33
	v_and_b32_e32 v25, 0xffff0000, v25
	v_max_f32_e32 v25, v25, v25
	v_max_f32_e32 v33, v33, v33
	v_min_f32_e32 v39, v33, v25
	v_max_f32_e32 v25, v33, v25
	v_cndmask_b32_e32 v33, v25, v39, vcc
	v_and_b32_e32 v25, 0x7f800000, v33
	v_cmp_ne_u32_e64 s[24:25], s68, v25
                                        ; implicit-def: $vgpr25
	s_and_saveexec_b64 s[40:41], s[24:25]
	s_xor_b64 s[24:25], exec, s[40:41]
; %bb.1650:                             ;   in Loop: Header=BB20_1605 Depth=3
	v_bfe_u32 v25, v33, 16, 1
	v_add3_u32 v25, v33, v25, s69
                                        ; implicit-def: $vgpr33
; %bb.1651:                             ;   in Loop: Header=BB20_1605 Depth=3
	s_andn2_saveexec_b64 s[40:41], s[24:25]
; %bb.1652:                             ;   in Loop: Header=BB20_1605 Depth=3
	v_or_b32_e32 v25, 0x10000, v33
	v_cmp_eq_u32_sdwa s[24:25], v33, v3 src0_sel:WORD_0 src1_sel:DWORD
	s_nop 1
	v_cndmask_b32_e64 v25, v25, v33, s[24:25]
; %bb.1653:                             ;   in Loop: Header=BB20_1605 Depth=3
	s_or_b64 exec, exec, s[40:41]
	v_lshlrev_b32_e32 v33, 16, v34
	v_lshlrev_b32_e32 v39, 16, v26
	v_max_f32_e32 v39, v39, v39
	v_max_f32_e32 v33, v33, v33
	v_min_f32_e32 v48, v33, v39
	v_max_f32_e32 v33, v33, v39
	v_cndmask_b32_e32 v39, v33, v48, vcc
	v_and_b32_e32 v33, 0x7f800000, v39
	v_cmp_ne_u32_e64 s[24:25], s68, v33
                                        ; implicit-def: $vgpr33
	s_and_saveexec_b64 s[40:41], s[24:25]
	s_xor_b64 s[24:25], exec, s[40:41]
; %bb.1654:                             ;   in Loop: Header=BB20_1605 Depth=3
	v_bfe_u32 v33, v39, 16, 1
	v_add3_u32 v33, v39, v33, s69
                                        ; implicit-def: $vgpr39
; %bb.1655:                             ;   in Loop: Header=BB20_1605 Depth=3
	s_andn2_saveexec_b64 s[40:41], s[24:25]
; %bb.1656:                             ;   in Loop: Header=BB20_1605 Depth=3
	v_or_b32_e32 v33, 0x10000, v39
	v_cmp_eq_u32_sdwa s[24:25], v39, v3 src0_sel:WORD_0 src1_sel:DWORD
	s_nop 1
	v_cndmask_b32_e64 v33, v33, v39, s[24:25]
; %bb.1657:                             ;   in Loop: Header=BB20_1605 Depth=3
	s_or_b64 exec, exec, s[40:41]
	v_and_b32_e32 v34, 0xffff0000, v34
	v_and_b32_e32 v26, 0xffff0000, v26
	v_max_f32_e32 v26, v26, v26
	v_max_f32_e32 v34, v34, v34
	v_min_f32_e32 v39, v34, v26
	v_max_f32_e32 v26, v34, v26
	v_cndmask_b32_e32 v34, v26, v39, vcc
	v_and_b32_e32 v26, 0x7f800000, v34
	v_cmp_ne_u32_e64 s[24:25], s68, v26
                                        ; implicit-def: $vgpr26
	s_and_saveexec_b64 s[40:41], s[24:25]
	s_xor_b64 s[24:25], exec, s[40:41]
; %bb.1658:                             ;   in Loop: Header=BB20_1605 Depth=3
	v_bfe_u32 v26, v34, 16, 1
	v_add3_u32 v26, v34, v26, s69
                                        ; implicit-def: $vgpr34
; %bb.1659:                             ;   in Loop: Header=BB20_1605 Depth=3
	s_andn2_saveexec_b64 s[40:41], s[24:25]
; %bb.1660:                             ;   in Loop: Header=BB20_1605 Depth=3
	v_or_b32_e32 v26, 0x10000, v34
	v_cmp_eq_u32_sdwa s[24:25], v34, v3 src0_sel:WORD_0 src1_sel:DWORD
	s_nop 1
	v_cndmask_b32_e64 v26, v26, v34, s[24:25]
; %bb.1661:                             ;   in Loop: Header=BB20_1605 Depth=3
	s_or_b64 exec, exec, s[40:41]
	v_lshlrev_b32_e32 v34, 16, v35
	v_lshlrev_b32_e32 v39, 16, v27
	v_max_f32_e32 v39, v39, v39
	v_max_f32_e32 v34, v34, v34
	v_min_f32_e32 v48, v34, v39
	v_max_f32_e32 v34, v34, v39
	v_cndmask_b32_e32 v39, v34, v48, vcc
	v_and_b32_e32 v34, 0x7f800000, v39
	v_cmp_ne_u32_e64 s[24:25], s68, v34
                                        ; implicit-def: $vgpr34
	s_and_saveexec_b64 s[40:41], s[24:25]
	s_xor_b64 s[24:25], exec, s[40:41]
; %bb.1662:                             ;   in Loop: Header=BB20_1605 Depth=3
	v_bfe_u32 v34, v39, 16, 1
	v_add3_u32 v34, v39, v34, s69
                                        ; implicit-def: $vgpr39
; %bb.1663:                             ;   in Loop: Header=BB20_1605 Depth=3
	s_andn2_saveexec_b64 s[40:41], s[24:25]
; %bb.1664:                             ;   in Loop: Header=BB20_1605 Depth=3
	v_or_b32_e32 v34, 0x10000, v39
	v_cmp_eq_u32_sdwa s[24:25], v39, v3 src0_sel:WORD_0 src1_sel:DWORD
	s_nop 1
	v_cndmask_b32_e64 v34, v34, v39, s[24:25]
; %bb.1665:                             ;   in Loop: Header=BB20_1605 Depth=3
	s_or_b64 exec, exec, s[40:41]
	v_and_b32_e32 v35, 0xffff0000, v35
	v_and_b32_e32 v27, 0xffff0000, v27
	v_max_f32_e32 v27, v27, v27
	v_max_f32_e32 v35, v35, v35
	v_min_f32_e32 v39, v35, v27
	v_max_f32_e32 v27, v35, v27
	v_cndmask_b32_e32 v35, v27, v39, vcc
	v_and_b32_e32 v27, 0x7f800000, v35
	v_cmp_ne_u32_e64 s[24:25], s68, v27
                                        ; implicit-def: $vgpr27
	s_and_saveexec_b64 s[40:41], s[24:25]
	s_xor_b64 s[24:25], exec, s[40:41]
; %bb.1666:                             ;   in Loop: Header=BB20_1605 Depth=3
	v_bfe_u32 v27, v35, 16, 1
	v_add3_u32 v27, v35, v27, s69
                                        ; implicit-def: $vgpr35
; %bb.1667:                             ;   in Loop: Header=BB20_1605 Depth=3
	s_andn2_saveexec_b64 s[40:41], s[24:25]
; %bb.1668:                             ;   in Loop: Header=BB20_1605 Depth=3
	v_or_b32_e32 v27, 0x10000, v35
	v_cmp_eq_u32_sdwa s[24:25], v35, v3 src0_sel:WORD_0 src1_sel:DWORD
	s_nop 1
	v_cndmask_b32_e64 v27, v27, v35, s[24:25]
; %bb.1669:                             ;   in Loop: Header=BB20_1605 Depth=3
	s_or_b64 exec, exec, s[40:41]
	v_lshrrev_b32_e32 v32, 16, v32
	v_and_or_b32 v25, v25, s70, v32
	v_lshrrev_b32_e32 v32, 16, v38
	v_and_or_b32 v24, v24, s70, v32
	;; [unrolled: 2-line block ×4, first 2 shown]
	global_store_dwordx4 v[36:37], v[24:27], off offset:-2048
	s_nop 1
	v_lshlrev_b32_e32 v24, 16, v20
	v_lshlrev_b32_e32 v25, 16, v16
	v_max_f32_e32 v25, v25, v25
	v_max_f32_e32 v24, v24, v24
	v_min_f32_e32 v26, v24, v25
	v_max_f32_e32 v24, v24, v25
	v_cndmask_b32_e32 v25, v24, v26, vcc
	v_and_b32_e32 v24, 0x7f800000, v25
	v_cmp_ne_u32_e64 s[24:25], s68, v24
                                        ; implicit-def: $vgpr24
	s_and_saveexec_b64 s[40:41], s[24:25]
	s_xor_b64 s[24:25], exec, s[40:41]
; %bb.1670:                             ;   in Loop: Header=BB20_1605 Depth=3
	v_bfe_u32 v24, v25, 16, 1
	v_add3_u32 v24, v25, v24, s69
                                        ; implicit-def: $vgpr25
; %bb.1671:                             ;   in Loop: Header=BB20_1605 Depth=3
	s_andn2_saveexec_b64 s[40:41], s[24:25]
; %bb.1672:                             ;   in Loop: Header=BB20_1605 Depth=3
	v_or_b32_e32 v24, 0x10000, v25
	v_cmp_eq_u32_sdwa s[24:25], v25, v3 src0_sel:WORD_0 src1_sel:DWORD
	s_nop 1
	v_cndmask_b32_e64 v24, v24, v25, s[24:25]
; %bb.1673:                             ;   in Loop: Header=BB20_1605 Depth=3
	s_or_b64 exec, exec, s[40:41]
	v_and_b32_e32 v20, 0xffff0000, v20
	v_and_b32_e32 v16, 0xffff0000, v16
	v_max_f32_e32 v16, v16, v16
	v_max_f32_e32 v20, v20, v20
	v_min_f32_e32 v25, v20, v16
	v_max_f32_e32 v16, v20, v16
	v_cndmask_b32_e32 v20, v16, v25, vcc
	v_and_b32_e32 v16, 0x7f800000, v20
	v_cmp_ne_u32_e64 s[24:25], s68, v16
                                        ; implicit-def: $vgpr16
	s_and_saveexec_b64 s[40:41], s[24:25]
	s_xor_b64 s[24:25], exec, s[40:41]
; %bb.1674:                             ;   in Loop: Header=BB20_1605 Depth=3
	v_bfe_u32 v16, v20, 16, 1
	v_add3_u32 v16, v20, v16, s69
                                        ; implicit-def: $vgpr20
; %bb.1675:                             ;   in Loop: Header=BB20_1605 Depth=3
	s_andn2_saveexec_b64 s[40:41], s[24:25]
; %bb.1676:                             ;   in Loop: Header=BB20_1605 Depth=3
	v_or_b32_e32 v16, 0x10000, v20
	v_cmp_eq_u32_sdwa s[24:25], v20, v3 src0_sel:WORD_0 src1_sel:DWORD
	s_nop 1
	v_cndmask_b32_e64 v16, v16, v20, s[24:25]
; %bb.1677:                             ;   in Loop: Header=BB20_1605 Depth=3
	s_or_b64 exec, exec, s[40:41]
	v_lshlrev_b32_e32 v20, 16, v21
	v_lshlrev_b32_e32 v25, 16, v17
	v_max_f32_e32 v25, v25, v25
	v_max_f32_e32 v20, v20, v20
	v_min_f32_e32 v26, v20, v25
	v_max_f32_e32 v20, v20, v25
	v_cndmask_b32_e32 v25, v20, v26, vcc
	v_and_b32_e32 v20, 0x7f800000, v25
	v_cmp_ne_u32_e64 s[24:25], s68, v20
                                        ; implicit-def: $vgpr20
	s_and_saveexec_b64 s[40:41], s[24:25]
	s_xor_b64 s[24:25], exec, s[40:41]
; %bb.1678:                             ;   in Loop: Header=BB20_1605 Depth=3
	v_bfe_u32 v20, v25, 16, 1
	v_add3_u32 v20, v25, v20, s69
                                        ; implicit-def: $vgpr25
; %bb.1679:                             ;   in Loop: Header=BB20_1605 Depth=3
	s_andn2_saveexec_b64 s[40:41], s[24:25]
; %bb.1680:                             ;   in Loop: Header=BB20_1605 Depth=3
	v_or_b32_e32 v20, 0x10000, v25
	v_cmp_eq_u32_sdwa s[24:25], v25, v3 src0_sel:WORD_0 src1_sel:DWORD
	s_nop 1
	v_cndmask_b32_e64 v20, v20, v25, s[24:25]
; %bb.1681:                             ;   in Loop: Header=BB20_1605 Depth=3
	s_or_b64 exec, exec, s[40:41]
	v_and_b32_e32 v21, 0xffff0000, v21
	v_and_b32_e32 v17, 0xffff0000, v17
	v_max_f32_e32 v17, v17, v17
	v_max_f32_e32 v21, v21, v21
	v_min_f32_e32 v25, v21, v17
	v_max_f32_e32 v17, v21, v17
	v_cndmask_b32_e32 v21, v17, v25, vcc
	v_and_b32_e32 v17, 0x7f800000, v21
	v_cmp_ne_u32_e64 s[24:25], s68, v17
                                        ; implicit-def: $vgpr17
	s_and_saveexec_b64 s[40:41], s[24:25]
	s_xor_b64 s[24:25], exec, s[40:41]
; %bb.1682:                             ;   in Loop: Header=BB20_1605 Depth=3
	v_bfe_u32 v17, v21, 16, 1
	v_add3_u32 v17, v21, v17, s69
                                        ; implicit-def: $vgpr21
; %bb.1683:                             ;   in Loop: Header=BB20_1605 Depth=3
	s_andn2_saveexec_b64 s[40:41], s[24:25]
; %bb.1684:                             ;   in Loop: Header=BB20_1605 Depth=3
	v_or_b32_e32 v17, 0x10000, v21
	v_cmp_eq_u32_sdwa s[24:25], v21, v3 src0_sel:WORD_0 src1_sel:DWORD
	s_nop 1
	v_cndmask_b32_e64 v17, v17, v21, s[24:25]
; %bb.1685:                             ;   in Loop: Header=BB20_1605 Depth=3
	s_or_b64 exec, exec, s[40:41]
	v_lshlrev_b32_e32 v21, 16, v22
	v_lshlrev_b32_e32 v25, 16, v18
	v_max_f32_e32 v25, v25, v25
	v_max_f32_e32 v21, v21, v21
	v_min_f32_e32 v26, v21, v25
	v_max_f32_e32 v21, v21, v25
	v_cndmask_b32_e32 v25, v21, v26, vcc
	v_and_b32_e32 v21, 0x7f800000, v25
	v_cmp_ne_u32_e64 s[24:25], s68, v21
                                        ; implicit-def: $vgpr21
	s_and_saveexec_b64 s[40:41], s[24:25]
	s_xor_b64 s[24:25], exec, s[40:41]
; %bb.1686:                             ;   in Loop: Header=BB20_1605 Depth=3
	v_bfe_u32 v21, v25, 16, 1
	v_add3_u32 v21, v25, v21, s69
                                        ; implicit-def: $vgpr25
; %bb.1687:                             ;   in Loop: Header=BB20_1605 Depth=3
	s_andn2_saveexec_b64 s[40:41], s[24:25]
; %bb.1688:                             ;   in Loop: Header=BB20_1605 Depth=3
	v_or_b32_e32 v21, 0x10000, v25
	v_cmp_eq_u32_sdwa s[24:25], v25, v3 src0_sel:WORD_0 src1_sel:DWORD
	s_nop 1
	v_cndmask_b32_e64 v21, v21, v25, s[24:25]
; %bb.1689:                             ;   in Loop: Header=BB20_1605 Depth=3
	s_or_b64 exec, exec, s[40:41]
	v_and_b32_e32 v22, 0xffff0000, v22
	v_and_b32_e32 v18, 0xffff0000, v18
	v_max_f32_e32 v18, v18, v18
	v_max_f32_e32 v22, v22, v22
	v_min_f32_e32 v25, v22, v18
	v_max_f32_e32 v18, v22, v18
	v_cndmask_b32_e32 v22, v18, v25, vcc
	v_and_b32_e32 v18, 0x7f800000, v22
	v_cmp_ne_u32_e64 s[24:25], s68, v18
                                        ; implicit-def: $vgpr18
	s_and_saveexec_b64 s[40:41], s[24:25]
	s_xor_b64 s[24:25], exec, s[40:41]
; %bb.1690:                             ;   in Loop: Header=BB20_1605 Depth=3
	v_bfe_u32 v18, v22, 16, 1
	v_add3_u32 v18, v22, v18, s69
                                        ; implicit-def: $vgpr22
; %bb.1691:                             ;   in Loop: Header=BB20_1605 Depth=3
	s_andn2_saveexec_b64 s[40:41], s[24:25]
; %bb.1692:                             ;   in Loop: Header=BB20_1605 Depth=3
	v_or_b32_e32 v18, 0x10000, v22
	v_cmp_eq_u32_sdwa s[24:25], v22, v3 src0_sel:WORD_0 src1_sel:DWORD
	s_nop 1
	v_cndmask_b32_e64 v18, v18, v22, s[24:25]
; %bb.1693:                             ;   in Loop: Header=BB20_1605 Depth=3
	s_or_b64 exec, exec, s[40:41]
	v_lshlrev_b32_e32 v22, 16, v23
	v_lshlrev_b32_e32 v25, 16, v19
	v_max_f32_e32 v25, v25, v25
	v_max_f32_e32 v22, v22, v22
	v_min_f32_e32 v26, v22, v25
	v_max_f32_e32 v22, v22, v25
	v_cndmask_b32_e32 v25, v22, v26, vcc
	v_and_b32_e32 v22, 0x7f800000, v25
	v_cmp_ne_u32_e64 s[24:25], s68, v22
                                        ; implicit-def: $vgpr22
	s_and_saveexec_b64 s[40:41], s[24:25]
	s_xor_b64 s[24:25], exec, s[40:41]
; %bb.1694:                             ;   in Loop: Header=BB20_1605 Depth=3
	v_bfe_u32 v22, v25, 16, 1
	v_add3_u32 v22, v25, v22, s69
                                        ; implicit-def: $vgpr25
; %bb.1695:                             ;   in Loop: Header=BB20_1605 Depth=3
	s_andn2_saveexec_b64 s[40:41], s[24:25]
; %bb.1696:                             ;   in Loop: Header=BB20_1605 Depth=3
	v_or_b32_e32 v22, 0x10000, v25
	v_cmp_eq_u32_sdwa s[24:25], v25, v3 src0_sel:WORD_0 src1_sel:DWORD
	s_nop 1
	v_cndmask_b32_e64 v22, v22, v25, s[24:25]
; %bb.1697:                             ;   in Loop: Header=BB20_1605 Depth=3
	s_or_b64 exec, exec, s[40:41]
	v_and_b32_e32 v23, 0xffff0000, v23
	v_and_b32_e32 v19, 0xffff0000, v19
	v_max_f32_e32 v19, v19, v19
	v_max_f32_e32 v23, v23, v23
	v_min_f32_e32 v25, v23, v19
	v_max_f32_e32 v19, v23, v19
	v_cndmask_b32_e32 v23, v19, v25, vcc
	v_and_b32_e32 v19, 0x7f800000, v23
	v_cmp_ne_u32_e64 s[24:25], s68, v19
                                        ; implicit-def: $vgpr19
	s_and_saveexec_b64 s[40:41], s[24:25]
	s_xor_b64 s[24:25], exec, s[40:41]
; %bb.1698:                             ;   in Loop: Header=BB20_1605 Depth=3
	v_bfe_u32 v19, v23, 16, 1
	v_add3_u32 v19, v23, v19, s69
                                        ; implicit-def: $vgpr23
; %bb.1699:                             ;   in Loop: Header=BB20_1605 Depth=3
	s_andn2_saveexec_b64 s[40:41], s[24:25]
; %bb.1700:                             ;   in Loop: Header=BB20_1605 Depth=3
	v_or_b32_e32 v19, 0x10000, v23
	v_cmp_eq_u32_sdwa s[24:25], v23, v3 src0_sel:WORD_0 src1_sel:DWORD
	s_nop 1
	v_cndmask_b32_e64 v19, v19, v23, s[24:25]
; %bb.1701:                             ;   in Loop: Header=BB20_1605 Depth=3
	s_or_b64 exec, exec, s[40:41]
	v_lshrrev_b32_e32 v20, 16, v20
	v_and_or_b32 v17, v17, s70, v20
	v_lshrrev_b32_e32 v20, 16, v24
	v_and_or_b32 v16, v16, s70, v20
	;; [unrolled: 2-line block ×4, first 2 shown]
	global_store_dwordx4 v[36:37], v[16:19], off offset:-1024
	s_nop 1
	v_lshlrev_b32_e32 v16, 16, v12
	v_lshlrev_b32_e32 v17, 16, v8
	v_max_f32_e32 v17, v17, v17
	v_max_f32_e32 v16, v16, v16
	v_min_f32_e32 v18, v16, v17
	v_max_f32_e32 v16, v16, v17
	v_cndmask_b32_e32 v17, v16, v18, vcc
	v_and_b32_e32 v16, 0x7f800000, v17
	v_cmp_ne_u32_e64 s[24:25], s68, v16
                                        ; implicit-def: $vgpr16
	s_and_saveexec_b64 s[40:41], s[24:25]
	s_xor_b64 s[24:25], exec, s[40:41]
; %bb.1702:                             ;   in Loop: Header=BB20_1605 Depth=3
	v_bfe_u32 v16, v17, 16, 1
	v_add3_u32 v16, v17, v16, s69
                                        ; implicit-def: $vgpr17
; %bb.1703:                             ;   in Loop: Header=BB20_1605 Depth=3
	s_andn2_saveexec_b64 s[40:41], s[24:25]
; %bb.1704:                             ;   in Loop: Header=BB20_1605 Depth=3
	v_or_b32_e32 v16, 0x10000, v17
	v_cmp_eq_u32_sdwa s[24:25], v17, v3 src0_sel:WORD_0 src1_sel:DWORD
	s_nop 1
	v_cndmask_b32_e64 v16, v16, v17, s[24:25]
; %bb.1705:                             ;   in Loop: Header=BB20_1605 Depth=3
	s_or_b64 exec, exec, s[40:41]
	v_and_b32_e32 v12, 0xffff0000, v12
	v_and_b32_e32 v8, 0xffff0000, v8
	v_max_f32_e32 v8, v8, v8
	v_max_f32_e32 v12, v12, v12
	v_min_f32_e32 v17, v12, v8
	v_max_f32_e32 v8, v12, v8
	v_cndmask_b32_e32 v12, v8, v17, vcc
	v_and_b32_e32 v8, 0x7f800000, v12
	v_cmp_ne_u32_e64 s[24:25], s68, v8
                                        ; implicit-def: $vgpr8
	s_and_saveexec_b64 s[40:41], s[24:25]
	s_xor_b64 s[24:25], exec, s[40:41]
; %bb.1706:                             ;   in Loop: Header=BB20_1605 Depth=3
	v_bfe_u32 v8, v12, 16, 1
	v_add3_u32 v8, v12, v8, s69
                                        ; implicit-def: $vgpr12
; %bb.1707:                             ;   in Loop: Header=BB20_1605 Depth=3
	s_andn2_saveexec_b64 s[40:41], s[24:25]
; %bb.1708:                             ;   in Loop: Header=BB20_1605 Depth=3
	v_or_b32_e32 v8, 0x10000, v12
	v_cmp_eq_u32_sdwa s[24:25], v12, v3 src0_sel:WORD_0 src1_sel:DWORD
	s_nop 1
	v_cndmask_b32_e64 v8, v8, v12, s[24:25]
; %bb.1709:                             ;   in Loop: Header=BB20_1605 Depth=3
	s_or_b64 exec, exec, s[40:41]
	v_lshlrev_b32_e32 v12, 16, v13
	v_lshlrev_b32_e32 v17, 16, v9
	v_max_f32_e32 v17, v17, v17
	v_max_f32_e32 v12, v12, v12
	v_min_f32_e32 v18, v12, v17
	v_max_f32_e32 v12, v12, v17
	v_cndmask_b32_e32 v17, v12, v18, vcc
	v_and_b32_e32 v12, 0x7f800000, v17
	v_cmp_ne_u32_e64 s[24:25], s68, v12
                                        ; implicit-def: $vgpr12
	s_and_saveexec_b64 s[40:41], s[24:25]
	s_xor_b64 s[24:25], exec, s[40:41]
; %bb.1710:                             ;   in Loop: Header=BB20_1605 Depth=3
	v_bfe_u32 v12, v17, 16, 1
	v_add3_u32 v12, v17, v12, s69
                                        ; implicit-def: $vgpr17
; %bb.1711:                             ;   in Loop: Header=BB20_1605 Depth=3
	s_andn2_saveexec_b64 s[40:41], s[24:25]
; %bb.1712:                             ;   in Loop: Header=BB20_1605 Depth=3
	v_or_b32_e32 v12, 0x10000, v17
	v_cmp_eq_u32_sdwa s[24:25], v17, v3 src0_sel:WORD_0 src1_sel:DWORD
	s_nop 1
	v_cndmask_b32_e64 v12, v12, v17, s[24:25]
; %bb.1713:                             ;   in Loop: Header=BB20_1605 Depth=3
	s_or_b64 exec, exec, s[40:41]
	v_and_b32_e32 v13, 0xffff0000, v13
	v_and_b32_e32 v9, 0xffff0000, v9
	v_max_f32_e32 v9, v9, v9
	v_max_f32_e32 v13, v13, v13
	v_min_f32_e32 v17, v13, v9
	v_max_f32_e32 v9, v13, v9
	v_cndmask_b32_e32 v13, v9, v17, vcc
	v_and_b32_e32 v9, 0x7f800000, v13
	v_cmp_ne_u32_e64 s[24:25], s68, v9
                                        ; implicit-def: $vgpr9
	s_and_saveexec_b64 s[40:41], s[24:25]
	s_xor_b64 s[24:25], exec, s[40:41]
; %bb.1714:                             ;   in Loop: Header=BB20_1605 Depth=3
	v_bfe_u32 v9, v13, 16, 1
	v_add3_u32 v9, v13, v9, s69
                                        ; implicit-def: $vgpr13
; %bb.1715:                             ;   in Loop: Header=BB20_1605 Depth=3
	s_andn2_saveexec_b64 s[40:41], s[24:25]
; %bb.1716:                             ;   in Loop: Header=BB20_1605 Depth=3
	v_or_b32_e32 v9, 0x10000, v13
	v_cmp_eq_u32_sdwa s[24:25], v13, v3 src0_sel:WORD_0 src1_sel:DWORD
	s_nop 1
	v_cndmask_b32_e64 v9, v9, v13, s[24:25]
; %bb.1717:                             ;   in Loop: Header=BB20_1605 Depth=3
	s_or_b64 exec, exec, s[40:41]
	v_lshlrev_b32_e32 v13, 16, v14
	v_lshlrev_b32_e32 v17, 16, v10
	v_max_f32_e32 v17, v17, v17
	v_max_f32_e32 v13, v13, v13
	v_min_f32_e32 v18, v13, v17
	v_max_f32_e32 v13, v13, v17
	v_cndmask_b32_e32 v17, v13, v18, vcc
	v_and_b32_e32 v13, 0x7f800000, v17
	v_cmp_ne_u32_e64 s[24:25], s68, v13
                                        ; implicit-def: $vgpr13
	s_and_saveexec_b64 s[40:41], s[24:25]
	s_xor_b64 s[24:25], exec, s[40:41]
; %bb.1718:                             ;   in Loop: Header=BB20_1605 Depth=3
	v_bfe_u32 v13, v17, 16, 1
	v_add3_u32 v13, v17, v13, s69
                                        ; implicit-def: $vgpr17
; %bb.1719:                             ;   in Loop: Header=BB20_1605 Depth=3
	s_andn2_saveexec_b64 s[40:41], s[24:25]
; %bb.1720:                             ;   in Loop: Header=BB20_1605 Depth=3
	v_or_b32_e32 v13, 0x10000, v17
	v_cmp_eq_u32_sdwa s[24:25], v17, v3 src0_sel:WORD_0 src1_sel:DWORD
	s_nop 1
	v_cndmask_b32_e64 v13, v13, v17, s[24:25]
; %bb.1721:                             ;   in Loop: Header=BB20_1605 Depth=3
	s_or_b64 exec, exec, s[40:41]
	v_and_b32_e32 v14, 0xffff0000, v14
	v_and_b32_e32 v10, 0xffff0000, v10
	v_max_f32_e32 v10, v10, v10
	v_max_f32_e32 v14, v14, v14
	v_min_f32_e32 v17, v14, v10
	v_max_f32_e32 v10, v14, v10
	v_cndmask_b32_e32 v14, v10, v17, vcc
	v_and_b32_e32 v10, 0x7f800000, v14
	v_cmp_ne_u32_e64 s[24:25], s68, v10
                                        ; implicit-def: $vgpr10
	s_and_saveexec_b64 s[40:41], s[24:25]
	s_xor_b64 s[24:25], exec, s[40:41]
; %bb.1722:                             ;   in Loop: Header=BB20_1605 Depth=3
	v_bfe_u32 v10, v14, 16, 1
	v_add3_u32 v10, v14, v10, s69
                                        ; implicit-def: $vgpr14
; %bb.1723:                             ;   in Loop: Header=BB20_1605 Depth=3
	s_andn2_saveexec_b64 s[40:41], s[24:25]
; %bb.1724:                             ;   in Loop: Header=BB20_1605 Depth=3
	v_or_b32_e32 v10, 0x10000, v14
	v_cmp_eq_u32_sdwa s[24:25], v14, v3 src0_sel:WORD_0 src1_sel:DWORD
	s_nop 1
	v_cndmask_b32_e64 v10, v10, v14, s[24:25]
; %bb.1725:                             ;   in Loop: Header=BB20_1605 Depth=3
	s_or_b64 exec, exec, s[40:41]
	v_lshlrev_b32_e32 v14, 16, v15
	v_lshlrev_b32_e32 v17, 16, v11
	v_max_f32_e32 v17, v17, v17
	v_max_f32_e32 v14, v14, v14
	v_min_f32_e32 v18, v14, v17
	v_max_f32_e32 v14, v14, v17
	v_cndmask_b32_e32 v17, v14, v18, vcc
	v_and_b32_e32 v14, 0x7f800000, v17
	v_cmp_ne_u32_e64 s[24:25], s68, v14
                                        ; implicit-def: $vgpr14
	s_and_saveexec_b64 s[40:41], s[24:25]
	s_xor_b64 s[24:25], exec, s[40:41]
; %bb.1726:                             ;   in Loop: Header=BB20_1605 Depth=3
	v_bfe_u32 v14, v17, 16, 1
	v_add3_u32 v14, v17, v14, s69
                                        ; implicit-def: $vgpr17
; %bb.1727:                             ;   in Loop: Header=BB20_1605 Depth=3
	s_andn2_saveexec_b64 s[40:41], s[24:25]
; %bb.1728:                             ;   in Loop: Header=BB20_1605 Depth=3
	v_or_b32_e32 v14, 0x10000, v17
	v_cmp_eq_u32_sdwa s[24:25], v17, v3 src0_sel:WORD_0 src1_sel:DWORD
	s_nop 1
	v_cndmask_b32_e64 v14, v14, v17, s[24:25]
; %bb.1729:                             ;   in Loop: Header=BB20_1605 Depth=3
	s_or_b64 exec, exec, s[40:41]
	v_and_b32_e32 v15, 0xffff0000, v15
	v_and_b32_e32 v11, 0xffff0000, v11
	v_max_f32_e32 v11, v11, v11
	v_max_f32_e32 v15, v15, v15
	v_min_f32_e32 v17, v15, v11
	v_max_f32_e32 v11, v15, v11
	v_cndmask_b32_e32 v15, v11, v17, vcc
	v_and_b32_e32 v11, 0x7f800000, v15
	v_cmp_ne_u32_e64 s[24:25], s68, v11
                                        ; implicit-def: $vgpr11
	s_and_saveexec_b64 s[40:41], s[24:25]
	s_xor_b64 s[24:25], exec, s[40:41]
; %bb.1730:                             ;   in Loop: Header=BB20_1605 Depth=3
	v_bfe_u32 v11, v15, 16, 1
	v_add3_u32 v11, v15, v11, s69
                                        ; implicit-def: $vgpr15
; %bb.1731:                             ;   in Loop: Header=BB20_1605 Depth=3
	s_andn2_saveexec_b64 s[40:41], s[24:25]
	s_cbranch_execz .LBB20_1604
; %bb.1732:                             ;   in Loop: Header=BB20_1605 Depth=3
	v_or_b32_e32 v11, 0x10000, v15
	v_cmp_eq_u32_sdwa s[24:25], v15, v3 src0_sel:WORD_0 src1_sel:DWORD
	s_nop 1
	v_cndmask_b32_e64 v11, v11, v15, s[24:25]
	s_branch .LBB20_1604
.LBB20_1733:                            ;   in Loop: Header=BB20_1319 Depth=2
	s_or_b64 exec, exec, s[28:29]
.LBB20_1734:                            ;   in Loop: Header=BB20_1319 Depth=2
	s_or_b64 exec, exec, s[26:27]
	v_lshlrev_b32_e32 v18, 12, v90
	v_cmp_ne_u32_e32 vcc, v2, v18
	s_mov_b64 s[24:25], 0
	v_mov_b32_e32 v12, 0
                                        ; implicit-def: $vgpr13
	s_and_saveexec_b64 s[60:61], vcc
	s_cbranch_execz .LBB20_1740
; %bb.1735:                             ;   in Loop: Header=BB20_1319 Depth=2
	v_lshlrev_b32_e32 v8, 6, v89
	v_sub_u32_e32 v8, v93, v8
	v_ashrrev_i32_e32 v10, 31, v8
	v_lshrrev_b32_e32 v10, 26, v10
	v_add_u32_e32 v10, v8, v10
	v_sub_u32_e32 v9, v2, v18
	v_ashrrev_i32_e32 v11, 6, v10
	v_and_b32_e32 v10, 0xffffffc0, v10
	v_sub_u32_e32 v19, v8, v10
	v_ashrrev_i32_e32 v10, 31, v9
	v_lshrrev_b32_e32 v10, 22, v10
	v_add_u32_e32 v10, v9, v10
	v_and_b32_e32 v20, 0xfffffc00, v10
	v_lshlrev_b32_e32 v8, 4, v19
	v_sub_u32_e32 v21, v9, v20
	v_lshl_add_u32 v8, v11, 10, v8
	v_ashrrev_i32_e32 v12, 10, v10
	v_cmp_lt_i32_e32 vcc, 15, v21
	v_sub_u32_e32 v23, v9, v8
	s_nop 0
	v_addc_co_u32_e64 v9, s[24:25], 0, v12, vcc
	v_sub_u32_e32 v22, v9, v11
	v_cmp_lt_i32_e64 s[24:25], 15, v23
	s_and_saveexec_b64 s[48:49], s[24:25]
	s_cbranch_execz .LBB20_1739
; %bb.1736:                             ;   in Loop: Header=BB20_1319 Depth=2
	s_and_b32 s76, s55, 1
	v_add_u32_e32 v12, v8, v18
	s_cmp_eq_u64 s[76:77], 0
	v_ashrrev_i32_e32 v13, 31, v12
	s_mov_b64 s[50:51], 0
	s_cselect_b64 s[24:25], -1, 0
.LBB20_1737:                            ;   Parent Loop BB20_47 Depth=1
                                        ;     Parent Loop BB20_1319 Depth=2
                                        ; =>    This Inner Loop Header: Depth=3
	v_lshl_add_u64 v[16:17], v[74:75], 0, v[12:13]
	global_load_dwordx4 v[8:11], v[12:13], off nt
	s_waitcnt lgkmcnt(0)
	global_load_dwordx4 v[24:27], v[16:17], off nt
	v_sub_u32_e32 v23, v23, v100
	v_cmp_gt_i32_e64 s[26:27], 16, v23
	s_or_b64 s[50:51], s[26:27], s[50:51]
	v_lshl_add_u64 v[14:15], v[76:77], 0, v[12:13]
	v_lshl_add_u64 v[12:13], v[12:13], 0, v[100:101]
	v_sub_u32_e32 v22, v22, v84
	s_waitcnt vmcnt(0)
	v_and_b32_e32 v16, 0xffff0000, v8
	v_lshlrev_b32_e32 v8, 16, v8
	v_and_b32_e32 v17, 0xffff0000, v9
	v_lshlrev_b32_e32 v9, 16, v9
	;; [unrolled: 2-line block ×8, first 2 shown]
	v_max_f32_e32 v8, v8, v8
	v_max_f32_e32 v16, v16, v16
	v_max_f32_e32 v9, v9, v9
	v_max_f32_e32 v17, v17, v17
	v_max_f32_e32 v10, v10, v10
	v_max_f32_e32 v32, v32, v32
	v_max_f32_e32 v11, v11, v11
	v_max_f32_e32 v33, v33, v33
	v_max_f32_e32 v24, v24, v24
	v_max_f32_e32 v34, v34, v34
	v_max_f32_e32 v25, v25, v25
	v_max_f32_e32 v35, v35, v35
	v_max_f32_e32 v26, v26, v26
	v_max_f32_e32 v36, v36, v36
	v_max_f32_e32 v27, v27, v27
	v_max_f32_e32 v37, v37, v37
	v_min_f32_e32 v38, v24, v8
	v_max_f32_e32 v8, v24, v8
	v_min_f32_e32 v24, v34, v16
	v_max_f32_e32 v16, v34, v16
	;; [unrolled: 2-line block ×8, first 2 shown]
	v_cndmask_b32_e64 v8, v8, v38, s[24:25]
	v_cndmask_b32_e64 v16, v16, v24, s[24:25]
	;; [unrolled: 1-line block ×8, first 2 shown]
	v_and_b32_e32 v26, 0x7f800000, v8
	v_bfe_u32 v27, v8, 16, 1
	v_or_b32_e32 v32, 0x10000, v8
	v_cmp_eq_u32_sdwa s[26:27], v8, v3 src0_sel:WORD_0 src1_sel:DWORD
	v_and_b32_e32 v33, 0x7f800000, v16
	v_bfe_u32 v34, v16, 16, 1
	v_or_b32_e32 v35, 0x10000, v16
	v_cmp_eq_u32_sdwa s[28:29], v16, v3 src0_sel:WORD_0 src1_sel:DWORD
	;; [unrolled: 4-line block ×3, first 2 shown]
	v_bfe_u32 v48, v17, 16, 1
	v_or_b32_e32 v49, 0x10000, v17
	v_cmp_eq_u32_sdwa s[42:43], v17, v3 src0_sel:WORD_0 src1_sel:DWORD
	v_and_b32_e32 v50, 0x7f800000, v10
	v_bfe_u32 v51, v10, 16, 1
	v_or_b32_e32 v78, 0x10000, v10
	v_cmp_eq_u32_sdwa s[44:45], v10, v3 src0_sel:WORD_0 src1_sel:DWORD
	v_bfe_u32 v89, v24, 16, 1
	v_or_b32_e32 v90, 0x10000, v24
	v_cmp_eq_u32_sdwa s[46:47], v24, v3 src0_sel:WORD_0 src1_sel:DWORD
	v_and_b32_e32 v91, 0x7f800000, v11
	v_bfe_u32 v108, v11, 16, 1
	v_or_b32_e32 v109, 0x10000, v11
	v_cmp_eq_u32_sdwa s[56:57], v11, v3 src0_sel:WORD_0 src1_sel:DWORD
	v_bfe_u32 v111, v25, 16, 1
	v_or_b32_e32 v120, 0x10000, v25
	v_cmp_eq_u32_sdwa s[58:59], v25, v3 src0_sel:WORD_0 src1_sel:DWORD
	v_and_b32_e32 v39, 0x7f800000, v17
	v_and_b32_e32 v79, 0x7f800000, v24
	;; [unrolled: 1-line block ×3, first 2 shown]
	v_add3_u32 v27, v8, v27, s69
	v_cndmask_b32_e64 v8, v32, v8, s[26:27]
	v_add3_u32 v32, v16, v34, s69
	v_cndmask_b32_e64 v16, v35, v16, s[28:29]
	v_cmp_eq_u32_e64 s[26:27], s68, v33
	v_add3_u32 v33, v9, v37, s69
	v_cndmask_b32_e64 v9, v38, v9, s[40:41]
	v_cmp_eq_u32_e64 s[28:29], s68, v36
	v_add3_u32 v34, v17, v48, s69
	v_cndmask_b32_e64 v17, v49, v17, s[42:43]
	v_add3_u32 v35, v10, v51, s69
	v_cndmask_b32_e64 v10, v78, v10, s[44:45]
	v_cmp_eq_u32_e64 s[42:43], s68, v50
	v_add3_u32 v36, v24, v89, s69
	v_cndmask_b32_e64 v24, v90, v24, s[46:47]
	;; [unrolled: 5-line block ×3, first 2 shown]
	v_cmp_eq_u32_e64 s[58:59], s68, v26
	v_cmp_eq_u32_e64 s[40:41], s68, v39
	;; [unrolled: 1-line block ×4, first 2 shown]
	v_cndmask_b32_e64 v8, v27, v8, s[58:59]
	v_cndmask_b32_e64 v9, v33, v9, s[28:29]
	;; [unrolled: 1-line block ×8, first 2 shown]
	v_lshrrev_b32_e32 v9, 16, v9
	v_lshrrev_b32_e32 v8, 16, v8
	;; [unrolled: 1-line block ×4, first 2 shown]
	v_and_or_b32 v9, v17, s70, v9
	v_and_or_b32 v8, v16, s70, v8
	;; [unrolled: 1-line block ×4, first 2 shown]
	global_store_dwordx4 v[14:15], v[8:11], off
	s_andn2_b64 exec, exec, s[50:51]
	s_cbranch_execnz .LBB20_1737
; %bb.1738:                             ;   in Loop: Header=BB20_1319 Depth=2
	s_or_b64 exec, exec, s[50:51]
.LBB20_1739:                            ;   in Loop: Header=BB20_1319 Depth=2
	s_or_b64 exec, exec, s[48:49]
	v_and_b32_e32 v2, 14, v2
	v_sub_u32_e32 v8, v21, v2
	v_cndmask_b32_e32 v8, 0, v8, vcc
	v_cndmask_b32_e32 v2, v21, v2, vcc
	v_cmp_lt_i32_e32 vcc, 0, v22
	v_add3_u32 v12, v20, v18, v8
	s_nop 0
	v_cndmask_b32_e32 v8, 0, v84, vcc
	v_sub_u32_e32 v8, v8, v22
	v_cmp_ne_u32_e32 vcc, 0, v2
	v_lshl_add_u32 v13, v8, 6, v19
	s_and_b64 s[24:25], vcc, exec
.LBB20_1740:                            ;   in Loop: Header=BB20_1319 Depth=2
	s_or_b64 exec, exec, s[60:61]
	s_and_saveexec_b64 s[40:41], s[24:25]
	s_cbranch_execz .LBB20_1781
.LBB20_1741:                            ;   in Loop: Header=BB20_1319 Depth=2
	v_ashrrev_i32_e32 v8, 31, v13
	v_ashrrev_i32_e32 v9, 31, v2
	v_lshrrev_b32_e32 v8, 26, v8
	v_lshrrev_b32_e32 v9, 22, v9
	v_add_u32_e32 v8, v13, v8
	v_add_u32_e32 v9, v2, v9
	v_ashrrev_i32_e32 v14, 6, v8
	v_ashrrev_i32_e32 v16, 10, v9
	v_sub_u32_e32 v15, v16, v14
	v_cmp_lt_i32_e32 vcc, 0, v15
	s_and_saveexec_b64 s[42:43], vcc
	s_cbranch_execz .LBB20_1777
; %bb.1742:                             ;   in Loop: Header=BB20_1319 Depth=2
	v_and_b32_e32 v8, 0x7fffffc0, v8
	v_sub_u32_e32 v8, v13, v8
	v_lshlrev_b32_e32 v8, 1, v8
	v_lshlrev_b32_e32 v9, 10, v14
	v_add3_u32 v8, v8, v12, v9
	s_and_b32 s76, s55, 1
	v_ashrrev_i32_e32 v9, 31, v8
	s_cmp_eq_u64 s[76:77], 0
	s_mov_b64 s[44:45], 0
	s_cselect_b64 s[24:25], -1, 0
	v_lshl_add_u64 v[8:9], v[8:9], 0, s[36:37]
	s_branch .LBB20_1744
.LBB20_1743:                            ;   in Loop: Header=BB20_1744 Depth=3
	s_or_b64 exec, exec, s[26:27]
	v_sub_u32_e32 v15, v15, v84
	v_cmp_gt_i32_e32 vcc, 1, v15
	s_or_b64 s[44:45], vcc, s[44:45]
	v_lshl_add_u64 v[8:9], v[8:9], 0, v[100:101]
	flat_store_short_d16_hi v[10:11], v18 nt
	s_andn2_b64 exec, exec, s[44:45]
	s_cbranch_execz .LBB20_1776
.LBB20_1744:                            ;   Parent Loop BB20_47 Depth=1
                                        ;     Parent Loop BB20_1319 Depth=2
                                        ; =>    This Inner Loop Header: Depth=3
	v_lshl_add_u64 v[10:11], v[74:75], 0, v[8:9]
	v_add_co_u32_e32 v18, vcc, 0xfffffd00, v10
	s_nop 1
	v_addc_co_u32_e32 v19, vcc, -1, v11, vcc
	flat_load_ushort v33, v[18:19] nt
	v_add_co_u32_e32 v18, vcc, 0xfffffd00, v8
	s_nop 1
	v_addc_co_u32_e32 v19, vcc, -1, v9, vcc
	flat_load_ushort v34, v[18:19] nt
	v_add_co_u32_e32 v18, vcc, 0xfffffd80, v10
	s_nop 1
	v_addc_co_u32_e32 v19, vcc, -1, v11, vcc
	s_waitcnt lgkmcnt(0)
	flat_load_ushort v27, v[18:19] nt
	v_add_co_u32_e32 v18, vcc, 0xfffffd80, v8
	s_nop 1
	v_addc_co_u32_e32 v19, vcc, -1, v9, vcc
	flat_load_ushort v32, v[18:19] nt
	v_add_co_u32_e32 v18, vcc, 0xfffffe00, v10
	s_nop 1
	v_addc_co_u32_e32 v19, vcc, -1, v11, vcc
	;; [unrolled: 4-line block ×6, first 2 shown]
	v_add_co_u32_e32 v36, vcc, 0xffffff00, v8
	s_mov_b64 s[26:27], vcc
	v_add_co_u32_e32 v38, vcc, s86, v10
	flat_load_ushort v21, v[18:19] nt
	s_nop 0
	v_addc_co_u32_e32 v39, vcc, -1, v11, vcc
	v_add_co_u32_e32 v48, vcc, s66, v8
	s_mov_b64 s[28:29], vcc
	flat_load_ushort v19, v[38:39] offset:768 nt
	flat_load_ushort v35, v[38:39] nt
	v_add_co_u32_e32 v38, vcc, 0xfffffc80, v8
	s_nop 1
	v_addc_co_u32_e32 v39, vcc, -1, v9, vcc
	flat_load_ushort v38, v[38:39] nt
	v_addc_co_u32_e64 v37, vcc, -1, v9, s[26:27]
	flat_load_ushort v23, v[36:37] nt
	v_addc_co_u32_e64 v49, vcc, -1, v9, s[28:29]
	flat_load_ushort v17, v[10:11] nt
	flat_load_ushort v18, v[8:9] nt
	;; [unrolled: 1-line block ×3, first 2 shown]
	s_waitcnt vmcnt(0) lgkmcnt(0)
	v_lshlrev_b32_e32 v10, 16, v35
	v_max_f32_e32 v10, v10, v10
	v_lshlrev_b32_e32 v11, 16, v38
	v_max_f32_e32 v11, v11, v11
	v_min_f32_e32 v35, v10, v11
	v_max_f32_e32 v10, v10, v11
	v_cndmask_b32_e64 v10, v10, v35, s[24:25]
	v_and_b32_e32 v11, 0x7f800000, v10
	v_cmp_ne_u32_e32 vcc, s68, v11
                                        ; implicit-def: $vgpr35
	s_and_saveexec_b64 s[26:27], vcc
	s_xor_b64 s[26:27], exec, s[26:27]
; %bb.1745:                             ;   in Loop: Header=BB20_1744 Depth=3
	v_bfe_u32 v11, v10, 16, 1
	v_add3_u32 v35, v10, v11, s69
                                        ; implicit-def: $vgpr10
; %bb.1746:                             ;   in Loop: Header=BB20_1744 Depth=3
	s_andn2_saveexec_b64 s[26:27], s[26:27]
; %bb.1747:                             ;   in Loop: Header=BB20_1744 Depth=3
	v_or_b32_e32 v11, 0x10000, v10
	v_cmp_eq_u32_sdwa vcc, v10, v3 src0_sel:WORD_0 src1_sel:DWORD
	s_nop 1
	v_cndmask_b32_e32 v35, v11, v10, vcc
; %bb.1748:                             ;   in Loop: Header=BB20_1744 Depth=3
	s_or_b64 exec, exec, s[26:27]
	v_lshl_add_u64 v[10:11], v[76:77], 0, v[8:9]
	v_add_co_u32_e32 v36, vcc, 0xfffffc80, v10
	v_lshlrev_b32_e32 v33, 16, v33
	v_lshlrev_b32_e32 v34, 16, v34
	v_addc_co_u32_e32 v37, vcc, -1, v11, vcc
	v_max_f32_e32 v34, v34, v34
	v_max_f32_e32 v33, v33, v33
	flat_store_short_d16_hi v[36:37], v35 nt
	v_min_f32_e32 v35, v33, v34
	v_max_f32_e32 v33, v33, v34
	v_cndmask_b32_e64 v34, v33, v35, s[24:25]
	v_and_b32_e32 v33, 0x7f800000, v34
	v_cmp_ne_u32_e32 vcc, s68, v33
                                        ; implicit-def: $vgpr33
	s_and_saveexec_b64 s[26:27], vcc
	s_xor_b64 s[26:27], exec, s[26:27]
; %bb.1749:                             ;   in Loop: Header=BB20_1744 Depth=3
	v_bfe_u32 v33, v34, 16, 1
	v_add3_u32 v33, v34, v33, s69
                                        ; implicit-def: $vgpr34
; %bb.1750:                             ;   in Loop: Header=BB20_1744 Depth=3
	s_andn2_saveexec_b64 s[26:27], s[26:27]
; %bb.1751:                             ;   in Loop: Header=BB20_1744 Depth=3
	v_or_b32_e32 v33, 0x10000, v34
	v_cmp_eq_u32_sdwa vcc, v34, v3 src0_sel:WORD_0 src1_sel:DWORD
	s_nop 1
	v_cndmask_b32_e32 v33, v33, v34, vcc
; %bb.1752:                             ;   in Loop: Header=BB20_1744 Depth=3
	s_or_b64 exec, exec, s[26:27]
	v_add_co_u32_e32 v34, vcc, 0xfffffd00, v10
	v_lshlrev_b32_e32 v27, 16, v27
	v_lshlrev_b32_e32 v32, 16, v32
	v_addc_co_u32_e32 v35, vcc, -1, v11, vcc
	v_max_f32_e32 v32, v32, v32
	v_max_f32_e32 v27, v27, v27
	flat_store_short_d16_hi v[34:35], v33 nt
	v_min_f32_e32 v33, v27, v32
	v_max_f32_e32 v27, v27, v32
	v_cndmask_b32_e64 v32, v27, v33, s[24:25]
	v_and_b32_e32 v27, 0x7f800000, v32
	v_cmp_ne_u32_e32 vcc, s68, v27
                                        ; implicit-def: $vgpr27
	s_and_saveexec_b64 s[26:27], vcc
	s_xor_b64 s[26:27], exec, s[26:27]
; %bb.1753:                             ;   in Loop: Header=BB20_1744 Depth=3
	v_bfe_u32 v27, v32, 16, 1
	v_add3_u32 v27, v32, v27, s69
                                        ; implicit-def: $vgpr32
; %bb.1754:                             ;   in Loop: Header=BB20_1744 Depth=3
	s_andn2_saveexec_b64 s[26:27], s[26:27]
; %bb.1755:                             ;   in Loop: Header=BB20_1744 Depth=3
	v_or_b32_e32 v27, 0x10000, v32
	v_cmp_eq_u32_sdwa vcc, v32, v3 src0_sel:WORD_0 src1_sel:DWORD
	s_nop 1
	v_cndmask_b32_e32 v27, v27, v32, vcc
; %bb.1756:                             ;   in Loop: Header=BB20_1744 Depth=3
	s_or_b64 exec, exec, s[26:27]
	v_add_co_u32_e32 v32, vcc, 0xfffffd80, v10
	v_lshlrev_b32_e32 v25, 16, v25
	v_lshlrev_b32_e32 v26, 16, v26
	v_addc_co_u32_e32 v33, vcc, -1, v11, vcc
	v_max_f32_e32 v26, v26, v26
	v_max_f32_e32 v25, v25, v25
	flat_store_short_d16_hi v[32:33], v27 nt
	v_min_f32_e32 v27, v25, v26
	v_max_f32_e32 v25, v25, v26
	v_cndmask_b32_e64 v26, v25, v27, s[24:25]
	v_and_b32_e32 v25, 0x7f800000, v26
	v_cmp_ne_u32_e32 vcc, s68, v25
                                        ; implicit-def: $vgpr25
	s_and_saveexec_b64 s[26:27], vcc
	s_xor_b64 s[26:27], exec, s[26:27]
; %bb.1757:                             ;   in Loop: Header=BB20_1744 Depth=3
	v_bfe_u32 v25, v26, 16, 1
	v_add3_u32 v25, v26, v25, s69
                                        ; implicit-def: $vgpr26
; %bb.1758:                             ;   in Loop: Header=BB20_1744 Depth=3
	s_andn2_saveexec_b64 s[26:27], s[26:27]
; %bb.1759:                             ;   in Loop: Header=BB20_1744 Depth=3
	v_or_b32_e32 v25, 0x10000, v26
	v_cmp_eq_u32_sdwa vcc, v26, v3 src0_sel:WORD_0 src1_sel:DWORD
	s_nop 1
	v_cndmask_b32_e32 v25, v25, v26, vcc
; %bb.1760:                             ;   in Loop: Header=BB20_1744 Depth=3
	s_or_b64 exec, exec, s[26:27]
	v_add_co_u32_e32 v26, vcc, 0xfffffe00, v10
	v_lshlrev_b32_e32 v22, 16, v22
	v_lshlrev_b32_e32 v24, 16, v24
	v_addc_co_u32_e32 v27, vcc, -1, v11, vcc
	v_max_f32_e32 v24, v24, v24
	v_max_f32_e32 v22, v22, v22
	flat_store_short_d16_hi v[26:27], v25 nt
	v_min_f32_e32 v25, v22, v24
	v_max_f32_e32 v22, v22, v24
	v_cndmask_b32_e64 v24, v22, v25, s[24:25]
	v_and_b32_e32 v22, 0x7f800000, v24
	v_cmp_ne_u32_e32 vcc, s68, v22
                                        ; implicit-def: $vgpr22
	s_and_saveexec_b64 s[26:27], vcc
	s_xor_b64 s[26:27], exec, s[26:27]
; %bb.1761:                             ;   in Loop: Header=BB20_1744 Depth=3
	v_bfe_u32 v22, v24, 16, 1
	v_add3_u32 v22, v24, v22, s69
                                        ; implicit-def: $vgpr24
; %bb.1762:                             ;   in Loop: Header=BB20_1744 Depth=3
	s_andn2_saveexec_b64 s[26:27], s[26:27]
; %bb.1763:                             ;   in Loop: Header=BB20_1744 Depth=3
	v_or_b32_e32 v22, 0x10000, v24
	v_cmp_eq_u32_sdwa vcc, v24, v3 src0_sel:WORD_0 src1_sel:DWORD
	s_nop 1
	v_cndmask_b32_e32 v22, v22, v24, vcc
; %bb.1764:                             ;   in Loop: Header=BB20_1744 Depth=3
	s_or_b64 exec, exec, s[26:27]
	v_add_co_u32_e32 v24, vcc, 0xfffffe80, v10
	v_lshlrev_b32_e32 v21, 16, v21
	s_nop 0
	v_addc_co_u32_e32 v25, vcc, -1, v11, vcc
	flat_store_short_d16_hi v[24:25], v22 nt
	v_lshlrev_b32_e32 v22, 16, v23
	v_max_f32_e32 v22, v22, v22
	v_max_f32_e32 v21, v21, v21
	v_min_f32_e32 v23, v21, v22
	v_max_f32_e32 v21, v21, v22
	v_cndmask_b32_e64 v22, v21, v23, s[24:25]
	v_and_b32_e32 v21, 0x7f800000, v22
	v_cmp_ne_u32_e32 vcc, s68, v21
                                        ; implicit-def: $vgpr21
	s_and_saveexec_b64 s[26:27], vcc
	s_xor_b64 s[26:27], exec, s[26:27]
; %bb.1765:                             ;   in Loop: Header=BB20_1744 Depth=3
	v_bfe_u32 v21, v22, 16, 1
	v_add3_u32 v21, v22, v21, s69
                                        ; implicit-def: $vgpr22
; %bb.1766:                             ;   in Loop: Header=BB20_1744 Depth=3
	s_andn2_saveexec_b64 s[26:27], s[26:27]
; %bb.1767:                             ;   in Loop: Header=BB20_1744 Depth=3
	v_or_b32_e32 v21, 0x10000, v22
	v_cmp_eq_u32_sdwa vcc, v22, v3 src0_sel:WORD_0 src1_sel:DWORD
	s_nop 1
	v_cndmask_b32_e32 v21, v21, v22, vcc
; %bb.1768:                             ;   in Loop: Header=BB20_1744 Depth=3
	s_or_b64 exec, exec, s[26:27]
	v_add_co_u32_e32 v22, vcc, 0xffffff00, v10
	v_lshlrev_b32_e32 v19, 16, v19
	v_lshlrev_b32_e32 v20, 16, v20
	v_addc_co_u32_e32 v23, vcc, -1, v11, vcc
	v_max_f32_e32 v20, v20, v20
	v_max_f32_e32 v19, v19, v19
	flat_store_short_d16_hi v[22:23], v21 nt
	v_min_f32_e32 v21, v19, v20
	v_max_f32_e32 v19, v19, v20
	v_cndmask_b32_e64 v20, v19, v21, s[24:25]
	v_and_b32_e32 v19, 0x7f800000, v20
	v_cmp_ne_u32_e32 vcc, s68, v19
                                        ; implicit-def: $vgpr19
	s_and_saveexec_b64 s[26:27], vcc
	s_xor_b64 s[26:27], exec, s[26:27]
; %bb.1769:                             ;   in Loop: Header=BB20_1744 Depth=3
	v_bfe_u32 v19, v20, 16, 1
	v_add3_u32 v19, v20, v19, s69
                                        ; implicit-def: $vgpr20
; %bb.1770:                             ;   in Loop: Header=BB20_1744 Depth=3
	s_andn2_saveexec_b64 s[26:27], s[26:27]
; %bb.1771:                             ;   in Loop: Header=BB20_1744 Depth=3
	v_or_b32_e32 v19, 0x10000, v20
	v_cmp_eq_u32_sdwa vcc, v20, v3 src0_sel:WORD_0 src1_sel:DWORD
	s_nop 1
	v_cndmask_b32_e32 v19, v19, v20, vcc
; %bb.1772:                             ;   in Loop: Header=BB20_1744 Depth=3
	s_or_b64 exec, exec, s[26:27]
	v_add_co_u32_e32 v20, vcc, 0xffffff80, v10
	v_lshlrev_b32_e32 v17, 16, v17
	v_lshlrev_b32_e32 v18, 16, v18
	v_addc_co_u32_e32 v21, vcc, -1, v11, vcc
	v_max_f32_e32 v18, v18, v18
	v_max_f32_e32 v17, v17, v17
	flat_store_short_d16_hi v[20:21], v19 nt
	v_min_f32_e32 v19, v17, v18
	v_max_f32_e32 v17, v17, v18
	v_cndmask_b32_e64 v17, v17, v19, s[24:25]
	v_and_b32_e32 v18, 0x7f800000, v17
	v_cmp_ne_u32_e32 vcc, s68, v18
                                        ; implicit-def: $vgpr18
	s_and_saveexec_b64 s[26:27], vcc
	s_xor_b64 s[26:27], exec, s[26:27]
; %bb.1773:                             ;   in Loop: Header=BB20_1744 Depth=3
	v_bfe_u32 v18, v17, 16, 1
	v_add3_u32 v18, v17, v18, s69
                                        ; implicit-def: $vgpr17
; %bb.1774:                             ;   in Loop: Header=BB20_1744 Depth=3
	s_andn2_saveexec_b64 s[26:27], s[26:27]
	s_cbranch_execz .LBB20_1743
; %bb.1775:                             ;   in Loop: Header=BB20_1744 Depth=3
	v_or_b32_e32 v18, 0x10000, v17
	v_cmp_eq_u32_sdwa vcc, v17, v3 src0_sel:WORD_0 src1_sel:DWORD
	s_nop 1
	v_cndmask_b32_e32 v18, v18, v17, vcc
	s_branch .LBB20_1743
.LBB20_1776:                            ;   in Loop: Header=BB20_1319 Depth=2
	s_or_b64 exec, exec, s[44:45]
.LBB20_1777:                            ;   in Loop: Header=BB20_1319 Depth=2
	s_or_b64 exec, exec, s[42:43]
	v_lshlrev_b32_e32 v8, 10, v16
	v_cmp_ne_u32_e32 vcc, v2, v8
	s_and_b64 exec, exec, vcc
	s_cbranch_execz .LBB20_1781
; %bb.1778:                             ;   in Loop: Header=BB20_1319 Depth=2
	v_lshlrev_b32_e32 v9, 6, v14
	v_sub_u32_e32 v9, v13, v9
	v_lshlrev_b32_e32 v10, 6, v15
	v_sub_u32_e32 v9, v9, v10
	v_ashrrev_i32_e32 v10, 31, v9
	v_lshrrev_b32_e32 v10, 26, v10
	v_add_u32_e32 v10, v9, v10
	v_and_b32_e32 v11, 0x7fffffc0, v10
	v_sub_u32_e32 v9, v9, v11
	v_lshlrev_b32_e32 v10, 1, v10
	v_and_b32_e32 v10, 0xffffff80, v10
	v_lshlrev_b32_e32 v9, 1, v9
	v_add3_u32 v8, v10, v9, v8
	v_sub_u32_e32 v2, v2, v8
	v_cmp_lt_i32_e32 vcc, 1, v2
	s_and_b64 exec, exec, vcc
	s_cbranch_execz .LBB20_1781
; %bb.1779:                             ;   in Loop: Header=BB20_1319 Depth=2
	s_and_b32 s76, s55, 1
	v_add_u32_e32 v8, v8, v12
	s_cmp_eq_u64 s[76:77], 0
	v_ashrrev_i32_e32 v9, 31, v8
	s_mov_b64 s[26:27], 0
	s_cselect_b64 vcc, -1, 0
.LBB20_1780:                            ;   Parent Loop BB20_47 Depth=1
                                        ;     Parent Loop BB20_1319 Depth=2
                                        ; =>    This Inner Loop Header: Depth=3
	v_lshl_add_u64 v[10:11], v[74:75], 0, v[8:9]
	flat_load_ushort v12, v[8:9] nt
	flat_load_ushort v13, v[10:11] nt
	v_sub_u32_e32 v2, v2, v102
	v_cmp_gt_i32_e64 s[24:25], 2, v2
	s_or_b64 s[26:27], s[24:25], s[26:27]
	v_lshl_add_u64 v[10:11], v[76:77], 0, v[8:9]
	v_lshl_add_u64 v[8:9], v[8:9], 0, v[102:103]
	s_waitcnt vmcnt(0) lgkmcnt(0)
	v_lshlrev_b32_e32 v12, 16, v12
	v_lshlrev_b32_e32 v13, 16, v13
	v_max_f32_e32 v12, v12, v12
	v_max_f32_e32 v13, v13, v13
	v_min_f32_e32 v14, v13, v12
	v_max_f32_e32 v12, v13, v12
	v_cndmask_b32_e32 v12, v12, v14, vcc
	v_and_b32_e32 v13, 0x7f800000, v12
	v_bfe_u32 v14, v12, 16, 1
	v_or_b32_e32 v15, 0x10000, v12
	v_cmp_eq_u32_sdwa s[24:25], v12, v3 src0_sel:WORD_0 src1_sel:DWORD
	v_add3_u32 v14, v12, v14, s69
	s_nop 0
	v_cndmask_b32_e64 v12, v15, v12, s[24:25]
	v_cmp_eq_u32_e64 s[24:25], s68, v13
	s_nop 1
	v_cndmask_b32_e64 v12, v14, v12, s[24:25]
	flat_store_short_d16_hi v[10:11], v12 nt
	s_andn2_b64 exec, exec, s[26:27]
	s_cbranch_execnz .LBB20_1780
.LBB20_1781:                            ;   in Loop: Header=BB20_1319 Depth=2
	s_or_b64 exec, exec, s[40:41]
	v_cmp_lt_i32_e64 s[24:25], 0, v73
	s_and_saveexec_b64 s[26:27], s[6:7]
	s_cbranch_execz .LBB20_1458
.LBB20_1782:                            ;   in Loop: Header=BB20_1319 Depth=2
	s_and_saveexec_b64 s[28:29], s[78:79]
	s_xor_b64 s[28:29], exec, s[28:29]
	s_cbranch_execz .LBB20_1797
; %bb.1783:                             ;   in Loop: Header=BB20_1319 Depth=2
	s_and_saveexec_b64 s[40:41], s[14:15]
	s_cbranch_execz .LBB20_1796
; %bb.1784:                             ;   in Loop: Header=BB20_1319 Depth=2
	s_mov_b64 s[44:45], exec
	v_mbcnt_lo_u32_b32 v2, s44, 0
	v_mbcnt_hi_u32_b32 v2, s45, v2
	v_cmp_eq_u32_e32 vcc, 0, v2
	s_waitcnt lgkmcnt(0)
	s_and_saveexec_b64 s[42:43], vcc
	s_cbranch_execz .LBB20_1786
; %bb.1785:                             ;   in Loop: Header=BB20_1319 Depth=2
	s_bcnt1_i32_b64 s44, s[44:45]
	v_mov_b32_e32 v2, s44
	ds_add_u64 v0, v[2:3]
	s_trap 2
.LBB20_1786:                            ;   in Loop: Header=BB20_1319 Depth=2
	s_or_b64 exec, exec, s[42:43]
	s_trap 2
	ds_read_b64 v[8:9], v0
	s_waitcnt lgkmcnt(0)
	v_lshl_add_u64 v[70:71], v[70:71], 0, v[84:85]
	v_cmp_lt_u64_e32 vcc, v[8:9], v[70:71]
	s_and_saveexec_b64 s[42:43], vcc
	s_cbranch_execz .LBB20_1795
; %bb.1787:                             ;   in Loop: Header=BB20_1319 Depth=2
	s_mov_b32 s76, 0
	s_mov_b64 s[44:45], 0
                                        ; implicit-def: $sgpr46_sgpr47
                                        ; implicit-def: $sgpr56_sgpr57
	s_branch .LBB20_1789
.LBB20_1788:                            ;   in Loop: Header=BB20_1789 Depth=3
	s_or_b64 exec, exec, s[60:61]
	s_and_b64 s[58:59], exec, vcc
	s_or_b64 s[44:45], s[58:59], s[44:45]
	s_andn2_b64 s[46:47], s[46:47], exec
	s_and_b64 s[58:59], s[56:57], exec
	s_or_b64 s[46:47], s[46:47], s[58:59]
	s_andn2_b64 exec, exec, s[44:45]
	s_cbranch_execz .LBB20_1793
.LBB20_1789:                            ;   Parent Loop BB20_47 Depth=1
                                        ;     Parent Loop BB20_1319 Depth=2
                                        ; =>    This Inner Loop Header: Depth=3
	s_add_i32 s76, s76, 1
	s_cmpk_lg_i32 s76, 0x2710
	s_cselect_b64 s[58:59], -1, 0
	s_and_b64 vcc, exec, s[58:59]
	s_cbranch_vccz .LBB20_1791
; %bb.1790:                             ;   in Loop: Header=BB20_1789 Depth=3
	s_mov_b64 vcc, -1
	s_or_b64 s[56:57], s[56:57], exec
	s_and_saveexec_b64 s[60:61], s[58:59]
	s_cbranch_execz .LBB20_1788
	s_branch .LBB20_1792
.LBB20_1791:                            ;   in Loop: Header=BB20_1789 Depth=3
	s_trap 2
	ds_read_b64 v[8:9], v0
	s_andn2_b64 s[58:59], s[58:59], exec
	s_mov_b32 s76, 0
	s_waitcnt vmcnt(0) lgkmcnt(0)
	flat_load_dword v2, v[8:9] sc0 sc1
	s_waitcnt vmcnt(0) lgkmcnt(0)
	buffer_inv sc0 sc1
	v_cmp_eq_u32_e32 vcc, 0, v2
	s_and_b64 s[60:61], vcc, exec
	s_or_b64 s[58:59], s[58:59], s[60:61]
	s_mov_b64 vcc, -1
	s_or_b64 s[56:57], s[56:57], exec
	s_and_saveexec_b64 s[60:61], s[58:59]
	s_cbranch_execz .LBB20_1788
.LBB20_1792:                            ;   in Loop: Header=BB20_1789 Depth=3
	s_sleep 1
	s_trap 2
	ds_read_b64 v[8:9], v0
	s_waitcnt lgkmcnt(0)
	s_andn2_b64 s[56:57], s[56:57], exec
	v_cmp_ge_u64_e32 vcc, v[8:9], v[70:71]
	s_orn2_b64 vcc, vcc, exec
	s_branch .LBB20_1788
.LBB20_1793:                            ;   in Loop: Header=BB20_1319 Depth=2
	s_or_b64 exec, exec, s[44:45]
	s_and_saveexec_b64 s[44:45], s[46:47]
	s_xor_b64 s[44:45], exec, s[44:45]
	s_cbranch_execz .LBB20_1795
; %bb.1794:                             ;   in Loop: Header=BB20_1319 Depth=2
	ds_write_b32 v0, v95
	s_trap 2
.LBB20_1795:                            ;   in Loop: Header=BB20_1319 Depth=2
	s_or_b64 exec, exec, s[42:43]
	;;#ASMSTART
	s_wakeup
	;;#ASMEND
.LBB20_1796:                            ;   in Loop: Header=BB20_1319 Depth=2
	s_or_b64 exec, exec, s[40:41]
.LBB20_1797:                            ;   in Loop: Header=BB20_1319 Depth=2
	s_andn2_saveexec_b64 s[28:29], s[28:29]
	s_cbranch_execz .LBB20_1799
; %bb.1798:                             ;   in Loop: Header=BB20_1319 Depth=2
	s_waitcnt lgkmcnt(0)
	s_barrier
.LBB20_1799:                            ;   in Loop: Header=BB20_1319 Depth=2
	s_or_b64 exec, exec, s[28:29]
	s_or_b64 exec, exec, s[26:27]
                                        ; implicit-def: $vgpr2
	s_and_saveexec_b64 s[26:27], s[22:23]
	s_xor_b64 s[26:27], exec, s[26:27]
	s_cbranch_execnz .LBB20_1459
.LBB20_1800:                            ;   in Loop: Header=BB20_1319 Depth=2
	s_andn2_saveexec_b64 s[24:25], s[26:27]
	s_cbranch_execz .LBB20_1819
.LBB20_1801:                            ;   in Loop: Header=BB20_1319 Depth=2
	s_and_saveexec_b64 s[26:27], s[78:79]
	s_xor_b64 s[26:27], exec, s[26:27]
	s_cbranch_execz .LBB20_1816
; %bb.1802:                             ;   in Loop: Header=BB20_1319 Depth=2
	s_and_saveexec_b64 s[28:29], s[14:15]
	s_cbranch_execz .LBB20_1815
; %bb.1803:                             ;   in Loop: Header=BB20_1319 Depth=2
	s_mov_b64 s[42:43], exec
	v_mbcnt_lo_u32_b32 v2, s42, 0
	v_mbcnt_hi_u32_b32 v2, s43, v2
	v_cmp_eq_u32_e32 vcc, 0, v2
	;;#ASMSTART
	s_waitcnt lgkmcnt(0) vmcnt(0)
	;;#ASMEND
	s_and_saveexec_b64 s[40:41], vcc
	s_cbranch_execz .LBB20_1805
; %bb.1804:                             ;   in Loop: Header=BB20_1319 Depth=2
	s_bcnt1_i32_b64 s42, s[42:43]
	v_mov_b32_e32 v2, s42
	s_waitcnt lgkmcnt(0)
	ds_add_u64 v0, v[2:3]
	s_trap 2
.LBB20_1805:                            ;   in Loop: Header=BB20_1319 Depth=2
	s_or_b64 exec, exec, s[40:41]
	s_trap 2
	ds_read_b64 v[8:9], v0
	s_waitcnt lgkmcnt(0)
	v_lshl_add_u64 v[70:71], v[70:71], 0, v[84:85]
	v_cmp_lt_u64_e32 vcc, v[8:9], v[70:71]
	s_and_saveexec_b64 s[40:41], vcc
	s_cbranch_execz .LBB20_1814
; %bb.1806:                             ;   in Loop: Header=BB20_1319 Depth=2
	s_mov_b32 s76, 0
	s_mov_b64 s[42:43], 0
                                        ; implicit-def: $sgpr44_sgpr45
                                        ; implicit-def: $sgpr46_sgpr47
	s_branch .LBB20_1808
.LBB20_1807:                            ;   in Loop: Header=BB20_1808 Depth=3
	s_or_b64 exec, exec, s[58:59]
	s_and_b64 s[56:57], exec, s[60:61]
	s_or_b64 s[42:43], s[56:57], s[42:43]
	s_andn2_b64 s[44:45], s[44:45], exec
	s_and_b64 s[56:57], s[46:47], exec
	s_or_b64 s[44:45], s[44:45], s[56:57]
	s_andn2_b64 exec, exec, s[42:43]
	s_cbranch_execz .LBB20_1812
.LBB20_1808:                            ;   Parent Loop BB20_47 Depth=1
                                        ;     Parent Loop BB20_1319 Depth=2
                                        ; =>    This Inner Loop Header: Depth=3
	s_add_i32 s76, s76, 1
	s_cmpk_lg_i32 s76, 0x2710
	s_cselect_b64 s[56:57], -1, 0
	s_and_b64 vcc, exec, s[56:57]
	s_cbranch_vccz .LBB20_1810
; %bb.1809:                             ;   in Loop: Header=BB20_1808 Depth=3
	s_mov_b64 s[60:61], -1
	s_or_b64 s[46:47], s[46:47], exec
	s_and_saveexec_b64 s[58:59], s[56:57]
	s_cbranch_execz .LBB20_1807
	s_branch .LBB20_1811
.LBB20_1810:                            ;   in Loop: Header=BB20_1808 Depth=3
	s_trap 2
	ds_read_b64 v[8:9], v0
	s_andn2_b64 s[56:57], s[56:57], exec
	s_mov_b32 s76, 0
	s_waitcnt vmcnt(0) lgkmcnt(0)
	flat_load_dword v2, v[8:9] sc0 sc1
	s_waitcnt vmcnt(0) lgkmcnt(0)
	buffer_inv sc0 sc1
	v_cmp_eq_u32_e32 vcc, 0, v2
	s_and_b64 s[58:59], vcc, exec
	s_or_b64 s[56:57], s[56:57], s[58:59]
	s_mov_b64 s[60:61], -1
	s_or_b64 s[46:47], s[46:47], exec
	s_and_saveexec_b64 s[58:59], s[56:57]
	s_cbranch_execz .LBB20_1807
.LBB20_1811:                            ;   in Loop: Header=BB20_1808 Depth=3
	s_sleep 1
	s_trap 2
	ds_read_b64 v[8:9], v0
	s_waitcnt lgkmcnt(0)
	s_andn2_b64 s[46:47], s[46:47], exec
	v_cmp_ge_u64_e32 vcc, v[8:9], v[70:71]
	s_orn2_b64 s[60:61], vcc, exec
	s_branch .LBB20_1807
.LBB20_1812:                            ;   in Loop: Header=BB20_1319 Depth=2
	s_or_b64 exec, exec, s[42:43]
	s_and_saveexec_b64 s[42:43], s[44:45]
	s_xor_b64 s[42:43], exec, s[42:43]
	s_cbranch_execz .LBB20_1814
; %bb.1813:                             ;   in Loop: Header=BB20_1319 Depth=2
	ds_write_b32 v0, v95
	s_trap 2
.LBB20_1814:                            ;   in Loop: Header=BB20_1319 Depth=2
	s_or_b64 exec, exec, s[40:41]
	;;#ASMSTART
	s_wakeup
	;;#ASMEND
.LBB20_1815:                            ;   in Loop: Header=BB20_1319 Depth=2
	s_or_b64 exec, exec, s[28:29]
.LBB20_1816:                            ;   in Loop: Header=BB20_1319 Depth=2
	s_andn2_saveexec_b64 s[26:27], s[26:27]
	s_cbranch_execz .LBB20_1818
; %bb.1817:                             ;   in Loop: Header=BB20_1319 Depth=2
	;;#ASMSTART
	s_waitcnt lgkmcnt(0) vmcnt(0)
	;;#ASMEND
	s_barrier
.LBB20_1818:                            ;   in Loop: Header=BB20_1319 Depth=2
	s_or_b64 exec, exec, s[26:27]
	v_and_b32_e32 v2, 16, v92
.LBB20_1819:                            ;   in Loop: Header=BB20_1319 Depth=2
	s_or_b64 exec, exec, s[24:25]
	v_cmp_ne_u32_e32 vcc, 0, v2
	s_xor_b64 s[24:25], s[10:11], -1
	s_and_b64 s[26:27], vcc, s[24:25]
	s_and_saveexec_b64 s[24:25], s[26:27]
	s_cbranch_execz .LBB20_1821
; %bb.1820:                             ;   in Loop: Header=BB20_1319 Depth=2
	flat_store_dword v[68:69], v95 sc0 sc1
.LBB20_1821:                            ;   in Loop: Header=BB20_1319 Depth=2
	s_or_b64 exec, exec, s[24:25]
	v_and_b32_e32 v2, 48, v92
	v_cmp_ne_u32_e32 vcc, 0, v2
	s_and_saveexec_b64 s[24:25], vcc
	s_cbranch_execz .LBB20_1823
; %bb.1822:                             ;   in Loop: Header=BB20_1319 Depth=2
	v_lshl_add_u64 v[58:59], v[58:59], 0, 4
	flat_store_dwordx2 v[64:65], v[58:59] sc0 sc1
.LBB20_1823:                            ;   in Loop: Header=BB20_1319 Depth=2
	s_or_b64 exec, exec, s[24:25]
	v_mov_b32_e32 v2, v72
	s_or_b64 exec, exec, s[38:39]
	s_and_saveexec_b64 s[26:27], s[62:63]
	s_cbranch_execnz .LBB20_1326
.LBB20_1824:                            ;   in Loop: Header=BB20_1319 Depth=2
	s_or_b64 exec, exec, s[26:27]
	s_add_i32 s24, s54, 1
	s_cmp_eq_u32 s54, s83
	s_cbranch_scc1 .LBB20_1826
.LBB20_1825:                            ;   in Loop: Header=BB20_1319 Depth=2
	s_mov_b32 s54, s24
	s_branch .LBB20_1319
.LBB20_1826:                            ;   in Loop: Header=BB20_47 Depth=1
	v_mul_lo_u32 v2, v57, s84
	v_mul_lo_u32 v10, v56, s85
	v_mad_u64_u32 v[8:9], s[24:25], v56, s84, 0
	v_add3_u32 v9, v9, v10, v2
	v_sub_co_u32_e32 v10, vcc, v60, v8
	v_mov_b32_e32 v14, 0
	s_nop 0
	v_subb_co_u32_e32 v11, vcc, v61, v9, vcc
	v_cmp_lt_i64_e32 vcc, v[56:57], v[10:11]
	s_nop 1
	v_cndmask_b32_e32 v2, v10, v56, vcc
	v_max_i32_e32 v88, 0, v2
	v_add_u32_e32 v10, 15, v88
	v_ashrrev_i32_e32 v11, 31, v10
	v_lshrrev_b32_e32 v11, 28, v11
	v_add_u32_e32 v10, v10, v11
	v_cmp_gt_i32_e32 vcc, 1, v2
	v_and_b32_e32 v10, -16, v10
	s_or_b64 s[60:61], s[2:3], vcc
	v_max_i32_e32 v89, s82, v10
	s_xor_b64 s[24:25], s[60:61], -1
	s_and_saveexec_b64 s[62:63], s[24:25]
	s_cbranch_execz .LBB20_2122
; %bb.1827:                             ;   in Loop: Header=BB20_47 Depth=1
	s_and_saveexec_b64 s[24:25], s[0:1]
	s_cbranch_execz .LBB20_1829
; %bb.1828:                             ;   in Loop: Header=BB20_47 Depth=1
	s_trap 2
	ds_read_b128 v[10:13], v0
	v_lshl_add_u64 v[8:9], v[8:9], 0, v[62:63]
	v_lshlrev_b64 v[8:9], 1, v[8:9]
	s_waitcnt lgkmcnt(0)
	v_lshl_add_u64 v[10:11], v[10:11], 0, v[8:9]
	v_lshl_add_u64 v[8:9], v[12:13], 0, v[8:9]
	v_cmp_ne_u64_e32 vcc, 0, v[12:13]
	ds_write_b64 v0, v[10:11]
	s_nop 0
	v_cndmask_b32_e32 v9, 0, v9, vcc
	v_cndmask_b32_e32 v8, 0, v8, vcc
	ds_write_b64 v0, v[8:9]
.LBB20_1829:                            ;   in Loop: Header=BB20_47 Depth=1
	s_or_b64 exec, exec, s[24:25]
	v_and_b32_e32 v2, 4, v92
	v_cmp_ne_u32_e32 vcc, 0, v2
	s_and_saveexec_b64 s[26:27], vcc
	s_cbranch_execz .LBB20_1851
; %bb.1830:                             ;   in Loop: Header=BB20_47 Depth=1
	v_lshl_add_u64 v[8:9], v[58:59], 0, 4
	s_waitcnt vmcnt(0) lgkmcnt(0)
	v_cmp_lt_u64_e32 vcc, v[80:81], v[8:9]
	s_and_saveexec_b64 s[28:29], vcc
	s_cbranch_execz .LBB20_1842
; %bb.1831:                             ;   in Loop: Header=BB20_47 Depth=1
	v_and_b32_e32 v2, 64, v92
	s_mov_b32 s76, 0
	v_cmp_eq_u32_e32 vcc, 0, v2
	s_mov_b64 s[40:41], 0
                                        ; implicit-def: $sgpr42_sgpr43
                                        ; implicit-def: $sgpr44_sgpr45
                                        ; implicit-def: $sgpr46_sgpr47
	s_branch .LBB20_1835
.LBB20_1832:                            ;   in Loop: Header=BB20_1835 Depth=2
	s_waitcnt vmcnt(0) lgkmcnt(0)
	v_cmp_ge_u64_e64 s[24:25], v[80:81], v[8:9]
	s_or_b64 s[38:39], s[38:39], exec
	s_orn2_b64 s[58:59], s[24:25], exec
.LBB20_1833:                            ;   in Loop: Header=BB20_1835 Depth=2
	s_or_b64 exec, exec, s[50:51]
	s_andn2_b64 s[24:25], s[46:47], exec
	s_and_b64 s[46:47], s[38:39], exec
	s_or_b64 s[46:47], s[24:25], s[46:47]
	s_andn2_b64 s[24:25], s[44:45], exec
	s_and_b64 s[44:45], s[58:59], exec
	s_or_b64 s[44:45], s[24:25], s[44:45]
.LBB20_1834:                            ;   in Loop: Header=BB20_1835 Depth=2
	s_or_b64 exec, exec, s[56:57]
	s_and_b64 s[24:25], exec, s[44:45]
	s_or_b64 s[40:41], s[24:25], s[40:41]
	s_andn2_b64 s[24:25], s[42:43], exec
	s_and_b64 s[42:43], s[46:47], exec
	s_or_b64 s[42:43], s[24:25], s[42:43]
	s_andn2_b64 exec, exec, s[40:41]
	s_cbranch_execz .LBB20_1839
.LBB20_1835:                            ;   Parent Loop BB20_47 Depth=1
                                        ; =>  This Inner Loop Header: Depth=2
	s_sleep 1
	s_waitcnt vmcnt(0) lgkmcnt(0)
	flat_load_dwordx2 v[80:81], v[64:65] sc0 sc1
	s_or_b64 s[46:47], s[46:47], exec
	s_or_b64 s[44:45], s[44:45], exec
                                        ; implicit-def: $vgpr2
	s_and_saveexec_b64 s[56:57], vcc
	s_cbranch_execz .LBB20_1834
; %bb.1836:                             ;   in Loop: Header=BB20_1835 Depth=2
	s_cmpk_lt_i32 s76, 0x270f
	s_cselect_b64 s[48:49], -1, 0
	s_cmpk_gt_i32 s76, 0x270e
	s_mov_b64 s[58:59], -1
	s_cbranch_scc0 .LBB20_1838
; %bb.1837:                             ;   in Loop: Header=BB20_1835 Depth=2
	s_trap 2
	ds_read_b64 v[10:11], v0
	s_andn2_b64 s[48:49], s[48:49], exec
	s_mov_b32 s76, 0
	s_mov_b64 s[38:39], 0
	s_waitcnt vmcnt(0) lgkmcnt(0)
	flat_load_dword v2, v[10:11] sc0 sc1
	s_waitcnt vmcnt(0) lgkmcnt(0)
	buffer_inv sc0 sc1
	v_cmp_eq_u32_e64 s[24:25], 0, v2
	s_and_b64 s[24:25], s[24:25], exec
	s_or_b64 s[48:49], s[48:49], s[24:25]
	s_and_saveexec_b64 s[50:51], s[48:49]
	s_cbranch_execz .LBB20_1833
	s_branch .LBB20_1832
.LBB20_1838:                            ;   in Loop: Header=BB20_1835 Depth=2
	s_add_i32 s76, s76, 1
	s_mov_b64 s[38:39], -1
                                        ; implicit-def: $vgpr2
	s_and_saveexec_b64 s[50:51], s[48:49]
	s_cbranch_execz .LBB20_1833
	s_branch .LBB20_1832
.LBB20_1839:                            ;   in Loop: Header=BB20_47 Depth=1
	s_or_b64 exec, exec, s[40:41]
	s_xor_b64 s[24:25], s[42:43], -1
	s_and_saveexec_b64 s[40:41], s[24:25]
	s_xor_b64 s[24:25], exec, s[40:41]
	s_cbranch_execz .LBB20_1841
; %bb.1840:                             ;   in Loop: Header=BB20_47 Depth=1
	v_or_b32_e32 v92, 64, v92
	s_waitcnt lgkmcnt(0)
	ds_write_b32 v0, v2
	s_trap 2
.LBB20_1841:                            ;   in Loop: Header=BB20_47 Depth=1
	s_or_b64 exec, exec, s[24:25]
.LBB20_1842:                            ;   in Loop: Header=BB20_47 Depth=1
	s_or_b64 exec, exec, s[28:29]
	v_and_b32_e32 v2, 0x100, v92
	v_cmp_ne_u32_e32 vcc, 0, v2
	v_and_b32_e32 v2, 7, v58
	s_mov_b64 s[24:25], -1
	;;#ASMSTART
	s_wakeup
	;;#ASMEND
                                        ; implicit-def: $vgpr10_vgpr11
	s_and_saveexec_b64 s[28:29], vcc
	s_cbranch_execz .LBB20_1846
; %bb.1843:                             ;   in Loop: Header=BB20_47 Depth=1
	v_mad_u64_u32 v[12:13], s[24:25], v2, 24, v[6:7]
	flat_load_dword v10, v[12:13]
	s_waitcnt vmcnt(0) lgkmcnt(0)
	v_cmp_ne_u32_e32 vcc, 1, v10
	v_cmp_eq_u32_e64 s[24:25], 1, v10
                                        ; implicit-def: $vgpr10_vgpr11
	s_and_saveexec_b64 s[40:41], s[24:25]
	s_cbranch_execz .LBB20_1845
; %bb.1844:                             ;   in Loop: Header=BB20_47 Depth=1
	flat_load_dword v10, v[12:13] offset:4 sc0 sc1
	s_waitcnt vmcnt(0) lgkmcnt(0)
	v_ashrrev_i32_e32 v11, 31, v10
	v_lshrrev_b64 v[10:11], 1, v[10:11]
.LBB20_1845:                            ;   in Loop: Header=BB20_47 Depth=1
	s_or_b64 exec, exec, s[40:41]
	s_orn2_b64 s[24:25], vcc, exec
.LBB20_1846:                            ;   in Loop: Header=BB20_47 Depth=1
	s_or_b64 exec, exec, s[28:29]
	s_and_saveexec_b64 s[28:29], s[24:25]
; %bb.1847:                             ;   in Loop: Header=BB20_47 Depth=1
	v_mad_i64_i32 v[10:11], s[24:25], v2, v30, 0
; %bb.1848:                             ;   in Loop: Header=BB20_47 Depth=1
	s_or_b64 exec, exec, s[28:29]
	v_and_b32_e32 v2, 0x2000, v92
	v_lshl_add_u64 v[10:11], v[10:11], 1, v[66:67]
	v_cmp_ne_u32_e32 vcc, 0, v2
	ds_write_b64 v0, v[10:11] offset:720
	s_and_saveexec_b64 s[24:25], vcc
	s_cbranch_execz .LBB20_1850
; %bb.1849:                             ;   in Loop: Header=BB20_47 Depth=1
	ds_read_b64 v[10:11], v0 offset:872
	s_waitcnt lgkmcnt(0)
	v_lshl_add_u64 v[10:11], v[10:11], 0, 1
	ds_write_b64 v0, v[10:11] offset:872
.LBB20_1850:                            ;   in Loop: Header=BB20_47 Depth=1
	s_or_b64 exec, exec, s[24:25]
	v_mov_b64_e32 v[58:59], v[8:9]
.LBB20_1851:                            ;   in Loop: Header=BB20_47 Depth=1
	s_or_b64 exec, exec, s[26:27]
	s_and_saveexec_b64 s[24:25], s[6:7]
	s_cbranch_execz .LBB20_1870
; %bb.1852:                             ;   in Loop: Header=BB20_47 Depth=1
	s_and_saveexec_b64 s[26:27], s[78:79]
	s_xor_b64 s[26:27], exec, s[26:27]
	s_cbranch_execz .LBB20_1867
; %bb.1853:                             ;   in Loop: Header=BB20_47 Depth=1
	s_and_saveexec_b64 s[28:29], s[14:15]
	s_cbranch_execz .LBB20_1866
; %bb.1854:                             ;   in Loop: Header=BB20_47 Depth=1
	s_mov_b64 s[42:43], exec
	v_mbcnt_lo_u32_b32 v2, s42, 0
	v_mbcnt_hi_u32_b32 v2, s43, v2
	v_cmp_eq_u32_e32 vcc, 0, v2
	s_waitcnt lgkmcnt(0)
	s_and_saveexec_b64 s[40:41], vcc
	s_cbranch_execz .LBB20_1856
; %bb.1855:                             ;   in Loop: Header=BB20_47 Depth=1
	s_bcnt1_i32_b64 s42, s[42:43]
	v_mov_b32_e32 v2, s42
	ds_add_u64 v0, v[2:3]
	s_trap 2
.LBB20_1856:                            ;   in Loop: Header=BB20_47 Depth=1
	s_or_b64 exec, exec, s[40:41]
	s_trap 2
	ds_read_b64 v[8:9], v0
	s_waitcnt lgkmcnt(0)
	v_lshl_add_u64 v[70:71], v[70:71], 0, v[84:85]
	v_cmp_lt_u64_e32 vcc, v[8:9], v[70:71]
	s_and_saveexec_b64 s[40:41], vcc
	s_cbranch_execz .LBB20_1865
; %bb.1857:                             ;   in Loop: Header=BB20_47 Depth=1
	s_mov_b32 s76, 0
	s_mov_b64 s[42:43], 0
                                        ; implicit-def: $sgpr44_sgpr45
                                        ; implicit-def: $sgpr46_sgpr47
	s_branch .LBB20_1859
.LBB20_1858:                            ;   in Loop: Header=BB20_1859 Depth=2
	s_or_b64 exec, exec, s[58:59]
	s_and_b64 s[56:57], exec, vcc
	s_or_b64 s[42:43], s[56:57], s[42:43]
	s_andn2_b64 s[44:45], s[44:45], exec
	s_and_b64 s[56:57], s[46:47], exec
	s_or_b64 s[44:45], s[44:45], s[56:57]
	s_andn2_b64 exec, exec, s[42:43]
	s_cbranch_execz .LBB20_1863
.LBB20_1859:                            ;   Parent Loop BB20_47 Depth=1
                                        ; =>  This Inner Loop Header: Depth=2
	s_add_i32 s76, s76, 1
	s_cmpk_lg_i32 s76, 0x2710
	s_cselect_b64 s[56:57], -1, 0
	s_and_b64 vcc, exec, s[56:57]
	s_cbranch_vccz .LBB20_1861
; %bb.1860:                             ;   in Loop: Header=BB20_1859 Depth=2
	s_mov_b64 vcc, -1
	s_or_b64 s[46:47], s[46:47], exec
	s_and_saveexec_b64 s[58:59], s[56:57]
	s_cbranch_execz .LBB20_1858
	s_branch .LBB20_1862
.LBB20_1861:                            ;   in Loop: Header=BB20_1859 Depth=2
	s_trap 2
	ds_read_b64 v[8:9], v0
	s_andn2_b64 s[56:57], s[56:57], exec
	s_mov_b32 s76, 0
	s_waitcnt vmcnt(0) lgkmcnt(0)
	flat_load_dword v2, v[8:9] sc0 sc1
	s_waitcnt vmcnt(0) lgkmcnt(0)
	buffer_inv sc0 sc1
	v_cmp_eq_u32_e32 vcc, 0, v2
	s_and_b64 s[58:59], vcc, exec
	s_or_b64 s[56:57], s[56:57], s[58:59]
	s_mov_b64 vcc, -1
	s_or_b64 s[46:47], s[46:47], exec
	s_and_saveexec_b64 s[58:59], s[56:57]
	s_cbranch_execz .LBB20_1858
.LBB20_1862:                            ;   in Loop: Header=BB20_1859 Depth=2
	s_sleep 1
	s_trap 2
	ds_read_b64 v[8:9], v0
	s_waitcnt lgkmcnt(0)
	s_andn2_b64 s[46:47], s[46:47], exec
	v_cmp_ge_u64_e32 vcc, v[8:9], v[70:71]
	s_orn2_b64 vcc, vcc, exec
	s_branch .LBB20_1858
.LBB20_1863:                            ;   in Loop: Header=BB20_47 Depth=1
	s_or_b64 exec, exec, s[42:43]
	s_and_saveexec_b64 s[42:43], s[44:45]
	s_xor_b64 s[42:43], exec, s[42:43]
	s_cbranch_execz .LBB20_1865
; %bb.1864:                             ;   in Loop: Header=BB20_47 Depth=1
	ds_write_b32 v0, v95
	s_trap 2
.LBB20_1865:                            ;   in Loop: Header=BB20_47 Depth=1
	s_or_b64 exec, exec, s[40:41]
	;;#ASMSTART
	s_wakeup
	;;#ASMEND
.LBB20_1866:                            ;   in Loop: Header=BB20_47 Depth=1
	s_or_b64 exec, exec, s[28:29]
.LBB20_1867:                            ;   in Loop: Header=BB20_47 Depth=1
	s_andn2_saveexec_b64 s[26:27], s[26:27]
	s_cbranch_execz .LBB20_1869
; %bb.1868:                             ;   in Loop: Header=BB20_47 Depth=1
	s_waitcnt lgkmcnt(0)
	s_barrier
.LBB20_1869:                            ;   in Loop: Header=BB20_47 Depth=1
	s_or_b64 exec, exec, s[26:27]
.LBB20_1870:                            ;   in Loop: Header=BB20_47 Depth=1
	s_or_b64 exec, exec, s[24:25]
	s_trap 2
	ds_read_b32 v8, v0
	v_and_b32_e32 v2, 0x4000, v92
	v_cmp_ne_u32_e32 vcc, 0, v2
	s_xor_b64 s[24:25], s[4:5], -1
	s_and_b64 s[26:27], s[24:25], vcc
	s_and_saveexec_b64 s[24:25], s[26:27]
	s_cbranch_execz .LBB20_1889
; %bb.1871:                             ;   in Loop: Header=BB20_47 Depth=1
	s_and_saveexec_b64 s[26:27], s[78:79]
	s_xor_b64 s[26:27], exec, s[26:27]
	s_cbranch_execz .LBB20_1886
; %bb.1872:                             ;   in Loop: Header=BB20_47 Depth=1
	s_and_saveexec_b64 s[28:29], s[14:15]
	s_cbranch_execz .LBB20_1885
; %bb.1873:                             ;   in Loop: Header=BB20_47 Depth=1
	s_mov_b64 s[42:43], exec
	v_mbcnt_lo_u32_b32 v2, s42, 0
	v_mbcnt_hi_u32_b32 v2, s43, v2
	v_cmp_eq_u32_e32 vcc, 0, v2
	s_waitcnt lgkmcnt(0)
	s_and_saveexec_b64 s[40:41], vcc
	s_cbranch_execz .LBB20_1875
; %bb.1874:                             ;   in Loop: Header=BB20_47 Depth=1
	s_bcnt1_i32_b64 s42, s[42:43]
	v_mov_b32_e32 v2, s42
	ds_add_u64 v0, v[2:3]
	s_trap 2
.LBB20_1875:                            ;   in Loop: Header=BB20_47 Depth=1
	s_or_b64 exec, exec, s[40:41]
	s_trap 2
	ds_read_b64 v[10:11], v0
	s_waitcnt lgkmcnt(0)
	v_lshl_add_u64 v[70:71], v[70:71], 0, v[84:85]
	v_cmp_lt_u64_e32 vcc, v[10:11], v[70:71]
	s_and_saveexec_b64 s[40:41], vcc
	s_cbranch_execz .LBB20_1884
; %bb.1876:                             ;   in Loop: Header=BB20_47 Depth=1
	s_mov_b32 s76, 0
	s_mov_b64 s[42:43], 0
                                        ; implicit-def: $sgpr44_sgpr45
                                        ; implicit-def: $sgpr46_sgpr47
	s_branch .LBB20_1878
.LBB20_1877:                            ;   in Loop: Header=BB20_1878 Depth=2
	s_or_b64 exec, exec, s[58:59]
	s_and_b64 s[56:57], exec, vcc
	s_or_b64 s[42:43], s[56:57], s[42:43]
	s_andn2_b64 s[44:45], s[44:45], exec
	s_and_b64 s[56:57], s[46:47], exec
	s_or_b64 s[44:45], s[44:45], s[56:57]
	s_andn2_b64 exec, exec, s[42:43]
	s_cbranch_execz .LBB20_1882
.LBB20_1878:                            ;   Parent Loop BB20_47 Depth=1
                                        ; =>  This Inner Loop Header: Depth=2
	s_add_i32 s76, s76, 1
	s_cmpk_lg_i32 s76, 0x2710
	s_cselect_b64 s[56:57], -1, 0
	s_and_b64 vcc, exec, s[56:57]
	s_cbranch_vccz .LBB20_1880
; %bb.1879:                             ;   in Loop: Header=BB20_1878 Depth=2
	s_mov_b64 vcc, -1
	s_or_b64 s[46:47], s[46:47], exec
	s_and_saveexec_b64 s[58:59], s[56:57]
	s_cbranch_execz .LBB20_1877
	s_branch .LBB20_1881
.LBB20_1880:                            ;   in Loop: Header=BB20_1878 Depth=2
	s_trap 2
	ds_read_b64 v[10:11], v0
	s_andn2_b64 s[56:57], s[56:57], exec
	s_mov_b32 s76, 0
	s_waitcnt vmcnt(0) lgkmcnt(0)
	flat_load_dword v2, v[10:11] sc0 sc1
	s_waitcnt vmcnt(0) lgkmcnt(0)
	buffer_inv sc0 sc1
	v_cmp_eq_u32_e32 vcc, 0, v2
	s_and_b64 s[58:59], vcc, exec
	s_or_b64 s[56:57], s[56:57], s[58:59]
	s_mov_b64 vcc, -1
	s_or_b64 s[46:47], s[46:47], exec
	s_and_saveexec_b64 s[58:59], s[56:57]
	s_cbranch_execz .LBB20_1877
.LBB20_1881:                            ;   in Loop: Header=BB20_1878 Depth=2
	s_sleep 1
	s_trap 2
	ds_read_b64 v[10:11], v0
	s_waitcnt lgkmcnt(0)
	s_andn2_b64 s[46:47], s[46:47], exec
	v_cmp_ge_u64_e32 vcc, v[10:11], v[70:71]
	s_orn2_b64 vcc, vcc, exec
	s_branch .LBB20_1877
.LBB20_1882:                            ;   in Loop: Header=BB20_47 Depth=1
	s_or_b64 exec, exec, s[42:43]
	s_and_saveexec_b64 s[42:43], s[44:45]
	s_xor_b64 s[42:43], exec, s[42:43]
	s_cbranch_execz .LBB20_1884
; %bb.1883:                             ;   in Loop: Header=BB20_47 Depth=1
	ds_write_b32 v0, v95
	s_trap 2
.LBB20_1884:                            ;   in Loop: Header=BB20_47 Depth=1
	s_or_b64 exec, exec, s[40:41]
	;;#ASMSTART
	s_wakeup
	;;#ASMEND
.LBB20_1885:                            ;   in Loop: Header=BB20_47 Depth=1
	s_or_b64 exec, exec, s[28:29]
.LBB20_1886:                            ;   in Loop: Header=BB20_47 Depth=1
	s_andn2_saveexec_b64 s[26:27], s[26:27]
	s_cbranch_execz .LBB20_1888
; %bb.1887:                             ;   in Loop: Header=BB20_47 Depth=1
	s_waitcnt lgkmcnt(0)
	s_barrier
.LBB20_1888:                            ;   in Loop: Header=BB20_47 Depth=1
	s_or_b64 exec, exec, s[26:27]
.LBB20_1889:                            ;   in Loop: Header=BB20_47 Depth=1
	s_or_b64 exec, exec, s[24:25]
	s_trap 2
	ds_read_b64 v[60:61], v0
	v_min_i32_e32 v89, v89, v88
	s_waitcnt lgkmcnt(0)
	v_cmp_eq_u64_e32 vcc, 0, v[60:61]
	s_cbranch_vccnz .LBB20_1897
; %bb.1890:                             ;   in Loop: Header=BB20_47 Depth=1
	s_trap 2
	ds_read_b64 v[62:63], v0
	s_waitcnt lgkmcnt(0)
	v_cmp_eq_u64_e32 vcc, 0, v[62:63]
	s_cbranch_vccnz .LBB20_1897
; %bb.1891:                             ;   in Loop: Header=BB20_47 Depth=1
	s_trap 2
	ds_read_b64 v[72:73], v0
	s_mov_b64 s[26:27], -1
	s_waitcnt lgkmcnt(0)
	v_readfirstlane_b32 s52, v72
	s_and_saveexec_b64 s[24:25], s[18:19]
	s_cbranch_execz .LBB20_1893
; %bb.1892:                             ;   in Loop: Header=BB20_47 Depth=1
	ds_read_b32 v2, v0 offset:720
	s_waitcnt lgkmcnt(0)
	v_and_b32_e32 v2, 15, v2
	v_cmp_eq_u32_e32 vcc, 0, v2
	s_orn2_b64 s[26:27], vcc, exec
.LBB20_1893:                            ;   in Loop: Header=BB20_47 Depth=1
	s_or_b64 exec, exec, s[24:25]
	s_and_saveexec_b64 s[24:25], s[16:17]
	s_cbranch_execz .LBB20_1895
; %bb.1894:                             ;   in Loop: Header=BB20_47 Depth=1
	ds_read_b32 v2, v0 offset:784
	s_waitcnt lgkmcnt(0)
	v_and_b32_e32 v2, 15, v2
	v_cmp_eq_u32_e32 vcc, 0, v2
	s_and_b64 s[28:29], s[26:27], vcc
	s_andn2_b64 s[26:27], s[26:27], exec
	s_and_b64 s[28:29], s[28:29], exec
	s_or_b64 s[26:27], s[26:27], s[28:29]
.LBB20_1895:                            ;   in Loop: Header=BB20_47 Depth=1
	s_or_b64 exec, exec, s[24:25]
	v_cmp_eq_u32_e32 vcc, 0, v8
	s_xor_b64 s[26:27], s[26:27], -1
	v_cndmask_b32_e64 v8, 0, 1, s[26:27]
	v_cndmask_b32_e32 v2, 0, v89, vcc
	v_lshlrev_b32_e32 v90, 1, v2
	s_mov_b64 s[24:25], -1
	v_cmp_ne_u32_e32 vcc, 0, v8
	v_mov_b32_e32 v18, 0
	s_cbranch_vccz .LBB20_1902
; %bb.1896:                             ;   in Loop: Header=BB20_47 Depth=1
	v_mov_b32_e32 v19, v0
	s_and_saveexec_b64 s[26:27], s[24:25]
	s_cbranch_execnz .LBB20_2041
	s_branch .LBB20_2081
.LBB20_1897:                            ;   in Loop: Header=BB20_47 Depth=1
	s_mov_b64 s[24:25], 0
	s_and_saveexec_b64 s[26:27], s[6:7]
	s_cbranch_execnz .LBB20_2082
.LBB20_1898:                            ;   in Loop: Header=BB20_47 Depth=1
	s_or_b64 exec, exec, s[26:27]
	s_and_saveexec_b64 s[26:27], s[22:23]
	s_xor_b64 s[26:27], exec, s[26:27]
	s_cbranch_execz .LBB20_2100
.LBB20_1899:                            ;   in Loop: Header=BB20_47 Depth=1
	v_and_b32_e32 v2, 16, v92
	v_cmp_ne_u32_e32 vcc, 0, v2
	s_and_b64 s[28:29], vcc, s[24:25]
	s_and_saveexec_b64 s[24:25], s[28:29]
	s_cbranch_execz .LBB20_1901
; %bb.1900:                             ;   in Loop: Header=BB20_47 Depth=1
	buffer_wbl2 sc1
	s_waitcnt vmcnt(0) lgkmcnt(0)
	buffer_inv sc1
.LBB20_1901:                            ;   in Loop: Header=BB20_47 Depth=1
	s_or_b64 exec, exec, s[24:25]
	s_andn2_saveexec_b64 s[24:25], s[26:27]
	s_cbranch_execz .LBB20_2119
	s_branch .LBB20_2101
.LBB20_1902:                            ;   in Loop: Header=BB20_47 Depth=1
	v_ashrrev_i32_e32 v8, 31, v90
	v_lshrrev_b32_e32 v8, 20, v8
	v_add_u32_e32 v8, v90, v8
	v_ashrrev_i32_e32 v108, 12, v8
	v_sub_u32_e32 v91, v108, v94
	v_cmp_lt_i32_e32 vcc, 0, v91
	s_and_saveexec_b64 s[26:27], vcc
	s_cbranch_execz .LBB20_2034
; %bb.1903:                             ;   in Loop: Header=BB20_47 Depth=1
	s_and_b32 s76, s52, 1
	s_cmp_eq_u64 s[76:77], 0
	s_mov_b64 s[28:29], 0
	s_cselect_b64 vcc, -1, 0
	v_mov_b64_e32 v[74:75], v[62:63]
	v_mov_b64_e32 v[76:77], v[60:61]
	;; [unrolled: 1-line block ×3, first 2 shown]
	s_branch .LBB20_1905
.LBB20_1904:                            ;   in Loop: Header=BB20_1905 Depth=2
	s_or_b64 exec, exec, s[40:41]
	v_lshrrev_b32_e32 v12, 16, v12
	v_and_or_b32 v9, v9, s70, v12
	v_lshrrev_b32_e32 v12, 16, v16
	v_and_or_b32 v8, v8, s70, v12
	v_lshrrev_b32_e32 v12, 16, v13
	v_sub_u32_e32 v91, v91, v84
	v_and_or_b32 v10, v10, s70, v12
	v_lshrrev_b32_e32 v12, 16, v14
	v_cmp_gt_i32_e64 s[24:25], 1, v91
	v_and_or_b32 v11, v11, s70, v12
	v_lshl_add_u64 v[78:79], v[78:79], 0, v[98:99]
	v_lshl_add_u64 v[76:77], v[76:77], 0, v[98:99]
	s_or_b64 s[28:29], s[24:25], s[28:29]
	v_lshl_add_u64 v[74:75], v[74:75], 0, v[98:99]
	global_store_dwordx4 v[36:37], v[8:11], off offset:3072
	s_andn2_b64 exec, exec, s[28:29]
	s_cbranch_execz .LBB20_2033
.LBB20_1905:                            ;   Parent Loop BB20_47 Depth=1
                                        ; =>  This Inner Loop Header: Depth=2
	v_lshl_add_u64 v[12:13], v[116:117], 0, v[78:79]
	v_lshl_add_u64 v[8:9], v[116:117], 0, v[76:77]
	global_load_dwordx4 v[36:39], v[8:9], off nt
	global_load_dwordx4 v[48:51], v[12:13], off nt
	global_load_dwordx4 v[24:27], v[8:9], off offset:1024 nt
	global_load_dwordx4 v[32:35], v[12:13], off offset:1024 nt
	;; [unrolled: 1-line block ×3, first 2 shown]
	s_nop 0
	global_load_dwordx4 v[8:11], v[8:9], off offset:3072 nt
	s_nop 0
	global_load_dwordx4 v[20:23], v[12:13], off offset:2048 nt
	;; [unrolled: 2-line block ×3, first 2 shown]
	s_waitcnt vmcnt(0)
	v_lshlrev_b32_e32 v109, 16, v36
	v_lshlrev_b32_e32 v110, 16, v48
	v_max_f32_e32 v110, v110, v110
	v_max_f32_e32 v109, v109, v109
	v_min_f32_e32 v111, v109, v110
	v_max_f32_e32 v109, v109, v110
	v_cndmask_b32_e32 v110, v109, v111, vcc
	v_and_b32_e32 v109, 0x7f800000, v110
	v_cmp_ne_u32_e64 s[24:25], s68, v109
                                        ; implicit-def: $vgpr109
	s_and_saveexec_b64 s[40:41], s[24:25]
	s_xor_b64 s[24:25], exec, s[40:41]
; %bb.1906:                             ;   in Loop: Header=BB20_1905 Depth=2
	v_bfe_u32 v109, v110, 16, 1
	v_add3_u32 v109, v110, v109, s69
                                        ; implicit-def: $vgpr110
; %bb.1907:                             ;   in Loop: Header=BB20_1905 Depth=2
	s_andn2_saveexec_b64 s[40:41], s[24:25]
; %bb.1908:                             ;   in Loop: Header=BB20_1905 Depth=2
	v_or_b32_e32 v109, 0x10000, v110
	v_cmp_eq_u32_sdwa s[24:25], v110, v3 src0_sel:WORD_0 src1_sel:DWORD
	s_nop 1
	v_cndmask_b32_e64 v109, v109, v110, s[24:25]
; %bb.1909:                             ;   in Loop: Header=BB20_1905 Depth=2
	s_or_b64 exec, exec, s[40:41]
	v_and_b32_e32 v36, 0xffff0000, v36
	v_and_b32_e32 v48, 0xffff0000, v48
	v_max_f32_e32 v48, v48, v48
	v_max_f32_e32 v36, v36, v36
	v_min_f32_e32 v110, v36, v48
	v_max_f32_e32 v36, v36, v48
	v_cndmask_b32_e32 v36, v36, v110, vcc
	v_and_b32_e32 v48, 0x7f800000, v36
	v_cmp_ne_u32_e64 s[24:25], s68, v48
                                        ; implicit-def: $vgpr48
	s_and_saveexec_b64 s[40:41], s[24:25]
	s_xor_b64 s[24:25], exec, s[40:41]
; %bb.1910:                             ;   in Loop: Header=BB20_1905 Depth=2
	v_bfe_u32 v48, v36, 16, 1
	v_add3_u32 v48, v36, v48, s69
                                        ; implicit-def: $vgpr36
; %bb.1911:                             ;   in Loop: Header=BB20_1905 Depth=2
	s_andn2_saveexec_b64 s[40:41], s[24:25]
; %bb.1912:                             ;   in Loop: Header=BB20_1905 Depth=2
	v_or_b32_e32 v48, 0x10000, v36
	v_cmp_eq_u32_sdwa s[24:25], v36, v3 src0_sel:WORD_0 src1_sel:DWORD
	s_nop 1
	v_cndmask_b32_e64 v48, v48, v36, s[24:25]
; %bb.1913:                             ;   in Loop: Header=BB20_1905 Depth=2
	s_or_b64 exec, exec, s[40:41]
	v_lshlrev_b32_e32 v36, 16, v37
	v_lshlrev_b32_e32 v110, 16, v49
	v_max_f32_e32 v110, v110, v110
	v_max_f32_e32 v36, v36, v36
	v_min_f32_e32 v111, v36, v110
	v_max_f32_e32 v36, v36, v110
	v_cndmask_b32_e32 v36, v36, v111, vcc
	v_and_b32_e32 v110, 0x7f800000, v36
	v_cmp_ne_u32_e64 s[24:25], s68, v110
                                        ; implicit-def: $vgpr110
	s_and_saveexec_b64 s[40:41], s[24:25]
	s_xor_b64 s[24:25], exec, s[40:41]
; %bb.1914:                             ;   in Loop: Header=BB20_1905 Depth=2
	v_bfe_u32 v110, v36, 16, 1
	v_add3_u32 v110, v36, v110, s69
                                        ; implicit-def: $vgpr36
; %bb.1915:                             ;   in Loop: Header=BB20_1905 Depth=2
	s_andn2_saveexec_b64 s[40:41], s[24:25]
; %bb.1916:                             ;   in Loop: Header=BB20_1905 Depth=2
	v_or_b32_e32 v110, 0x10000, v36
	v_cmp_eq_u32_sdwa s[24:25], v36, v3 src0_sel:WORD_0 src1_sel:DWORD
	s_nop 1
	v_cndmask_b32_e64 v110, v110, v36, s[24:25]
; %bb.1917:                             ;   in Loop: Header=BB20_1905 Depth=2
	s_or_b64 exec, exec, s[40:41]
	v_and_b32_e32 v36, 0xffff0000, v37
	v_and_b32_e32 v37, 0xffff0000, v49
	v_max_f32_e32 v37, v37, v37
	v_max_f32_e32 v36, v36, v36
	v_min_f32_e32 v49, v36, v37
	v_max_f32_e32 v36, v36, v37
	v_cndmask_b32_e32 v36, v36, v49, vcc
	v_and_b32_e32 v37, 0x7f800000, v36
	v_cmp_ne_u32_e64 s[24:25], s68, v37
                                        ; implicit-def: $vgpr49
	s_and_saveexec_b64 s[40:41], s[24:25]
	s_xor_b64 s[24:25], exec, s[40:41]
; %bb.1918:                             ;   in Loop: Header=BB20_1905 Depth=2
	v_bfe_u32 v37, v36, 16, 1
	v_add3_u32 v49, v36, v37, s69
                                        ; implicit-def: $vgpr36
; %bb.1919:                             ;   in Loop: Header=BB20_1905 Depth=2
	s_andn2_saveexec_b64 s[40:41], s[24:25]
; %bb.1920:                             ;   in Loop: Header=BB20_1905 Depth=2
	v_or_b32_e32 v37, 0x10000, v36
	v_cmp_eq_u32_sdwa s[24:25], v36, v3 src0_sel:WORD_0 src1_sel:DWORD
	s_nop 1
	v_cndmask_b32_e64 v49, v37, v36, s[24:25]
; %bb.1921:                             ;   in Loop: Header=BB20_1905 Depth=2
	s_or_b64 exec, exec, s[40:41]
	v_lshlrev_b32_e32 v36, 16, v38
	v_lshlrev_b32_e32 v37, 16, v50
	v_max_f32_e32 v37, v37, v37
	v_max_f32_e32 v36, v36, v36
	v_min_f32_e32 v111, v36, v37
	v_max_f32_e32 v36, v36, v37
	v_cndmask_b32_e32 v36, v36, v111, vcc
	v_and_b32_e32 v37, 0x7f800000, v36
	v_cmp_ne_u32_e64 s[24:25], s68, v37
                                        ; implicit-def: $vgpr111
	s_and_saveexec_b64 s[40:41], s[24:25]
	s_xor_b64 s[24:25], exec, s[40:41]
; %bb.1922:                             ;   in Loop: Header=BB20_1905 Depth=2
	v_bfe_u32 v37, v36, 16, 1
	v_add3_u32 v111, v36, v37, s69
                                        ; implicit-def: $vgpr36
; %bb.1923:                             ;   in Loop: Header=BB20_1905 Depth=2
	s_andn2_saveexec_b64 s[40:41], s[24:25]
; %bb.1924:                             ;   in Loop: Header=BB20_1905 Depth=2
	v_or_b32_e32 v37, 0x10000, v36
	v_cmp_eq_u32_sdwa s[24:25], v36, v3 src0_sel:WORD_0 src1_sel:DWORD
	s_nop 1
	v_cndmask_b32_e64 v111, v37, v36, s[24:25]
; %bb.1925:                             ;   in Loop: Header=BB20_1905 Depth=2
	s_or_b64 exec, exec, s[40:41]
	v_and_b32_e32 v36, 0xffff0000, v38
	v_and_b32_e32 v37, 0xffff0000, v50
	v_max_f32_e32 v37, v37, v37
	v_max_f32_e32 v36, v36, v36
	v_min_f32_e32 v38, v36, v37
	v_max_f32_e32 v36, v36, v37
	v_cndmask_b32_e32 v36, v36, v38, vcc
	v_and_b32_e32 v37, 0x7f800000, v36
	v_cmp_ne_u32_e64 s[24:25], s68, v37
                                        ; implicit-def: $vgpr38
	s_and_saveexec_b64 s[40:41], s[24:25]
	s_xor_b64 s[24:25], exec, s[40:41]
; %bb.1926:                             ;   in Loop: Header=BB20_1905 Depth=2
	v_bfe_u32 v37, v36, 16, 1
	v_add3_u32 v38, v36, v37, s69
                                        ; implicit-def: $vgpr36
; %bb.1927:                             ;   in Loop: Header=BB20_1905 Depth=2
	s_andn2_saveexec_b64 s[40:41], s[24:25]
; %bb.1928:                             ;   in Loop: Header=BB20_1905 Depth=2
	v_or_b32_e32 v37, 0x10000, v36
	v_cmp_eq_u32_sdwa s[24:25], v36, v3 src0_sel:WORD_0 src1_sel:DWORD
	s_nop 1
	v_cndmask_b32_e64 v38, v37, v36, s[24:25]
; %bb.1929:                             ;   in Loop: Header=BB20_1905 Depth=2
	s_or_b64 exec, exec, s[40:41]
	v_lshlrev_b32_e32 v36, 16, v39
	v_lshlrev_b32_e32 v37, 16, v51
	v_max_f32_e32 v37, v37, v37
	v_max_f32_e32 v36, v36, v36
	v_min_f32_e32 v50, v36, v37
	v_max_f32_e32 v36, v36, v37
	v_cndmask_b32_e32 v36, v36, v50, vcc
	v_and_b32_e32 v37, 0x7f800000, v36
	v_cmp_ne_u32_e64 s[24:25], s68, v37
                                        ; implicit-def: $vgpr50
	s_and_saveexec_b64 s[40:41], s[24:25]
	s_xor_b64 s[24:25], exec, s[40:41]
; %bb.1930:                             ;   in Loop: Header=BB20_1905 Depth=2
	v_bfe_u32 v37, v36, 16, 1
	v_add3_u32 v50, v36, v37, s69
                                        ; implicit-def: $vgpr36
; %bb.1931:                             ;   in Loop: Header=BB20_1905 Depth=2
	s_andn2_saveexec_b64 s[40:41], s[24:25]
; %bb.1932:                             ;   in Loop: Header=BB20_1905 Depth=2
	v_or_b32_e32 v37, 0x10000, v36
	v_cmp_eq_u32_sdwa s[24:25], v36, v3 src0_sel:WORD_0 src1_sel:DWORD
	s_nop 1
	v_cndmask_b32_e64 v50, v37, v36, s[24:25]
; %bb.1933:                             ;   in Loop: Header=BB20_1905 Depth=2
	s_or_b64 exec, exec, s[40:41]
	v_and_b32_e32 v36, 0xffff0000, v39
	v_and_b32_e32 v37, 0xffff0000, v51
	v_max_f32_e32 v37, v37, v37
	v_max_f32_e32 v36, v36, v36
	v_min_f32_e32 v39, v36, v37
	v_max_f32_e32 v36, v36, v37
	v_cndmask_b32_e32 v36, v36, v39, vcc
	v_and_b32_e32 v37, 0x7f800000, v36
	v_cmp_ne_u32_e64 s[24:25], s68, v37
                                        ; implicit-def: $vgpr39
	s_and_saveexec_b64 s[40:41], s[24:25]
	s_xor_b64 s[24:25], exec, s[40:41]
; %bb.1934:                             ;   in Loop: Header=BB20_1905 Depth=2
	v_bfe_u32 v37, v36, 16, 1
	v_add3_u32 v39, v36, v37, s69
                                        ; implicit-def: $vgpr36
; %bb.1935:                             ;   in Loop: Header=BB20_1905 Depth=2
	s_andn2_saveexec_b64 s[40:41], s[24:25]
; %bb.1936:                             ;   in Loop: Header=BB20_1905 Depth=2
	v_or_b32_e32 v37, 0x10000, v36
	v_cmp_eq_u32_sdwa s[24:25], v36, v3 src0_sel:WORD_0 src1_sel:DWORD
	s_nop 1
	v_cndmask_b32_e64 v39, v37, v36, s[24:25]
; %bb.1937:                             ;   in Loop: Header=BB20_1905 Depth=2
	s_or_b64 exec, exec, s[40:41]
	v_lshrrev_b32_e32 v51, 16, v110
	v_and_or_b32 v121, v49, s70, v51
	v_lshrrev_b32_e32 v49, 16, v109
	v_and_or_b32 v120, v48, s70, v49
	;; [unrolled: 2-line block ×4, first 2 shown]
	v_lshlrev_b32_e32 v38, 16, v24
	v_lshlrev_b32_e32 v39, 16, v32
	v_max_f32_e32 v39, v39, v39
	v_max_f32_e32 v38, v38, v38
	v_min_f32_e32 v48, v38, v39
	v_max_f32_e32 v38, v38, v39
	v_cndmask_b32_e32 v39, v38, v48, vcc
	v_and_b32_e32 v38, 0x7f800000, v39
	v_lshl_add_u64 v[36:37], v[116:117], 0, v[74:75]
	v_cmp_ne_u32_e64 s[24:25], s68, v38
	global_store_dwordx4 v[36:37], v[120:123], off
                                        ; implicit-def: $vgpr38
	s_and_saveexec_b64 s[40:41], s[24:25]
	s_xor_b64 s[24:25], exec, s[40:41]
; %bb.1938:                             ;   in Loop: Header=BB20_1905 Depth=2
	v_bfe_u32 v38, v39, 16, 1
	v_add3_u32 v38, v39, v38, s69
                                        ; implicit-def: $vgpr39
; %bb.1939:                             ;   in Loop: Header=BB20_1905 Depth=2
	s_andn2_saveexec_b64 s[40:41], s[24:25]
; %bb.1940:                             ;   in Loop: Header=BB20_1905 Depth=2
	v_or_b32_e32 v38, 0x10000, v39
	v_cmp_eq_u32_sdwa s[24:25], v39, v3 src0_sel:WORD_0 src1_sel:DWORD
	s_nop 1
	v_cndmask_b32_e64 v38, v38, v39, s[24:25]
; %bb.1941:                             ;   in Loop: Header=BB20_1905 Depth=2
	s_or_b64 exec, exec, s[40:41]
	v_and_b32_e32 v24, 0xffff0000, v24
	v_and_b32_e32 v32, 0xffff0000, v32
	v_max_f32_e32 v32, v32, v32
	v_max_f32_e32 v24, v24, v24
	v_min_f32_e32 v39, v24, v32
	v_max_f32_e32 v24, v24, v32
	v_cndmask_b32_e32 v32, v24, v39, vcc
	v_and_b32_e32 v24, 0x7f800000, v32
	v_cmp_ne_u32_e64 s[24:25], s68, v24
                                        ; implicit-def: $vgpr24
	s_and_saveexec_b64 s[40:41], s[24:25]
	s_xor_b64 s[24:25], exec, s[40:41]
; %bb.1942:                             ;   in Loop: Header=BB20_1905 Depth=2
	v_bfe_u32 v24, v32, 16, 1
	v_add3_u32 v24, v32, v24, s69
                                        ; implicit-def: $vgpr32
; %bb.1943:                             ;   in Loop: Header=BB20_1905 Depth=2
	s_andn2_saveexec_b64 s[40:41], s[24:25]
; %bb.1944:                             ;   in Loop: Header=BB20_1905 Depth=2
	v_or_b32_e32 v24, 0x10000, v32
	v_cmp_eq_u32_sdwa s[24:25], v32, v3 src0_sel:WORD_0 src1_sel:DWORD
	s_nop 1
	v_cndmask_b32_e64 v24, v24, v32, s[24:25]
; %bb.1945:                             ;   in Loop: Header=BB20_1905 Depth=2
	s_or_b64 exec, exec, s[40:41]
	v_lshlrev_b32_e32 v32, 16, v25
	v_lshlrev_b32_e32 v39, 16, v33
	v_max_f32_e32 v39, v39, v39
	v_max_f32_e32 v32, v32, v32
	v_min_f32_e32 v48, v32, v39
	v_max_f32_e32 v32, v32, v39
	v_cndmask_b32_e32 v39, v32, v48, vcc
	v_and_b32_e32 v32, 0x7f800000, v39
	v_cmp_ne_u32_e64 s[24:25], s68, v32
                                        ; implicit-def: $vgpr32
	s_and_saveexec_b64 s[40:41], s[24:25]
	s_xor_b64 s[24:25], exec, s[40:41]
; %bb.1946:                             ;   in Loop: Header=BB20_1905 Depth=2
	v_bfe_u32 v32, v39, 16, 1
	v_add3_u32 v32, v39, v32, s69
                                        ; implicit-def: $vgpr39
; %bb.1947:                             ;   in Loop: Header=BB20_1905 Depth=2
	s_andn2_saveexec_b64 s[40:41], s[24:25]
; %bb.1948:                             ;   in Loop: Header=BB20_1905 Depth=2
	v_or_b32_e32 v32, 0x10000, v39
	v_cmp_eq_u32_sdwa s[24:25], v39, v3 src0_sel:WORD_0 src1_sel:DWORD
	s_nop 1
	v_cndmask_b32_e64 v32, v32, v39, s[24:25]
; %bb.1949:                             ;   in Loop: Header=BB20_1905 Depth=2
	s_or_b64 exec, exec, s[40:41]
	v_and_b32_e32 v25, 0xffff0000, v25
	v_and_b32_e32 v33, 0xffff0000, v33
	v_max_f32_e32 v33, v33, v33
	v_max_f32_e32 v25, v25, v25
	v_min_f32_e32 v39, v25, v33
	v_max_f32_e32 v25, v25, v33
	v_cndmask_b32_e32 v33, v25, v39, vcc
	v_and_b32_e32 v25, 0x7f800000, v33
	v_cmp_ne_u32_e64 s[24:25], s68, v25
                                        ; implicit-def: $vgpr25
	s_and_saveexec_b64 s[40:41], s[24:25]
	s_xor_b64 s[24:25], exec, s[40:41]
; %bb.1950:                             ;   in Loop: Header=BB20_1905 Depth=2
	v_bfe_u32 v25, v33, 16, 1
	v_add3_u32 v25, v33, v25, s69
                                        ; implicit-def: $vgpr33
; %bb.1951:                             ;   in Loop: Header=BB20_1905 Depth=2
	s_andn2_saveexec_b64 s[40:41], s[24:25]
; %bb.1952:                             ;   in Loop: Header=BB20_1905 Depth=2
	v_or_b32_e32 v25, 0x10000, v33
	v_cmp_eq_u32_sdwa s[24:25], v33, v3 src0_sel:WORD_0 src1_sel:DWORD
	s_nop 1
	v_cndmask_b32_e64 v25, v25, v33, s[24:25]
; %bb.1953:                             ;   in Loop: Header=BB20_1905 Depth=2
	s_or_b64 exec, exec, s[40:41]
	v_lshlrev_b32_e32 v33, 16, v26
	v_lshlrev_b32_e32 v39, 16, v34
	v_max_f32_e32 v39, v39, v39
	v_max_f32_e32 v33, v33, v33
	v_min_f32_e32 v48, v33, v39
	v_max_f32_e32 v33, v33, v39
	v_cndmask_b32_e32 v39, v33, v48, vcc
	v_and_b32_e32 v33, 0x7f800000, v39
	v_cmp_ne_u32_e64 s[24:25], s68, v33
                                        ; implicit-def: $vgpr33
	s_and_saveexec_b64 s[40:41], s[24:25]
	s_xor_b64 s[24:25], exec, s[40:41]
; %bb.1954:                             ;   in Loop: Header=BB20_1905 Depth=2
	v_bfe_u32 v33, v39, 16, 1
	v_add3_u32 v33, v39, v33, s69
                                        ; implicit-def: $vgpr39
; %bb.1955:                             ;   in Loop: Header=BB20_1905 Depth=2
	s_andn2_saveexec_b64 s[40:41], s[24:25]
; %bb.1956:                             ;   in Loop: Header=BB20_1905 Depth=2
	v_or_b32_e32 v33, 0x10000, v39
	v_cmp_eq_u32_sdwa s[24:25], v39, v3 src0_sel:WORD_0 src1_sel:DWORD
	s_nop 1
	v_cndmask_b32_e64 v33, v33, v39, s[24:25]
; %bb.1957:                             ;   in Loop: Header=BB20_1905 Depth=2
	s_or_b64 exec, exec, s[40:41]
	v_and_b32_e32 v26, 0xffff0000, v26
	v_and_b32_e32 v34, 0xffff0000, v34
	v_max_f32_e32 v34, v34, v34
	v_max_f32_e32 v26, v26, v26
	v_min_f32_e32 v39, v26, v34
	v_max_f32_e32 v26, v26, v34
	v_cndmask_b32_e32 v34, v26, v39, vcc
	v_and_b32_e32 v26, 0x7f800000, v34
	v_cmp_ne_u32_e64 s[24:25], s68, v26
                                        ; implicit-def: $vgpr26
	s_and_saveexec_b64 s[40:41], s[24:25]
	s_xor_b64 s[24:25], exec, s[40:41]
; %bb.1958:                             ;   in Loop: Header=BB20_1905 Depth=2
	v_bfe_u32 v26, v34, 16, 1
	v_add3_u32 v26, v34, v26, s69
                                        ; implicit-def: $vgpr34
; %bb.1959:                             ;   in Loop: Header=BB20_1905 Depth=2
	s_andn2_saveexec_b64 s[40:41], s[24:25]
; %bb.1960:                             ;   in Loop: Header=BB20_1905 Depth=2
	v_or_b32_e32 v26, 0x10000, v34
	v_cmp_eq_u32_sdwa s[24:25], v34, v3 src0_sel:WORD_0 src1_sel:DWORD
	s_nop 1
	v_cndmask_b32_e64 v26, v26, v34, s[24:25]
; %bb.1961:                             ;   in Loop: Header=BB20_1905 Depth=2
	s_or_b64 exec, exec, s[40:41]
	v_lshlrev_b32_e32 v34, 16, v27
	v_lshlrev_b32_e32 v39, 16, v35
	v_max_f32_e32 v39, v39, v39
	v_max_f32_e32 v34, v34, v34
	v_min_f32_e32 v48, v34, v39
	v_max_f32_e32 v34, v34, v39
	v_cndmask_b32_e32 v39, v34, v48, vcc
	v_and_b32_e32 v34, 0x7f800000, v39
	v_cmp_ne_u32_e64 s[24:25], s68, v34
                                        ; implicit-def: $vgpr34
	s_and_saveexec_b64 s[40:41], s[24:25]
	s_xor_b64 s[24:25], exec, s[40:41]
; %bb.1962:                             ;   in Loop: Header=BB20_1905 Depth=2
	v_bfe_u32 v34, v39, 16, 1
	v_add3_u32 v34, v39, v34, s69
                                        ; implicit-def: $vgpr39
; %bb.1963:                             ;   in Loop: Header=BB20_1905 Depth=2
	s_andn2_saveexec_b64 s[40:41], s[24:25]
; %bb.1964:                             ;   in Loop: Header=BB20_1905 Depth=2
	v_or_b32_e32 v34, 0x10000, v39
	v_cmp_eq_u32_sdwa s[24:25], v39, v3 src0_sel:WORD_0 src1_sel:DWORD
	s_nop 1
	v_cndmask_b32_e64 v34, v34, v39, s[24:25]
; %bb.1965:                             ;   in Loop: Header=BB20_1905 Depth=2
	s_or_b64 exec, exec, s[40:41]
	v_and_b32_e32 v27, 0xffff0000, v27
	v_and_b32_e32 v35, 0xffff0000, v35
	v_max_f32_e32 v35, v35, v35
	v_max_f32_e32 v27, v27, v27
	v_min_f32_e32 v39, v27, v35
	v_max_f32_e32 v27, v27, v35
	v_cndmask_b32_e32 v35, v27, v39, vcc
	v_and_b32_e32 v27, 0x7f800000, v35
	v_cmp_ne_u32_e64 s[24:25], s68, v27
                                        ; implicit-def: $vgpr27
	s_and_saveexec_b64 s[40:41], s[24:25]
	s_xor_b64 s[24:25], exec, s[40:41]
; %bb.1966:                             ;   in Loop: Header=BB20_1905 Depth=2
	v_bfe_u32 v27, v35, 16, 1
	v_add3_u32 v27, v35, v27, s69
                                        ; implicit-def: $vgpr35
; %bb.1967:                             ;   in Loop: Header=BB20_1905 Depth=2
	s_andn2_saveexec_b64 s[40:41], s[24:25]
; %bb.1968:                             ;   in Loop: Header=BB20_1905 Depth=2
	v_or_b32_e32 v27, 0x10000, v35
	v_cmp_eq_u32_sdwa s[24:25], v35, v3 src0_sel:WORD_0 src1_sel:DWORD
	s_nop 1
	v_cndmask_b32_e64 v27, v27, v35, s[24:25]
; %bb.1969:                             ;   in Loop: Header=BB20_1905 Depth=2
	s_or_b64 exec, exec, s[40:41]
	v_lshrrev_b32_e32 v32, 16, v32
	v_and_or_b32 v25, v25, s70, v32
	v_lshrrev_b32_e32 v32, 16, v38
	v_and_or_b32 v24, v24, s70, v32
	;; [unrolled: 2-line block ×4, first 2 shown]
	global_store_dwordx4 v[36:37], v[24:27], off offset:1024
	s_nop 1
	v_lshlrev_b32_e32 v24, 16, v16
	v_lshlrev_b32_e32 v25, 16, v20
	v_max_f32_e32 v25, v25, v25
	v_max_f32_e32 v24, v24, v24
	v_min_f32_e32 v26, v24, v25
	v_max_f32_e32 v24, v24, v25
	v_cndmask_b32_e32 v25, v24, v26, vcc
	v_and_b32_e32 v24, 0x7f800000, v25
	v_cmp_ne_u32_e64 s[24:25], s68, v24
                                        ; implicit-def: $vgpr24
	s_and_saveexec_b64 s[40:41], s[24:25]
	s_xor_b64 s[24:25], exec, s[40:41]
; %bb.1970:                             ;   in Loop: Header=BB20_1905 Depth=2
	v_bfe_u32 v24, v25, 16, 1
	v_add3_u32 v24, v25, v24, s69
                                        ; implicit-def: $vgpr25
; %bb.1971:                             ;   in Loop: Header=BB20_1905 Depth=2
	s_andn2_saveexec_b64 s[40:41], s[24:25]
; %bb.1972:                             ;   in Loop: Header=BB20_1905 Depth=2
	v_or_b32_e32 v24, 0x10000, v25
	v_cmp_eq_u32_sdwa s[24:25], v25, v3 src0_sel:WORD_0 src1_sel:DWORD
	s_nop 1
	v_cndmask_b32_e64 v24, v24, v25, s[24:25]
; %bb.1973:                             ;   in Loop: Header=BB20_1905 Depth=2
	s_or_b64 exec, exec, s[40:41]
	v_and_b32_e32 v16, 0xffff0000, v16
	v_and_b32_e32 v20, 0xffff0000, v20
	v_max_f32_e32 v20, v20, v20
	v_max_f32_e32 v16, v16, v16
	v_min_f32_e32 v25, v16, v20
	v_max_f32_e32 v16, v16, v20
	v_cndmask_b32_e32 v20, v16, v25, vcc
	v_and_b32_e32 v16, 0x7f800000, v20
	v_cmp_ne_u32_e64 s[24:25], s68, v16
                                        ; implicit-def: $vgpr16
	s_and_saveexec_b64 s[40:41], s[24:25]
	s_xor_b64 s[24:25], exec, s[40:41]
; %bb.1974:                             ;   in Loop: Header=BB20_1905 Depth=2
	v_bfe_u32 v16, v20, 16, 1
	v_add3_u32 v16, v20, v16, s69
                                        ; implicit-def: $vgpr20
; %bb.1975:                             ;   in Loop: Header=BB20_1905 Depth=2
	s_andn2_saveexec_b64 s[40:41], s[24:25]
; %bb.1976:                             ;   in Loop: Header=BB20_1905 Depth=2
	v_or_b32_e32 v16, 0x10000, v20
	v_cmp_eq_u32_sdwa s[24:25], v20, v3 src0_sel:WORD_0 src1_sel:DWORD
	s_nop 1
	v_cndmask_b32_e64 v16, v16, v20, s[24:25]
; %bb.1977:                             ;   in Loop: Header=BB20_1905 Depth=2
	s_or_b64 exec, exec, s[40:41]
	v_lshlrev_b32_e32 v20, 16, v17
	v_lshlrev_b32_e32 v25, 16, v21
	v_max_f32_e32 v25, v25, v25
	v_max_f32_e32 v20, v20, v20
	v_min_f32_e32 v26, v20, v25
	v_max_f32_e32 v20, v20, v25
	v_cndmask_b32_e32 v25, v20, v26, vcc
	v_and_b32_e32 v20, 0x7f800000, v25
	v_cmp_ne_u32_e64 s[24:25], s68, v20
                                        ; implicit-def: $vgpr20
	s_and_saveexec_b64 s[40:41], s[24:25]
	s_xor_b64 s[24:25], exec, s[40:41]
; %bb.1978:                             ;   in Loop: Header=BB20_1905 Depth=2
	v_bfe_u32 v20, v25, 16, 1
	v_add3_u32 v20, v25, v20, s69
                                        ; implicit-def: $vgpr25
; %bb.1979:                             ;   in Loop: Header=BB20_1905 Depth=2
	s_andn2_saveexec_b64 s[40:41], s[24:25]
; %bb.1980:                             ;   in Loop: Header=BB20_1905 Depth=2
	v_or_b32_e32 v20, 0x10000, v25
	v_cmp_eq_u32_sdwa s[24:25], v25, v3 src0_sel:WORD_0 src1_sel:DWORD
	s_nop 1
	v_cndmask_b32_e64 v20, v20, v25, s[24:25]
; %bb.1981:                             ;   in Loop: Header=BB20_1905 Depth=2
	s_or_b64 exec, exec, s[40:41]
	v_and_b32_e32 v17, 0xffff0000, v17
	v_and_b32_e32 v21, 0xffff0000, v21
	v_max_f32_e32 v21, v21, v21
	v_max_f32_e32 v17, v17, v17
	v_min_f32_e32 v25, v17, v21
	v_max_f32_e32 v17, v17, v21
	v_cndmask_b32_e32 v21, v17, v25, vcc
	v_and_b32_e32 v17, 0x7f800000, v21
	v_cmp_ne_u32_e64 s[24:25], s68, v17
                                        ; implicit-def: $vgpr17
	s_and_saveexec_b64 s[40:41], s[24:25]
	s_xor_b64 s[24:25], exec, s[40:41]
; %bb.1982:                             ;   in Loop: Header=BB20_1905 Depth=2
	v_bfe_u32 v17, v21, 16, 1
	v_add3_u32 v17, v21, v17, s69
                                        ; implicit-def: $vgpr21
; %bb.1983:                             ;   in Loop: Header=BB20_1905 Depth=2
	s_andn2_saveexec_b64 s[40:41], s[24:25]
; %bb.1984:                             ;   in Loop: Header=BB20_1905 Depth=2
	v_or_b32_e32 v17, 0x10000, v21
	v_cmp_eq_u32_sdwa s[24:25], v21, v3 src0_sel:WORD_0 src1_sel:DWORD
	s_nop 1
	v_cndmask_b32_e64 v17, v17, v21, s[24:25]
; %bb.1985:                             ;   in Loop: Header=BB20_1905 Depth=2
	s_or_b64 exec, exec, s[40:41]
	v_lshlrev_b32_e32 v21, 16, v18
	v_lshlrev_b32_e32 v25, 16, v22
	v_max_f32_e32 v25, v25, v25
	v_max_f32_e32 v21, v21, v21
	v_min_f32_e32 v26, v21, v25
	v_max_f32_e32 v21, v21, v25
	v_cndmask_b32_e32 v25, v21, v26, vcc
	v_and_b32_e32 v21, 0x7f800000, v25
	v_cmp_ne_u32_e64 s[24:25], s68, v21
                                        ; implicit-def: $vgpr21
	s_and_saveexec_b64 s[40:41], s[24:25]
	s_xor_b64 s[24:25], exec, s[40:41]
; %bb.1986:                             ;   in Loop: Header=BB20_1905 Depth=2
	v_bfe_u32 v21, v25, 16, 1
	v_add3_u32 v21, v25, v21, s69
                                        ; implicit-def: $vgpr25
; %bb.1987:                             ;   in Loop: Header=BB20_1905 Depth=2
	s_andn2_saveexec_b64 s[40:41], s[24:25]
; %bb.1988:                             ;   in Loop: Header=BB20_1905 Depth=2
	v_or_b32_e32 v21, 0x10000, v25
	v_cmp_eq_u32_sdwa s[24:25], v25, v3 src0_sel:WORD_0 src1_sel:DWORD
	s_nop 1
	v_cndmask_b32_e64 v21, v21, v25, s[24:25]
; %bb.1989:                             ;   in Loop: Header=BB20_1905 Depth=2
	s_or_b64 exec, exec, s[40:41]
	v_and_b32_e32 v18, 0xffff0000, v18
	v_and_b32_e32 v22, 0xffff0000, v22
	v_max_f32_e32 v22, v22, v22
	v_max_f32_e32 v18, v18, v18
	v_min_f32_e32 v25, v18, v22
	v_max_f32_e32 v18, v18, v22
	v_cndmask_b32_e32 v22, v18, v25, vcc
	v_and_b32_e32 v18, 0x7f800000, v22
	v_cmp_ne_u32_e64 s[24:25], s68, v18
                                        ; implicit-def: $vgpr18
	s_and_saveexec_b64 s[40:41], s[24:25]
	s_xor_b64 s[24:25], exec, s[40:41]
; %bb.1990:                             ;   in Loop: Header=BB20_1905 Depth=2
	v_bfe_u32 v18, v22, 16, 1
	v_add3_u32 v18, v22, v18, s69
                                        ; implicit-def: $vgpr22
; %bb.1991:                             ;   in Loop: Header=BB20_1905 Depth=2
	s_andn2_saveexec_b64 s[40:41], s[24:25]
; %bb.1992:                             ;   in Loop: Header=BB20_1905 Depth=2
	v_or_b32_e32 v18, 0x10000, v22
	v_cmp_eq_u32_sdwa s[24:25], v22, v3 src0_sel:WORD_0 src1_sel:DWORD
	s_nop 1
	v_cndmask_b32_e64 v18, v18, v22, s[24:25]
; %bb.1993:                             ;   in Loop: Header=BB20_1905 Depth=2
	s_or_b64 exec, exec, s[40:41]
	v_lshlrev_b32_e32 v22, 16, v19
	v_lshlrev_b32_e32 v25, 16, v23
	v_max_f32_e32 v25, v25, v25
	v_max_f32_e32 v22, v22, v22
	v_min_f32_e32 v26, v22, v25
	v_max_f32_e32 v22, v22, v25
	v_cndmask_b32_e32 v25, v22, v26, vcc
	v_and_b32_e32 v22, 0x7f800000, v25
	v_cmp_ne_u32_e64 s[24:25], s68, v22
                                        ; implicit-def: $vgpr22
	s_and_saveexec_b64 s[40:41], s[24:25]
	s_xor_b64 s[24:25], exec, s[40:41]
; %bb.1994:                             ;   in Loop: Header=BB20_1905 Depth=2
	v_bfe_u32 v22, v25, 16, 1
	v_add3_u32 v22, v25, v22, s69
                                        ; implicit-def: $vgpr25
; %bb.1995:                             ;   in Loop: Header=BB20_1905 Depth=2
	s_andn2_saveexec_b64 s[40:41], s[24:25]
; %bb.1996:                             ;   in Loop: Header=BB20_1905 Depth=2
	v_or_b32_e32 v22, 0x10000, v25
	v_cmp_eq_u32_sdwa s[24:25], v25, v3 src0_sel:WORD_0 src1_sel:DWORD
	s_nop 1
	v_cndmask_b32_e64 v22, v22, v25, s[24:25]
; %bb.1997:                             ;   in Loop: Header=BB20_1905 Depth=2
	s_or_b64 exec, exec, s[40:41]
	v_and_b32_e32 v19, 0xffff0000, v19
	v_and_b32_e32 v23, 0xffff0000, v23
	v_max_f32_e32 v23, v23, v23
	v_max_f32_e32 v19, v19, v19
	v_min_f32_e32 v25, v19, v23
	v_max_f32_e32 v19, v19, v23
	v_cndmask_b32_e32 v23, v19, v25, vcc
	v_and_b32_e32 v19, 0x7f800000, v23
	v_cmp_ne_u32_e64 s[24:25], s68, v19
                                        ; implicit-def: $vgpr19
	s_and_saveexec_b64 s[40:41], s[24:25]
	s_xor_b64 s[24:25], exec, s[40:41]
; %bb.1998:                             ;   in Loop: Header=BB20_1905 Depth=2
	v_bfe_u32 v19, v23, 16, 1
	v_add3_u32 v19, v23, v19, s69
                                        ; implicit-def: $vgpr23
; %bb.1999:                             ;   in Loop: Header=BB20_1905 Depth=2
	s_andn2_saveexec_b64 s[40:41], s[24:25]
; %bb.2000:                             ;   in Loop: Header=BB20_1905 Depth=2
	v_or_b32_e32 v19, 0x10000, v23
	v_cmp_eq_u32_sdwa s[24:25], v23, v3 src0_sel:WORD_0 src1_sel:DWORD
	s_nop 1
	v_cndmask_b32_e64 v19, v19, v23, s[24:25]
; %bb.2001:                             ;   in Loop: Header=BB20_1905 Depth=2
	s_or_b64 exec, exec, s[40:41]
	v_lshrrev_b32_e32 v20, 16, v20
	v_and_or_b32 v17, v17, s70, v20
	v_lshrrev_b32_e32 v20, 16, v24
	v_and_or_b32 v16, v16, s70, v20
	;; [unrolled: 2-line block ×4, first 2 shown]
	global_store_dwordx4 v[36:37], v[16:19], off offset:2048
	s_nop 1
	v_lshlrev_b32_e32 v16, 16, v8
	v_lshlrev_b32_e32 v17, 16, v12
	v_max_f32_e32 v17, v17, v17
	v_max_f32_e32 v16, v16, v16
	v_min_f32_e32 v18, v16, v17
	v_max_f32_e32 v16, v16, v17
	v_cndmask_b32_e32 v17, v16, v18, vcc
	v_and_b32_e32 v16, 0x7f800000, v17
	v_cmp_ne_u32_e64 s[24:25], s68, v16
                                        ; implicit-def: $vgpr16
	s_and_saveexec_b64 s[40:41], s[24:25]
	s_xor_b64 s[24:25], exec, s[40:41]
; %bb.2002:                             ;   in Loop: Header=BB20_1905 Depth=2
	v_bfe_u32 v16, v17, 16, 1
	v_add3_u32 v16, v17, v16, s69
                                        ; implicit-def: $vgpr17
; %bb.2003:                             ;   in Loop: Header=BB20_1905 Depth=2
	s_andn2_saveexec_b64 s[40:41], s[24:25]
; %bb.2004:                             ;   in Loop: Header=BB20_1905 Depth=2
	v_or_b32_e32 v16, 0x10000, v17
	v_cmp_eq_u32_sdwa s[24:25], v17, v3 src0_sel:WORD_0 src1_sel:DWORD
	s_nop 1
	v_cndmask_b32_e64 v16, v16, v17, s[24:25]
; %bb.2005:                             ;   in Loop: Header=BB20_1905 Depth=2
	s_or_b64 exec, exec, s[40:41]
	v_and_b32_e32 v8, 0xffff0000, v8
	v_and_b32_e32 v12, 0xffff0000, v12
	v_max_f32_e32 v12, v12, v12
	v_max_f32_e32 v8, v8, v8
	v_min_f32_e32 v17, v8, v12
	v_max_f32_e32 v8, v8, v12
	v_cndmask_b32_e32 v12, v8, v17, vcc
	v_and_b32_e32 v8, 0x7f800000, v12
	v_cmp_ne_u32_e64 s[24:25], s68, v8
                                        ; implicit-def: $vgpr8
	s_and_saveexec_b64 s[40:41], s[24:25]
	s_xor_b64 s[24:25], exec, s[40:41]
; %bb.2006:                             ;   in Loop: Header=BB20_1905 Depth=2
	v_bfe_u32 v8, v12, 16, 1
	v_add3_u32 v8, v12, v8, s69
                                        ; implicit-def: $vgpr12
; %bb.2007:                             ;   in Loop: Header=BB20_1905 Depth=2
	s_andn2_saveexec_b64 s[40:41], s[24:25]
; %bb.2008:                             ;   in Loop: Header=BB20_1905 Depth=2
	v_or_b32_e32 v8, 0x10000, v12
	v_cmp_eq_u32_sdwa s[24:25], v12, v3 src0_sel:WORD_0 src1_sel:DWORD
	s_nop 1
	v_cndmask_b32_e64 v8, v8, v12, s[24:25]
; %bb.2009:                             ;   in Loop: Header=BB20_1905 Depth=2
	s_or_b64 exec, exec, s[40:41]
	v_lshlrev_b32_e32 v12, 16, v9
	v_lshlrev_b32_e32 v17, 16, v13
	v_max_f32_e32 v17, v17, v17
	v_max_f32_e32 v12, v12, v12
	v_min_f32_e32 v18, v12, v17
	v_max_f32_e32 v12, v12, v17
	v_cndmask_b32_e32 v17, v12, v18, vcc
	v_and_b32_e32 v12, 0x7f800000, v17
	v_cmp_ne_u32_e64 s[24:25], s68, v12
                                        ; implicit-def: $vgpr12
	s_and_saveexec_b64 s[40:41], s[24:25]
	s_xor_b64 s[24:25], exec, s[40:41]
; %bb.2010:                             ;   in Loop: Header=BB20_1905 Depth=2
	v_bfe_u32 v12, v17, 16, 1
	v_add3_u32 v12, v17, v12, s69
                                        ; implicit-def: $vgpr17
; %bb.2011:                             ;   in Loop: Header=BB20_1905 Depth=2
	s_andn2_saveexec_b64 s[40:41], s[24:25]
; %bb.2012:                             ;   in Loop: Header=BB20_1905 Depth=2
	v_or_b32_e32 v12, 0x10000, v17
	v_cmp_eq_u32_sdwa s[24:25], v17, v3 src0_sel:WORD_0 src1_sel:DWORD
	s_nop 1
	v_cndmask_b32_e64 v12, v12, v17, s[24:25]
; %bb.2013:                             ;   in Loop: Header=BB20_1905 Depth=2
	s_or_b64 exec, exec, s[40:41]
	v_and_b32_e32 v9, 0xffff0000, v9
	v_and_b32_e32 v13, 0xffff0000, v13
	v_max_f32_e32 v13, v13, v13
	v_max_f32_e32 v9, v9, v9
	v_min_f32_e32 v17, v9, v13
	v_max_f32_e32 v9, v9, v13
	v_cndmask_b32_e32 v13, v9, v17, vcc
	v_and_b32_e32 v9, 0x7f800000, v13
	v_cmp_ne_u32_e64 s[24:25], s68, v9
                                        ; implicit-def: $vgpr9
	s_and_saveexec_b64 s[40:41], s[24:25]
	s_xor_b64 s[24:25], exec, s[40:41]
; %bb.2014:                             ;   in Loop: Header=BB20_1905 Depth=2
	v_bfe_u32 v9, v13, 16, 1
	v_add3_u32 v9, v13, v9, s69
                                        ; implicit-def: $vgpr13
; %bb.2015:                             ;   in Loop: Header=BB20_1905 Depth=2
	s_andn2_saveexec_b64 s[40:41], s[24:25]
; %bb.2016:                             ;   in Loop: Header=BB20_1905 Depth=2
	v_or_b32_e32 v9, 0x10000, v13
	v_cmp_eq_u32_sdwa s[24:25], v13, v3 src0_sel:WORD_0 src1_sel:DWORD
	s_nop 1
	v_cndmask_b32_e64 v9, v9, v13, s[24:25]
; %bb.2017:                             ;   in Loop: Header=BB20_1905 Depth=2
	s_or_b64 exec, exec, s[40:41]
	v_lshlrev_b32_e32 v13, 16, v10
	v_lshlrev_b32_e32 v17, 16, v14
	v_max_f32_e32 v17, v17, v17
	v_max_f32_e32 v13, v13, v13
	v_min_f32_e32 v18, v13, v17
	v_max_f32_e32 v13, v13, v17
	v_cndmask_b32_e32 v17, v13, v18, vcc
	v_and_b32_e32 v13, 0x7f800000, v17
	v_cmp_ne_u32_e64 s[24:25], s68, v13
                                        ; implicit-def: $vgpr13
	s_and_saveexec_b64 s[40:41], s[24:25]
	s_xor_b64 s[24:25], exec, s[40:41]
; %bb.2018:                             ;   in Loop: Header=BB20_1905 Depth=2
	v_bfe_u32 v13, v17, 16, 1
	v_add3_u32 v13, v17, v13, s69
                                        ; implicit-def: $vgpr17
; %bb.2019:                             ;   in Loop: Header=BB20_1905 Depth=2
	s_andn2_saveexec_b64 s[40:41], s[24:25]
; %bb.2020:                             ;   in Loop: Header=BB20_1905 Depth=2
	v_or_b32_e32 v13, 0x10000, v17
	v_cmp_eq_u32_sdwa s[24:25], v17, v3 src0_sel:WORD_0 src1_sel:DWORD
	s_nop 1
	v_cndmask_b32_e64 v13, v13, v17, s[24:25]
; %bb.2021:                             ;   in Loop: Header=BB20_1905 Depth=2
	s_or_b64 exec, exec, s[40:41]
	v_and_b32_e32 v10, 0xffff0000, v10
	v_and_b32_e32 v14, 0xffff0000, v14
	v_max_f32_e32 v14, v14, v14
	v_max_f32_e32 v10, v10, v10
	v_min_f32_e32 v17, v10, v14
	v_max_f32_e32 v10, v10, v14
	v_cndmask_b32_e32 v14, v10, v17, vcc
	v_and_b32_e32 v10, 0x7f800000, v14
	v_cmp_ne_u32_e64 s[24:25], s68, v10
                                        ; implicit-def: $vgpr10
	s_and_saveexec_b64 s[40:41], s[24:25]
	s_xor_b64 s[24:25], exec, s[40:41]
; %bb.2022:                             ;   in Loop: Header=BB20_1905 Depth=2
	v_bfe_u32 v10, v14, 16, 1
	v_add3_u32 v10, v14, v10, s69
                                        ; implicit-def: $vgpr14
; %bb.2023:                             ;   in Loop: Header=BB20_1905 Depth=2
	s_andn2_saveexec_b64 s[40:41], s[24:25]
; %bb.2024:                             ;   in Loop: Header=BB20_1905 Depth=2
	v_or_b32_e32 v10, 0x10000, v14
	v_cmp_eq_u32_sdwa s[24:25], v14, v3 src0_sel:WORD_0 src1_sel:DWORD
	s_nop 1
	v_cndmask_b32_e64 v10, v10, v14, s[24:25]
; %bb.2025:                             ;   in Loop: Header=BB20_1905 Depth=2
	s_or_b64 exec, exec, s[40:41]
	v_lshlrev_b32_e32 v14, 16, v11
	v_lshlrev_b32_e32 v17, 16, v15
	v_max_f32_e32 v17, v17, v17
	v_max_f32_e32 v14, v14, v14
	v_min_f32_e32 v18, v14, v17
	v_max_f32_e32 v14, v14, v17
	v_cndmask_b32_e32 v17, v14, v18, vcc
	v_and_b32_e32 v14, 0x7f800000, v17
	v_cmp_ne_u32_e64 s[24:25], s68, v14
                                        ; implicit-def: $vgpr14
	s_and_saveexec_b64 s[40:41], s[24:25]
	s_xor_b64 s[24:25], exec, s[40:41]
; %bb.2026:                             ;   in Loop: Header=BB20_1905 Depth=2
	v_bfe_u32 v14, v17, 16, 1
	v_add3_u32 v14, v17, v14, s69
                                        ; implicit-def: $vgpr17
; %bb.2027:                             ;   in Loop: Header=BB20_1905 Depth=2
	s_andn2_saveexec_b64 s[40:41], s[24:25]
; %bb.2028:                             ;   in Loop: Header=BB20_1905 Depth=2
	v_or_b32_e32 v14, 0x10000, v17
	v_cmp_eq_u32_sdwa s[24:25], v17, v3 src0_sel:WORD_0 src1_sel:DWORD
	s_nop 1
	v_cndmask_b32_e64 v14, v14, v17, s[24:25]
; %bb.2029:                             ;   in Loop: Header=BB20_1905 Depth=2
	s_or_b64 exec, exec, s[40:41]
	v_and_b32_e32 v11, 0xffff0000, v11
	v_and_b32_e32 v15, 0xffff0000, v15
	v_max_f32_e32 v15, v15, v15
	v_max_f32_e32 v11, v11, v11
	v_min_f32_e32 v17, v11, v15
	v_max_f32_e32 v11, v11, v15
	v_cndmask_b32_e32 v15, v11, v17, vcc
	v_and_b32_e32 v11, 0x7f800000, v15
	v_cmp_ne_u32_e64 s[24:25], s68, v11
                                        ; implicit-def: $vgpr11
	s_and_saveexec_b64 s[40:41], s[24:25]
	s_xor_b64 s[24:25], exec, s[40:41]
; %bb.2030:                             ;   in Loop: Header=BB20_1905 Depth=2
	v_bfe_u32 v11, v15, 16, 1
	v_add3_u32 v11, v15, v11, s69
                                        ; implicit-def: $vgpr15
; %bb.2031:                             ;   in Loop: Header=BB20_1905 Depth=2
	s_andn2_saveexec_b64 s[40:41], s[24:25]
	s_cbranch_execz .LBB20_1904
; %bb.2032:                             ;   in Loop: Header=BB20_1905 Depth=2
	v_or_b32_e32 v11, 0x10000, v15
	v_cmp_eq_u32_sdwa s[24:25], v15, v3 src0_sel:WORD_0 src1_sel:DWORD
	s_nop 1
	v_cndmask_b32_e64 v11, v11, v15, s[24:25]
	s_branch .LBB20_1904
.LBB20_2033:                            ;   in Loop: Header=BB20_47 Depth=1
	s_or_b64 exec, exec, s[28:29]
.LBB20_2034:                            ;   in Loop: Header=BB20_47 Depth=1
	s_or_b64 exec, exec, s[26:27]
	v_lshlrev_b32_e32 v16, 12, v108
	v_cmp_ne_u32_e32 vcc, v90, v16
	s_mov_b64 s[24:25], 0
	v_mov_b32_e32 v18, 0
                                        ; implicit-def: $vgpr19
	s_and_saveexec_b64 s[38:39], vcc
	s_cbranch_execz .LBB20_2040
; %bb.2035:                             ;   in Loop: Header=BB20_47 Depth=1
	v_lshlrev_b32_e32 v8, 6, v91
	v_sub_u32_e32 v8, v93, v8
	v_ashrrev_i32_e32 v10, 31, v8
	v_lshrrev_b32_e32 v10, 26, v10
	v_add_u32_e32 v10, v8, v10
	v_sub_u32_e32 v9, v90, v16
	v_ashrrev_i32_e32 v11, 6, v10
	v_and_b32_e32 v10, 0xffffffc0, v10
	v_sub_u32_e32 v17, v8, v10
	v_ashrrev_i32_e32 v10, 31, v9
	v_lshrrev_b32_e32 v10, 22, v10
	v_add_u32_e32 v10, v9, v10
	v_and_b32_e32 v18, 0xfffffc00, v10
	v_lshlrev_b32_e32 v8, 4, v17
	v_sub_u32_e32 v19, v9, v18
	v_lshl_add_u32 v8, v11, 10, v8
	v_ashrrev_i32_e32 v12, 10, v10
	v_cmp_lt_i32_e32 vcc, 15, v19
	v_sub_u32_e32 v21, v9, v8
	s_nop 0
	v_addc_co_u32_e64 v9, s[24:25], 0, v12, vcc
	v_sub_u32_e32 v20, v9, v11
	v_cmp_lt_i32_e64 s[24:25], 15, v21
	s_and_saveexec_b64 s[48:49], s[24:25]
	s_cbranch_execz .LBB20_2039
; %bb.2036:                             ;   in Loop: Header=BB20_47 Depth=1
	s_and_b32 s76, s52, 1
	v_add_u32_e32 v8, v8, v16
	s_cmp_eq_u64 s[76:77], 0
	v_ashrrev_i32_e32 v9, 31, v8
	s_mov_b64 s[50:51], 0
	s_cselect_b64 s[24:25], -1, 0
.LBB20_2037:                            ;   Parent Loop BB20_47 Depth=1
                                        ; =>  This Inner Loop Header: Depth=2
	v_lshl_add_u64 v[12:13], v[72:73], 0, v[8:9]
	v_lshl_add_u64 v[14:15], v[60:61], 0, v[8:9]
	global_load_dwordx4 v[22:25], v[14:15], off nt
	s_nop 0
	global_load_dwordx4 v[12:15], v[12:13], off nt
	v_sub_u32_e32 v21, v21, v100
	v_cmp_gt_i32_e64 s[26:27], 16, v21
	s_or_b64 s[50:51], s[26:27], s[50:51]
	v_lshl_add_u64 v[10:11], v[62:63], 0, v[8:9]
	v_sub_u32_e32 v20, v20, v84
	v_lshl_add_u64 v[8:9], v[8:9], 0, v[100:101]
	s_waitcnt vmcnt(0)
	v_and_b32_e32 v26, 0xffff0000, v22
	v_and_b32_e32 v27, 0xffff0000, v12
	v_lshlrev_b32_e32 v22, 16, v22
	v_lshlrev_b32_e32 v12, 16, v12
	v_and_b32_e32 v32, 0xffff0000, v23
	v_and_b32_e32 v33, 0xffff0000, v13
	v_lshlrev_b32_e32 v23, 16, v23
	v_lshlrev_b32_e32 v13, 16, v13
	;; [unrolled: 4-line block ×4, first 2 shown]
	v_max_f32_e32 v12, v12, v12
	v_max_f32_e32 v22, v22, v22
	;; [unrolled: 1-line block ×16, first 2 shown]
	v_min_f32_e32 v38, v22, v12
	v_max_f32_e32 v12, v22, v12
	v_min_f32_e32 v22, v26, v27
	v_max_f32_e32 v26, v26, v27
	;; [unrolled: 2-line block ×8, first 2 shown]
	v_cndmask_b32_e64 v12, v12, v38, s[24:25]
	v_cndmask_b32_e64 v22, v26, v22, s[24:25]
	;; [unrolled: 1-line block ×8, first 2 shown]
	v_and_b32_e32 v26, 0x7f800000, v12
	v_bfe_u32 v27, v12, 16, 1
	v_or_b32_e32 v32, 0x10000, v12
	v_cmp_eq_u32_sdwa s[26:27], v12, v3 src0_sel:WORD_0 src1_sel:DWORD
	v_and_b32_e32 v33, 0x7f800000, v22
	v_bfe_u32 v34, v22, 16, 1
	v_or_b32_e32 v35, 0x10000, v22
	v_cmp_eq_u32_sdwa s[28:29], v22, v3 src0_sel:WORD_0 src1_sel:DWORD
	;; [unrolled: 4-line block ×3, first 2 shown]
	v_bfe_u32 v48, v23, 16, 1
	v_or_b32_e32 v49, 0x10000, v23
	v_cmp_eq_u32_sdwa s[42:43], v23, v3 src0_sel:WORD_0 src1_sel:DWORD
	v_and_b32_e32 v50, 0x7f800000, v14
	v_bfe_u32 v51, v14, 16, 1
	v_or_b32_e32 v74, 0x10000, v14
	v_cmp_eq_u32_sdwa s[44:45], v14, v3 src0_sel:WORD_0 src1_sel:DWORD
	v_bfe_u32 v76, v24, 16, 1
	v_or_b32_e32 v77, 0x10000, v24
	v_cmp_eq_u32_sdwa s[46:47], v24, v3 src0_sel:WORD_0 src1_sel:DWORD
	v_and_b32_e32 v78, 0x7f800000, v15
	v_bfe_u32 v79, v15, 16, 1
	v_or_b32_e32 v91, 0x10000, v15
	v_cmp_eq_u32_sdwa s[56:57], v15, v3 src0_sel:WORD_0 src1_sel:DWORD
	v_bfe_u32 v109, v25, 16, 1
	v_or_b32_e32 v110, 0x10000, v25
	v_cmp_eq_u32_sdwa s[58:59], v25, v3 src0_sel:WORD_0 src1_sel:DWORD
	v_and_b32_e32 v39, 0x7f800000, v23
	v_and_b32_e32 v75, 0x7f800000, v24
	;; [unrolled: 1-line block ×3, first 2 shown]
	v_add3_u32 v27, v12, v27, s69
	v_cndmask_b32_e64 v12, v32, v12, s[26:27]
	v_add3_u32 v32, v22, v34, s69
	v_cndmask_b32_e64 v22, v35, v22, s[28:29]
	v_cmp_eq_u32_e64 s[26:27], s68, v33
	v_add3_u32 v33, v13, v37, s69
	v_cndmask_b32_e64 v13, v38, v13, s[40:41]
	v_cmp_eq_u32_e64 s[28:29], s68, v36
	v_add3_u32 v34, v23, v48, s69
	v_cndmask_b32_e64 v23, v49, v23, s[42:43]
	v_add3_u32 v35, v14, v51, s69
	v_cndmask_b32_e64 v14, v74, v14, s[44:45]
	v_cmp_eq_u32_e64 s[42:43], s68, v50
	v_add3_u32 v36, v24, v76, s69
	v_cndmask_b32_e64 v24, v77, v24, s[46:47]
	;; [unrolled: 5-line block ×3, first 2 shown]
	v_cmp_eq_u32_e64 s[58:59], s68, v26
	v_cmp_eq_u32_e64 s[40:41], s68, v39
	v_cmp_eq_u32_e64 s[44:45], s68, v75
	v_cmp_eq_u32_e64 s[56:57], s68, v108
	v_cndmask_b32_e64 v12, v27, v12, s[58:59]
	v_cndmask_b32_e64 v13, v33, v13, s[28:29]
	;; [unrolled: 1-line block ×8, first 2 shown]
	v_lshrrev_b32_e32 v13, 16, v13
	v_lshrrev_b32_e32 v12, 16, v12
	;; [unrolled: 1-line block ×4, first 2 shown]
	v_and_or_b32 v13, v23, s70, v13
	v_and_or_b32 v12, v22, s70, v12
	;; [unrolled: 1-line block ×4, first 2 shown]
	global_store_dwordx4 v[10:11], v[12:15], off
	s_andn2_b64 exec, exec, s[50:51]
	s_cbranch_execnz .LBB20_2037
; %bb.2038:                             ;   in Loop: Header=BB20_47 Depth=1
	s_or_b64 exec, exec, s[50:51]
.LBB20_2039:                            ;   in Loop: Header=BB20_47 Depth=1
	s_or_b64 exec, exec, s[48:49]
	v_and_b32_e32 v8, 14, v90
	v_sub_u32_e32 v9, v19, v8
	v_cndmask_b32_e32 v9, 0, v9, vcc
	v_cndmask_b32_e32 v90, v19, v8, vcc
	v_cmp_lt_i32_e32 vcc, 0, v20
	v_add3_u32 v18, v18, v16, v9
	s_nop 0
	v_cndmask_b32_e32 v8, 0, v84, vcc
	v_sub_u32_e32 v8, v8, v20
	v_cmp_ne_u32_e32 vcc, 0, v90
	v_lshl_add_u32 v19, v8, 6, v17
	s_and_b64 s[24:25], vcc, exec
.LBB20_2040:                            ;   in Loop: Header=BB20_47 Depth=1
	s_or_b64 exec, exec, s[38:39]
	s_and_saveexec_b64 s[26:27], s[24:25]
	s_cbranch_execz .LBB20_2081
.LBB20_2041:                            ;   in Loop: Header=BB20_47 Depth=1
	v_ashrrev_i32_e32 v8, 31, v19
	v_ashrrev_i32_e32 v9, 31, v90
	v_lshrrev_b32_e32 v8, 26, v8
	v_lshrrev_b32_e32 v9, 22, v9
	v_add_u32_e32 v8, v19, v8
	v_add_u32_e32 v9, v90, v9
	v_ashrrev_i32_e32 v20, 6, v8
	v_ashrrev_i32_e32 v22, 10, v9
	v_sub_u32_e32 v21, v22, v20
	v_cmp_lt_i32_e32 vcc, 0, v21
	s_and_saveexec_b64 s[28:29], vcc
	s_cbranch_execz .LBB20_2077
; %bb.2042:                             ;   in Loop: Header=BB20_47 Depth=1
	v_and_b32_e32 v8, 0x7fffffc0, v8
	v_sub_u32_e32 v8, v19, v8
	v_lshlrev_b32_e32 v8, 1, v8
	v_lshlrev_b32_e32 v9, 10, v20
	s_and_b32 s76, s52, 1
	v_add3_u32 v8, v8, v18, v9
	s_cmp_eq_u64 s[76:77], 0
	v_ashrrev_i32_e32 v9, 31, v8
	s_mov_b64 s[40:41], 0
	s_cselect_b64 vcc, -1, 0
	v_mov_b64_e32 v[10:11], v[62:63]
	v_mov_b64_e32 v[12:13], v[60:61]
	;; [unrolled: 1-line block ×3, first 2 shown]
	s_branch .LBB20_2044
.LBB20_2043:                            ;   in Loop: Header=BB20_2044 Depth=2
	s_or_b64 exec, exec, s[42:43]
	v_sub_u32_e32 v21, v21, v84
	v_cmp_gt_i32_e64 s[24:25], 1, v21
	v_lshl_add_u64 v[14:15], v[14:15], 0, v[100:101]
	v_lshl_add_u64 v[12:13], v[12:13], 0, v[100:101]
	s_or_b64 s[40:41], s[24:25], s[40:41]
	v_lshl_add_u64 v[10:11], v[10:11], 0, v[100:101]
	flat_store_short_d16_hi v[16:17], v24 offset:896 nt
	s_andn2_b64 exec, exec, s[40:41]
	s_cbranch_execz .LBB20_2076
.LBB20_2044:                            ;   Parent Loop BB20_47 Depth=1
                                        ; =>  This Inner Loop Header: Depth=2
	v_lshl_add_u64 v[48:49], v[8:9], 0, v[12:13]
	v_lshl_add_u64 v[16:17], v[8:9], 0, v[14:15]
	flat_load_ushort v37, v[48:49] offset:256 nt
	flat_load_ushort v35, v[48:49] offset:384 nt
	;; [unrolled: 1-line block ×6, first 2 shown]
	flat_load_ushort v50, v[48:49] nt
	flat_load_ushort v38, v[16:17] offset:256 nt
	flat_load_ushort v36, v[16:17] offset:384 nt
	;; [unrolled: 1-line block ×6, first 2 shown]
	flat_load_ushort v51, v[16:17] nt
	flat_load_ushort v39, v[48:49] offset:128 nt
	s_nop 0
	flat_load_ushort v48, v[16:17] offset:128 nt
	s_waitcnt vmcnt(0) lgkmcnt(0)
	v_lshlrev_b32_e32 v16, 16, v50
	v_max_f32_e32 v16, v16, v16
	v_lshlrev_b32_e32 v17, 16, v51
	v_max_f32_e32 v17, v17, v17
	v_min_f32_e32 v49, v16, v17
	v_max_f32_e32 v16, v16, v17
	v_cndmask_b32_e32 v16, v16, v49, vcc
	v_and_b32_e32 v17, 0x7f800000, v16
	v_cmp_ne_u32_e64 s[24:25], s68, v17
                                        ; implicit-def: $vgpr49
	s_and_saveexec_b64 s[42:43], s[24:25]
	s_xor_b64 s[24:25], exec, s[42:43]
; %bb.2045:                             ;   in Loop: Header=BB20_2044 Depth=2
	v_bfe_u32 v17, v16, 16, 1
	v_add3_u32 v49, v16, v17, s69
                                        ; implicit-def: $vgpr16
; %bb.2046:                             ;   in Loop: Header=BB20_2044 Depth=2
	s_andn2_saveexec_b64 s[42:43], s[24:25]
; %bb.2047:                             ;   in Loop: Header=BB20_2044 Depth=2
	v_or_b32_e32 v17, 0x10000, v16
	v_cmp_eq_u32_sdwa s[24:25], v16, v3 src0_sel:WORD_0 src1_sel:DWORD
	s_nop 1
	v_cndmask_b32_e64 v49, v17, v16, s[24:25]
; %bb.2048:                             ;   in Loop: Header=BB20_2044 Depth=2
	s_or_b64 exec, exec, s[42:43]
	v_lshlrev_b32_e32 v39, 16, v39
	v_lshlrev_b32_e32 v48, 16, v48
	v_lshl_add_u64 v[16:17], v[8:9], 0, v[10:11]
	v_max_f32_e32 v48, v48, v48
	v_max_f32_e32 v39, v39, v39
	flat_store_short_d16_hi v[16:17], v49 nt
	v_min_f32_e32 v49, v39, v48
	v_max_f32_e32 v39, v39, v48
	v_cndmask_b32_e32 v39, v39, v49, vcc
	v_and_b32_e32 v48, 0x7f800000, v39
	v_cmp_ne_u32_e64 s[24:25], s68, v48
                                        ; implicit-def: $vgpr48
	s_and_saveexec_b64 s[42:43], s[24:25]
	s_xor_b64 s[24:25], exec, s[42:43]
; %bb.2049:                             ;   in Loop: Header=BB20_2044 Depth=2
	v_bfe_u32 v48, v39, 16, 1
	v_add3_u32 v48, v39, v48, s69
                                        ; implicit-def: $vgpr39
; %bb.2050:                             ;   in Loop: Header=BB20_2044 Depth=2
	s_andn2_saveexec_b64 s[42:43], s[24:25]
; %bb.2051:                             ;   in Loop: Header=BB20_2044 Depth=2
	v_or_b32_e32 v48, 0x10000, v39
	v_cmp_eq_u32_sdwa s[24:25], v39, v3 src0_sel:WORD_0 src1_sel:DWORD
	s_nop 1
	v_cndmask_b32_e64 v48, v48, v39, s[24:25]
; %bb.2052:                             ;   in Loop: Header=BB20_2044 Depth=2
	s_or_b64 exec, exec, s[42:43]
	v_lshlrev_b32_e32 v37, 16, v37
	v_lshlrev_b32_e32 v38, 16, v38
	v_max_f32_e32 v38, v38, v38
	v_max_f32_e32 v37, v37, v37
	v_min_f32_e32 v39, v37, v38
	v_max_f32_e32 v37, v37, v38
	v_cndmask_b32_e32 v37, v37, v39, vcc
	v_and_b32_e32 v38, 0x7f800000, v37
	v_cmp_ne_u32_e64 s[24:25], s68, v38
	flat_store_short_d16_hi v[16:17], v48 offset:128 nt
                                        ; implicit-def: $vgpr38
	s_and_saveexec_b64 s[42:43], s[24:25]
	s_xor_b64 s[24:25], exec, s[42:43]
; %bb.2053:                             ;   in Loop: Header=BB20_2044 Depth=2
	v_bfe_u32 v38, v37, 16, 1
	v_add3_u32 v38, v37, v38, s69
                                        ; implicit-def: $vgpr37
; %bb.2054:                             ;   in Loop: Header=BB20_2044 Depth=2
	s_andn2_saveexec_b64 s[42:43], s[24:25]
; %bb.2055:                             ;   in Loop: Header=BB20_2044 Depth=2
	v_or_b32_e32 v38, 0x10000, v37
	v_cmp_eq_u32_sdwa s[24:25], v37, v3 src0_sel:WORD_0 src1_sel:DWORD
	s_nop 1
	v_cndmask_b32_e64 v38, v38, v37, s[24:25]
; %bb.2056:                             ;   in Loop: Header=BB20_2044 Depth=2
	s_or_b64 exec, exec, s[42:43]
	v_lshlrev_b32_e32 v35, 16, v35
	v_lshlrev_b32_e32 v36, 16, v36
	v_max_f32_e32 v36, v36, v36
	v_max_f32_e32 v35, v35, v35
	v_min_f32_e32 v37, v35, v36
	v_max_f32_e32 v35, v35, v36
	v_cndmask_b32_e32 v35, v35, v37, vcc
	v_and_b32_e32 v36, 0x7f800000, v35
	v_cmp_ne_u32_e64 s[24:25], s68, v36
	flat_store_short_d16_hi v[16:17], v38 offset:256 nt
                                        ; implicit-def: $vgpr36
	s_and_saveexec_b64 s[42:43], s[24:25]
	s_xor_b64 s[24:25], exec, s[42:43]
; %bb.2057:                             ;   in Loop: Header=BB20_2044 Depth=2
	v_bfe_u32 v36, v35, 16, 1
	v_add3_u32 v36, v35, v36, s69
                                        ; implicit-def: $vgpr35
; %bb.2058:                             ;   in Loop: Header=BB20_2044 Depth=2
	s_andn2_saveexec_b64 s[42:43], s[24:25]
; %bb.2059:                             ;   in Loop: Header=BB20_2044 Depth=2
	v_or_b32_e32 v36, 0x10000, v35
	v_cmp_eq_u32_sdwa s[24:25], v35, v3 src0_sel:WORD_0 src1_sel:DWORD
	s_nop 1
	v_cndmask_b32_e64 v36, v36, v35, s[24:25]
; %bb.2060:                             ;   in Loop: Header=BB20_2044 Depth=2
	s_or_b64 exec, exec, s[42:43]
	v_lshlrev_b32_e32 v33, 16, v33
	v_lshlrev_b32_e32 v34, 16, v34
	v_max_f32_e32 v34, v34, v34
	v_max_f32_e32 v33, v33, v33
	v_min_f32_e32 v35, v33, v34
	v_max_f32_e32 v33, v33, v34
	v_cndmask_b32_e32 v33, v33, v35, vcc
	v_and_b32_e32 v34, 0x7f800000, v33
	v_cmp_ne_u32_e64 s[24:25], s68, v34
	flat_store_short_d16_hi v[16:17], v36 offset:384 nt
                                        ; implicit-def: $vgpr34
	s_and_saveexec_b64 s[42:43], s[24:25]
	s_xor_b64 s[24:25], exec, s[42:43]
; %bb.2061:                             ;   in Loop: Header=BB20_2044 Depth=2
	v_bfe_u32 v34, v33, 16, 1
	v_add3_u32 v34, v33, v34, s69
                                        ; implicit-def: $vgpr33
; %bb.2062:                             ;   in Loop: Header=BB20_2044 Depth=2
	s_andn2_saveexec_b64 s[42:43], s[24:25]
; %bb.2063:                             ;   in Loop: Header=BB20_2044 Depth=2
	v_or_b32_e32 v34, 0x10000, v33
	v_cmp_eq_u32_sdwa s[24:25], v33, v3 src0_sel:WORD_0 src1_sel:DWORD
	s_nop 1
	v_cndmask_b32_e64 v34, v34, v33, s[24:25]
; %bb.2064:                             ;   in Loop: Header=BB20_2044 Depth=2
	s_or_b64 exec, exec, s[42:43]
	v_lshlrev_b32_e32 v27, 16, v27
	v_lshlrev_b32_e32 v32, 16, v32
	v_max_f32_e32 v32, v32, v32
	v_max_f32_e32 v27, v27, v27
	v_min_f32_e32 v33, v27, v32
	v_max_f32_e32 v27, v27, v32
	v_cndmask_b32_e32 v27, v27, v33, vcc
	v_and_b32_e32 v32, 0x7f800000, v27
	v_cmp_ne_u32_e64 s[24:25], s68, v32
	flat_store_short_d16_hi v[16:17], v34 offset:512 nt
                                        ; implicit-def: $vgpr32
	s_and_saveexec_b64 s[42:43], s[24:25]
	s_xor_b64 s[24:25], exec, s[42:43]
; %bb.2065:                             ;   in Loop: Header=BB20_2044 Depth=2
	v_bfe_u32 v32, v27, 16, 1
	v_add3_u32 v32, v27, v32, s69
                                        ; implicit-def: $vgpr27
; %bb.2066:                             ;   in Loop: Header=BB20_2044 Depth=2
	s_andn2_saveexec_b64 s[42:43], s[24:25]
; %bb.2067:                             ;   in Loop: Header=BB20_2044 Depth=2
	v_or_b32_e32 v32, 0x10000, v27
	v_cmp_eq_u32_sdwa s[24:25], v27, v3 src0_sel:WORD_0 src1_sel:DWORD
	s_nop 1
	v_cndmask_b32_e64 v32, v32, v27, s[24:25]
; %bb.2068:                             ;   in Loop: Header=BB20_2044 Depth=2
	s_or_b64 exec, exec, s[42:43]
	v_lshlrev_b32_e32 v25, 16, v25
	v_lshlrev_b32_e32 v26, 16, v26
	v_max_f32_e32 v26, v26, v26
	v_max_f32_e32 v25, v25, v25
	v_min_f32_e32 v27, v25, v26
	v_max_f32_e32 v25, v25, v26
	v_cndmask_b32_e32 v25, v25, v27, vcc
	v_and_b32_e32 v26, 0x7f800000, v25
	v_cmp_ne_u32_e64 s[24:25], s68, v26
	flat_store_short_d16_hi v[16:17], v32 offset:640 nt
                                        ; implicit-def: $vgpr26
	s_and_saveexec_b64 s[42:43], s[24:25]
	s_xor_b64 s[24:25], exec, s[42:43]
; %bb.2069:                             ;   in Loop: Header=BB20_2044 Depth=2
	v_bfe_u32 v26, v25, 16, 1
	v_add3_u32 v26, v25, v26, s69
                                        ; implicit-def: $vgpr25
; %bb.2070:                             ;   in Loop: Header=BB20_2044 Depth=2
	s_andn2_saveexec_b64 s[42:43], s[24:25]
; %bb.2071:                             ;   in Loop: Header=BB20_2044 Depth=2
	v_or_b32_e32 v26, 0x10000, v25
	v_cmp_eq_u32_sdwa s[24:25], v25, v3 src0_sel:WORD_0 src1_sel:DWORD
	s_nop 1
	v_cndmask_b32_e64 v26, v26, v25, s[24:25]
; %bb.2072:                             ;   in Loop: Header=BB20_2044 Depth=2
	s_or_b64 exec, exec, s[42:43]
	v_lshlrev_b32_e32 v23, 16, v23
	v_lshlrev_b32_e32 v24, 16, v24
	v_max_f32_e32 v24, v24, v24
	v_max_f32_e32 v23, v23, v23
	v_min_f32_e32 v25, v23, v24
	v_max_f32_e32 v23, v23, v24
	v_cndmask_b32_e32 v23, v23, v25, vcc
	v_and_b32_e32 v24, 0x7f800000, v23
	v_cmp_ne_u32_e64 s[24:25], s68, v24
	flat_store_short_d16_hi v[16:17], v26 offset:768 nt
                                        ; implicit-def: $vgpr24
	s_and_saveexec_b64 s[42:43], s[24:25]
	s_xor_b64 s[24:25], exec, s[42:43]
; %bb.2073:                             ;   in Loop: Header=BB20_2044 Depth=2
	v_bfe_u32 v24, v23, 16, 1
	v_add3_u32 v24, v23, v24, s69
                                        ; implicit-def: $vgpr23
; %bb.2074:                             ;   in Loop: Header=BB20_2044 Depth=2
	s_andn2_saveexec_b64 s[42:43], s[24:25]
	s_cbranch_execz .LBB20_2043
; %bb.2075:                             ;   in Loop: Header=BB20_2044 Depth=2
	v_or_b32_e32 v24, 0x10000, v23
	v_cmp_eq_u32_sdwa s[24:25], v23, v3 src0_sel:WORD_0 src1_sel:DWORD
	s_nop 1
	v_cndmask_b32_e64 v24, v24, v23, s[24:25]
	s_branch .LBB20_2043
.LBB20_2076:                            ;   in Loop: Header=BB20_47 Depth=1
	s_or_b64 exec, exec, s[40:41]
.LBB20_2077:                            ;   in Loop: Header=BB20_47 Depth=1
	s_or_b64 exec, exec, s[28:29]
	v_lshlrev_b32_e32 v8, 10, v22
	v_cmp_ne_u32_e32 vcc, v90, v8
	s_and_b64 exec, exec, vcc
	s_cbranch_execz .LBB20_2081
; %bb.2078:                             ;   in Loop: Header=BB20_47 Depth=1
	v_lshlrev_b32_e32 v9, 6, v20
	v_sub_u32_e32 v9, v19, v9
	v_lshlrev_b32_e32 v10, 6, v21
	v_sub_u32_e32 v9, v9, v10
	v_ashrrev_i32_e32 v10, 31, v9
	v_lshrrev_b32_e32 v10, 26, v10
	v_add_u32_e32 v10, v9, v10
	v_and_b32_e32 v11, 0x7fffffc0, v10
	v_sub_u32_e32 v9, v9, v11
	v_lshlrev_b32_e32 v10, 1, v10
	v_and_b32_e32 v10, 0xffffff80, v10
	v_lshlrev_b32_e32 v9, 1, v9
	v_add3_u32 v8, v10, v9, v8
	v_sub_u32_e32 v10, v90, v8
	v_cmp_lt_i32_e32 vcc, 1, v10
	s_and_b64 exec, exec, vcc
	s_cbranch_execz .LBB20_2081
; %bb.2079:                             ;   in Loop: Header=BB20_47 Depth=1
	s_and_b32 s76, s52, 1
	v_add_u32_e32 v8, v8, v18
	s_cmp_eq_u64 s[76:77], 0
	v_ashrrev_i32_e32 v9, 31, v8
	s_mov_b64 s[28:29], 0
	s_cselect_b64 vcc, -1, 0
.LBB20_2080:                            ;   Parent Loop BB20_47 Depth=1
                                        ; =>  This Inner Loop Header: Depth=2
	v_lshl_add_u64 v[14:15], v[60:61], 0, v[8:9]
	v_lshl_add_u64 v[12:13], v[72:73], 0, v[8:9]
	flat_load_ushort v11, v[14:15] nt
	s_nop 0
	flat_load_ushort v14, v[12:13] nt
	v_sub_u32_e32 v10, v10, v102
	v_cmp_gt_i32_e64 s[24:25], 2, v10
	s_or_b64 s[28:29], s[24:25], s[28:29]
	v_lshl_add_u64 v[12:13], v[62:63], 0, v[8:9]
	v_lshl_add_u64 v[8:9], v[8:9], 0, v[102:103]
	s_waitcnt vmcnt(0) lgkmcnt(0)
	v_lshlrev_b32_e32 v11, 16, v11
	v_lshlrev_b32_e32 v14, 16, v14
	v_max_f32_e32 v14, v14, v14
	v_max_f32_e32 v11, v11, v11
	v_min_f32_e32 v15, v11, v14
	v_max_f32_e32 v11, v11, v14
	v_cndmask_b32_e32 v11, v11, v15, vcc
	v_and_b32_e32 v14, 0x7f800000, v11
	v_bfe_u32 v15, v11, 16, 1
	v_or_b32_e32 v16, 0x10000, v11
	v_cmp_eq_u32_sdwa s[24:25], v11, v3 src0_sel:WORD_0 src1_sel:DWORD
	v_add3_u32 v15, v11, v15, s69
	s_nop 0
	v_cndmask_b32_e64 v11, v16, v11, s[24:25]
	v_cmp_eq_u32_e64 s[24:25], s68, v14
	s_nop 1
	v_cndmask_b32_e64 v11, v15, v11, s[24:25]
	flat_store_short_d16_hi v[12:13], v11 nt
	s_andn2_b64 exec, exec, s[28:29]
	s_cbranch_execnz .LBB20_2080
.LBB20_2081:                            ;   in Loop: Header=BB20_47 Depth=1
	s_or_b64 exec, exec, s[26:27]
	v_cmp_lt_i32_e64 s[24:25], 0, v2
	s_and_saveexec_b64 s[26:27], s[6:7]
	s_cbranch_execz .LBB20_1898
.LBB20_2082:                            ;   in Loop: Header=BB20_47 Depth=1
	s_and_saveexec_b64 s[28:29], s[78:79]
	s_xor_b64 s[28:29], exec, s[28:29]
	s_cbranch_execz .LBB20_2097
; %bb.2083:                             ;   in Loop: Header=BB20_47 Depth=1
	s_and_saveexec_b64 s[40:41], s[14:15]
	s_cbranch_execz .LBB20_2096
; %bb.2084:                             ;   in Loop: Header=BB20_47 Depth=1
	s_mov_b64 s[44:45], exec
	v_mbcnt_lo_u32_b32 v2, s44, 0
	v_mbcnt_hi_u32_b32 v2, s45, v2
	v_cmp_eq_u32_e32 vcc, 0, v2
	s_waitcnt lgkmcnt(0)
	s_and_saveexec_b64 s[42:43], vcc
	s_cbranch_execz .LBB20_2086
; %bb.2085:                             ;   in Loop: Header=BB20_47 Depth=1
	s_bcnt1_i32_b64 s44, s[44:45]
	v_mov_b32_e32 v2, s44
	ds_add_u64 v0, v[2:3]
	s_trap 2
.LBB20_2086:                            ;   in Loop: Header=BB20_47 Depth=1
	s_or_b64 exec, exec, s[42:43]
	s_trap 2
	ds_read_b64 v[8:9], v0
	s_waitcnt lgkmcnt(0)
	v_lshl_add_u64 v[70:71], v[70:71], 0, v[84:85]
	v_cmp_lt_u64_e32 vcc, v[8:9], v[70:71]
	s_and_saveexec_b64 s[42:43], vcc
	s_cbranch_execz .LBB20_2095
; %bb.2087:                             ;   in Loop: Header=BB20_47 Depth=1
	s_mov_b32 s76, 0
	s_mov_b64 s[44:45], 0
                                        ; implicit-def: $sgpr46_sgpr47
                                        ; implicit-def: $sgpr56_sgpr57
	s_branch .LBB20_2089
.LBB20_2088:                            ;   in Loop: Header=BB20_2089 Depth=2
	s_or_b64 exec, exec, s[38:39]
	s_and_b64 s[58:59], exec, vcc
	s_or_b64 s[44:45], s[58:59], s[44:45]
	s_andn2_b64 s[46:47], s[46:47], exec
	s_and_b64 s[58:59], s[56:57], exec
	s_or_b64 s[46:47], s[46:47], s[58:59]
	s_andn2_b64 exec, exec, s[44:45]
	s_cbranch_execz .LBB20_2093
.LBB20_2089:                            ;   Parent Loop BB20_47 Depth=1
                                        ; =>  This Inner Loop Header: Depth=2
	s_add_i32 s76, s76, 1
	s_cmpk_lg_i32 s76, 0x2710
	s_cselect_b64 s[58:59], -1, 0
	s_and_b64 vcc, exec, s[58:59]
	s_cbranch_vccz .LBB20_2091
; %bb.2090:                             ;   in Loop: Header=BB20_2089 Depth=2
	s_mov_b64 vcc, -1
	s_or_b64 s[56:57], s[56:57], exec
	s_and_saveexec_b64 s[38:39], s[58:59]
	s_cbranch_execz .LBB20_2088
	s_branch .LBB20_2092
.LBB20_2091:                            ;   in Loop: Header=BB20_2089 Depth=2
	s_trap 2
	ds_read_b64 v[8:9], v0
	s_andn2_b64 s[58:59], s[58:59], exec
	s_mov_b32 s76, 0
	s_waitcnt vmcnt(0) lgkmcnt(0)
	flat_load_dword v2, v[8:9] sc0 sc1
	s_waitcnt vmcnt(0) lgkmcnt(0)
	buffer_inv sc0 sc1
	v_cmp_eq_u32_e32 vcc, 0, v2
	s_and_b64 vcc, vcc, exec
	s_or_b64 s[58:59], s[58:59], vcc
	s_mov_b64 vcc, -1
	s_or_b64 s[56:57], s[56:57], exec
	s_and_saveexec_b64 s[38:39], s[58:59]
	s_cbranch_execz .LBB20_2088
.LBB20_2092:                            ;   in Loop: Header=BB20_2089 Depth=2
	s_sleep 1
	s_trap 2
	ds_read_b64 v[8:9], v0
	s_waitcnt lgkmcnt(0)
	s_andn2_b64 s[56:57], s[56:57], exec
	v_cmp_ge_u64_e32 vcc, v[8:9], v[70:71]
	s_orn2_b64 vcc, vcc, exec
	s_branch .LBB20_2088
.LBB20_2093:                            ;   in Loop: Header=BB20_47 Depth=1
	s_or_b64 exec, exec, s[44:45]
	s_and_saveexec_b64 s[44:45], s[46:47]
	s_xor_b64 s[44:45], exec, s[44:45]
	s_cbranch_execz .LBB20_2095
; %bb.2094:                             ;   in Loop: Header=BB20_47 Depth=1
	ds_write_b32 v0, v95
	s_trap 2
.LBB20_2095:                            ;   in Loop: Header=BB20_47 Depth=1
	s_or_b64 exec, exec, s[42:43]
	;;#ASMSTART
	s_wakeup
	;;#ASMEND
.LBB20_2096:                            ;   in Loop: Header=BB20_47 Depth=1
	s_or_b64 exec, exec, s[40:41]
.LBB20_2097:                            ;   in Loop: Header=BB20_47 Depth=1
	s_andn2_saveexec_b64 s[28:29], s[28:29]
	s_cbranch_execz .LBB20_2099
; %bb.2098:                             ;   in Loop: Header=BB20_47 Depth=1
	s_waitcnt lgkmcnt(0)
	s_barrier
.LBB20_2099:                            ;   in Loop: Header=BB20_47 Depth=1
	s_or_b64 exec, exec, s[28:29]
	s_or_b64 exec, exec, s[26:27]
	s_and_saveexec_b64 s[26:27], s[22:23]
	s_xor_b64 s[26:27], exec, s[26:27]
	s_cbranch_execnz .LBB20_1899
.LBB20_2100:                            ;   in Loop: Header=BB20_47 Depth=1
	s_andn2_saveexec_b64 s[24:25], s[26:27]
	s_cbranch_execz .LBB20_2119
.LBB20_2101:                            ;   in Loop: Header=BB20_47 Depth=1
	s_and_saveexec_b64 s[26:27], s[78:79]
	s_xor_b64 s[26:27], exec, s[26:27]
	s_cbranch_execz .LBB20_2116
; %bb.2102:                             ;   in Loop: Header=BB20_47 Depth=1
	s_and_saveexec_b64 s[28:29], s[14:15]
	s_cbranch_execz .LBB20_2115
; %bb.2103:                             ;   in Loop: Header=BB20_47 Depth=1
	s_mov_b64 s[42:43], exec
	v_mbcnt_lo_u32_b32 v2, s42, 0
	v_mbcnt_hi_u32_b32 v2, s43, v2
	v_cmp_eq_u32_e32 vcc, 0, v2
	;;#ASMSTART
	s_waitcnt lgkmcnt(0) vmcnt(0)
	;;#ASMEND
	s_and_saveexec_b64 s[40:41], vcc
	s_cbranch_execz .LBB20_2105
; %bb.2104:                             ;   in Loop: Header=BB20_47 Depth=1
	s_bcnt1_i32_b64 s42, s[42:43]
	v_mov_b32_e32 v2, s42
	s_waitcnt lgkmcnt(0)
	ds_add_u64 v0, v[2:3]
	s_trap 2
.LBB20_2105:                            ;   in Loop: Header=BB20_47 Depth=1
	s_or_b64 exec, exec, s[40:41]
	s_trap 2
	ds_read_b64 v[8:9], v0
	s_waitcnt lgkmcnt(0)
	v_lshl_add_u64 v[70:71], v[70:71], 0, v[84:85]
	v_cmp_lt_u64_e32 vcc, v[8:9], v[70:71]
	s_and_saveexec_b64 s[40:41], vcc
	s_cbranch_execz .LBB20_2114
; %bb.2106:                             ;   in Loop: Header=BB20_47 Depth=1
	s_mov_b32 s76, 0
	s_mov_b64 s[42:43], 0
                                        ; implicit-def: $sgpr44_sgpr45
                                        ; implicit-def: $sgpr46_sgpr47
	s_branch .LBB20_2108
.LBB20_2107:                            ;   in Loop: Header=BB20_2108 Depth=2
	s_or_b64 exec, exec, s[58:59]
	s_and_b64 s[56:57], exec, vcc
	s_or_b64 s[42:43], s[56:57], s[42:43]
	s_andn2_b64 s[44:45], s[44:45], exec
	s_and_b64 s[56:57], s[46:47], exec
	s_or_b64 s[44:45], s[44:45], s[56:57]
	s_andn2_b64 exec, exec, s[42:43]
	s_cbranch_execz .LBB20_2112
.LBB20_2108:                            ;   Parent Loop BB20_47 Depth=1
                                        ; =>  This Inner Loop Header: Depth=2
	s_add_i32 s76, s76, 1
	s_cmpk_lg_i32 s76, 0x2710
	s_cselect_b64 s[56:57], -1, 0
	s_and_b64 vcc, exec, s[56:57]
	s_cbranch_vccz .LBB20_2110
; %bb.2109:                             ;   in Loop: Header=BB20_2108 Depth=2
	s_mov_b64 vcc, -1
	s_or_b64 s[46:47], s[46:47], exec
	s_and_saveexec_b64 s[58:59], s[56:57]
	s_cbranch_execz .LBB20_2107
	s_branch .LBB20_2111
.LBB20_2110:                            ;   in Loop: Header=BB20_2108 Depth=2
	s_trap 2
	ds_read_b64 v[8:9], v0
	s_andn2_b64 s[56:57], s[56:57], exec
	s_mov_b32 s76, 0
	s_waitcnt vmcnt(0) lgkmcnt(0)
	flat_load_dword v2, v[8:9] sc0 sc1
	s_waitcnt vmcnt(0) lgkmcnt(0)
	buffer_inv sc0 sc1
	v_cmp_eq_u32_e32 vcc, 0, v2
	s_and_b64 s[58:59], vcc, exec
	s_or_b64 s[56:57], s[56:57], s[58:59]
	s_mov_b64 vcc, -1
	s_or_b64 s[46:47], s[46:47], exec
	s_and_saveexec_b64 s[58:59], s[56:57]
	s_cbranch_execz .LBB20_2107
.LBB20_2111:                            ;   in Loop: Header=BB20_2108 Depth=2
	s_sleep 1
	s_trap 2
	ds_read_b64 v[8:9], v0
	s_waitcnt lgkmcnt(0)
	s_andn2_b64 s[46:47], s[46:47], exec
	v_cmp_ge_u64_e32 vcc, v[8:9], v[70:71]
	s_orn2_b64 vcc, vcc, exec
	s_branch .LBB20_2107
.LBB20_2112:                            ;   in Loop: Header=BB20_47 Depth=1
	s_or_b64 exec, exec, s[42:43]
	s_and_saveexec_b64 s[42:43], s[44:45]
	s_xor_b64 s[42:43], exec, s[42:43]
	s_cbranch_execz .LBB20_2114
; %bb.2113:                             ;   in Loop: Header=BB20_47 Depth=1
	ds_write_b32 v0, v95
	s_trap 2
.LBB20_2114:                            ;   in Loop: Header=BB20_47 Depth=1
	s_or_b64 exec, exec, s[40:41]
	;;#ASMSTART
	s_wakeup
	;;#ASMEND
.LBB20_2115:                            ;   in Loop: Header=BB20_47 Depth=1
	s_or_b64 exec, exec, s[28:29]
.LBB20_2116:                            ;   in Loop: Header=BB20_47 Depth=1
	s_andn2_saveexec_b64 s[26:27], s[26:27]
	s_cbranch_execz .LBB20_2118
; %bb.2117:                             ;   in Loop: Header=BB20_47 Depth=1
	;;#ASMSTART
	s_waitcnt lgkmcnt(0) vmcnt(0)
	;;#ASMEND
	s_barrier
.LBB20_2118:                            ;   in Loop: Header=BB20_47 Depth=1
	s_or_b64 exec, exec, s[26:27]
.LBB20_2119:                            ;   in Loop: Header=BB20_47 Depth=1
	s_or_b64 exec, exec, s[24:25]
	v_and_b32_e32 v2, 32, v92
	v_cmp_ne_u32_e32 vcc, 0, v2
	s_and_saveexec_b64 s[24:25], vcc
	s_cbranch_execz .LBB20_2121
; %bb.2120:                             ;   in Loop: Header=BB20_47 Depth=1
	v_lshl_add_u64 v[58:59], v[58:59], 0, 4
	flat_store_dwordx2 v[64:65], v[58:59] sc0 sc1
.LBB20_2121:                            ;   in Loop: Header=BB20_47 Depth=1
	s_or_b64 exec, exec, s[24:25]
	v_mov_b32_e32 v14, v89
.LBB20_2122:                            ;   in Loop: Header=BB20_47 Depth=1
	s_or_b64 exec, exec, s[62:63]
	s_and_saveexec_b64 s[26:27], s[60:61]
	s_cbranch_execz .LBB20_46
; %bb.2123:                             ;   in Loop: Header=BB20_47 Depth=1
	v_and_b32_e32 v2, 4, v92
	v_cmp_ne_u32_e32 vcc, 0, v2
	s_and_saveexec_b64 s[28:29], vcc
	s_cbranch_execz .LBB20_2133
; %bb.2124:                             ;   in Loop: Header=BB20_47 Depth=1
	v_lshl_add_u64 v[8:9], v[58:59], 0, 4
	s_waitcnt vmcnt(0) lgkmcnt(0)
	v_cmp_lt_u64_e32 vcc, v[80:81], v[8:9]
	s_and_saveexec_b64 s[40:41], vcc
	s_cbranch_execz .LBB20_2148
; %bb.2125:                             ;   in Loop: Header=BB20_47 Depth=1
	v_and_b32_e32 v2, 64, v92
	s_mov_b32 s76, 0
	v_cmp_eq_u32_e32 vcc, 0, v2
	s_mov_b64 s[42:43], 0
                                        ; implicit-def: $sgpr44_sgpr45
                                        ; implicit-def: $sgpr46_sgpr47
                                        ; implicit-def: $sgpr56_sgpr57
	s_branch .LBB20_2129
.LBB20_2126:                            ;   in Loop: Header=BB20_2129 Depth=2
	s_waitcnt vmcnt(0) lgkmcnt(0)
	v_cmp_ge_u64_e64 s[24:25], v[80:81], v[8:9]
	s_or_b64 s[62:63], s[62:63], exec
	s_orn2_b64 s[60:61], s[24:25], exec
.LBB20_2127:                            ;   in Loop: Header=BB20_2129 Depth=2
	s_or_b64 exec, exec, s[48:49]
	s_andn2_b64 s[24:25], s[56:57], exec
	s_and_b64 s[56:57], s[62:63], exec
	s_or_b64 s[56:57], s[24:25], s[56:57]
	s_andn2_b64 s[24:25], s[46:47], exec
	s_and_b64 s[46:47], s[60:61], exec
	s_or_b64 s[46:47], s[24:25], s[46:47]
.LBB20_2128:                            ;   in Loop: Header=BB20_2129 Depth=2
	s_or_b64 exec, exec, s[58:59]
	s_and_b64 s[24:25], exec, s[46:47]
	s_or_b64 s[42:43], s[24:25], s[42:43]
	s_andn2_b64 s[24:25], s[44:45], exec
	s_and_b64 s[44:45], s[56:57], exec
	s_or_b64 s[44:45], s[24:25], s[44:45]
	s_andn2_b64 exec, exec, s[42:43]
	s_cbranch_execz .LBB20_2145
.LBB20_2129:                            ;   Parent Loop BB20_47 Depth=1
                                        ; =>  This Inner Loop Header: Depth=2
	s_sleep 1
	s_waitcnt vmcnt(0) lgkmcnt(0)
	flat_load_dwordx2 v[80:81], v[64:65] sc0 sc1
	s_or_b64 s[56:57], s[56:57], exec
	s_or_b64 s[46:47], s[46:47], exec
                                        ; implicit-def: $vgpr2
	s_and_saveexec_b64 s[58:59], vcc
	s_cbranch_execz .LBB20_2128
; %bb.2130:                             ;   in Loop: Header=BB20_2129 Depth=2
	s_cmpk_lt_i32 s76, 0x270f
	s_cselect_b64 s[38:39], -1, 0
	s_cmpk_gt_i32 s76, 0x270e
	s_mov_b64 s[60:61], -1
	s_cbranch_scc0 .LBB20_2132
; %bb.2131:                             ;   in Loop: Header=BB20_2129 Depth=2
	s_trap 2
	ds_read_b64 v[10:11], v0
	s_andn2_b64 s[38:39], s[38:39], exec
	s_mov_b32 s76, 0
	s_mov_b64 s[62:63], 0
	s_waitcnt vmcnt(0) lgkmcnt(0)
	flat_load_dword v2, v[10:11] sc0 sc1
	s_waitcnt vmcnt(0) lgkmcnt(0)
	buffer_inv sc0 sc1
	v_cmp_eq_u32_e64 s[24:25], 0, v2
	s_and_b64 s[24:25], s[24:25], exec
	s_or_b64 s[38:39], s[38:39], s[24:25]
	s_and_saveexec_b64 s[48:49], s[38:39]
	s_cbranch_execz .LBB20_2127
	s_branch .LBB20_2126
.LBB20_2132:                            ;   in Loop: Header=BB20_2129 Depth=2
	s_add_i32 s76, s76, 1
	s_mov_b64 s[62:63], -1
                                        ; implicit-def: $vgpr2
	s_and_saveexec_b64 s[48:49], s[38:39]
	s_cbranch_execz .LBB20_2127
	s_branch .LBB20_2126
.LBB20_2133:                            ;   in Loop: Header=BB20_47 Depth=1
	s_or_b64 exec, exec, s[28:29]
	s_and_saveexec_b64 s[24:25], s[6:7]
	s_cbranch_execz .LBB20_2157
.LBB20_2134:                            ;   in Loop: Header=BB20_47 Depth=1
	s_and_saveexec_b64 s[28:29], s[78:79]
	s_xor_b64 s[28:29], exec, s[28:29]
	s_cbranch_execz .LBB20_2165
; %bb.2135:                             ;   in Loop: Header=BB20_47 Depth=1
	s_and_saveexec_b64 s[40:41], s[14:15]
	s_cbranch_execz .LBB20_2164
; %bb.2136:                             ;   in Loop: Header=BB20_47 Depth=1
	s_mov_b64 s[44:45], exec
	v_mbcnt_lo_u32_b32 v2, s44, 0
	v_mbcnt_hi_u32_b32 v2, s45, v2
	v_cmp_eq_u32_e32 vcc, 0, v2
	s_waitcnt lgkmcnt(0)
	s_and_saveexec_b64 s[42:43], vcc
	s_cbranch_execz .LBB20_2138
; %bb.2137:                             ;   in Loop: Header=BB20_47 Depth=1
	s_bcnt1_i32_b64 s44, s[44:45]
	v_mov_b32_e32 v2, s44
	ds_add_u64 v0, v[2:3]
	s_trap 2
.LBB20_2138:                            ;   in Loop: Header=BB20_47 Depth=1
	s_or_b64 exec, exec, s[42:43]
	s_trap 2
	ds_read_b64 v[8:9], v0
	s_waitcnt lgkmcnt(0)
	v_lshl_add_u64 v[70:71], v[70:71], 0, v[84:85]
	v_cmp_lt_u64_e32 vcc, v[8:9], v[70:71]
	s_and_saveexec_b64 s[42:43], vcc
	s_cbranch_execz .LBB20_2163
; %bb.2139:                             ;   in Loop: Header=BB20_47 Depth=1
	s_mov_b32 s76, 0
	s_mov_b64 s[44:45], 0
                                        ; implicit-def: $sgpr46_sgpr47
                                        ; implicit-def: $sgpr56_sgpr57
	s_branch .LBB20_2141
.LBB20_2140:                            ;   in Loop: Header=BB20_2141 Depth=2
	s_or_b64 exec, exec, s[60:61]
	s_and_b64 s[58:59], exec, s[62:63]
	s_or_b64 s[44:45], s[58:59], s[44:45]
	s_andn2_b64 s[46:47], s[46:47], exec
	s_and_b64 s[58:59], s[56:57], exec
	s_or_b64 s[46:47], s[46:47], s[58:59]
	s_andn2_b64 exec, exec, s[44:45]
	s_cbranch_execz .LBB20_2161
.LBB20_2141:                            ;   Parent Loop BB20_47 Depth=1
                                        ; =>  This Inner Loop Header: Depth=2
	s_add_i32 s76, s76, 1
	s_cmpk_lg_i32 s76, 0x2710
	s_cselect_b64 s[58:59], -1, 0
	s_and_b64 vcc, exec, s[58:59]
	s_cbranch_vccz .LBB20_2143
; %bb.2142:                             ;   in Loop: Header=BB20_2141 Depth=2
	s_mov_b64 s[62:63], -1
	s_or_b64 s[56:57], s[56:57], exec
	s_and_saveexec_b64 s[60:61], s[58:59]
	s_cbranch_execz .LBB20_2140
	s_branch .LBB20_2144
.LBB20_2143:                            ;   in Loop: Header=BB20_2141 Depth=2
	s_trap 2
	ds_read_b64 v[8:9], v0
	s_andn2_b64 s[58:59], s[58:59], exec
	s_mov_b32 s76, 0
	s_waitcnt vmcnt(0) lgkmcnt(0)
	flat_load_dword v2, v[8:9] sc0 sc1
	s_waitcnt vmcnt(0) lgkmcnt(0)
	buffer_inv sc0 sc1
	v_cmp_eq_u32_e32 vcc, 0, v2
	s_and_b64 s[60:61], vcc, exec
	s_or_b64 s[58:59], s[58:59], s[60:61]
	s_mov_b64 s[62:63], -1
	s_or_b64 s[56:57], s[56:57], exec
	s_and_saveexec_b64 s[60:61], s[58:59]
	s_cbranch_execz .LBB20_2140
.LBB20_2144:                            ;   in Loop: Header=BB20_2141 Depth=2
	s_sleep 1
	s_trap 2
	ds_read_b64 v[8:9], v0
	s_waitcnt lgkmcnt(0)
	s_andn2_b64 s[56:57], s[56:57], exec
	v_cmp_ge_u64_e32 vcc, v[8:9], v[70:71]
	s_orn2_b64 s[62:63], vcc, exec
	s_branch .LBB20_2140
.LBB20_2145:                            ;   in Loop: Header=BB20_47 Depth=1
	s_or_b64 exec, exec, s[42:43]
	s_xor_b64 s[24:25], s[44:45], -1
	s_and_saveexec_b64 s[42:43], s[24:25]
	s_xor_b64 s[24:25], exec, s[42:43]
	s_cbranch_execz .LBB20_2147
; %bb.2146:                             ;   in Loop: Header=BB20_47 Depth=1
	v_or_b32_e32 v92, 64, v92
	s_waitcnt lgkmcnt(0)
	ds_write_b32 v0, v2
	s_trap 2
.LBB20_2147:                            ;   in Loop: Header=BB20_47 Depth=1
	s_or_b64 exec, exec, s[24:25]
.LBB20_2148:                            ;   in Loop: Header=BB20_47 Depth=1
	s_or_b64 exec, exec, s[40:41]
	v_and_b32_e32 v2, 0x100, v92
	v_cmp_ne_u32_e32 vcc, 0, v2
	v_and_b32_e32 v2, 7, v58
	s_mov_b64 s[24:25], -1
	;;#ASMSTART
	s_wakeup
	;;#ASMEND
                                        ; implicit-def: $vgpr10_vgpr11
	s_and_saveexec_b64 s[40:41], vcc
	s_cbranch_execz .LBB20_2152
; %bb.2149:                             ;   in Loop: Header=BB20_47 Depth=1
	v_mad_u64_u32 v[12:13], s[24:25], v2, 24, v[6:7]
	flat_load_dword v10, v[12:13]
	s_waitcnt vmcnt(0) lgkmcnt(0)
	v_cmp_ne_u32_e32 vcc, 1, v10
	v_cmp_eq_u32_e64 s[24:25], 1, v10
                                        ; implicit-def: $vgpr10_vgpr11
	s_and_saveexec_b64 s[42:43], s[24:25]
	s_cbranch_execz .LBB20_2151
; %bb.2150:                             ;   in Loop: Header=BB20_47 Depth=1
	flat_load_dword v10, v[12:13] offset:4 sc0 sc1
	s_waitcnt vmcnt(0) lgkmcnt(0)
	v_ashrrev_i32_e32 v11, 31, v10
	v_lshrrev_b64 v[10:11], 1, v[10:11]
.LBB20_2151:                            ;   in Loop: Header=BB20_47 Depth=1
	s_or_b64 exec, exec, s[42:43]
	s_orn2_b64 s[24:25], vcc, exec
.LBB20_2152:                            ;   in Loop: Header=BB20_47 Depth=1
	s_or_b64 exec, exec, s[40:41]
	s_and_saveexec_b64 s[40:41], s[24:25]
; %bb.2153:                             ;   in Loop: Header=BB20_47 Depth=1
	v_mad_i64_i32 v[10:11], s[24:25], v2, v30, 0
; %bb.2154:                             ;   in Loop: Header=BB20_47 Depth=1
	s_or_b64 exec, exec, s[40:41]
	v_and_b32_e32 v2, 0x2000, v92
	v_lshl_add_u64 v[10:11], v[10:11], 1, v[66:67]
	v_cmp_ne_u32_e32 vcc, 0, v2
	ds_write_b64 v0, v[10:11] offset:720
	s_and_saveexec_b64 s[24:25], vcc
	s_cbranch_execz .LBB20_2156
; %bb.2155:                             ;   in Loop: Header=BB20_47 Depth=1
	ds_read_b64 v[10:11], v0 offset:872
	s_waitcnt lgkmcnt(0)
	v_lshl_add_u64 v[10:11], v[10:11], 0, 1
	ds_write_b64 v0, v[10:11] offset:872
.LBB20_2156:                            ;   in Loop: Header=BB20_47 Depth=1
	s_or_b64 exec, exec, s[24:25]
	v_mov_b64_e32 v[58:59], v[8:9]
	s_or_b64 exec, exec, s[28:29]
	s_and_saveexec_b64 s[24:25], s[6:7]
	s_cbranch_execnz .LBB20_2134
.LBB20_2157:                            ;   in Loop: Header=BB20_47 Depth=1
	s_or_b64 exec, exec, s[24:25]
	s_and_saveexec_b64 s[24:25], s[22:23]
	s_xor_b64 s[24:25], exec, s[24:25]
	s_cbranch_execz .LBB20_2168
.LBB20_2158:                            ;   in Loop: Header=BB20_47 Depth=1
	s_trap 2
	ds_read_b32 v2, v0
	v_sub_u32_e32 v8, v88, v14
	v_min_i32_e32 v8, v89, v8
	v_cmp_lt_i32_e32 vcc, 0, v8
	s_waitcnt lgkmcnt(0)
	v_readfirstlane_b32 s28, v2
	s_cmp_eq_u32 s28, 0
	s_cselect_b64 s[28:29], -1, 0
	v_and_b32_e32 v2, 16, v92
	s_and_b64 s[28:29], vcc, s[28:29]
	v_cmp_ne_u32_e32 vcc, 0, v2
	s_and_b64 s[40:41], vcc, s[28:29]
	s_and_saveexec_b64 s[28:29], s[40:41]
	s_cbranch_execz .LBB20_2160
; %bb.2159:                             ;   in Loop: Header=BB20_47 Depth=1
	buffer_wbl2 sc1
	s_waitcnt vmcnt(0)
	buffer_inv sc1
.LBB20_2160:                            ;   in Loop: Header=BB20_47 Depth=1
	s_or_b64 exec, exec, s[28:29]
	s_andn2_saveexec_b64 s[24:25], s[24:25]
	s_cbranch_execz .LBB20_2187
	s_branch .LBB20_2169
.LBB20_2161:                            ;   in Loop: Header=BB20_47 Depth=1
	s_or_b64 exec, exec, s[44:45]
	s_and_saveexec_b64 s[44:45], s[46:47]
	s_xor_b64 s[44:45], exec, s[44:45]
	s_cbranch_execz .LBB20_2163
; %bb.2162:                             ;   in Loop: Header=BB20_47 Depth=1
	ds_write_b32 v0, v95
	s_trap 2
.LBB20_2163:                            ;   in Loop: Header=BB20_47 Depth=1
	s_or_b64 exec, exec, s[42:43]
	;;#ASMSTART
	s_wakeup
	;;#ASMEND
.LBB20_2164:                            ;   in Loop: Header=BB20_47 Depth=1
	s_or_b64 exec, exec, s[40:41]
.LBB20_2165:                            ;   in Loop: Header=BB20_47 Depth=1
	s_andn2_saveexec_b64 s[28:29], s[28:29]
	s_cbranch_execz .LBB20_2167
; %bb.2166:                             ;   in Loop: Header=BB20_47 Depth=1
	s_waitcnt lgkmcnt(0)
	s_barrier
.LBB20_2167:                            ;   in Loop: Header=BB20_47 Depth=1
	s_or_b64 exec, exec, s[28:29]
	s_or_b64 exec, exec, s[24:25]
	s_and_saveexec_b64 s[24:25], s[22:23]
	s_xor_b64 s[24:25], exec, s[24:25]
	s_cbranch_execnz .LBB20_2158
.LBB20_2168:                            ;   in Loop: Header=BB20_47 Depth=1
	s_andn2_saveexec_b64 s[24:25], s[24:25]
	s_cbranch_execz .LBB20_2187
.LBB20_2169:                            ;   in Loop: Header=BB20_47 Depth=1
	s_and_saveexec_b64 s[28:29], s[78:79]
	s_xor_b64 s[28:29], exec, s[28:29]
	s_cbranch_execz .LBB20_2184
; %bb.2170:                             ;   in Loop: Header=BB20_47 Depth=1
	s_and_saveexec_b64 s[40:41], s[14:15]
	s_cbranch_execz .LBB20_2183
; %bb.2171:                             ;   in Loop: Header=BB20_47 Depth=1
	s_mov_b64 s[44:45], exec
	v_mbcnt_lo_u32_b32 v2, s44, 0
	v_mbcnt_hi_u32_b32 v2, s45, v2
	v_cmp_eq_u32_e32 vcc, 0, v2
	;;#ASMSTART
	s_waitcnt lgkmcnt(0) vmcnt(0)
	;;#ASMEND
	s_and_saveexec_b64 s[42:43], vcc
	s_cbranch_execz .LBB20_2173
; %bb.2172:                             ;   in Loop: Header=BB20_47 Depth=1
	s_bcnt1_i32_b64 s44, s[44:45]
	v_mov_b32_e32 v2, s44
	s_waitcnt lgkmcnt(0)
	ds_add_u64 v0, v[2:3]
	s_trap 2
.LBB20_2173:                            ;   in Loop: Header=BB20_47 Depth=1
	s_or_b64 exec, exec, s[42:43]
	s_trap 2
	ds_read_b64 v[8:9], v0
	s_waitcnt lgkmcnt(0)
	v_lshl_add_u64 v[70:71], v[70:71], 0, v[84:85]
	v_cmp_lt_u64_e32 vcc, v[8:9], v[70:71]
	s_and_saveexec_b64 s[42:43], vcc
	s_cbranch_execz .LBB20_2182
; %bb.2174:                             ;   in Loop: Header=BB20_47 Depth=1
	s_mov_b32 s76, 0
	s_mov_b64 s[44:45], 0
                                        ; implicit-def: $sgpr46_sgpr47
                                        ; implicit-def: $sgpr56_sgpr57
	s_branch .LBB20_2176
.LBB20_2175:                            ;   in Loop: Header=BB20_2176 Depth=2
	s_or_b64 exec, exec, s[60:61]
	s_and_b64 s[58:59], exec, s[62:63]
	s_or_b64 s[44:45], s[58:59], s[44:45]
	s_andn2_b64 s[46:47], s[46:47], exec
	s_and_b64 s[58:59], s[56:57], exec
	s_or_b64 s[46:47], s[46:47], s[58:59]
	s_andn2_b64 exec, exec, s[44:45]
	s_cbranch_execz .LBB20_2180
.LBB20_2176:                            ;   Parent Loop BB20_47 Depth=1
                                        ; =>  This Inner Loop Header: Depth=2
	s_add_i32 s76, s76, 1
	s_cmpk_lg_i32 s76, 0x2710
	s_cselect_b64 s[58:59], -1, 0
	s_and_b64 vcc, exec, s[58:59]
	s_cbranch_vccz .LBB20_2178
; %bb.2177:                             ;   in Loop: Header=BB20_2176 Depth=2
	s_mov_b64 s[62:63], -1
	s_or_b64 s[56:57], s[56:57], exec
	s_and_saveexec_b64 s[60:61], s[58:59]
	s_cbranch_execz .LBB20_2175
	s_branch .LBB20_2179
.LBB20_2178:                            ;   in Loop: Header=BB20_2176 Depth=2
	s_trap 2
	ds_read_b64 v[8:9], v0
	s_andn2_b64 s[58:59], s[58:59], exec
	s_mov_b32 s76, 0
	s_waitcnt vmcnt(0) lgkmcnt(0)
	flat_load_dword v2, v[8:9] sc0 sc1
	s_waitcnt vmcnt(0) lgkmcnt(0)
	buffer_inv sc0 sc1
	v_cmp_eq_u32_e32 vcc, 0, v2
	s_and_b64 s[60:61], vcc, exec
	s_or_b64 s[58:59], s[58:59], s[60:61]
	s_mov_b64 s[62:63], -1
	s_or_b64 s[56:57], s[56:57], exec
	s_and_saveexec_b64 s[60:61], s[58:59]
	s_cbranch_execz .LBB20_2175
.LBB20_2179:                            ;   in Loop: Header=BB20_2176 Depth=2
	s_sleep 1
	s_trap 2
	ds_read_b64 v[8:9], v0
	s_waitcnt lgkmcnt(0)
	s_andn2_b64 s[56:57], s[56:57], exec
	v_cmp_ge_u64_e32 vcc, v[8:9], v[70:71]
	s_orn2_b64 s[62:63], vcc, exec
	s_branch .LBB20_2175
.LBB20_2180:                            ;   in Loop: Header=BB20_47 Depth=1
	s_or_b64 exec, exec, s[44:45]
	s_and_saveexec_b64 s[44:45], s[46:47]
	s_xor_b64 s[44:45], exec, s[44:45]
	s_cbranch_execz .LBB20_2182
; %bb.2181:                             ;   in Loop: Header=BB20_47 Depth=1
	ds_write_b32 v0, v95
	s_trap 2
.LBB20_2182:                            ;   in Loop: Header=BB20_47 Depth=1
	s_or_b64 exec, exec, s[42:43]
	;;#ASMSTART
	s_wakeup
	;;#ASMEND
.LBB20_2183:                            ;   in Loop: Header=BB20_47 Depth=1
	s_or_b64 exec, exec, s[40:41]
.LBB20_2184:                            ;   in Loop: Header=BB20_47 Depth=1
	s_andn2_saveexec_b64 s[28:29], s[28:29]
	s_cbranch_execz .LBB20_2186
; %bb.2185:                             ;   in Loop: Header=BB20_47 Depth=1
	;;#ASMSTART
	s_waitcnt lgkmcnt(0) vmcnt(0)
	;;#ASMEND
	s_barrier
.LBB20_2186:                            ;   in Loop: Header=BB20_47 Depth=1
	s_or_b64 exec, exec, s[28:29]
.LBB20_2187:                            ;   in Loop: Header=BB20_47 Depth=1
	s_or_b64 exec, exec, s[24:25]
	v_and_b32_e32 v2, 32, v92
	v_cmp_ne_u32_e32 vcc, 0, v2
	s_and_saveexec_b64 s[24:25], vcc
	s_cbranch_execz .LBB20_45
; %bb.2188:                             ;   in Loop: Header=BB20_47 Depth=1
	v_lshl_add_u64 v[58:59], v[58:59], 0, 4
	flat_store_dwordx2 v[64:65], v[58:59] sc0 sc1
	s_branch .LBB20_45
.LBB20_2189:
	s_or_b64 exec, exec, s[88:89]
.LBB20_2190:
	s_or_b64 exec, exec, s[74:75]
	v_and_b32_e32 v0, 0x800, v92
	v_cmp_eq_u32_e32 vcc, 0, v0
	s_and_saveexec_b64 s[2:3], vcc
	s_cbranch_execz .LBB20_2223
; %bb.2191:
	v_and_b32_e32 v0, 48, v92
	v_cmp_ne_u32_e32 vcc, 0, v0
	s_and_saveexec_b64 s[0:1], vcc
	s_cbranch_execz .LBB20_2193
; %bb.2192:
	flat_store_dwordx2 v[54:55], v[58:59] offset:104
.LBB20_2193:
	s_or_b64 exec, exec, s[0:1]
	s_movk_i32 s0, 0x88
	v_and_b32_e32 v0, 0x88, v92
	v_cmp_eq_u32_e32 vcc, s0, v0
	s_and_saveexec_b64 s[4:5], vcc
	s_cbranch_execz .LBB20_2203
; %bb.2194:
	v_bitop3_b32 v0, v58, 4, 7 bitop3:0x6c
	v_mad_u64_u32 v[2:3], s[0:1], v0, 24, v[6:7]
	flat_load_dwordx2 v[4:5], v[2:3] offset:8 sc0 sc1
	s_waitcnt vmcnt(0)
	v_and_b32_e32 v0, 64, v92
	v_cmp_eq_u32_e64 s[0:1], 0, v0
	s_mov_b32 s18, 0
	s_waitcnt lgkmcnt(0)
	v_cmp_ne_u64_e32 vcc, -1, v[4:5]
	s_and_b64 s[0:1], vcc, s[0:1]
	s_and_b64 exec, exec, s[0:1]
	s_cbranch_execz .LBB20_2203
; %bb.2195:
	s_mov_b64 s[0:1], 0
                                        ; implicit-def: $sgpr6_sgpr7
                                        ; implicit-def: $sgpr10_sgpr11
	s_branch .LBB20_2198
.LBB20_2196:                            ;   in Loop: Header=BB20_2198 Depth=1
	flat_load_dwordx2 v[4:5], v[2:3] offset:8 sc0 sc1
	s_waitcnt vmcnt(0)
	s_andn2_b64 s[10:11], s[10:11], exec
	s_waitcnt lgkmcnt(0)
	v_cmp_eq_u64_e32 vcc, -1, v[4:5]
	s_orn2_b64 s[14:15], vcc, exec
.LBB20_2197:                            ;   in Loop: Header=BB20_2198 Depth=1
	s_or_b64 exec, exec, s[16:17]
	s_and_b64 s[12:13], exec, s[14:15]
	s_or_b64 s[0:1], s[12:13], s[0:1]
	s_andn2_b64 s[6:7], s[6:7], exec
	s_and_b64 s[12:13], s[10:11], exec
	s_or_b64 s[6:7], s[6:7], s[12:13]
	s_andn2_b64 exec, exec, s[0:1]
	s_cbranch_execz .LBB20_2201
.LBB20_2198:                            ; =>This Inner Loop Header: Depth=1
	s_cmpk_lt_i32 s18, 0x270f
	s_cselect_b64 s[12:13], -1, 0
	s_and_b64 vcc, exec, s[12:13]
	s_cbranch_vccnz .LBB20_2200
; %bb.2199:                             ;   in Loop: Header=BB20_2198 Depth=1
	s_trap 2
	ds_read_b64 v[4:5], v0
	s_andn2_b64 s[12:13], s[12:13], exec
	s_mov_b32 s18, 0
	s_waitcnt lgkmcnt(0)
	flat_load_dword v0, v[4:5] sc0 sc1
	s_waitcnt vmcnt(0) lgkmcnt(0)
	buffer_inv sc0 sc1
	v_cmp_eq_u32_e32 vcc, 0, v0
	s_and_b64 s[14:15], vcc, exec
	s_or_b64 s[12:13], s[12:13], s[14:15]
	s_mov_b64 s[14:15], -1
	s_or_b64 s[10:11], s[10:11], exec
	s_and_saveexec_b64 s[16:17], s[12:13]
	s_cbranch_execz .LBB20_2197
	s_branch .LBB20_2196
.LBB20_2200:                            ;   in Loop: Header=BB20_2198 Depth=1
	s_add_i32 s18, s18, 1
                                        ; implicit-def: $vgpr0
	s_mov_b64 s[14:15], -1
	s_or_b64 s[10:11], s[10:11], exec
	s_and_saveexec_b64 s[16:17], s[12:13]
	s_cbranch_execz .LBB20_2197
	s_branch .LBB20_2196
.LBB20_2201:
	s_or_b64 exec, exec, s[0:1]
	s_and_saveexec_b64 s[0:1], s[6:7]
	s_xor_b64 s[0:1], exec, s[0:1]
	s_cbranch_execz .LBB20_2203
; %bb.2202:
	ds_write_b32 v0, v0
	s_trap 2
.LBB20_2203:
	s_or_b64 exec, exec, s[4:5]
	v_and_b32_e32 v0, 0x2000, v92
	v_cmp_ne_u32_e32 vcc, 0, v0
	s_and_saveexec_b64 s[0:1], vcc
	s_cbranch_execz .LBB20_2205
; %bb.2204:
	ds_read_b64 v[2:3], v0 offset:872
	s_waitcnt lgkmcnt(0)
	flat_store_dwordx2 v[52:53], v[2:3] offset:16
.LBB20_2205:
	s_or_b64 exec, exec, s[0:1]
	v_cmp_ne_u32_e32 vcc, 64, v1
	s_and_b64 exec, exec, vcc
	s_cbranch_execz .LBB20_2223
; %bb.2206:
	v_cmp_ne_u32_sdwa s[0:1], v1, v82 src0_sel:DWORD src1_sel:WORD_0
	s_and_saveexec_b64 s[4:5], s[0:1]
	s_xor_b64 s[0:1], exec, s[4:5]
	s_cbranch_execz .LBB20_2221
; %bb.2207:
	v_and_b32_e32 v0, 63, v31
	v_cmp_eq_u32_e32 vcc, 0, v0
	s_and_saveexec_b64 s[4:5], vcc
	s_cbranch_execz .LBB20_2220
; %bb.2208:
	s_mov_b64 s[10:11], exec
	v_mbcnt_lo_u32_b32 v0, s10, 0
	v_mbcnt_hi_u32_b32 v0, s11, v0
	v_cmp_eq_u32_e32 vcc, 0, v0
	s_waitcnt lgkmcnt(0)
	s_and_saveexec_b64 s[6:7], vcc
	s_cbranch_execz .LBB20_2210
; %bb.2209:
	s_bcnt1_i32_b64 s10, s[10:11]
	v_mov_b32_e32 v2, s10
	v_mov_b32_e32 v3, 0
	ds_add_u64 v0, v[2:3]
	s_trap 2
.LBB20_2210:
	s_or_b64 exec, exec, s[6:7]
	s_trap 2
	ds_read_b64 v[2:3], v0
	s_waitcnt lgkmcnt(0)
	v_lshrrev_b32_e32 v0, 6, v1
	v_mov_b32_e32 v1, 0
	v_lshl_add_u64 v[0:1], v[70:71], 0, v[0:1]
	v_cmp_lt_u64_e32 vcc, v[2:3], v[0:1]
	s_and_saveexec_b64 s[6:7], vcc
	s_cbranch_execz .LBB20_2219
; %bb.2211:
	s_mov_b32 s22, 0
	s_mov_b64 s[10:11], 0
                                        ; implicit-def: $sgpr12_sgpr13
                                        ; implicit-def: $sgpr14_sgpr15
	s_branch .LBB20_2213
.LBB20_2212:                            ;   in Loop: Header=BB20_2213 Depth=1
	s_or_b64 exec, exec, s[18:19]
	s_and_b64 s[16:17], exec, s[20:21]
	s_or_b64 s[10:11], s[16:17], s[10:11]
	s_andn2_b64 s[12:13], s[12:13], exec
	s_and_b64 s[16:17], s[14:15], exec
	s_or_b64 s[12:13], s[12:13], s[16:17]
	s_andn2_b64 exec, exec, s[10:11]
	s_cbranch_execz .LBB20_2217
.LBB20_2213:                            ; =>This Inner Loop Header: Depth=1
	s_add_i32 s22, s22, 1
	s_cmpk_lg_i32 s22, 0x2710
	s_cselect_b64 s[16:17], -1, 0
	s_and_b64 vcc, exec, s[16:17]
	s_cbranch_vccz .LBB20_2215
; %bb.2214:                             ;   in Loop: Header=BB20_2213 Depth=1
	s_mov_b64 s[20:21], -1
	s_or_b64 s[14:15], s[14:15], exec
	s_and_saveexec_b64 s[18:19], s[16:17]
	s_cbranch_execz .LBB20_2212
	s_branch .LBB20_2216
.LBB20_2215:                            ;   in Loop: Header=BB20_2213 Depth=1
	s_trap 2
	ds_read_b64 v[2:3], v0
	s_andn2_b64 s[16:17], s[16:17], exec
	s_mov_b32 s22, 0
	s_waitcnt vmcnt(0) lgkmcnt(0)
	flat_load_dword v2, v[2:3] sc0 sc1
	s_waitcnt vmcnt(0) lgkmcnt(0)
	buffer_inv sc0 sc1
	v_cmp_eq_u32_e32 vcc, 0, v2
	s_and_b64 s[18:19], vcc, exec
	s_or_b64 s[16:17], s[16:17], s[18:19]
	s_mov_b64 s[20:21], -1
	s_or_b64 s[14:15], s[14:15], exec
	s_and_saveexec_b64 s[18:19], s[16:17]
	s_cbranch_execz .LBB20_2212
.LBB20_2216:                            ;   in Loop: Header=BB20_2213 Depth=1
	s_sleep 1
	s_trap 2
	ds_read_b64 v[2:3], v0
	s_waitcnt lgkmcnt(0)
	s_andn2_b64 s[14:15], s[14:15], exec
	v_cmp_ge_u64_e32 vcc, v[2:3], v[0:1]
	s_orn2_b64 s[20:21], vcc, exec
	s_branch .LBB20_2212
.LBB20_2217:
	s_or_b64 exec, exec, s[10:11]
	s_and_saveexec_b64 s[10:11], s[12:13]
	s_xor_b64 s[10:11], exec, s[10:11]
	s_cbranch_execz .LBB20_2219
; %bb.2218:
	v_mov_b32_e32 v0, 1
	ds_write_b32 v0, v0
	s_trap 2
.LBB20_2219:
	s_or_b64 exec, exec, s[6:7]
	;;#ASMSTART
	s_wakeup
	;;#ASMEND
.LBB20_2220:
	s_or_b64 exec, exec, s[4:5]
.LBB20_2221:
	s_andn2_saveexec_b64 s[0:1], s[0:1]
	s_cbranch_execz .LBB20_2223
; %bb.2222:
	s_waitcnt lgkmcnt(0)
	s_barrier
.LBB20_2223:
	s_or_b64 exec, exec, s[2:3]
.LBB20_2224:
	s_andn2_saveexec_b64 s[22:23], s[72:73]
	s_cbranch_execz .LBB20_2226
; %bb.2225:
	s_getpc_b64 s[0:1]
	s_add_u32 s0, s0, __PRETTY_FUNCTION__._ZN10PrimitivesI12hip_bfloat1610FuncMinMaxIS0_E12FanSymmetricILi1EELi0E11ProtoSimpleILi1ELi4ELi1ELi2ELi0ELi0EELi0ELb0ELi0ELi0ELi1EEC2EiiPKiS9_PKvPvmhhhP15ncclDevWorkCollP14ncclDevWorkP2pii@rel32@lo+4
	s_addc_u32 s1, s1, __PRETTY_FUNCTION__._ZN10PrimitivesI12hip_bfloat1610FuncMinMaxIS0_E12FanSymmetricILi1EELi0E11ProtoSimpleILi1ELi4ELi1ELi2ELi0ELi0EELi0ELb0ELi0ELi0ELi1EEC2EiiPKiS9_PKvPvmhhhP15ncclDevWorkCollP14ncclDevWorkP2pii@rel32@hi+12
	s_getpc_b64 s[2:3]
	s_add_u32 s2, s2, __assert_fail@rel32@lo+4
	s_addc_u32 s3, s3, __assert_fail@rel32@hi+12
	v_mov_b32_e32 v0, s0
	v_mov_b32_e32 v1, s1
	s_swappc_b64 s[30:31], s[2:3]
	; divergent unreachable
.LBB20_2226:
	s_or_b64 exec, exec, s[22:23]
	scratch_load_dword v126, off, s33       ; 4-byte Folded Reload
	scratch_load_dword v125, off, s33 offset:4 ; 4-byte Folded Reload
	scratch_load_dword v124, off, s33 offset:8 ; 4-byte Folded Reload
	scratch_load_dword v123, off, s33 offset:12 ; 4-byte Folded Reload
	scratch_load_dword v122, off, s33 offset:16 ; 4-byte Folded Reload
	scratch_load_dword v121, off, s33 offset:20 ; 4-byte Folded Reload
	scratch_load_dword v120, off, s33 offset:24 ; 4-byte Folded Reload
	scratch_load_dword v111, off, s33 offset:28 ; 4-byte Folded Reload
	scratch_load_dword v110, off, s33 offset:32 ; 4-byte Folded Reload
	scratch_load_dword v109, off, s33 offset:36 ; 4-byte Folded Reload
	scratch_load_dword v108, off, s33 offset:40 ; 4-byte Folded Reload
	scratch_load_dword v107, off, s33 offset:44 ; 4-byte Folded Reload
	scratch_load_dword v106, off, s33 offset:48 ; 4-byte Folded Reload
	scratch_load_dword v105, off, s33 offset:52 ; 4-byte Folded Reload
	scratch_load_dword v104, off, s33 offset:56 ; 4-byte Folded Reload
	scratch_load_dword v95, off, s33 offset:60 ; 4-byte Folded Reload
	scratch_load_dword v94, off, s33 offset:64 ; 4-byte Folded Reload
	scratch_load_dword v93, off, s33 offset:68 ; 4-byte Folded Reload
	scratch_load_dword v92, off, s33 offset:72 ; 4-byte Folded Reload
	scratch_load_dword v91, off, s33 offset:76 ; 4-byte Folded Reload
	scratch_load_dword v90, off, s33 offset:80 ; 4-byte Folded Reload
	scratch_load_dword v89, off, s33 offset:84 ; 4-byte Folded Reload
	scratch_load_dword v88, off, s33 offset:88 ; 4-byte Folded Reload
	scratch_load_dword v79, off, s33 offset:92 ; 4-byte Folded Reload
	scratch_load_dword v78, off, s33 offset:96 ; 4-byte Folded Reload
	scratch_load_dword v77, off, s33 offset:100 ; 4-byte Folded Reload
	scratch_load_dword v76, off, s33 offset:104 ; 4-byte Folded Reload
	scratch_load_dword v75, off, s33 offset:108 ; 4-byte Folded Reload
	scratch_load_dword v74, off, s33 offset:112 ; 4-byte Folded Reload
	s_waitcnt lgkmcnt(0)
	scratch_load_dword v73, off, s33 offset:116 ; 4-byte Folded Reload
	scratch_load_dword v72, off, s33 offset:120 ; 4-byte Folded Reload
	;; [unrolled: 1-line block ×18, first 2 shown]
	v_readlane_b32 s30, v127, 30
	v_readlane_b32 s31, v127, 31
	;; [unrolled: 1-line block ×32, first 2 shown]
	s_mov_b32 s32, s33
	v_readlane_b32 s0, v127, 32
	s_or_saveexec_b64 s[2:3], -1
	scratch_load_dword v127, off, s33 offset:188 ; 4-byte Folded Reload
	s_mov_b64 exec, s[2:3]
	s_mov_b32 s33, s0
	s_waitcnt vmcnt(0)
	s_setpc_b64 s[30:31]
.Lfunc_end20:
	.size	_ZN12_GLOBAL__N_17runRingI12hip_bfloat1610FuncMinMaxIS1_E11ProtoSimpleILi1ELi4ELi1ELi2ELi0ELi0EELi0ELi1ELi2ELi0EEEviiP15ncclDevWorkColl, .Lfunc_end20-_ZN12_GLOBAL__N_17runRingI12hip_bfloat1610FuncMinMaxIS1_E11ProtoSimpleILi1ELi4ELi1ELi2ELi0ELi0EELi0ELi1ELi2ELi0EEEviiP15ncclDevWorkColl
                                        ; -- End function
	.set .L_ZN12_GLOBAL__N_17runRingI12hip_bfloat1610FuncMinMaxIS1_E11ProtoSimpleILi1ELi4ELi1ELi2ELi0ELi0EELi0ELi1ELi2ELi0EEEviiP15ncclDevWorkColl.num_vgpr, max(128, .L__assert_fail.num_vgpr)
	.set .L_ZN12_GLOBAL__N_17runRingI12hip_bfloat1610FuncMinMaxIS1_E11ProtoSimpleILi1ELi4ELi1ELi2ELi0ELi0EELi0ELi1ELi2ELi0EEEviiP15ncclDevWorkColl.num_agpr, max(0, .L__assert_fail.num_agpr)
	.set .L_ZN12_GLOBAL__N_17runRingI12hip_bfloat1610FuncMinMaxIS1_E11ProtoSimpleILi1ELi4ELi1ELi2ELi0ELi0EELi0ELi1ELi2ELi0EEEviiP15ncclDevWorkColl.numbered_sgpr, max(96, .L__assert_fail.numbered_sgpr)
	.set .L_ZN12_GLOBAL__N_17runRingI12hip_bfloat1610FuncMinMaxIS1_E11ProtoSimpleILi1ELi4ELi1ELi2ELi0ELi0EELi0ELi1ELi2ELi0EEEviiP15ncclDevWorkColl.num_named_barrier, max(0, .L__assert_fail.num_named_barrier)
	.set .L_ZN12_GLOBAL__N_17runRingI12hip_bfloat1610FuncMinMaxIS1_E11ProtoSimpleILi1ELi4ELi1ELi2ELi0ELi0EELi0ELi1ELi2ELi0EEEviiP15ncclDevWorkColl.private_seg_size, 208+max(.L__assert_fail.private_seg_size)
	.set .L_ZN12_GLOBAL__N_17runRingI12hip_bfloat1610FuncMinMaxIS1_E11ProtoSimpleILi1ELi4ELi1ELi2ELi0ELi0EELi0ELi1ELi2ELi0EEEviiP15ncclDevWorkColl.uses_vcc, or(1, .L__assert_fail.uses_vcc)
	.set .L_ZN12_GLOBAL__N_17runRingI12hip_bfloat1610FuncMinMaxIS1_E11ProtoSimpleILi1ELi4ELi1ELi2ELi0ELi0EELi0ELi1ELi2ELi0EEEviiP15ncclDevWorkColl.uses_flat_scratch, or(0, .L__assert_fail.uses_flat_scratch)
	.set .L_ZN12_GLOBAL__N_17runRingI12hip_bfloat1610FuncMinMaxIS1_E11ProtoSimpleILi1ELi4ELi1ELi2ELi0ELi0EELi0ELi1ELi2ELi0EEEviiP15ncclDevWorkColl.has_dyn_sized_stack, or(0, .L__assert_fail.has_dyn_sized_stack)
	.set .L_ZN12_GLOBAL__N_17runRingI12hip_bfloat1610FuncMinMaxIS1_E11ProtoSimpleILi1ELi4ELi1ELi2ELi0ELi0EELi0ELi1ELi2ELi0EEEviiP15ncclDevWorkColl.has_recursion, or(1, .L__assert_fail.has_recursion)
	.set .L_ZN12_GLOBAL__N_17runRingI12hip_bfloat1610FuncMinMaxIS1_E11ProtoSimpleILi1ELi4ELi1ELi2ELi0ELi0EELi0ELi1ELi2ELi0EEEviiP15ncclDevWorkColl.has_indirect_call, or(0, .L__assert_fail.has_indirect_call)
	.section	.AMDGPU.csdata,"",@progbits
; Function info:
; codeLenInByte = 70712
; TotalNumSgprs: 102
; NumVgprs: 128
; NumAgprs: 0
; TotalNumVgprs: 128
; ScratchSize: 272
; MemoryBound: 1
	.text
	.p2align	2                               ; -- Begin function _ZN12_GLOBAL__N_17runRingI12hip_bfloat1610FuncMinMaxIS1_E11ProtoSimpleILi2ELi2ELi1ELi2ELi0ELi0EELi0ELi1ELi2ELi0EEEviiP15ncclDevWorkColl
	.type	_ZN12_GLOBAL__N_17runRingI12hip_bfloat1610FuncMinMaxIS1_E11ProtoSimpleILi2ELi2ELi1ELi2ELi0ELi0EELi0ELi1ELi2ELi0EEEviiP15ncclDevWorkColl,@function
_ZN12_GLOBAL__N_17runRingI12hip_bfloat1610FuncMinMaxIS1_E11ProtoSimpleILi2ELi2ELi1ELi2ELi0ELi0EELi0ELi1ELi2ELi0EEEviiP15ncclDevWorkColl: ; @_ZN12_GLOBAL__N_17runRingI12hip_bfloat1610FuncMinMaxIS1_E11ProtoSimpleILi2ELi2ELi1ELi2ELi0ELi0EELi0ELi1ELi2ELi0EEEviiP15ncclDevWorkColl
; %bb.0:
	s_waitcnt vmcnt(0) expcnt(0) lgkmcnt(0)
	s_mov_b32 s0, s33
	s_mov_b32 s33, s32
	s_or_saveexec_b64 s[2:3], -1
	scratch_store_dword off, v127, s33 offset:200 ; 4-byte Folded Spill
	s_mov_b64 exec, s[2:3]
	v_writelane_b32 v127, s0, 35
	s_addk_i32 s32, 0xd0
	scratch_store_dword off, v40, s33 offset:184 ; 4-byte Folded Spill
	scratch_store_dword off, v41, s33 offset:180 ; 4-byte Folded Spill
	;; [unrolled: 1-line block ×46, first 2 shown]
	scratch_store_dword off, v126, s33      ; 4-byte Folded Spill
	v_writelane_b32 v127, s34, 0
	v_writelane_b32 v127, s35, 1
	;; [unrolled: 1-line block ×34, first 2 shown]
	s_nop 1
	v_writelane_b32 v127, s31, 34
	s_trap 2
	flat_load_dword v9, v[2:3]
	ds_read_b32 v6, v0
                                        ; implicit-def: $vgpr14_vgpr15
                                        ; implicit-def: $vgpr28_vgpr29
                                        ; implicit-def: $vgpr4_vgpr5
	s_waitcnt lgkmcnt(0)
	v_readfirstlane_b32 s66, v6
	s_waitcnt vmcnt(0)
	v_cmp_ne_u32_sdwa s[0:1], v6, v9 src0_sel:DWORD src1_sel:BYTE_0
	s_and_saveexec_b64 s[2:3], s[0:1]
	s_xor_b64 s[0:1], exec, s[2:3]
	s_cbranch_execz .LBB21_6
; %bb.1:
	v_not_b32_sdwa v8, v9 dst_sel:DWORD dst_unused:UNUSED_PAD src0_sel:BYTE_0
	v_cmp_ne_u32_sdwa s[2:3], v6, v9 src0_sel:DWORD src1_sel:BYTE_1
                                        ; implicit-def: $vgpr14_vgpr15
                                        ; implicit-def: $vgpr28_vgpr29
                                        ; implicit-def: $vgpr4_vgpr5
	s_and_saveexec_b64 s[4:5], s[2:3]
	s_xor_b64 s[2:3], exec, s[4:5]
	s_cbranch_execz .LBB21_3
; %bb.2:
	flat_load_dwordx4 v[10:13], v[2:3] offset:72
	flat_load_dwordx2 v[4:5], v[2:3] offset:96
	v_add_u32_e32 v6, v6, v8
	v_ashrrev_i32_e32 v7, 31, v6
                                        ; implicit-def: $vgpr9
                                        ; implicit-def: $vgpr8
	s_waitcnt vmcnt(0) lgkmcnt(0)
	v_mul_lo_u32 v7, v12, v7
	v_mad_u64_u32 v[28:29], s[4:5], v12, v6, v[10:11]
	v_mul_lo_u32 v6, v13, v6
	v_lshrrev_b64 v[14:15], 13, v[4:5]
	v_add3_u32 v29, v6, v29, v7
	v_mov_b64_e32 v[4:5], v[12:13]
.LBB21_3:
	s_andn2_saveexec_b64 s[2:3], s[2:3]
	s_cbranch_execz .LBB21_5
; %bb.4:
	flat_load_dwordx4 v[10:13], v[2:3] offset:72
	flat_load_dwordx4 v[4:7], v[2:3] offset:88
	s_waitcnt vmcnt(0) lgkmcnt(0)
	v_add_u32_sdwa v6, v9, v8 dst_sel:DWORD dst_unused:UNUSED_PAD src0_sel:BYTE_1 src1_sel:DWORD
	v_ashrrev_i32_e32 v8, 31, v6
	v_mul_lo_u32 v8, v12, v8
	v_mad_u64_u32 v[28:29], s[4:5], v12, v6, v[10:11]
	v_mul_lo_u32 v6, v13, v6
	v_add3_u32 v29, v6, v29, v8
	v_lshrrev_b32_e32 v14, 2, v7
.LBB21_5:
	s_or_b64 exec, exec, s[2:3]
.LBB21_6:
	s_andn2_saveexec_b64 s[0:1], s[0:1]
	s_cbranch_execz .LBB21_8
; %bb.7:
	flat_load_dwordx2 v[6:7], v[2:3] offset:96
	flat_load_dwordx2 v[4:5], v[2:3] offset:72
	v_mov_b64_e32 v[28:29], 0
	s_waitcnt vmcnt(0) lgkmcnt(0)
	v_lshlrev_b64 v[14:15], 8, v[6:7]
.LBB21_8:
	s_or_b64 exec, exec, s[0:1]
	s_trap 2
	ds_read_b64 v[6:7], v0
	s_waitcnt lgkmcnt(0)
	v_cmp_ne_u32_e32 vcc, -1, v6
	s_nop 1
	v_cndmask_b32_e64 v15, 0, 1, vcc
	v_cmp_ne_u32_e32 vcc, -1, v7
	s_nop 1
	v_addc_co_u32_e64 v8, s[0:1], 0, v15, vcc
	v_lshlrev_b32_e32 v6, 1, v8
	v_cmp_le_u32_e64 s[0:1], v6, v1
	s_and_saveexec_b64 s[2:3], s[0:1]
	s_xor_b64 s[62:63], exec, s[2:3]
	s_cbranch_execz .LBB21_2244
; %bb.9:
	flat_load_dwordx4 v[10:13], v[2:3] offset:16
	flat_load_dwordx2 v[16:17], v[2:3] offset:104
	flat_load_ushort v7, v[2:3] offset:8
	flat_load_dword v6, v[2:3] offset:4
	s_trap 2
	s_load_dword s0, s[8:9], 0x0
	v_mov_b32_e32 v9, 0
	v_mov_b32_e32 v104, 4
	s_waitcnt lgkmcnt(0)
	s_cmp_lt_u32 s12, s0
	s_cselect_b32 s0, 12, 18
	s_add_u32 s0, s8, s0
	s_addc_u32 s1, s9, 0
	global_load_ushort v21, v9, s[0:1]
	ds_read_b32 v9, v0
	v_cmp_ge_u32_e64 s[0:1], v0, v15
	s_waitcnt lgkmcnt(0)
	v_readfirstlane_b32 s20, v9
	s_and_saveexec_b64 s[2:3], s[0:1]
	s_cbranch_execz .LBB21_19
; %bb.10:
	v_cmp_ge_u32_e64 s[0:1], v0, v8
                                        ; implicit-def: $vgpr104
	s_and_saveexec_b64 s[4:5], s[0:1]
	s_xor_b64 s[0:1], exec, s[4:5]
	s_cbranch_execz .LBB21_16
; %bb.11:
	v_cndmask_b32_e64 v9, 0, 1, vcc
	v_sub_u32_e32 v9, v1, v9
	v_cmp_ge_u32_e32 vcc, v0, v9
	s_and_saveexec_b64 s[4:5], vcc
	s_xor_b64 s[4:5], exec, s[4:5]
; %bb.12:
                                        ; implicit-def: $vgpr8
; %bb.13:
	s_or_saveexec_b64 s[4:5], s[4:5]
	v_mov_b32_e32 v104, 16
	s_xor_b64 exec, exec, s[4:5]
; %bb.14:
	v_sub_u32_e32 v8, v1, v8
	v_cmp_lt_i32_e32 vcc, v0, v8
	s_nop 1
	v_cndmask_b32_e64 v104, 32, 0, vcc
; %bb.15:
	s_or_b64 exec, exec, s[4:5]
.LBB21_16:
	s_andn2_saveexec_b64 s[0:1], s[0:1]
; %bb.17:
	v_mov_b32_e32 v104, 8
; %bb.18:
	s_or_b64 exec, exec, s[0:1]
.LBB21_19:
	s_or_b64 exec, exec, s[2:3]
	v_and_b32_e32 v8, 36, v104
	v_cmp_ne_u32_e32 vcc, 0, v8
	v_mov_b32_e32 v8, -1
	s_and_saveexec_b64 s[0:1], vcc
	s_cbranch_execz .LBB21_21
; %bb.20:
	s_trap 2
	ds_read_b32 v8, v0
.LBB21_21:
	s_or_b64 exec, exec, s[0:1]
	v_and_b32_e32 v9, 24, v104
	v_cmp_ne_u32_e64 s[0:1], 0, v9
	s_and_saveexec_b64 s[2:3], s[0:1]
	s_cbranch_execz .LBB21_23
; %bb.22:
	s_trap 2
	s_waitcnt lgkmcnt(0)
	ds_read_b32 v8, v0
.LBB21_23:
	s_or_b64 exec, exec, s[2:3]
	s_waitcnt vmcnt(0)
	v_lshrrev_b64 v[6:7], 31, v[6:7]
	v_and_b32_e32 v20, 3, v6
                                        ; implicit-def: $vgpr6_vgpr7
	v_mov_b64_e32 v[54:55], 0
                                        ; kill: killed $vgpr6_vgpr7
	v_mov_b64_e32 v[6:7], 0
                                        ; implicit-def: $vgpr30
                                        ; implicit-def: $vgpr58_vgpr59
                                        ; implicit-def: $vgpr66_vgpr67
                                        ; implicit-def: $vgpr80_vgpr81
                                        ; implicit-def: $vgpr64_vgpr65
	s_and_saveexec_b64 s[0:1], vcc
	s_cbranch_execz .LBB21_33
; %bb.24:
	s_trap 2
	ds_read_b64 v[6:7], v0
	s_waitcnt lgkmcnt(1)
	v_ashrrev_i32_e32 v9, 31, v8
	s_movk_i32 s2, 0xa8
	s_waitcnt lgkmcnt(0)
	v_lshl_add_u64 v[6:7], v[8:9], 3, v[6:7]
	flat_load_dwordx2 v[6:7], v[6:7]
	v_and_b32_e32 v9, 0xffff, v20
	s_waitcnt vmcnt(0) lgkmcnt(0)
	v_mad_u64_u32 v[18:19], s[2:3], v9, s2, v[6:7]
	flat_load_dword v6, v[18:19] offset:640
	s_waitcnt vmcnt(0) lgkmcnt(0)
	v_cmp_eq_u32_e32 vcc, 1, v6
                                        ; implicit-def: $vgpr6_vgpr7
                                        ; kill: killed $vgpr6_vgpr7
	s_and_saveexec_b64 s[2:3], vcc
	s_cbranch_execz .LBB21_26
; %bb.25:
	flat_load_dwordx2 v[22:23], v[18:19] offset:648
	v_or_b32_e32 v104, 0x2000, v104
	s_waitcnt vmcnt(0) lgkmcnt(0)
	flat_load_dwordx2 v[6:7], v[22:23]
	s_trap 2
	scratch_store_dwordx2 off, v[22:23], s33 offset:192 ; 8-byte Folded Spill
	s_waitcnt vmcnt(0) lgkmcnt(0)
	ds_write_b64 v0, v[6:7]
	flat_load_dwordx2 v[6:7], v[22:23] offset:8
	s_waitcnt vmcnt(0) lgkmcnt(0)
	ds_write_b64 v0, v[6:7]
	flat_load_dwordx2 v[6:7], v[22:23] offset:16
	s_waitcnt vmcnt(0) lgkmcnt(0)
	ds_write_b64 v0, v[6:7]
.LBB21_26:
	s_or_b64 exec, exec, s[2:3]
	flat_load_dwordx2 v[6:7], v[18:19] offset:608
	v_and_b32_e32 v9, 32, v104
	v_cmp_ne_u32_e32 vcc, 0, v9
                                        ; implicit-def: $vgpr64_vgpr65
	s_waitcnt vmcnt(0) lgkmcnt(0)
	v_lshl_add_u64 v[58:59], v[6:7], 0, 3
	v_and_b32_e32 v58, -4, v58
	s_and_saveexec_b64 s[2:3], vcc
	s_cbranch_execz .LBB21_28
; %bb.27:
	flat_load_dwordx2 v[64:65], v[18:19] offset:560
	s_waitcnt vmcnt(0) lgkmcnt(0)
	flat_store_dwordx2 v[64:65], v[58:59] sc0 sc1
.LBB21_28:
	s_or_b64 exec, exec, s[2:3]
	s_mov_b64 s[2:3], 0x1f8
	v_and_b32_e32 v6, 4, v104
	v_lshl_add_u64 v[54:55], v[18:19], 0, s[2:3]
	v_cmp_ne_u32_e32 vcc, 0, v6
	v_mov_b64_e32 v[6:7], 0
                                        ; implicit-def: $vgpr30
                                        ; implicit-def: $vgpr66_vgpr67
                                        ; implicit-def: $vgpr80_vgpr81
	s_and_saveexec_b64 s[2:3], vcc
	s_cbranch_execz .LBB21_32
; %bb.29:
	v_and_b32_e32 v6, 0x800, v104
	v_cmp_eq_u32_e32 vcc, 0, v6
	s_and_saveexec_b64 s[4:5], vcc
	s_cbranch_execz .LBB21_31
; %bb.30:
	s_trap 2
	ds_write_b64 v0, v[54:55]
.LBB21_31:
	s_or_b64 exec, exec, s[4:5]
	flat_load_dwordx2 v[64:65], v[18:19] offset:552
	s_waitcnt vmcnt(0) lgkmcnt(0)
	flat_load_dwordx2 v[80:81], v[64:65] sc0 sc1
	flat_load_dword v9, v[18:19] offset:576
	flat_load_dwordx2 v[6:7], v[18:19] offset:600
	flat_load_dwordx2 v[66:67], v[18:19] offset:520
	v_or_b32_e32 v18, 0x100, v104
	s_waitcnt vmcnt(0) lgkmcnt(0)
	v_ashrrev_i32_e32 v30, 1, v9
	v_cmp_eq_u64_e32 vcc, 0, v[6:7]
	s_nop 1
	v_cndmask_b32_e32 v104, v18, v104, vcc
.LBB21_32:
	s_or_b64 exec, exec, s[2:3]
.LBB21_33:
	s_or_b64 exec, exec, s[0:1]
	v_and_b32_e32 v9, 24, v104
	v_cmp_ne_u32_e32 vcc, 0, v9
                                        ; implicit-def: $vgpr68_vgpr69
	s_and_saveexec_b64 s[0:1], vcc
	s_cbranch_execz .LBB21_41
; %bb.34:
	s_trap 2
	ds_read_b64 v[6:7], v0
	s_waitcnt lgkmcnt(0)
	v_ashrrev_i32_e32 v9, 31, v8
	s_movk_i32 s2, 0xa8
	v_or_b32_e32 v18, 0x100, v104
                                        ; implicit-def: $vgpr68_vgpr69
	v_lshl_add_u64 v[6:7], v[8:9], 3, v[6:7]
	flat_load_dwordx2 v[6:7], v[6:7]
	v_and_b32_e32 v8, 0xffff, v20
	s_waitcnt vmcnt(0) lgkmcnt(0)
	v_mad_u64_u32 v[54:55], s[2:3], v8, s2, v[6:7]
	flat_load_dwordx4 v[6:9], v[54:55] offset:96
	s_waitcnt vmcnt(0) lgkmcnt(0)
	v_cmp_eq_u64_e32 vcc, 0, v[6:7]
	s_nop 1
	v_cndmask_b32_e32 v104, v18, v104, vcc
	v_and_b32_e32 v18, 16, v104
	v_cmp_ne_u32_e32 vcc, 0, v18
	s_and_saveexec_b64 s[2:3], vcc
	s_cbranch_execz .LBB21_36
; %bb.35:
	flat_load_dwordx2 v[64:65], v[54:55] offset:48
	flat_load_dwordx2 v[68:69], v[54:55] offset:120
	;; [unrolled: 1-line block ×3, first 2 shown]
.LBB21_36:
	s_or_b64 exec, exec, s[2:3]
	v_lshl_add_u64 v[58:59], v[8:9], 0, 3
	v_and_b32_e32 v8, 8, v104
	v_and_b32_e32 v58, -4, v58
	v_cmp_ne_u32_e32 vcc, 0, v8
	s_and_saveexec_b64 s[2:3], vcc
	s_cbranch_execz .LBB21_40
; %bb.37:
	v_and_b32_e32 v8, 0x800, v104
	v_cmp_eq_u32_e32 vcc, 0, v8
	s_and_saveexec_b64 s[4:5], vcc
	s_cbranch_execz .LBB21_39
; %bb.38:
	s_trap 2
	ds_write_b64 v0, v[54:55]
.LBB21_39:
	s_or_b64 exec, exec, s[4:5]
	s_waitcnt vmcnt(0) lgkmcnt(0)
	flat_load_dwordx2 v[64:65], v[54:55] offset:56
	s_waitcnt vmcnt(0) lgkmcnt(0)
	flat_load_dwordx2 v[80:81], v[64:65] sc0 sc1
	flat_load_dword v8, v[54:55] offset:72
	flat_load_dwordx2 v[66:67], v[54:55] offset:16
	s_waitcnt vmcnt(0) lgkmcnt(0)
	v_ashrrev_i32_e32 v30, 1, v8
.LBB21_40:
	s_or_b64 exec, exec, s[2:3]
.LBB21_41:
	s_or_b64 exec, exec, s[0:1]
	v_cmp_eq_u32_e64 s[0:1], 0, v0
	s_and_saveexec_b64 s[2:3], s[0:1]
	s_cbranch_execz .LBB21_43
; %bb.42:
	s_waitcnt lgkmcnt(0)
	flat_load_dwordx2 v[8:9], v[2:3] offset:32
	ds_write2_b64 v0, v[12:13], v[10:11] offset1:1
	s_trap 2
	s_waitcnt vmcnt(0) lgkmcnt(0)
	ds_write_b64 v0, v[8:9]
	ds_write_b64 v0, v[16:17]
.LBB21_43:
	s_or_b64 exec, exec, s[2:3]
	v_mov_b64_e32 v[70:71], 0
	v_cmp_lt_i64_e32 vcc, 0, v[4:5]
	s_and_saveexec_b64 s[72:73], vcc
	s_cbranch_execz .LBB21_2210
; %bb.44:
	s_waitcnt lgkmcnt(0)
	flat_load_dword v8, v[2:3] offset:4
	s_ashr_i32 s14, s20, 31
	s_lshr_b32 s21, s14, 29
	s_add_i32 s20, s20, s21
	s_ashr_i32 s67, s66, 31
	s_ashr_i32 s21, s20, 4
	s_add_u32 s92, s66, -1
	s_addc_u32 s93, s67, -1
	s_add_i32 s81, s66, s66
	s_not_b32 s22, s66
	s_cmp_gt_i32 s66, 0
	s_cselect_b32 s22, s22, -1
	s_ashr_i32 s20, s20, 31
	s_lshr_b32 s20, s20, 28
	s_add_i32 s82, s22, s81
	s_add_i32 s21, s21, s20
	s_ashr_i32 s83, s82, 31
	s_ashr_i32 s84, s21, 4
	s_cmp_gt_i32 s66, 2
	v_and_b32_e32 v2, 0x1fffff00, v14
	v_lshrrev_b32_e32 v84, 6, v1
	v_lshlrev_b32_e32 v10, 1, v1
	s_cselect_b64 s[94:95], -1, 0
	s_add_i32 s22, s66, 1
	v_and_b32_e32 v9, 63, v31
	v_and_b32_e32 v105, 63, v0
	v_mad_i64_i32 v[96:97], s[12:13], v2, s66, 0
	v_lshlrev_b32_e32 v100, 10, v84
	v_and_b32_e32 v102, 0x7f80, v10
	v_lshrrev_b32_e32 v106, 6, v0
	v_cmp_eq_u32_e64 s[12:13], 0, v9
	v_lshlrev_b32_e32 v9, 4, v105
	v_add_u32_e32 v40, 0xfffffc00, v100
	v_add_u32_e32 v42, 0xffffff80, v102
	v_mov_b32_e32 v3, 0
	v_cmp_ge_u32_e32 vcc, v0, v1
	s_mov_b64 s[88:89], 0x400
	s_mov_b64 s[90:91], 0x80
	v_lshl_or_b32 v116, v106, 12, v9
	v_ashrrev_i32_e32 v41, 31, v40
	v_ashrrev_i32_e32 v43, 31, v42
	s_mov_b32 s75, 0
	v_ashrrev_i32_e32 v83, 31, v30
	v_cmp_eq_u32_e64 s[2:3], 64, v1
	v_cmp_ne_u32_e64 s[4:5], 64, v1
	v_cmp_ne_u32_sdwa s[76:77], v1, v21 src0_sel:DWORD src1_sel:WORD_0
	s_mov_b64 s[78:79], 0
	s_waitcnt vmcnt(0)
	v_cmp_eq_u64_e64 s[6:7], 0, v[68:69]
	v_cmp_ne_u64_e64 s[10:11], 0, v[68:69]
	s_movk_i32 s68, 0xff80
	v_mov_b64_e32 v[86:87], 0
	v_mov_b64_e32 v[70:71], 0
	v_mov_b32_e32 v107, 1
	s_movk_i32 s69, 0x108
	s_mov_b32 s70, 0x7f800000
	s_movk_i32 s71, 0x7fff
	s_mov_b32 s80, 0xffff0000
	v_mov_b32_e32 v85, v3
	v_cmp_eq_u32_e64 s[14:15], 0, v105
	v_cmp_lt_u32_e64 s[16:17], v105, v15
	v_lshlrev_b32_e32 v98, 12, v84
	v_mov_b32_e32 v99, v3
	v_mov_b32_e32 v101, v3
	;; [unrolled: 1-line block ×3, first 2 shown]
	v_cmp_le_u32_e64 s[18:19], v105, v15
	v_mov_b32_e32 v113, v3
	v_lshlrev_b32_e32 v114, 11, v84
	v_mov_b32_e32 v115, v3
	v_mov_b32_e32 v117, v3
	;; [unrolled: 1-line block ×3, first 2 shown]
	v_lshl_or_b32 v112, v106, 11, v9
	v_or_b32_e32 v118, 0xc00, v116
	v_lshl_add_u64 v[44:45], v[40:41], 0, s[88:89]
	v_lshl_add_u64 v[46:47], v[42:43], 0, s[90:91]
	s_mov_b64 s[36:37], 0x380
	s_movk_i32 s96, 0xfc80
	v_mov_b32_e32 v52, v3
	v_mov_b32_e32 v53, v3
	;; [unrolled: 1-line block ×3, first 2 shown]
	s_waitcnt lgkmcnt(0)
	v_and_b32_e32 v8, 1, v8
	v_cmp_eq_u32_e64 s[20:21], 1, v8
	s_xor_b64 s[30:31], s[20:21], -1
	s_cmp_ge_i32 s22, s66
	s_cselect_b32 s23, s66, 0
	s_sub_i32 s86, s22, s23
	s_add_i32 s85, s66, -2
	s_xor_b64 s[34:35], vcc, -1
	s_ashr_i32 s87, s86, 31
	v_mov_b32_e32 v109, 0x90
	v_mov_b32_e32 v110, 0xd0
	;; [unrolled: 1-line block ×3, first 2 shown]
	v_mov_b64_e32 v[56:57], v[2:3]
	s_trap 2
	scratch_store_dword off, v21, s33 offset:188 ; 4-byte Folded Spill
	s_branch .LBB21_47
.LBB21_45:                              ;   in Loop: Header=BB21_47 Depth=1
	s_or_b64 exec, exec, s[26:27]
.LBB21_46:                              ;   in Loop: Header=BB21_47 Depth=1
	s_or_b64 exec, exec, s[24:25]
	v_lshl_add_u64 v[86:87], v[86:87], 0, v[96:97]
	v_cmp_ge_i64_e32 vcc, v[86:87], v[4:5]
	s_or_b64 s[78:79], vcc, s[78:79]
	s_andn2_b64 exec, exec, s[78:79]
	s_cbranch_execz .LBB21_2209
.LBB21_47:                              ; =>This Loop Header: Depth=1
                                        ;     Child Loop BB21_57 Depth 2
                                        ;       Child Loop BB21_65 Depth 3
                                        ;       Child Loop BB21_89 Depth 3
	;; [unrolled: 1-line block ×9, first 2 shown]
                                        ;     Child Loop BB21_197 Depth 2
                                        ;       Child Loop BB21_203 Depth 3
                                        ;       Child Loop BB21_227 Depth 3
	;; [unrolled: 1-line block ×3, first 2 shown]
                                        ;     Child Loop BB21_269 Depth 2
                                        ;       Child Loop BB21_272 Depth 3
                                        ;         Child Loop BB21_280 Depth 4
                                        ;         Child Loop BB21_308 Depth 4
	;; [unrolled: 1-line block ×9, first 2 shown]
                                        ;       Child Loop BB21_548 Depth 3
                                        ;         Child Loop BB21_554 Depth 4
                                        ;         Child Loop BB21_582 Depth 4
	;; [unrolled: 1-line block ×3, first 2 shown]
                                        ;     Child Loop BB21_623 Depth 2
                                        ;       Child Loop BB21_631 Depth 3
                                        ;       Child Loop BB21_659 Depth 3
	;; [unrolled: 1-line block ×9, first 2 shown]
                                        ;         Child Loop BB21_873 Depth 4
                                        ;       Child Loop BB21_881 Depth 3
                                        ;       Child Loop BB21_949 Depth 3
                                        ;         Child Loop BB21_954 Depth 4
                                        ;       Child Loop BB21_1218 Depth 3
                                        ;       Child Loop BB21_1237 Depth 3
                                        ;     Child Loop BB21_1255 Depth 2
                                        ;       Child Loop BB21_1261 Depth 3
                                        ;       Child Loop BB21_1289 Depth 3
	;; [unrolled: 1-line block ×3, first 2 shown]
                                        ;     Child Loop BB21_1331 Depth 2
                                        ;       Child Loop BB21_1334 Depth 3
                                        ;         Child Loop BB21_1342 Depth 4
                                        ;         Child Loop BB21_1370 Depth 4
	;; [unrolled: 1-line block ×9, first 2 shown]
                                        ;           Child Loop BB21_1488 Depth 5
                                        ;         Child Loop BB21_1496 Depth 4
                                        ;         Child Loop BB21_1532 Depth 4
                                        ;           Child Loop BB21_1533 Depth 5
                                        ;         Child Loop BB21_1729 Depth 4
                                        ;         Child Loop BB21_1748 Depth 4
                                        ;       Child Loop BB21_1766 Depth 3
                                        ;         Child Loop BB21_1772 Depth 4
                                        ;         Child Loop BB21_1800 Depth 4
	;; [unrolled: 1-line block ×3, first 2 shown]
                                        ;     Child Loop BB21_1845 Depth 2
                                        ;       Child Loop BB21_1853 Depth 3
                                        ;       Child Loop BB21_1877 Depth 3
	;; [unrolled: 1-line block ×9, first 2 shown]
                                        ;     Child Loop BB21_2143 Depth 2
                                        ;       Child Loop BB21_2149 Depth 3
                                        ;       Child Loop BB21_2173 Depth 3
	;; [unrolled: 1-line block ×3, first 2 shown]
	v_sub_co_u32_e32 v60, vcc, v4, v86
	s_nop 1
	v_subb_co_u32_e32 v61, vcc, v5, v87, vcc
	v_cmp_lt_i64_e32 vcc, v[60:61], v[96:97]
	s_and_saveexec_b64 s[24:25], vcc
	s_cbranch_execz .LBB21_53
; %bb.48:                               ;   in Loop: Header=BB21_47 Depth=1
	v_lshl_add_u64 v[8:9], s[92:93], 0, v[60:61]
	v_or_b32_e32 v11, s67, v9
	v_mov_b32_e32 v10, v3
	v_cmp_ne_u64_e32 vcc, 0, v[10:11]
                                        ; implicit-def: $vgpr10_vgpr11
	s_and_saveexec_b64 s[22:23], vcc
	s_xor_b64 s[26:27], exec, s[22:23]
	s_cbranch_execz .LBB21_50
; %bb.49:                               ;   in Loop: Header=BB21_47 Depth=1
	s_ashr_i32 s28, s67, 31
	s_add_u32 s22, s66, s28
	s_mov_b32 s29, s28
	s_addc_u32 s23, s67, s28
	s_xor_b64 s[40:41], s[22:23], s[28:29]
	v_cvt_f32_u32_e32 v2, s40
	v_cvt_f32_u32_e32 v10, s41
	s_sub_u32 s29, 0, s40
	s_subb_u32 s42, 0, s41
	v_fmac_f32_e32 v2, 0x4f800000, v10
	v_rcp_f32_e32 v2, v2
	s_nop 0
	v_mul_f32_e32 v2, 0x5f7ffffc, v2
	v_mul_f32_e32 v10, 0x2f800000, v2
	v_trunc_f32_e32 v10, v10
	v_fmac_f32_e32 v2, 0xcf800000, v10
	v_cvt_u32_f32_e32 v10, v10
	v_cvt_u32_f32_e32 v2, v2
	v_readfirstlane_b32 s43, v10
	v_readfirstlane_b32 s22, v2
	s_mul_i32 s23, s29, s43
	s_mul_hi_u32 s45, s29, s22
	s_mul_i32 s44, s42, s22
	s_add_i32 s23, s45, s23
	s_add_i32 s23, s23, s44
	s_mul_i32 s46, s29, s22
	s_mul_i32 s45, s22, s23
	s_mul_hi_u32 s47, s22, s46
	s_mul_hi_u32 s44, s22, s23
	s_add_u32 s45, s47, s45
	s_addc_u32 s44, 0, s44
	s_mul_hi_u32 s56, s43, s46
	s_mul_i32 s46, s43, s46
	s_add_u32 s45, s45, s46
	s_mul_hi_u32 s47, s43, s23
	s_addc_u32 s44, s44, s56
	s_addc_u32 s45, s47, 0
	s_mul_i32 s23, s43, s23
	s_add_u32 s23, s44, s23
	s_addc_u32 s44, 0, s45
	s_add_u32 s45, s22, s23
	s_cselect_b64 s[22:23], -1, 0
	s_cmp_lg_u64 s[22:23], 0
	s_addc_u32 s43, s43, s44
	s_mul_i32 s22, s29, s43
	s_mul_hi_u32 s23, s29, s45
	s_add_i32 s22, s23, s22
	s_mul_i32 s42, s42, s45
	s_add_i32 s22, s22, s42
	s_mul_i32 s29, s29, s45
	s_mul_hi_u32 s42, s43, s29
	s_mul_i32 s44, s43, s29
	s_mul_i32 s47, s45, s22
	s_mul_hi_u32 s29, s45, s29
	s_mul_hi_u32 s46, s45, s22
	s_add_u32 s29, s29, s47
	s_addc_u32 s46, 0, s46
	s_add_u32 s29, s29, s44
	s_mul_hi_u32 s23, s43, s22
	s_addc_u32 s29, s46, s42
	s_addc_u32 s23, s23, 0
	s_mul_i32 s22, s43, s22
	s_add_u32 s22, s29, s22
	s_addc_u32 s29, 0, s23
	s_add_u32 s42, s45, s22
	v_ashrrev_i32_e32 v10, 31, v9
	s_cselect_b64 s[22:23], -1, 0
	v_mov_b32_e32 v11, v10
	s_cmp_lg_u64 s[22:23], 0
	v_lshl_add_u64 v[8:9], v[8:9], 0, v[10:11]
	s_addc_u32 s29, s43, s29
	v_xor_b32_e32 v16, v8, v10
	v_xor_b32_e32 v11, v9, v10
	v_mad_u64_u32 v[8:9], s[22:23], v16, s29, 0
	v_mul_hi_u32 v2, v16, s42
	v_lshl_add_u64 v[8:9], v[2:3], 0, v[8:9]
	v_mad_u64_u32 v[14:15], s[22:23], v11, s42, 0
	v_add_co_u32_e32 v2, vcc, v8, v14
	v_mad_u64_u32 v[12:13], s[22:23], v11, s29, 0
	s_nop 0
	v_addc_co_u32_e32 v2, vcc, v9, v15, vcc
	s_nop 1
	v_addc_co_u32_e32 v13, vcc, 0, v13, vcc
	v_lshl_add_u64 v[8:9], v[2:3], 0, v[12:13]
	v_mul_lo_u32 v2, s41, v8
	v_mul_lo_u32 v14, s40, v9
	v_mad_u64_u32 v[12:13], s[22:23], s40, v8, 0
	v_add3_u32 v2, v13, v14, v2
	v_sub_u32_e32 v13, v11, v2
	v_mov_b32_e32 v14, s41
	v_sub_co_u32_e32 v16, vcc, v16, v12
	s_nop 1
	v_subb_co_u32_e64 v12, s[22:23], v13, v14, vcc
	v_subrev_co_u32_e64 v13, s[22:23], s40, v16
	v_subb_co_u32_e32 v2, vcc, v11, v2, vcc
	s_nop 0
	v_subbrev_co_u32_e64 v12, s[22:23], 0, v12, s[22:23]
	v_cmp_le_u32_e64 s[22:23], s41, v12
	v_cmp_le_u32_e32 vcc, s41, v2
	s_nop 0
	v_cndmask_b32_e64 v14, 0, -1, s[22:23]
	v_cmp_le_u32_e64 s[22:23], s40, v13
	v_cndmask_b32_e64 v11, 0, -1, vcc
	v_cmp_le_u32_e32 vcc, s40, v16
	v_cndmask_b32_e64 v13, 0, -1, s[22:23]
	v_cmp_eq_u32_e64 s[22:23], s41, v12
	s_nop 1
	v_cndmask_b32_e64 v17, v14, v13, s[22:23]
	v_lshl_add_u64 v[12:13], v[8:9], 0, 2
	v_lshl_add_u64 v[14:15], v[8:9], 0, 1
	v_cmp_ne_u32_e64 s[22:23], 0, v17
	s_nop 1
	v_cndmask_b32_e64 v13, v15, v13, s[22:23]
	v_cndmask_b32_e64 v15, 0, -1, vcc
	v_cmp_eq_u32_e32 vcc, s41, v2
	s_nop 1
	v_cndmask_b32_e32 v2, v11, v15, vcc
	v_cmp_ne_u32_e32 vcc, 0, v2
	s_nop 1
	v_cndmask_b32_e32 v2, v9, v13, vcc
	v_cndmask_b32_e64 v9, v14, v12, s[22:23]
	v_cndmask_b32_e32 v8, v8, v9, vcc
	v_xor_b32_e32 v9, s28, v10
	v_xor_b32_e32 v8, v8, v9
	;; [unrolled: 1-line block ×3, first 2 shown]
	v_sub_co_u32_e32 v10, vcc, v8, v9
	s_nop 1
	v_subb_co_u32_e32 v11, vcc, v2, v9, vcc
                                        ; implicit-def: $vgpr8_vgpr9
.LBB21_50:                              ;   in Loop: Header=BB21_47 Depth=1
	s_andn2_saveexec_b64 s[22:23], s[26:27]
	s_cbranch_execz .LBB21_52
; %bb.51:                               ;   in Loop: Header=BB21_47 Depth=1
	v_cvt_f32_u32_e32 v2, s66
	s_sub_i32 s26, 0, s66
	v_rcp_iflag_f32_e32 v2, v2
	s_nop 0
	v_mul_f32_e32 v2, 0x4f7ffffe, v2
	v_cvt_u32_f32_e32 v2, v2
	v_mul_lo_u32 v9, s26, v2
	v_mul_hi_u32 v9, v2, v9
	v_add_u32_e32 v2, v2, v9
	v_mul_hi_u32 v2, v8, v2
	v_mul_lo_u32 v9, v2, s66
	v_sub_u32_e32 v8, v8, v9
	v_add_u32_e32 v10, 1, v2
	v_subrev_u32_e32 v9, s66, v8
	v_cmp_le_u32_e32 vcc, s66, v8
	s_nop 1
	v_cndmask_b32_e32 v8, v8, v9, vcc
	v_cndmask_b32_e32 v2, v2, v10, vcc
	v_add_u32_e32 v9, 1, v2
	v_cmp_le_u32_e32 vcc, s66, v8
	s_nop 1
	v_cndmask_b32_e32 v2, v2, v9, vcc
	v_mov_b64_e32 v[10:11], v[2:3]
.LBB21_52:                              ;   in Loop: Header=BB21_47 Depth=1
	s_or_b64 exec, exec, s[22:23]
	v_lshl_add_u64 v[56:57], v[10:11], 0, 7
	v_and_b32_e32 v56, -8, v56
.LBB21_53:                              ;   in Loop: Header=BB21_47 Depth=1
	s_or_b64 exec, exec, s[24:25]
	v_mul_lo_u32 v2, v57, s82
	v_mul_lo_u32 v8, v56, s83
	v_mad_u64_u32 v[12:13], s[22:23], v56, s82, 0
	v_add3_u32 v13, v13, v8, v2
	v_sub_co_u32_e32 v8, vcc, v60, v12
	v_lshl_add_u64 v[62:63], v[86:87], 0, v[28:29]
	s_nop 0
	v_subb_co_u32_e32 v9, vcc, v61, v13, vcc
	v_cmp_lt_i64_e32 vcc, v[56:57], v[8:9]
	v_mov_b32_e32 v2, 0
	s_nop 0
	v_cndmask_b32_e32 v9, v8, v56, vcc
	v_max_i32_e32 v24, 0, v9
	v_add_u32_e32 v8, 31, v24
	v_ashrrev_i32_e32 v10, 31, v8
	v_lshrrev_b32_e32 v10, 27, v10
	v_add_u32_e32 v8, v8, v10
	v_ashrrev_i32_e32 v8, 5, v8
	v_lshlrev_b32_e32 v8, 4, v8
	v_cmp_lt_i32_e32 vcc, 0, v9
	v_max_i32_e32 v8, s84, v8
	s_and_b64 s[22:23], s[34:35], vcc
	v_mov_b32_e32 v10, 0
	s_and_saveexec_b64 s[24:25], s[22:23]
	s_cbranch_execz .LBB21_193
; %bb.54:                               ;   in Loop: Header=BB21_47 Depth=1
	s_mov_b32 s74, 1
	s_mov_b64 s[28:29], -1
	v_mov_b32_e32 v10, 0
	s_mov_b64 s[26:27], 0
	s_branch .LBB21_57
.LBB21_55:                              ;   in Loop: Header=BB21_57 Depth=2
	s_or_b64 exec, exec, s[40:41]
	v_lshl_add_u64 v[58:59], v[58:59], 0, 2
	flat_store_dwordx2 v[64:65], v[58:59] sc0 sc1
.LBB21_56:                              ;   in Loop: Header=BB21_57 Depth=2
	s_or_b64 exec, exec, s[22:23]
	v_add_u32_e32 v10, v8, v10
	v_cmp_ge_i32_e32 vcc, v10, v24
	s_xor_b64 s[22:23], s[28:29], -1
	s_or_b64 s[22:23], s[22:23], vcc
	s_and_b64 s[22:23], exec, s[22:23]
	s_or_b64 s[26:27], s[22:23], s[26:27]
	s_mov_b64 s[28:29], 0
	v_mov_b32_e32 v2, s74
	s_mov_b32 s74, 2
	s_andn2_b64 exec, exec, s[26:27]
	s_cbranch_execz .LBB21_192
.LBB21_57:                              ;   Parent Loop BB21_47 Depth=1
                                        ; =>  This Loop Header: Depth=2
                                        ;       Child Loop BB21_65 Depth 3
                                        ;       Child Loop BB21_89 Depth 3
                                        ;       Child Loop BB21_108 Depth 3
                                        ;       Child Loop BB21_135 Depth 3
                                        ;       Child Loop BB21_140 Depth 3
                                        ;       Child Loop BB21_146 Depth 3
                                        ;       Child Loop BB21_151 Depth 3
                                        ;       Child Loop BB21_160 Depth 3
                                        ;       Child Loop BB21_179 Depth 3
	s_and_saveexec_b64 s[22:23], s[0:1]
	s_cbranch_execz .LBB21_59
; %bb.58:                               ;   in Loop: Header=BB21_57 Depth=2
	s_trap 2
	ds_read_b64 v[14:15], v0
	v_ashrrev_i32_e32 v11, 31, v10
	s_waitcnt lgkmcnt(0)
	v_lshl_add_u64 v[14:15], v[62:63], 1, v[14:15]
	v_lshl_add_u64 v[14:15], v[12:13], 1, v[14:15]
	;; [unrolled: 1-line block ×3, first 2 shown]
	ds_write_b64 v0, v[14:15]
	ds_write_b64 v0, v[52:53]
.LBB21_59:                              ;   in Loop: Header=BB21_57 Depth=2
	s_or_b64 exec, exec, s[22:23]
	v_sub_u32_e32 v2, v24, v10
	v_min_i32_e32 v8, v8, v2
	v_and_b32_e32 v2, 8, v104
	v_cmp_ne_u32_e32 vcc, 0, v2
	s_and_saveexec_b64 s[40:41], vcc
	s_cbranch_execz .LBB21_81
; %bb.60:                               ;   in Loop: Header=BB21_57 Depth=2
	s_waitcnt vmcnt(0) lgkmcnt(0)
	v_lshl_add_u64 v[16:17], v[80:81], 0, 8
	v_lshl_add_u64 v[14:15], v[58:59], 0, 2
	v_cmp_lt_u64_e32 vcc, v[16:17], v[14:15]
	s_and_saveexec_b64 s[42:43], vcc
	s_cbranch_execz .LBB21_72
; %bb.61:                               ;   in Loop: Header=BB21_57 Depth=2
	v_and_b32_e32 v2, 64, v104
	s_mov_b32 s54, 0
	v_cmp_eq_u32_e32 vcc, 0, v2
	s_mov_b64 s[44:45], 0
                                        ; implicit-def: $sgpr46_sgpr47
                                        ; implicit-def: $sgpr56_sgpr57
                                        ; implicit-def: $sgpr58_sgpr59
	s_branch .LBB21_65
.LBB21_62:                              ;   in Loop: Header=BB21_65 Depth=3
	s_waitcnt vmcnt(0) lgkmcnt(0)
	v_lshl_add_u64 v[16:17], v[80:81], 0, 8
	v_cmp_ge_u64_e64 s[22:23], v[16:17], v[14:15]
	s_or_b64 s[48:49], s[48:49], exec
	s_orn2_b64 s[38:39], s[22:23], exec
.LBB21_63:                              ;   in Loop: Header=BB21_65 Depth=3
	s_or_b64 exec, exec, s[52:53]
	s_andn2_b64 s[22:23], s[58:59], exec
	s_and_b64 s[58:59], s[48:49], exec
	s_or_b64 s[58:59], s[22:23], s[58:59]
	s_andn2_b64 s[22:23], s[56:57], exec
	s_and_b64 s[56:57], s[38:39], exec
	s_or_b64 s[56:57], s[22:23], s[56:57]
.LBB21_64:                              ;   in Loop: Header=BB21_65 Depth=3
	s_or_b64 exec, exec, s[60:61]
	s_and_b64 s[22:23], exec, s[56:57]
	s_or_b64 s[44:45], s[22:23], s[44:45]
	s_andn2_b64 s[22:23], s[46:47], exec
	s_and_b64 s[46:47], s[58:59], exec
	s_or_b64 s[46:47], s[22:23], s[46:47]
	s_andn2_b64 exec, exec, s[44:45]
	s_cbranch_execz .LBB21_69
.LBB21_65:                              ;   Parent Loop BB21_47 Depth=1
                                        ;     Parent Loop BB21_57 Depth=2
                                        ; =>    This Inner Loop Header: Depth=3
	s_sleep 1
	s_waitcnt vmcnt(0) lgkmcnt(0)
	flat_load_dwordx2 v[80:81], v[64:65] sc0 sc1
	s_or_b64 s[58:59], s[58:59], exec
	s_or_b64 s[56:57], s[56:57], exec
                                        ; implicit-def: $vgpr2
	s_and_saveexec_b64 s[60:61], vcc
	s_cbranch_execz .LBB21_64
; %bb.66:                               ;   in Loop: Header=BB21_65 Depth=3
	s_cmpk_lt_i32 s54, 0x270f
	s_cselect_b64 s[50:51], -1, 0
	s_cmpk_gt_i32 s54, 0x270e
	s_mov_b64 s[38:39], -1
	s_cbranch_scc0 .LBB21_68
; %bb.67:                               ;   in Loop: Header=BB21_65 Depth=3
	s_trap 2
	ds_read_b64 v[16:17], v0
	s_andn2_b64 s[50:51], s[50:51], exec
	s_mov_b32 s54, 0
	s_mov_b64 s[48:49], 0
	s_waitcnt vmcnt(0) lgkmcnt(0)
	flat_load_dword v2, v[16:17] sc0 sc1
	s_waitcnt vmcnt(0) lgkmcnt(0)
	buffer_inv sc0 sc1
	v_cmp_eq_u32_e64 s[22:23], 0, v2
	s_and_b64 s[22:23], s[22:23], exec
	s_or_b64 s[50:51], s[50:51], s[22:23]
	s_and_saveexec_b64 s[52:53], s[50:51]
	s_cbranch_execz .LBB21_63
	s_branch .LBB21_62
.LBB21_68:                              ;   in Loop: Header=BB21_65 Depth=3
	s_add_i32 s54, s54, 1
	s_mov_b64 s[48:49], -1
                                        ; implicit-def: $vgpr2
	s_and_saveexec_b64 s[52:53], s[50:51]
	s_cbranch_execz .LBB21_63
	s_branch .LBB21_62
.LBB21_69:                              ;   in Loop: Header=BB21_57 Depth=2
	s_or_b64 exec, exec, s[44:45]
	s_xor_b64 s[22:23], s[46:47], -1
	s_and_saveexec_b64 s[44:45], s[22:23]
	s_xor_b64 s[22:23], exec, s[44:45]
	s_cbranch_execz .LBB21_71
; %bb.70:                               ;   in Loop: Header=BB21_57 Depth=2
	v_or_b32_e32 v104, 64, v104
	s_waitcnt lgkmcnt(0)
	ds_write_b32 v0, v2
	s_trap 2
.LBB21_71:                              ;   in Loop: Header=BB21_57 Depth=2
	s_or_b64 exec, exec, s[22:23]
.LBB21_72:                              ;   in Loop: Header=BB21_57 Depth=2
	s_or_b64 exec, exec, s[42:43]
	v_and_b32_e32 v2, 0x100, v104
	v_cmp_ne_u32_e32 vcc, 0, v2
	v_and_b32_e32 v2, 7, v58
	s_mov_b64 s[22:23], -1
	;;#ASMSTART
	s_wakeup
	;;#ASMEND
                                        ; implicit-def: $vgpr16_vgpr17
	s_and_saveexec_b64 s[42:43], vcc
	s_cbranch_execz .LBB21_76
; %bb.73:                               ;   in Loop: Header=BB21_57 Depth=2
	v_mad_u64_u32 v[18:19], s[22:23], v2, 24, v[6:7]
	flat_load_dword v11, v[18:19]
	v_ashrrev_i32_e32 v9, 31, v8
	v_lshlrev_b64 v[16:17], 1, v[8:9]
	flat_store_dwordx2 v[18:19], v[16:17] offset:8
                                        ; implicit-def: $vgpr16_vgpr17
	s_waitcnt vmcnt(0) lgkmcnt(0)
	v_cmp_ne_u32_e32 vcc, 1, v11
	v_cmp_eq_u32_e64 s[22:23], 1, v11
	s_and_saveexec_b64 s[44:45], s[22:23]
	s_cbranch_execz .LBB21_75
; %bb.74:                               ;   in Loop: Header=BB21_57 Depth=2
	flat_load_dword v16, v[18:19] offset:4 sc0 sc1
	s_waitcnt vmcnt(0) lgkmcnt(0)
	v_ashrrev_i32_e32 v17, 31, v16
	v_lshrrev_b64 v[16:17], 1, v[16:17]
.LBB21_75:                              ;   in Loop: Header=BB21_57 Depth=2
	s_or_b64 exec, exec, s[44:45]
	s_orn2_b64 s[22:23], vcc, exec
.LBB21_76:                              ;   in Loop: Header=BB21_57 Depth=2
	s_or_b64 exec, exec, s[42:43]
	s_and_saveexec_b64 s[42:43], s[22:23]
; %bb.77:                               ;   in Loop: Header=BB21_57 Depth=2
	v_mad_i64_i32 v[16:17], s[22:23], v2, v30, 0
; %bb.78:                               ;   in Loop: Header=BB21_57 Depth=2
	s_or_b64 exec, exec, s[42:43]
	v_and_b32_e32 v2, 0x2000, v104
	v_lshl_add_u64 v[16:17], v[16:17], 1, v[66:67]
	v_cmp_ne_u32_e32 vcc, 0, v2
	ds_write_b64 v0, v[16:17] offset:784
	s_and_saveexec_b64 s[22:23], vcc
	s_cbranch_execz .LBB21_80
; %bb.79:                               ;   in Loop: Header=BB21_57 Depth=2
	ds_read_b64 v[16:17], v0 offset:872
	s_waitcnt lgkmcnt(0)
	v_lshl_add_u64 v[16:17], v[16:17], 0, 1
	ds_write_b64 v0, v[16:17] offset:872
.LBB21_80:                              ;   in Loop: Header=BB21_57 Depth=2
	s_or_b64 exec, exec, s[22:23]
	v_mov_b64_e32 v[58:59], v[14:15]
.LBB21_81:                              ;   in Loop: Header=BB21_57 Depth=2
	s_or_b64 exec, exec, s[40:41]
	s_and_saveexec_b64 s[22:23], s[4:5]
	s_cbranch_execz .LBB21_100
; %bb.82:                               ;   in Loop: Header=BB21_57 Depth=2
	s_and_saveexec_b64 s[40:41], s[76:77]
	s_xor_b64 s[40:41], exec, s[40:41]
	s_cbranch_execz .LBB21_97
; %bb.83:                               ;   in Loop: Header=BB21_57 Depth=2
	s_and_saveexec_b64 s[42:43], s[12:13]
	s_cbranch_execz .LBB21_96
; %bb.84:                               ;   in Loop: Header=BB21_57 Depth=2
	s_mov_b64 s[46:47], exec
	v_mbcnt_lo_u32_b32 v2, s46, 0
	v_mbcnt_hi_u32_b32 v2, s47, v2
	v_cmp_eq_u32_e32 vcc, 0, v2
	s_waitcnt lgkmcnt(0)
	s_and_saveexec_b64 s[44:45], vcc
	s_cbranch_execz .LBB21_86
; %bb.85:                               ;   in Loop: Header=BB21_57 Depth=2
	s_bcnt1_i32_b64 s46, s[46:47]
	v_mov_b32_e32 v2, s46
	ds_add_u64 v0, v[2:3]
	s_trap 2
.LBB21_86:                              ;   in Loop: Header=BB21_57 Depth=2
	s_or_b64 exec, exec, s[44:45]
	s_trap 2
	ds_read_b64 v[14:15], v0
	s_waitcnt lgkmcnt(0)
	v_lshl_add_u64 v[70:71], v[70:71], 0, v[84:85]
	v_cmp_lt_u64_e32 vcc, v[14:15], v[70:71]
	s_and_saveexec_b64 s[44:45], vcc
	s_cbranch_execz .LBB21_95
; %bb.87:                               ;   in Loop: Header=BB21_57 Depth=2
	s_mov_b32 s48, 0
	s_mov_b64 s[46:47], 0
                                        ; implicit-def: $sgpr56_sgpr57
                                        ; implicit-def: $sgpr58_sgpr59
	s_branch .LBB21_89
.LBB21_88:                              ;   in Loop: Header=BB21_89 Depth=3
	s_or_b64 exec, exec, s[38:39]
	s_and_b64 s[60:61], exec, vcc
	s_or_b64 s[46:47], s[60:61], s[46:47]
	s_andn2_b64 s[56:57], s[56:57], exec
	s_and_b64 s[60:61], s[58:59], exec
	s_or_b64 s[56:57], s[56:57], s[60:61]
	s_andn2_b64 exec, exec, s[46:47]
	s_cbranch_execz .LBB21_93
.LBB21_89:                              ;   Parent Loop BB21_47 Depth=1
                                        ;     Parent Loop BB21_57 Depth=2
                                        ; =>    This Inner Loop Header: Depth=3
	s_add_i32 s48, s48, 1
	s_cmpk_lg_i32 s48, 0x2710
	s_cselect_b64 s[60:61], -1, 0
	s_and_b64 vcc, exec, s[60:61]
	s_cbranch_vccz .LBB21_91
; %bb.90:                               ;   in Loop: Header=BB21_89 Depth=3
	s_mov_b64 vcc, -1
	s_or_b64 s[58:59], s[58:59], exec
	s_and_saveexec_b64 s[38:39], s[60:61]
	s_cbranch_execz .LBB21_88
	s_branch .LBB21_92
.LBB21_91:                              ;   in Loop: Header=BB21_89 Depth=3
	s_trap 2
	ds_read_b64 v[14:15], v0
	s_andn2_b64 s[60:61], s[60:61], exec
	s_mov_b32 s48, 0
	s_waitcnt vmcnt(0) lgkmcnt(0)
	flat_load_dword v2, v[14:15] sc0 sc1
	s_waitcnt vmcnt(0) lgkmcnt(0)
	buffer_inv sc0 sc1
	v_cmp_eq_u32_e32 vcc, 0, v2
	s_and_b64 vcc, vcc, exec
	s_or_b64 s[60:61], s[60:61], vcc
	s_mov_b64 vcc, -1
	s_or_b64 s[58:59], s[58:59], exec
	s_and_saveexec_b64 s[38:39], s[60:61]
	s_cbranch_execz .LBB21_88
.LBB21_92:                              ;   in Loop: Header=BB21_89 Depth=3
	s_sleep 1
	s_trap 2
	ds_read_b64 v[14:15], v0
	s_waitcnt lgkmcnt(0)
	s_andn2_b64 s[58:59], s[58:59], exec
	v_cmp_ge_u64_e32 vcc, v[14:15], v[70:71]
	s_orn2_b64 vcc, vcc, exec
	s_branch .LBB21_88
.LBB21_93:                              ;   in Loop: Header=BB21_57 Depth=2
	s_or_b64 exec, exec, s[46:47]
	s_and_saveexec_b64 s[46:47], s[56:57]
	s_xor_b64 s[46:47], exec, s[46:47]
	s_cbranch_execz .LBB21_95
; %bb.94:                               ;   in Loop: Header=BB21_57 Depth=2
	ds_write_b32 v0, v107
	s_trap 2
.LBB21_95:                              ;   in Loop: Header=BB21_57 Depth=2
	s_or_b64 exec, exec, s[44:45]
	;;#ASMSTART
	s_wakeup
	;;#ASMEND
.LBB21_96:                              ;   in Loop: Header=BB21_57 Depth=2
	s_or_b64 exec, exec, s[42:43]
.LBB21_97:                              ;   in Loop: Header=BB21_57 Depth=2
	s_andn2_saveexec_b64 s[40:41], s[40:41]
	s_cbranch_execz .LBB21_99
; %bb.98:                               ;   in Loop: Header=BB21_57 Depth=2
	s_waitcnt lgkmcnt(0)
	s_barrier
.LBB21_99:                              ;   in Loop: Header=BB21_57 Depth=2
	s_or_b64 exec, exec, s[40:41]
.LBB21_100:                             ;   in Loop: Header=BB21_57 Depth=2
	s_or_b64 exec, exec, s[22:23]
	s_trap 2
	ds_read_b32 v9, v0
	v_and_b32_e32 v2, 0x4000, v104
	v_cmp_ne_u32_e32 vcc, 0, v2
	s_xor_b64 s[22:23], s[2:3], -1
	s_and_b64 s[40:41], s[22:23], vcc
	s_and_saveexec_b64 s[22:23], s[40:41]
	s_cbranch_execz .LBB21_119
; %bb.101:                              ;   in Loop: Header=BB21_57 Depth=2
	s_and_saveexec_b64 s[40:41], s[76:77]
	s_xor_b64 s[40:41], exec, s[40:41]
	s_cbranch_execz .LBB21_116
; %bb.102:                              ;   in Loop: Header=BB21_57 Depth=2
	s_and_saveexec_b64 s[42:43], s[12:13]
	s_cbranch_execz .LBB21_115
; %bb.103:                              ;   in Loop: Header=BB21_57 Depth=2
	s_mov_b64 s[46:47], exec
	v_mbcnt_lo_u32_b32 v2, s46, 0
	v_mbcnt_hi_u32_b32 v2, s47, v2
	v_cmp_eq_u32_e32 vcc, 0, v2
	s_waitcnt lgkmcnt(0)
	s_and_saveexec_b64 s[44:45], vcc
	s_cbranch_execz .LBB21_105
; %bb.104:                              ;   in Loop: Header=BB21_57 Depth=2
	s_bcnt1_i32_b64 s46, s[46:47]
	v_mov_b32_e32 v2, s46
	ds_add_u64 v0, v[2:3]
	s_trap 2
.LBB21_105:                             ;   in Loop: Header=BB21_57 Depth=2
	s_or_b64 exec, exec, s[44:45]
	s_trap 2
	ds_read_b64 v[14:15], v0
	s_waitcnt lgkmcnt(0)
	v_lshl_add_u64 v[70:71], v[70:71], 0, v[84:85]
	v_cmp_lt_u64_e32 vcc, v[14:15], v[70:71]
	s_and_saveexec_b64 s[44:45], vcc
	s_cbranch_execz .LBB21_114
; %bb.106:                              ;   in Loop: Header=BB21_57 Depth=2
	s_mov_b32 s48, 0
	s_mov_b64 s[46:47], 0
                                        ; implicit-def: $sgpr56_sgpr57
                                        ; implicit-def: $sgpr58_sgpr59
	s_branch .LBB21_108
.LBB21_107:                             ;   in Loop: Header=BB21_108 Depth=3
	s_or_b64 exec, exec, s[38:39]
	s_and_b64 s[60:61], exec, vcc
	s_or_b64 s[46:47], s[60:61], s[46:47]
	s_andn2_b64 s[56:57], s[56:57], exec
	s_and_b64 s[60:61], s[58:59], exec
	s_or_b64 s[56:57], s[56:57], s[60:61]
	s_andn2_b64 exec, exec, s[46:47]
	s_cbranch_execz .LBB21_112
.LBB21_108:                             ;   Parent Loop BB21_47 Depth=1
                                        ;     Parent Loop BB21_57 Depth=2
                                        ; =>    This Inner Loop Header: Depth=3
	s_add_i32 s48, s48, 1
	s_cmpk_lg_i32 s48, 0x2710
	s_cselect_b64 s[60:61], -1, 0
	s_and_b64 vcc, exec, s[60:61]
	s_cbranch_vccz .LBB21_110
; %bb.109:                              ;   in Loop: Header=BB21_108 Depth=3
	s_mov_b64 vcc, -1
	s_or_b64 s[58:59], s[58:59], exec
	s_and_saveexec_b64 s[38:39], s[60:61]
	s_cbranch_execz .LBB21_107
	s_branch .LBB21_111
.LBB21_110:                             ;   in Loop: Header=BB21_108 Depth=3
	s_trap 2
	ds_read_b64 v[14:15], v0
	s_andn2_b64 s[60:61], s[60:61], exec
	s_mov_b32 s48, 0
	s_waitcnt vmcnt(0) lgkmcnt(0)
	flat_load_dword v2, v[14:15] sc0 sc1
	s_waitcnt vmcnt(0) lgkmcnt(0)
	buffer_inv sc0 sc1
	v_cmp_eq_u32_e32 vcc, 0, v2
	s_and_b64 vcc, vcc, exec
	s_or_b64 s[60:61], s[60:61], vcc
	s_mov_b64 vcc, -1
	s_or_b64 s[58:59], s[58:59], exec
	s_and_saveexec_b64 s[38:39], s[60:61]
	s_cbranch_execz .LBB21_107
.LBB21_111:                             ;   in Loop: Header=BB21_108 Depth=3
	s_sleep 1
	s_trap 2
	ds_read_b64 v[14:15], v0
	s_waitcnt lgkmcnt(0)
	s_andn2_b64 s[58:59], s[58:59], exec
	v_cmp_ge_u64_e32 vcc, v[14:15], v[70:71]
	s_orn2_b64 vcc, vcc, exec
	s_branch .LBB21_107
.LBB21_112:                             ;   in Loop: Header=BB21_57 Depth=2
	s_or_b64 exec, exec, s[46:47]
	s_and_saveexec_b64 s[46:47], s[56:57]
	s_xor_b64 s[46:47], exec, s[46:47]
	s_cbranch_execz .LBB21_114
; %bb.113:                              ;   in Loop: Header=BB21_57 Depth=2
	ds_write_b32 v0, v107
	s_trap 2
.LBB21_114:                             ;   in Loop: Header=BB21_57 Depth=2
	s_or_b64 exec, exec, s[44:45]
	;;#ASMSTART
	s_wakeup
	;;#ASMEND
.LBB21_115:                             ;   in Loop: Header=BB21_57 Depth=2
	s_or_b64 exec, exec, s[42:43]
.LBB21_116:                             ;   in Loop: Header=BB21_57 Depth=2
	s_andn2_saveexec_b64 s[40:41], s[40:41]
	s_cbranch_execz .LBB21_118
; %bb.117:                              ;   in Loop: Header=BB21_57 Depth=2
	s_waitcnt lgkmcnt(0)
	s_barrier
.LBB21_118:                             ;   in Loop: Header=BB21_57 Depth=2
	s_or_b64 exec, exec, s[40:41]
.LBB21_119:                             ;   in Loop: Header=BB21_57 Depth=2
	s_or_b64 exec, exec, s[22:23]
	s_trap 2
	ds_read_b64 v[14:15], v0
	s_waitcnt lgkmcnt(0)
	v_cmp_eq_u64_e32 vcc, 0, v[14:15]
	s_cbranch_vccnz .LBB21_127
; %bb.120:                              ;   in Loop: Header=BB21_57 Depth=2
	s_trap 2
	ds_read_b64 v[16:17], v0
	s_waitcnt lgkmcnt(0)
	v_cmp_eq_u64_e32 vcc, 0, v[16:17]
	s_cbranch_vccnz .LBB21_127
; %bb.121:                              ;   in Loop: Header=BB21_57 Depth=2
	s_mov_b64 s[22:23], -1
	s_and_saveexec_b64 s[40:41], s[14:15]
	s_cbranch_execz .LBB21_123
; %bb.122:                              ;   in Loop: Header=BB21_57 Depth=2
	ds_read_b32 v2, v0 offset:720
	s_waitcnt lgkmcnt(0)
	v_and_b32_e32 v2, 15, v2
	v_cmp_eq_u32_e32 vcc, 0, v2
	s_orn2_b64 s[22:23], vcc, exec
.LBB21_123:                             ;   in Loop: Header=BB21_57 Depth=2
	s_or_b64 exec, exec, s[40:41]
	s_and_saveexec_b64 s[40:41], s[16:17]
	s_cbranch_execz .LBB21_125
; %bb.124:                              ;   in Loop: Header=BB21_57 Depth=2
	ds_read_b32 v2, v0 offset:784
	s_waitcnt lgkmcnt(0)
	v_and_b32_e32 v2, 15, v2
	v_cmp_eq_u32_e32 vcc, 0, v2
	s_and_b64 s[42:43], s[22:23], vcc
	s_andn2_b64 s[22:23], s[22:23], exec
	s_and_b64 s[42:43], s[42:43], exec
	s_or_b64 s[22:23], s[22:23], s[42:43]
.LBB21_125:                             ;   in Loop: Header=BB21_57 Depth=2
	s_or_b64 exec, exec, s[40:41]
	v_cmp_eq_u32_e32 vcc, 0, v9
	s_xor_b64 s[22:23], s[22:23], -1
	v_cndmask_b32_e64 v11, 0, 1, s[22:23]
	v_cndmask_b32_e32 v2, 0, v8, vcc
	v_lshlrev_b32_e32 v9, 1, v2
	s_mov_b64 s[42:43], -1
	v_cmp_ne_u32_e32 vcc, 0, v11
	v_mov_b32_e32 v11, 0
	s_cbranch_vccz .LBB21_133
; %bb.126:                              ;   in Loop: Header=BB21_57 Depth=2
	v_mov_b32_e32 v25, v0
	s_and_saveexec_b64 s[22:23], s[42:43]
	s_cbranch_execnz .LBB21_144
	s_branch .LBB21_152
.LBB21_127:                             ;   in Loop: Header=BB21_57 Depth=2
	s_mov_b64 s[22:23], 0
	s_and_saveexec_b64 s[40:41], s[4:5]
	s_cbranch_execnz .LBB21_153
.LBB21_128:                             ;   in Loop: Header=BB21_57 Depth=2
	s_or_b64 exec, exec, s[40:41]
                                        ; implicit-def: $vgpr2
	s_and_saveexec_b64 s[40:41], s[20:21]
	s_xor_b64 s[40:41], exec, s[40:41]
	s_cbranch_execz .LBB21_171
.LBB21_129:                             ;   in Loop: Header=BB21_57 Depth=2
	v_and_b32_e32 v9, 16, v104
	v_cmp_ne_u32_e32 vcc, 0, v9
	v_and_b32_e32 v2, 16, v104
	s_and_b64 s[42:43], vcc, s[22:23]
	s_and_saveexec_b64 s[22:23], s[42:43]
	s_cbranch_execz .LBB21_131
; %bb.130:                              ;   in Loop: Header=BB21_57 Depth=2
	v_mov_b32_e32 v2, 1
	buffer_wbl2 sc1
	s_waitcnt vmcnt(0) lgkmcnt(0)
	buffer_inv sc1
.LBB21_131:                             ;   in Loop: Header=BB21_57 Depth=2
	s_or_b64 exec, exec, s[22:23]
	s_andn2_saveexec_b64 s[22:23], s[40:41]
	s_cbranch_execnz .LBB21_172
.LBB21_132:                             ;   in Loop: Header=BB21_57 Depth=2
	s_or_b64 exec, exec, s[22:23]
	v_cmp_ne_u32_e32 vcc, 0, v2
	s_and_saveexec_b64 s[22:23], vcc
	s_cbranch_execz .LBB21_56
	s_branch .LBB21_190
.LBB21_133:                             ;   in Loop: Header=BB21_57 Depth=2
	v_ashrrev_i32_e32 v11, 31, v9
	v_lshrrev_b32_e32 v11, 20, v11
	v_add_u32_e32 v11, v9, v11
	v_ashrrev_i32_e32 v11, 12, v11
	v_sub_u32_e32 v22, v11, v106
	v_cmp_lt_i32_e32 vcc, 0, v22
	s_and_saveexec_b64 s[22:23], vcc
	s_cbranch_execz .LBB21_137
; %bb.134:                              ;   in Loop: Header=BB21_57 Depth=2
	s_mov_b64 s[40:41], 0
	v_mov_b64_e32 v[18:19], v[16:17]
	v_mov_b64_e32 v[20:21], v[14:15]
.LBB21_135:                             ;   Parent Loop BB21_47 Depth=1
                                        ;     Parent Loop BB21_57 Depth=2
                                        ; =>    This Inner Loop Header: Depth=3
	v_lshl_add_u64 v[26:27], v[116:117], 0, v[20:21]
	global_load_dwordx4 v[32:35], v[26:27], off nt
	global_load_dwordx4 v[36:39], v[26:27], off offset:1024 nt
	global_load_dwordx4 v[48:51], v[26:27], off offset:2048 nt
	;; [unrolled: 1-line block ×3, first 2 shown]
	v_sub_u32_e32 v22, v22, v84
	v_cmp_gt_i32_e32 vcc, 1, v22
	v_lshl_add_u64 v[26:27], v[116:117], 0, v[18:19]
	v_lshl_add_u64 v[20:21], v[20:21], 0, v[98:99]
	;; [unrolled: 1-line block ×3, first 2 shown]
	s_or_b64 s[40:41], vcc, s[40:41]
	s_waitcnt vmcnt(0)
	global_store_dwordx4 v[26:27], v[32:35], off
	global_store_dwordx4 v[26:27], v[36:39], off offset:1024
	global_store_dwordx4 v[26:27], v[48:51], off offset:2048
	;; [unrolled: 1-line block ×3, first 2 shown]
	s_andn2_b64 exec, exec, s[40:41]
	s_cbranch_execnz .LBB21_135
; %bb.136:                              ;   in Loop: Header=BB21_57 Depth=2
	s_or_b64 exec, exec, s[40:41]
.LBB21_137:                             ;   in Loop: Header=BB21_57 Depth=2
	s_or_b64 exec, exec, s[22:23]
	v_lshlrev_b32_e32 v20, 12, v11
	v_cmp_ne_u32_e32 vcc, v9, v20
	s_mov_b64 s[42:43], 0
	v_mov_b32_e32 v11, 0
                                        ; implicit-def: $vgpr25
	s_and_saveexec_b64 s[40:41], vcc
	s_cbranch_execz .LBB21_143
; %bb.138:                              ;   in Loop: Header=BB21_57 Depth=2
	v_lshlrev_b32_e32 v11, 6, v22
	v_sub_u32_e32 v11, v105, v11
	v_ashrrev_i32_e32 v18, 31, v11
	v_lshrrev_b32_e32 v18, 26, v18
	v_add_u32_e32 v18, v11, v18
	v_ashrrev_i32_e32 v23, 6, v18
	v_and_b32_e32 v18, 0xffffffc0, v18
	v_sub_u32_e32 v21, v11, v18
	v_sub_u32_e32 v19, v9, v20
	v_lshlrev_b32_e32 v11, 4, v21
	v_lshl_add_u32 v18, v23, 10, v11
	v_ashrrev_i32_e32 v11, 31, v19
	v_lshrrev_b32_e32 v11, 22, v11
	v_add_u32_e32 v11, v19, v11
	v_ashrrev_i32_e32 v26, 10, v11
	v_and_b32_e32 v11, 0xfffffc00, v11
	v_sub_u32_e32 v22, v19, v11
	v_cmp_lt_i32_e32 vcc, 15, v22
	v_sub_u32_e32 v25, v19, v18
	s_nop 0
	v_addc_co_u32_e64 v19, s[22:23], 0, v26, vcc
	v_sub_u32_e32 v23, v19, v23
	v_cmp_lt_i32_e64 s[22:23], 15, v25
	s_and_saveexec_b64 s[42:43], s[22:23]
	s_cbranch_execz .LBB21_142
; %bb.139:                              ;   in Loop: Header=BB21_57 Depth=2
	v_add_u32_e32 v18, v18, v20
	v_ashrrev_i32_e32 v19, 31, v18
	s_mov_b64 s[44:45], 0
.LBB21_140:                             ;   Parent Loop BB21_47 Depth=1
                                        ;     Parent Loop BB21_57 Depth=2
                                        ; =>    This Inner Loop Header: Depth=3
	v_lshl_add_u64 v[26:27], v[14:15], 0, v[18:19]
	global_load_dwordx4 v[32:35], v[26:27], off nt
	v_sub_u32_e32 v25, v25, v100
	v_cmp_gt_i32_e64 s[22:23], 16, v25
	v_lshl_add_u64 v[26:27], v[16:17], 0, v[18:19]
	v_sub_u32_e32 v23, v23, v84
	v_lshl_add_u64 v[18:19], v[18:19], 0, v[100:101]
	s_or_b64 s[44:45], s[22:23], s[44:45]
	s_waitcnt vmcnt(0)
	global_store_dwordx4 v[26:27], v[32:35], off
	s_andn2_b64 exec, exec, s[44:45]
	s_cbranch_execnz .LBB21_140
; %bb.141:                              ;   in Loop: Header=BB21_57 Depth=2
	s_or_b64 exec, exec, s[44:45]
.LBB21_142:                             ;   in Loop: Header=BB21_57 Depth=2
	s_or_b64 exec, exec, s[42:43]
	v_and_b32_e32 v9, 14, v9
	v_sub_u32_e32 v18, v22, v9
	v_cndmask_b32_e32 v18, 0, v18, vcc
	v_cndmask_b32_e32 v9, v22, v9, vcc
	v_cmp_lt_i32_e32 vcc, 0, v23
	v_add3_u32 v11, v11, v20, v18
	s_nop 0
	v_cndmask_b32_e32 v18, 0, v84, vcc
	v_sub_u32_e32 v18, v18, v23
	v_cmp_ne_u32_e32 vcc, 0, v9
	v_lshl_add_u32 v25, v18, 6, v21
	s_and_b64 s[42:43], vcc, exec
.LBB21_143:                             ;   in Loop: Header=BB21_57 Depth=2
	s_or_b64 exec, exec, s[40:41]
	s_and_saveexec_b64 s[22:23], s[42:43]
	s_cbranch_execz .LBB21_152
.LBB21_144:                             ;   in Loop: Header=BB21_57 Depth=2
	v_ashrrev_i32_e32 v18, 31, v25
	v_ashrrev_i32_e32 v19, 31, v9
	v_lshrrev_b32_e32 v18, 26, v18
	v_lshrrev_b32_e32 v19, 22, v19
	v_add_u32_e32 v18, v25, v18
	v_add_u32_e32 v19, v9, v19
	v_ashrrev_i32_e32 v26, 6, v18
	v_ashrrev_i32_e32 v32, 10, v19
	v_sub_u32_e32 v27, v32, v26
	v_cmp_lt_i32_e32 vcc, 0, v27
	s_and_saveexec_b64 s[40:41], vcc
	s_cbranch_execz .LBB21_148
; %bb.145:                              ;   in Loop: Header=BB21_57 Depth=2
	v_and_b32_e32 v18, 0x7fffffc0, v18
	v_sub_u32_e32 v18, v25, v18
	v_lshlrev_b32_e32 v18, 1, v18
	v_lshlrev_b32_e32 v19, 10, v26
	v_add3_u32 v18, v18, v11, v19
	v_ashrrev_i32_e32 v19, 31, v18
	s_mov_b64 s[42:43], 0
	v_mov_b64_e32 v[20:21], v[16:17]
	v_mov_b64_e32 v[22:23], v[14:15]
.LBB21_146:                             ;   Parent Loop BB21_47 Depth=1
                                        ;     Parent Loop BB21_57 Depth=2
                                        ; =>    This Inner Loop Header: Depth=3
	v_lshl_add_u64 v[34:35], v[18:19], 0, v[22:23]
	flat_load_ushort v33, v[34:35] nt
	flat_load_ushort v36, v[34:35] offset:128 nt
	flat_load_ushort v37, v[34:35] offset:256 nt
	;; [unrolled: 1-line block ×7, first 2 shown]
	v_sub_u32_e32 v27, v27, v84
	v_cmp_gt_i32_e32 vcc, 1, v27
	v_lshl_add_u64 v[34:35], v[18:19], 0, v[20:21]
	v_lshl_add_u64 v[22:23], v[22:23], 0, v[100:101]
	;; [unrolled: 1-line block ×3, first 2 shown]
	s_or_b64 s[42:43], vcc, s[42:43]
	s_waitcnt vmcnt(0) lgkmcnt(0)
	flat_store_short v[34:35], v33 nt
	flat_store_short v[34:35], v36 offset:128 nt
	flat_store_short v[34:35], v37 offset:256 nt
	;; [unrolled: 1-line block ×7, first 2 shown]
	s_andn2_b64 exec, exec, s[42:43]
	s_cbranch_execnz .LBB21_146
; %bb.147:                              ;   in Loop: Header=BB21_57 Depth=2
	s_or_b64 exec, exec, s[42:43]
.LBB21_148:                             ;   in Loop: Header=BB21_57 Depth=2
	s_or_b64 exec, exec, s[40:41]
	v_lshlrev_b32_e32 v18, 10, v32
	v_cmp_ne_u32_e32 vcc, v9, v18
	s_and_b64 exec, exec, vcc
	s_cbranch_execz .LBB21_152
; %bb.149:                              ;   in Loop: Header=BB21_57 Depth=2
	v_lshlrev_b32_e32 v19, 6, v26
	v_sub_u32_e32 v19, v25, v19
	v_lshlrev_b32_e32 v20, 6, v27
	v_sub_u32_e32 v19, v19, v20
	v_ashrrev_i32_e32 v20, 31, v19
	v_lshrrev_b32_e32 v20, 26, v20
	v_add_u32_e32 v20, v19, v20
	v_and_b32_e32 v21, 0x7fffffc0, v20
	v_sub_u32_e32 v19, v19, v21
	v_lshlrev_b32_e32 v20, 1, v20
	v_and_b32_e32 v20, 0xffffff80, v20
	v_lshlrev_b32_e32 v19, 1, v19
	v_add3_u32 v18, v20, v19, v18
	v_sub_u32_e32 v9, v9, v18
	v_cmp_lt_i32_e32 vcc, 1, v9
	s_and_b64 exec, exec, vcc
	s_cbranch_execz .LBB21_152
; %bb.150:                              ;   in Loop: Header=BB21_57 Depth=2
	v_add_u32_e32 v18, v18, v11
	v_ashrrev_i32_e32 v19, 31, v18
	s_mov_b64 s[40:41], 0
.LBB21_151:                             ;   Parent Loop BB21_47 Depth=1
                                        ;     Parent Loop BB21_57 Depth=2
                                        ; =>    This Inner Loop Header: Depth=3
	v_lshl_add_u64 v[20:21], v[14:15], 0, v[18:19]
	flat_load_ushort v11, v[20:21] nt
	v_sub_u32_e32 v9, v9, v102
	v_cmp_gt_i32_e32 vcc, 2, v9
	v_lshl_add_u64 v[20:21], v[16:17], 0, v[18:19]
	v_lshl_add_u64 v[18:19], v[18:19], 0, v[102:103]
	s_or_b64 s[40:41], vcc, s[40:41]
	s_waitcnt vmcnt(0) lgkmcnt(0)
	flat_store_short v[20:21], v11 nt
	s_andn2_b64 exec, exec, s[40:41]
	s_cbranch_execnz .LBB21_151
.LBB21_152:                             ;   in Loop: Header=BB21_57 Depth=2
	s_or_b64 exec, exec, s[22:23]
	v_cmp_lt_i32_e64 s[22:23], 0, v2
	s_and_saveexec_b64 s[40:41], s[4:5]
	s_cbranch_execz .LBB21_128
.LBB21_153:                             ;   in Loop: Header=BB21_57 Depth=2
	s_and_saveexec_b64 s[42:43], s[76:77]
	s_xor_b64 s[42:43], exec, s[42:43]
	s_cbranch_execz .LBB21_168
; %bb.154:                              ;   in Loop: Header=BB21_57 Depth=2
	s_and_saveexec_b64 s[44:45], s[12:13]
	s_cbranch_execz .LBB21_167
; %bb.155:                              ;   in Loop: Header=BB21_57 Depth=2
	s_mov_b64 s[56:57], exec
	v_mbcnt_lo_u32_b32 v2, s56, 0
	v_mbcnt_hi_u32_b32 v2, s57, v2
	v_cmp_eq_u32_e32 vcc, 0, v2
	s_waitcnt lgkmcnt(0)
	s_and_saveexec_b64 s[46:47], vcc
	s_cbranch_execz .LBB21_157
; %bb.156:                              ;   in Loop: Header=BB21_57 Depth=2
	s_bcnt1_i32_b64 s56, s[56:57]
	v_mov_b32_e32 v2, s56
	ds_add_u64 v0, v[2:3]
	s_trap 2
.LBB21_157:                             ;   in Loop: Header=BB21_57 Depth=2
	s_or_b64 exec, exec, s[46:47]
	s_trap 2
	ds_read_b64 v[14:15], v0
	s_waitcnt lgkmcnt(0)
	v_lshl_add_u64 v[70:71], v[70:71], 0, v[84:85]
	v_cmp_lt_u64_e32 vcc, v[14:15], v[70:71]
	s_and_saveexec_b64 s[46:47], vcc
	s_cbranch_execz .LBB21_166
; %bb.158:                              ;   in Loop: Header=BB21_57 Depth=2
	s_mov_b32 s50, 0
	s_mov_b64 s[56:57], 0
                                        ; implicit-def: $sgpr58_sgpr59
                                        ; implicit-def: $sgpr60_sgpr61
	s_branch .LBB21_160
.LBB21_159:                             ;   in Loop: Header=BB21_160 Depth=3
	s_or_b64 exec, exec, s[48:49]
	s_and_b64 vcc, exec, vcc
	s_or_b64 s[56:57], vcc, s[56:57]
	s_andn2_b64 s[58:59], s[58:59], exec
	s_and_b64 vcc, s[60:61], exec
	s_or_b64 s[58:59], s[58:59], vcc
	s_andn2_b64 exec, exec, s[56:57]
	s_cbranch_execz .LBB21_164
.LBB21_160:                             ;   Parent Loop BB21_47 Depth=1
                                        ;     Parent Loop BB21_57 Depth=2
                                        ; =>    This Inner Loop Header: Depth=3
	s_add_i32 s50, s50, 1
	s_cmpk_lg_i32 s50, 0x2710
	s_cselect_b64 s[38:39], -1, 0
	s_and_b64 vcc, exec, s[38:39]
	s_cbranch_vccz .LBB21_162
; %bb.161:                              ;   in Loop: Header=BB21_160 Depth=3
	s_mov_b64 vcc, -1
	s_or_b64 s[60:61], s[60:61], exec
	s_and_saveexec_b64 s[48:49], s[38:39]
	s_cbranch_execz .LBB21_159
	s_branch .LBB21_163
.LBB21_162:                             ;   in Loop: Header=BB21_160 Depth=3
	s_trap 2
	ds_read_b64 v[14:15], v0
	s_andn2_b64 s[38:39], s[38:39], exec
	s_mov_b32 s50, 0
	s_waitcnt vmcnt(0) lgkmcnt(0)
	flat_load_dword v2, v[14:15] sc0 sc1
	s_waitcnt vmcnt(0) lgkmcnt(0)
	buffer_inv sc0 sc1
	v_cmp_eq_u32_e32 vcc, 0, v2
	s_and_b64 vcc, vcc, exec
	s_or_b64 s[38:39], s[38:39], vcc
	s_mov_b64 vcc, -1
	s_or_b64 s[60:61], s[60:61], exec
	s_and_saveexec_b64 s[48:49], s[38:39]
	s_cbranch_execz .LBB21_159
.LBB21_163:                             ;   in Loop: Header=BB21_160 Depth=3
	s_sleep 1
	s_trap 2
	ds_read_b64 v[14:15], v0
	s_waitcnt lgkmcnt(0)
	s_andn2_b64 s[60:61], s[60:61], exec
	v_cmp_ge_u64_e32 vcc, v[14:15], v[70:71]
	s_orn2_b64 vcc, vcc, exec
	s_branch .LBB21_159
.LBB21_164:                             ;   in Loop: Header=BB21_57 Depth=2
	s_or_b64 exec, exec, s[56:57]
	s_and_saveexec_b64 s[56:57], s[58:59]
	s_xor_b64 s[56:57], exec, s[56:57]
	s_cbranch_execz .LBB21_166
; %bb.165:                              ;   in Loop: Header=BB21_57 Depth=2
	ds_write_b32 v0, v107
	s_trap 2
.LBB21_166:                             ;   in Loop: Header=BB21_57 Depth=2
	s_or_b64 exec, exec, s[46:47]
	;;#ASMSTART
	s_wakeup
	;;#ASMEND
.LBB21_167:                             ;   in Loop: Header=BB21_57 Depth=2
	s_or_b64 exec, exec, s[44:45]
.LBB21_168:                             ;   in Loop: Header=BB21_57 Depth=2
	s_andn2_saveexec_b64 s[42:43], s[42:43]
	s_cbranch_execz .LBB21_170
; %bb.169:                              ;   in Loop: Header=BB21_57 Depth=2
	s_waitcnt lgkmcnt(0)
	s_barrier
.LBB21_170:                             ;   in Loop: Header=BB21_57 Depth=2
	s_or_b64 exec, exec, s[42:43]
	s_or_b64 exec, exec, s[40:41]
                                        ; implicit-def: $vgpr2
	s_and_saveexec_b64 s[40:41], s[20:21]
	s_xor_b64 s[40:41], exec, s[40:41]
	s_cbranch_execnz .LBB21_129
.LBB21_171:                             ;   in Loop: Header=BB21_57 Depth=2
	s_andn2_saveexec_b64 s[22:23], s[40:41]
	s_cbranch_execz .LBB21_132
.LBB21_172:                             ;   in Loop: Header=BB21_57 Depth=2
	s_and_saveexec_b64 s[40:41], s[76:77]
	s_xor_b64 s[40:41], exec, s[40:41]
	s_cbranch_execz .LBB21_187
; %bb.173:                              ;   in Loop: Header=BB21_57 Depth=2
	s_and_saveexec_b64 s[42:43], s[12:13]
	s_cbranch_execz .LBB21_186
; %bb.174:                              ;   in Loop: Header=BB21_57 Depth=2
	s_mov_b64 s[46:47], exec
	v_mbcnt_lo_u32_b32 v2, s46, 0
	v_mbcnt_hi_u32_b32 v2, s47, v2
	v_cmp_eq_u32_e32 vcc, 0, v2
	;;#ASMSTART
	s_waitcnt lgkmcnt(0) vmcnt(0)
	;;#ASMEND
	s_and_saveexec_b64 s[44:45], vcc
	s_cbranch_execz .LBB21_176
; %bb.175:                              ;   in Loop: Header=BB21_57 Depth=2
	s_bcnt1_i32_b64 s46, s[46:47]
	v_mov_b32_e32 v2, s46
	s_waitcnt lgkmcnt(0)
	ds_add_u64 v0, v[2:3]
	s_trap 2
.LBB21_176:                             ;   in Loop: Header=BB21_57 Depth=2
	s_or_b64 exec, exec, s[44:45]
	s_trap 2
	ds_read_b64 v[14:15], v0
	s_waitcnt lgkmcnt(0)
	v_lshl_add_u64 v[70:71], v[70:71], 0, v[84:85]
	v_cmp_lt_u64_e32 vcc, v[14:15], v[70:71]
	s_and_saveexec_b64 s[44:45], vcc
	s_cbranch_execz .LBB21_185
; %bb.177:                              ;   in Loop: Header=BB21_57 Depth=2
	s_mov_b32 s48, 0
	s_mov_b64 s[46:47], 0
                                        ; implicit-def: $sgpr56_sgpr57
                                        ; implicit-def: $sgpr58_sgpr59
	s_branch .LBB21_179
.LBB21_178:                             ;   in Loop: Header=BB21_179 Depth=3
	s_or_b64 exec, exec, s[38:39]
	s_and_b64 s[60:61], exec, vcc
	s_or_b64 s[46:47], s[60:61], s[46:47]
	s_andn2_b64 s[56:57], s[56:57], exec
	s_and_b64 s[60:61], s[58:59], exec
	s_or_b64 s[56:57], s[56:57], s[60:61]
	s_andn2_b64 exec, exec, s[46:47]
	s_cbranch_execz .LBB21_183
.LBB21_179:                             ;   Parent Loop BB21_47 Depth=1
                                        ;     Parent Loop BB21_57 Depth=2
                                        ; =>    This Inner Loop Header: Depth=3
	s_add_i32 s48, s48, 1
	s_cmpk_lg_i32 s48, 0x2710
	s_cselect_b64 s[60:61], -1, 0
	s_and_b64 vcc, exec, s[60:61]
	s_cbranch_vccz .LBB21_181
; %bb.180:                              ;   in Loop: Header=BB21_179 Depth=3
	s_mov_b64 vcc, -1
	s_or_b64 s[58:59], s[58:59], exec
	s_and_saveexec_b64 s[38:39], s[60:61]
	s_cbranch_execz .LBB21_178
	s_branch .LBB21_182
.LBB21_181:                             ;   in Loop: Header=BB21_179 Depth=3
	s_trap 2
	ds_read_b64 v[14:15], v0
	s_andn2_b64 s[60:61], s[60:61], exec
	s_mov_b32 s48, 0
	s_waitcnt vmcnt(0) lgkmcnt(0)
	flat_load_dword v2, v[14:15] sc0 sc1
	s_waitcnt vmcnt(0) lgkmcnt(0)
	buffer_inv sc0 sc1
	v_cmp_eq_u32_e32 vcc, 0, v2
	s_and_b64 vcc, vcc, exec
	s_or_b64 s[60:61], s[60:61], vcc
	s_mov_b64 vcc, -1
	s_or_b64 s[58:59], s[58:59], exec
	s_and_saveexec_b64 s[38:39], s[60:61]
	s_cbranch_execz .LBB21_178
.LBB21_182:                             ;   in Loop: Header=BB21_179 Depth=3
	s_sleep 1
	s_trap 2
	ds_read_b64 v[14:15], v0
	s_waitcnt lgkmcnt(0)
	s_andn2_b64 s[58:59], s[58:59], exec
	v_cmp_ge_u64_e32 vcc, v[14:15], v[70:71]
	s_orn2_b64 vcc, vcc, exec
	s_branch .LBB21_178
.LBB21_183:                             ;   in Loop: Header=BB21_57 Depth=2
	s_or_b64 exec, exec, s[46:47]
	s_and_saveexec_b64 s[46:47], s[56:57]
	s_xor_b64 s[46:47], exec, s[46:47]
	s_cbranch_execz .LBB21_185
; %bb.184:                              ;   in Loop: Header=BB21_57 Depth=2
	ds_write_b32 v0, v107
	s_trap 2
.LBB21_185:                             ;   in Loop: Header=BB21_57 Depth=2
	s_or_b64 exec, exec, s[44:45]
	;;#ASMSTART
	s_wakeup
	;;#ASMEND
.LBB21_186:                             ;   in Loop: Header=BB21_57 Depth=2
	s_or_b64 exec, exec, s[42:43]
.LBB21_187:                             ;   in Loop: Header=BB21_57 Depth=2
	s_andn2_saveexec_b64 s[40:41], s[40:41]
	s_cbranch_execz .LBB21_189
; %bb.188:                              ;   in Loop: Header=BB21_57 Depth=2
	;;#ASMSTART
	s_waitcnt lgkmcnt(0) vmcnt(0)
	;;#ASMEND
	s_barrier
.LBB21_189:                             ;   in Loop: Header=BB21_57 Depth=2
	s_or_b64 exec, exec, s[40:41]
	v_and_b32_e32 v2, 16, v104
	s_or_b64 exec, exec, s[22:23]
	v_cmp_ne_u32_e32 vcc, 0, v2
	s_and_saveexec_b64 s[22:23], vcc
	s_cbranch_execz .LBB21_56
.LBB21_190:                             ;   in Loop: Header=BB21_57 Depth=2
	s_and_saveexec_b64 s[40:41], s[10:11]
	s_cbranch_execz .LBB21_55
; %bb.191:                              ;   in Loop: Header=BB21_57 Depth=2
	flat_store_dword v[68:69], v107 sc0 sc1
	s_branch .LBB21_55
.LBB21_192:                             ;   in Loop: Header=BB21_47 Depth=1
	s_or_b64 exec, exec, s[26:27]
.LBB21_193:                             ;   in Loop: Header=BB21_47 Depth=1
	s_or_b64 exec, exec, s[24:25]
	v_cmp_gt_i32_e32 vcc, 2, v2
	s_and_saveexec_b64 s[24:25], vcc
	s_cbranch_execz .LBB21_265
; %bb.194:                              ;   in Loop: Header=BB21_47 Depth=1
	v_cmp_eq_u32_e64 s[28:29], 0, v2
	s_mov_b64 s[26:27], 0
	s_branch .LBB21_197
.LBB21_195:                             ;   in Loop: Header=BB21_197 Depth=2
	s_or_b64 exec, exec, s[28:29]
	v_lshl_add_u64 v[58:59], v[58:59], 0, 2
	flat_store_dwordx2 v[64:65], v[58:59] sc0 sc1
.LBB21_196:                             ;   in Loop: Header=BB21_197 Depth=2
	s_or_b64 exec, exec, s[22:23]
	v_add_u32_e32 v10, v8, v10
	s_mov_b64 s[28:29], 0
	s_andn2_b64 exec, exec, s[26:27]
	s_cbranch_execz .LBB21_264
.LBB21_197:                             ;   Parent Loop BB21_47 Depth=1
                                        ; =>  This Loop Header: Depth=2
                                        ;       Child Loop BB21_203 Depth 3
                                        ;       Child Loop BB21_227 Depth 3
	;; [unrolled: 1-line block ×3, first 2 shown]
	v_sub_u32_e32 v2, v24, v10
	v_min_i32_e32 v8, v8, v2
	v_and_b32_e32 v2, 8, v104
	v_cmp_ne_u32_e32 vcc, 0, v2
	s_and_saveexec_b64 s[40:41], vcc
	s_cbranch_execz .LBB21_219
; %bb.198:                              ;   in Loop: Header=BB21_197 Depth=2
	s_waitcnt vmcnt(0) lgkmcnt(0)
	v_lshl_add_u64 v[14:15], v[80:81], 0, 8
	v_lshl_add_u64 v[12:13], v[58:59], 0, 2
	v_cmp_lt_u64_e32 vcc, v[14:15], v[12:13]
	s_and_saveexec_b64 s[42:43], vcc
	s_cbranch_execz .LBB21_210
; %bb.199:                              ;   in Loop: Header=BB21_197 Depth=2
	v_and_b32_e32 v2, 64, v104
	s_mov_b32 s74, 0
	v_cmp_eq_u32_e32 vcc, 0, v2
	s_mov_b64 s[44:45], 0
                                        ; implicit-def: $sgpr46_sgpr47
                                        ; implicit-def: $sgpr56_sgpr57
                                        ; implicit-def: $sgpr58_sgpr59
	s_branch .LBB21_203
.LBB21_200:                             ;   in Loop: Header=BB21_203 Depth=3
	s_waitcnt vmcnt(0) lgkmcnt(0)
	v_lshl_add_u64 v[14:15], v[80:81], 0, 8
	v_cmp_ge_u64_e64 s[22:23], v[14:15], v[12:13]
	s_or_b64 s[48:49], s[48:49], exec
	s_orn2_b64 s[38:39], s[22:23], exec
.LBB21_201:                             ;   in Loop: Header=BB21_203 Depth=3
	s_or_b64 exec, exec, s[52:53]
	s_andn2_b64 s[22:23], s[58:59], exec
	s_and_b64 s[58:59], s[48:49], exec
	s_or_b64 s[58:59], s[22:23], s[58:59]
	s_andn2_b64 s[22:23], s[56:57], exec
	s_and_b64 s[56:57], s[38:39], exec
	s_or_b64 s[56:57], s[22:23], s[56:57]
.LBB21_202:                             ;   in Loop: Header=BB21_203 Depth=3
	s_or_b64 exec, exec, s[60:61]
	s_and_b64 s[22:23], exec, s[56:57]
	s_or_b64 s[44:45], s[22:23], s[44:45]
	s_andn2_b64 s[22:23], s[46:47], exec
	s_and_b64 s[46:47], s[58:59], exec
	s_or_b64 s[46:47], s[22:23], s[46:47]
	s_andn2_b64 exec, exec, s[44:45]
	s_cbranch_execz .LBB21_207
.LBB21_203:                             ;   Parent Loop BB21_47 Depth=1
                                        ;     Parent Loop BB21_197 Depth=2
                                        ; =>    This Inner Loop Header: Depth=3
	s_sleep 1
	s_waitcnt vmcnt(0) lgkmcnt(0)
	flat_load_dwordx2 v[80:81], v[64:65] sc0 sc1
	s_or_b64 s[58:59], s[58:59], exec
	s_or_b64 s[56:57], s[56:57], exec
                                        ; implicit-def: $vgpr2
	s_and_saveexec_b64 s[60:61], vcc
	s_cbranch_execz .LBB21_202
; %bb.204:                              ;   in Loop: Header=BB21_203 Depth=3
	s_cmpk_lt_i32 s74, 0x270f
	s_cselect_b64 s[50:51], -1, 0
	s_cmpk_gt_i32 s74, 0x270e
	s_mov_b64 s[38:39], -1
	s_cbranch_scc0 .LBB21_206
; %bb.205:                              ;   in Loop: Header=BB21_203 Depth=3
	s_trap 2
	ds_read_b64 v[14:15], v0
	s_andn2_b64 s[50:51], s[50:51], exec
	s_mov_b32 s74, 0
	s_mov_b64 s[48:49], 0
	s_waitcnt vmcnt(0) lgkmcnt(0)
	flat_load_dword v2, v[14:15] sc0 sc1
	s_waitcnt vmcnt(0) lgkmcnt(0)
	buffer_inv sc0 sc1
	v_cmp_eq_u32_e64 s[22:23], 0, v2
	s_and_b64 s[22:23], s[22:23], exec
	s_or_b64 s[50:51], s[50:51], s[22:23]
	s_and_saveexec_b64 s[52:53], s[50:51]
	s_cbranch_execz .LBB21_201
	s_branch .LBB21_200
.LBB21_206:                             ;   in Loop: Header=BB21_203 Depth=3
	s_add_i32 s74, s74, 1
	s_mov_b64 s[48:49], -1
                                        ; implicit-def: $vgpr2
	s_and_saveexec_b64 s[52:53], s[50:51]
	s_cbranch_execz .LBB21_201
	s_branch .LBB21_200
.LBB21_207:                             ;   in Loop: Header=BB21_197 Depth=2
	s_or_b64 exec, exec, s[44:45]
	s_xor_b64 s[22:23], s[46:47], -1
	s_and_saveexec_b64 s[44:45], s[22:23]
	s_xor_b64 s[22:23], exec, s[44:45]
	s_cbranch_execz .LBB21_209
; %bb.208:                              ;   in Loop: Header=BB21_197 Depth=2
	v_or_b32_e32 v104, 64, v104
	s_waitcnt lgkmcnt(0)
	ds_write_b32 v0, v2
	s_trap 2
.LBB21_209:                             ;   in Loop: Header=BB21_197 Depth=2
	s_or_b64 exec, exec, s[22:23]
.LBB21_210:                             ;   in Loop: Header=BB21_197 Depth=2
	s_or_b64 exec, exec, s[42:43]
	v_and_b32_e32 v2, 0x100, v104
	v_cmp_ne_u32_e32 vcc, 0, v2
	v_and_b32_e32 v2, 7, v58
	s_mov_b64 s[22:23], -1
	;;#ASMSTART
	s_wakeup
	;;#ASMEND
                                        ; implicit-def: $vgpr14_vgpr15
	s_and_saveexec_b64 s[42:43], vcc
	s_cbranch_execz .LBB21_214
; %bb.211:                              ;   in Loop: Header=BB21_197 Depth=2
	v_mad_u64_u32 v[16:17], s[22:23], v2, 24, v[6:7]
	flat_load_dword v11, v[16:17]
	v_ashrrev_i32_e32 v9, 31, v8
	v_lshlrev_b64 v[14:15], 1, v[8:9]
	flat_store_dwordx2 v[16:17], v[14:15] offset:8
                                        ; implicit-def: $vgpr14_vgpr15
	s_waitcnt vmcnt(0) lgkmcnt(0)
	v_cmp_ne_u32_e32 vcc, 1, v11
	v_cmp_eq_u32_e64 s[22:23], 1, v11
	s_and_saveexec_b64 s[44:45], s[22:23]
	s_cbranch_execz .LBB21_213
; %bb.212:                              ;   in Loop: Header=BB21_197 Depth=2
	flat_load_dword v14, v[16:17] offset:4 sc0 sc1
	s_waitcnt vmcnt(0) lgkmcnt(0)
	v_ashrrev_i32_e32 v15, 31, v14
	v_lshrrev_b64 v[14:15], 1, v[14:15]
.LBB21_213:                             ;   in Loop: Header=BB21_197 Depth=2
	s_or_b64 exec, exec, s[44:45]
	s_orn2_b64 s[22:23], vcc, exec
.LBB21_214:                             ;   in Loop: Header=BB21_197 Depth=2
	s_or_b64 exec, exec, s[42:43]
	s_and_saveexec_b64 s[42:43], s[22:23]
; %bb.215:                              ;   in Loop: Header=BB21_197 Depth=2
	v_mad_i64_i32 v[14:15], s[22:23], v2, v30, 0
; %bb.216:                              ;   in Loop: Header=BB21_197 Depth=2
	s_or_b64 exec, exec, s[42:43]
	v_and_b32_e32 v2, 0x2000, v104
	v_lshl_add_u64 v[14:15], v[14:15], 1, v[66:67]
	v_cmp_ne_u32_e32 vcc, 0, v2
	ds_write_b64 v0, v[14:15] offset:784
	s_and_saveexec_b64 s[22:23], vcc
	s_cbranch_execz .LBB21_218
; %bb.217:                              ;   in Loop: Header=BB21_197 Depth=2
	ds_read_b64 v[14:15], v0 offset:872
	s_waitcnt lgkmcnt(0)
	v_lshl_add_u64 v[14:15], v[14:15], 0, 1
	ds_write_b64 v0, v[14:15] offset:872
.LBB21_218:                             ;   in Loop: Header=BB21_197 Depth=2
	s_or_b64 exec, exec, s[22:23]
	v_mov_b64_e32 v[58:59], v[12:13]
.LBB21_219:                             ;   in Loop: Header=BB21_197 Depth=2
	s_or_b64 exec, exec, s[40:41]
	s_xor_b64 s[22:23], s[28:29], -1
	s_and_b64 s[22:23], exec, s[22:23]
	s_or_b64 s[26:27], s[22:23], s[26:27]
	s_and_saveexec_b64 s[22:23], s[4:5]
	s_cbranch_execz .LBB21_238
; %bb.220:                              ;   in Loop: Header=BB21_197 Depth=2
	s_and_saveexec_b64 s[28:29], s[76:77]
	s_xor_b64 s[28:29], exec, s[28:29]
	s_cbranch_execz .LBB21_235
; %bb.221:                              ;   in Loop: Header=BB21_197 Depth=2
	s_and_saveexec_b64 s[40:41], s[12:13]
	s_cbranch_execz .LBB21_234
; %bb.222:                              ;   in Loop: Header=BB21_197 Depth=2
	s_mov_b64 s[44:45], exec
	v_mbcnt_lo_u32_b32 v2, s44, 0
	v_mbcnt_hi_u32_b32 v2, s45, v2
	v_cmp_eq_u32_e32 vcc, 0, v2
	s_waitcnt lgkmcnt(0)
	s_and_saveexec_b64 s[42:43], vcc
	s_cbranch_execz .LBB21_224
; %bb.223:                              ;   in Loop: Header=BB21_197 Depth=2
	s_bcnt1_i32_b64 s44, s[44:45]
	v_mov_b32_e32 v2, s44
	ds_add_u64 v0, v[2:3]
	s_trap 2
.LBB21_224:                             ;   in Loop: Header=BB21_197 Depth=2
	s_or_b64 exec, exec, s[42:43]
	s_trap 2
	ds_read_b64 v[12:13], v0
	s_waitcnt lgkmcnt(0)
	v_lshl_add_u64 v[70:71], v[70:71], 0, v[84:85]
	v_cmp_lt_u64_e32 vcc, v[12:13], v[70:71]
	s_and_saveexec_b64 s[42:43], vcc
	s_cbranch_execz .LBB21_233
; %bb.225:                              ;   in Loop: Header=BB21_197 Depth=2
	s_mov_b32 s74, 0
	s_mov_b64 s[44:45], 0
                                        ; implicit-def: $sgpr46_sgpr47
                                        ; implicit-def: $sgpr56_sgpr57
	s_branch .LBB21_227
.LBB21_226:                             ;   in Loop: Header=BB21_227 Depth=3
	s_or_b64 exec, exec, s[60:61]
	s_and_b64 s[58:59], exec, vcc
	s_or_b64 s[44:45], s[58:59], s[44:45]
	s_andn2_b64 s[46:47], s[46:47], exec
	s_and_b64 s[58:59], s[56:57], exec
	s_or_b64 s[46:47], s[46:47], s[58:59]
	s_andn2_b64 exec, exec, s[44:45]
	s_cbranch_execz .LBB21_231
.LBB21_227:                             ;   Parent Loop BB21_47 Depth=1
                                        ;     Parent Loop BB21_197 Depth=2
                                        ; =>    This Inner Loop Header: Depth=3
	s_add_i32 s74, s74, 1
	s_cmpk_lg_i32 s74, 0x2710
	s_cselect_b64 s[58:59], -1, 0
	s_and_b64 vcc, exec, s[58:59]
	s_cbranch_vccz .LBB21_229
; %bb.228:                              ;   in Loop: Header=BB21_227 Depth=3
	s_mov_b64 vcc, -1
	s_or_b64 s[56:57], s[56:57], exec
	s_and_saveexec_b64 s[60:61], s[58:59]
	s_cbranch_execz .LBB21_226
	s_branch .LBB21_230
.LBB21_229:                             ;   in Loop: Header=BB21_227 Depth=3
	s_trap 2
	ds_read_b64 v[12:13], v0
	s_andn2_b64 s[58:59], s[58:59], exec
	s_mov_b32 s74, 0
	s_waitcnt vmcnt(0) lgkmcnt(0)
	flat_load_dword v2, v[12:13] sc0 sc1
	s_waitcnt vmcnt(0) lgkmcnt(0)
	buffer_inv sc0 sc1
	v_cmp_eq_u32_e32 vcc, 0, v2
	s_and_b64 s[60:61], vcc, exec
	s_or_b64 s[58:59], s[58:59], s[60:61]
	s_mov_b64 vcc, -1
	s_or_b64 s[56:57], s[56:57], exec
	s_and_saveexec_b64 s[60:61], s[58:59]
	s_cbranch_execz .LBB21_226
.LBB21_230:                             ;   in Loop: Header=BB21_227 Depth=3
	s_sleep 1
	s_trap 2
	ds_read_b64 v[12:13], v0
	s_waitcnt lgkmcnt(0)
	s_andn2_b64 s[56:57], s[56:57], exec
	v_cmp_ge_u64_e32 vcc, v[12:13], v[70:71]
	s_orn2_b64 vcc, vcc, exec
	s_branch .LBB21_226
.LBB21_231:                             ;   in Loop: Header=BB21_197 Depth=2
	s_or_b64 exec, exec, s[44:45]
	s_and_saveexec_b64 s[44:45], s[46:47]
	s_xor_b64 s[44:45], exec, s[44:45]
	s_cbranch_execz .LBB21_233
; %bb.232:                              ;   in Loop: Header=BB21_197 Depth=2
	ds_write_b32 v0, v107
	s_trap 2
.LBB21_233:                             ;   in Loop: Header=BB21_197 Depth=2
	s_or_b64 exec, exec, s[42:43]
	;;#ASMSTART
	s_wakeup
	;;#ASMEND
.LBB21_234:                             ;   in Loop: Header=BB21_197 Depth=2
	s_or_b64 exec, exec, s[40:41]
.LBB21_235:                             ;   in Loop: Header=BB21_197 Depth=2
	s_andn2_saveexec_b64 s[28:29], s[28:29]
	s_cbranch_execz .LBB21_237
; %bb.236:                              ;   in Loop: Header=BB21_197 Depth=2
	s_waitcnt lgkmcnt(0)
	s_barrier
.LBB21_237:                             ;   in Loop: Header=BB21_197 Depth=2
	s_or_b64 exec, exec, s[28:29]
.LBB21_238:                             ;   in Loop: Header=BB21_197 Depth=2
	s_or_b64 exec, exec, s[22:23]
                                        ; implicit-def: $vgpr2
	s_and_saveexec_b64 s[22:23], s[20:21]
	s_xor_b64 s[22:23], exec, s[22:23]
	s_cbranch_execz .LBB21_243
; %bb.239:                              ;   in Loop: Header=BB21_197 Depth=2
	s_trap 2
	ds_read_b32 v9, v0
	v_cmp_lt_i32_e32 vcc, 0, v8
	v_and_b32_e32 v11, 16, v104
	v_and_b32_e32 v2, 16, v104
	s_waitcnt lgkmcnt(0)
	v_readfirstlane_b32 s28, v9
	s_cmp_eq_u32 s28, 0
	s_cselect_b64 s[28:29], -1, 0
	s_and_b64 s[28:29], vcc, s[28:29]
	v_cmp_ne_u32_e32 vcc, 0, v11
	s_and_b64 s[40:41], vcc, s[28:29]
	s_and_saveexec_b64 s[28:29], s[40:41]
	s_cbranch_execz .LBB21_241
; %bb.240:                              ;   in Loop: Header=BB21_197 Depth=2
	v_mov_b32_e32 v2, 1
	buffer_wbl2 sc1
	s_waitcnt vmcnt(0)
	buffer_inv sc1
.LBB21_241:                             ;   in Loop: Header=BB21_197 Depth=2
	s_or_b64 exec, exec, s[28:29]
	s_andn2_saveexec_b64 s[22:23], s[22:23]
	s_cbranch_execnz .LBB21_244
.LBB21_242:                             ;   in Loop: Header=BB21_197 Depth=2
	s_or_b64 exec, exec, s[22:23]
	v_cmp_ne_u32_e32 vcc, 0, v2
	s_and_saveexec_b64 s[22:23], vcc
	s_cbranch_execz .LBB21_196
	s_branch .LBB21_262
.LBB21_243:                             ;   in Loop: Header=BB21_197 Depth=2
	s_andn2_saveexec_b64 s[22:23], s[22:23]
	s_cbranch_execz .LBB21_242
.LBB21_244:                             ;   in Loop: Header=BB21_197 Depth=2
	s_and_saveexec_b64 s[28:29], s[76:77]
	s_xor_b64 s[28:29], exec, s[28:29]
	s_cbranch_execz .LBB21_259
; %bb.245:                              ;   in Loop: Header=BB21_197 Depth=2
	s_and_saveexec_b64 s[40:41], s[12:13]
	s_cbranch_execz .LBB21_258
; %bb.246:                              ;   in Loop: Header=BB21_197 Depth=2
	s_mov_b64 s[44:45], exec
	v_mbcnt_lo_u32_b32 v2, s44, 0
	v_mbcnt_hi_u32_b32 v2, s45, v2
	v_cmp_eq_u32_e32 vcc, 0, v2
	;;#ASMSTART
	s_waitcnt lgkmcnt(0) vmcnt(0)
	;;#ASMEND
	s_and_saveexec_b64 s[42:43], vcc
	s_cbranch_execz .LBB21_248
; %bb.247:                              ;   in Loop: Header=BB21_197 Depth=2
	s_bcnt1_i32_b64 s44, s[44:45]
	v_mov_b32_e32 v2, s44
	s_waitcnt lgkmcnt(0)
	ds_add_u64 v0, v[2:3]
	s_trap 2
.LBB21_248:                             ;   in Loop: Header=BB21_197 Depth=2
	s_or_b64 exec, exec, s[42:43]
	s_trap 2
	ds_read_b64 v[12:13], v0
	s_waitcnt lgkmcnt(0)
	v_lshl_add_u64 v[70:71], v[70:71], 0, v[84:85]
	v_cmp_lt_u64_e32 vcc, v[12:13], v[70:71]
	s_and_saveexec_b64 s[42:43], vcc
	s_cbranch_execz .LBB21_257
; %bb.249:                              ;   in Loop: Header=BB21_197 Depth=2
	s_mov_b32 s74, 0
	s_mov_b64 s[44:45], 0
                                        ; implicit-def: $sgpr46_sgpr47
                                        ; implicit-def: $sgpr56_sgpr57
	s_branch .LBB21_251
.LBB21_250:                             ;   in Loop: Header=BB21_251 Depth=3
	s_or_b64 exec, exec, s[60:61]
	s_and_b64 s[58:59], exec, vcc
	s_or_b64 s[44:45], s[58:59], s[44:45]
	s_andn2_b64 s[46:47], s[46:47], exec
	s_and_b64 s[58:59], s[56:57], exec
	s_or_b64 s[46:47], s[46:47], s[58:59]
	s_andn2_b64 exec, exec, s[44:45]
	s_cbranch_execz .LBB21_255
.LBB21_251:                             ;   Parent Loop BB21_47 Depth=1
                                        ;     Parent Loop BB21_197 Depth=2
                                        ; =>    This Inner Loop Header: Depth=3
	s_add_i32 s74, s74, 1
	s_cmpk_lg_i32 s74, 0x2710
	s_cselect_b64 s[58:59], -1, 0
	s_and_b64 vcc, exec, s[58:59]
	s_cbranch_vccz .LBB21_253
; %bb.252:                              ;   in Loop: Header=BB21_251 Depth=3
	s_mov_b64 vcc, -1
	s_or_b64 s[56:57], s[56:57], exec
	s_and_saveexec_b64 s[60:61], s[58:59]
	s_cbranch_execz .LBB21_250
	s_branch .LBB21_254
.LBB21_253:                             ;   in Loop: Header=BB21_251 Depth=3
	s_trap 2
	ds_read_b64 v[12:13], v0
	s_andn2_b64 s[58:59], s[58:59], exec
	s_mov_b32 s74, 0
	s_waitcnt vmcnt(0) lgkmcnt(0)
	flat_load_dword v2, v[12:13] sc0 sc1
	s_waitcnt vmcnt(0) lgkmcnt(0)
	buffer_inv sc0 sc1
	v_cmp_eq_u32_e32 vcc, 0, v2
	s_and_b64 s[60:61], vcc, exec
	s_or_b64 s[58:59], s[58:59], s[60:61]
	s_mov_b64 vcc, -1
	s_or_b64 s[56:57], s[56:57], exec
	s_and_saveexec_b64 s[60:61], s[58:59]
	s_cbranch_execz .LBB21_250
.LBB21_254:                             ;   in Loop: Header=BB21_251 Depth=3
	s_sleep 1
	s_trap 2
	ds_read_b64 v[12:13], v0
	s_waitcnt lgkmcnt(0)
	s_andn2_b64 s[56:57], s[56:57], exec
	v_cmp_ge_u64_e32 vcc, v[12:13], v[70:71]
	s_orn2_b64 vcc, vcc, exec
	s_branch .LBB21_250
.LBB21_255:                             ;   in Loop: Header=BB21_197 Depth=2
	s_or_b64 exec, exec, s[44:45]
	s_and_saveexec_b64 s[44:45], s[46:47]
	s_xor_b64 s[44:45], exec, s[44:45]
	s_cbranch_execz .LBB21_257
; %bb.256:                              ;   in Loop: Header=BB21_197 Depth=2
	ds_write_b32 v0, v107
	s_trap 2
.LBB21_257:                             ;   in Loop: Header=BB21_197 Depth=2
	s_or_b64 exec, exec, s[42:43]
	;;#ASMSTART
	s_wakeup
	;;#ASMEND
.LBB21_258:                             ;   in Loop: Header=BB21_197 Depth=2
	s_or_b64 exec, exec, s[40:41]
.LBB21_259:                             ;   in Loop: Header=BB21_197 Depth=2
	s_andn2_saveexec_b64 s[28:29], s[28:29]
	s_cbranch_execz .LBB21_261
; %bb.260:                              ;   in Loop: Header=BB21_197 Depth=2
	;;#ASMSTART
	s_waitcnt lgkmcnt(0) vmcnt(0)
	;;#ASMEND
	s_barrier
.LBB21_261:                             ;   in Loop: Header=BB21_197 Depth=2
	s_or_b64 exec, exec, s[28:29]
	v_and_b32_e32 v2, 16, v104
	s_or_b64 exec, exec, s[22:23]
	v_cmp_ne_u32_e32 vcc, 0, v2
	s_and_saveexec_b64 s[22:23], vcc
	s_cbranch_execz .LBB21_196
.LBB21_262:                             ;   in Loop: Header=BB21_197 Depth=2
	s_and_saveexec_b64 s[28:29], s[10:11]
	s_cbranch_execz .LBB21_195
; %bb.263:                              ;   in Loop: Header=BB21_197 Depth=2
	flat_store_dword v[68:69], v107 sc0 sc1
	s_branch .LBB21_195
.LBB21_264:                             ;   in Loop: Header=BB21_47 Depth=1
	s_or_b64 exec, exec, s[26:27]
.LBB21_265:                             ;   in Loop: Header=BB21_47 Depth=1
	s_or_b64 exec, exec, s[24:25]
	v_cndmask_b32_e64 v2, 0, 1, s[94:95]
	v_cmp_ne_u32_e64 s[22:23], 1, v2
	s_andn2_b64 vcc, exec, s[94:95]
	s_cbranch_vccnz .LBB21_620
; %bb.266:                              ;   in Loop: Header=BB21_47 Depth=1
	s_mov_b32 s64, 2
	s_branch .LBB21_269
.LBB21_267:                             ;   in Loop: Header=BB21_269 Depth=2
	s_or_b64 exec, exec, s[28:29]
.LBB21_268:                             ;   in Loop: Header=BB21_269 Depth=2
	s_or_b64 exec, exec, s[26:27]
	s_add_i32 s64, s64, 1
	s_cmp_eq_u32 s64, s66
	s_cbranch_scc1 .LBB21_620
.LBB21_269:                             ;   Parent Loop BB21_47 Depth=1
                                        ; =>  This Loop Header: Depth=2
                                        ;       Child Loop BB21_272 Depth 3
                                        ;         Child Loop BB21_280 Depth 4
                                        ;         Child Loop BB21_308 Depth 4
	;; [unrolled: 1-line block ×9, first 2 shown]
                                        ;       Child Loop BB21_548 Depth 3
                                        ;         Child Loop BB21_554 Depth 4
                                        ;         Child Loop BB21_582 Depth 4
	;; [unrolled: 1-line block ×3, first 2 shown]
	s_sub_i32 s24, s81, s64
	s_cmp_ge_i32 s24, s66
	s_cselect_b32 s25, s66, 0
	s_sub_i32 s24, s24, s25
	s_ashr_i32 s25, s24, 31
	v_mul_lo_u32 v2, v56, s25
	v_mul_lo_u32 v8, v57, s24
	v_mad_u64_u32 v[32:33], s[24:25], v56, s24, 0
	v_add3_u32 v33, v33, v2, v8
	v_sub_co_u32_e32 v8, vcc, v60, v32
	s_waitcnt lgkmcnt(0)
	v_mov_b32_e32 v26, 0
	v_subb_co_u32_e32 v9, vcc, v61, v33, vcc
	v_cmp_lt_i64_e32 vcc, v[56:57], v[8:9]
	s_nop 1
	v_cndmask_b32_e32 v2, v8, v56, vcc
	v_max_i32_e32 v72, 0, v2
	v_add_u32_e32 v8, 31, v72
	v_ashrrev_i32_e32 v9, 31, v8
	v_lshrrev_b32_e32 v9, 27, v9
	v_add_u32_e32 v8, v8, v9
	v_ashrrev_i32_e32 v8, 5, v8
	v_lshlrev_b32_e32 v8, 4, v8
	v_cmp_lt_i32_e32 vcc, 0, v2
	v_max_i32_e32 v24, s84, v8
	s_and_b64 s[24:25], s[34:35], vcc
	v_mov_b32_e32 v2, 0
	s_and_saveexec_b64 s[28:29], s[24:25]
	s_cbranch_execz .LBB21_545
; %bb.270:                              ;   in Loop: Header=BB21_269 Depth=2
	s_mov_b32 s65, 1
	s_mov_b64 s[42:43], -1
	v_mov_b32_e32 v26, 0
	s_mov_b64 s[40:41], 0
	s_branch .LBB21_272
.LBB21_271:                             ;   in Loop: Header=BB21_272 Depth=3
	s_or_b64 exec, exec, s[24:25]
	v_add_u32_e32 v26, v24, v26
	v_cmp_ge_i32_e32 vcc, v26, v72
	s_xor_b64 s[24:25], s[42:43], -1
	s_or_b64 s[24:25], s[24:25], vcc
	s_and_b64 s[24:25], exec, s[24:25]
	s_or_b64 s[40:41], s[24:25], s[40:41]
	s_mov_b64 s[42:43], 0
	v_mov_b32_e32 v2, s65
	s_mov_b32 s65, 2
	s_andn2_b64 exec, exec, s[40:41]
	s_cbranch_execz .LBB21_544
.LBB21_272:                             ;   Parent Loop BB21_47 Depth=1
                                        ;     Parent Loop BB21_269 Depth=2
                                        ; =>    This Loop Header: Depth=3
                                        ;         Child Loop BB21_280 Depth 4
                                        ;         Child Loop BB21_308 Depth 4
	;; [unrolled: 1-line block ×9, first 2 shown]
	s_and_saveexec_b64 s[24:25], s[0:1]
	s_cbranch_execz .LBB21_274
; %bb.273:                              ;   in Loop: Header=BB21_272 Depth=3
	s_trap 2
	ds_read_b64 v[8:9], v0
	v_ashrrev_i32_e32 v27, 31, v26
	s_waitcnt lgkmcnt(0)
	v_lshl_add_u64 v[8:9], v[62:63], 1, v[8:9]
	v_lshl_add_u64 v[8:9], v[32:33], 1, v[8:9]
	;; [unrolled: 1-line block ×3, first 2 shown]
	ds_write_b64 v0, v[8:9]
	ds_write_b64 v0, v[52:53]
.LBB21_274:                             ;   in Loop: Header=BB21_272 Depth=3
	s_or_b64 exec, exec, s[24:25]
	v_sub_u32_e32 v2, v72, v26
	v_min_i32_e32 v24, v24, v2
	v_and_b32_e32 v2, 12, v104
	v_cmp_ne_u32_e32 vcc, 0, v2
	s_and_saveexec_b64 s[26:27], vcc
	s_cbranch_execz .LBB21_300
; %bb.275:                              ;   in Loop: Header=BB21_272 Depth=3
	v_and_b32_e32 v2, 8, v104
	s_waitcnt vmcnt(0) lgkmcnt(0)
	v_lshl_add_u64 v[10:11], v[80:81], 0, v[2:3]
	v_lshl_add_u64 v[8:9], v[58:59], 0, 2
	v_cmp_lt_u64_e32 vcc, v[10:11], v[8:9]
	s_and_saveexec_b64 s[44:45], vcc
	s_cbranch_execz .LBB21_287
; %bb.276:                              ;   in Loop: Header=BB21_272 Depth=3
	v_and_b32_e32 v10, 64, v104
	s_mov_b32 s74, 0
	v_cmp_eq_u32_e32 vcc, 0, v10
	s_mov_b64 s[46:47], 0
                                        ; implicit-def: $sgpr56_sgpr57
                                        ; implicit-def: $sgpr58_sgpr59
                                        ; implicit-def: $sgpr60_sgpr61
	s_branch .LBB21_280
.LBB21_277:                             ;   in Loop: Header=BB21_280 Depth=4
	s_waitcnt vmcnt(0) lgkmcnt(0)
	v_lshl_add_u64 v[12:13], v[80:81], 0, v[2:3]
	v_cmp_ge_u64_e64 s[24:25], v[12:13], v[8:9]
	s_or_b64 s[50:51], s[50:51], exec
	s_orn2_b64 s[48:49], s[24:25], exec
.LBB21_278:                             ;   in Loop: Header=BB21_280 Depth=4
	s_or_b64 exec, exec, s[54:55]
	s_andn2_b64 s[24:25], s[60:61], exec
	s_and_b64 s[60:61], s[50:51], exec
	s_or_b64 s[60:61], s[24:25], s[60:61]
	s_andn2_b64 s[24:25], s[58:59], exec
	s_and_b64 s[58:59], s[48:49], exec
	s_or_b64 s[58:59], s[24:25], s[58:59]
.LBB21_279:                             ;   in Loop: Header=BB21_280 Depth=4
	s_or_b64 exec, exec, s[38:39]
	s_and_b64 s[24:25], exec, s[58:59]
	s_or_b64 s[46:47], s[24:25], s[46:47]
	s_andn2_b64 s[24:25], s[56:57], exec
	s_and_b64 s[56:57], s[60:61], exec
	s_or_b64 s[56:57], s[24:25], s[56:57]
	s_andn2_b64 exec, exec, s[46:47]
	s_cbranch_execz .LBB21_284
.LBB21_280:                             ;   Parent Loop BB21_47 Depth=1
                                        ;     Parent Loop BB21_269 Depth=2
                                        ;       Parent Loop BB21_272 Depth=3
                                        ; =>      This Inner Loop Header: Depth=4
	s_sleep 1
	s_waitcnt vmcnt(0) lgkmcnt(0)
	flat_load_dwordx2 v[80:81], v[64:65] sc0 sc1
	s_or_b64 s[60:61], s[60:61], exec
	s_or_b64 s[58:59], s[58:59], exec
                                        ; implicit-def: $vgpr10
	s_and_saveexec_b64 s[38:39], vcc
	s_cbranch_execz .LBB21_279
; %bb.281:                              ;   in Loop: Header=BB21_280 Depth=4
	s_cmpk_lt_i32 s74, 0x270f
	s_cselect_b64 s[52:53], -1, 0
	s_cmpk_gt_i32 s74, 0x270e
	s_mov_b64 s[48:49], -1
	s_cbranch_scc0 .LBB21_283
; %bb.282:                              ;   in Loop: Header=BB21_280 Depth=4
	s_trap 2
	ds_read_b64 v[10:11], v0
	s_andn2_b64 s[52:53], s[52:53], exec
	s_mov_b32 s74, 0
	s_mov_b64 s[50:51], 0
	s_waitcnt vmcnt(0) lgkmcnt(0)
	flat_load_dword v10, v[10:11] sc0 sc1
	s_waitcnt vmcnt(0) lgkmcnt(0)
	buffer_inv sc0 sc1
	v_cmp_eq_u32_e64 s[24:25], 0, v10
	s_and_b64 s[24:25], s[24:25], exec
	s_or_b64 s[52:53], s[52:53], s[24:25]
	s_and_saveexec_b64 s[54:55], s[52:53]
	s_cbranch_execz .LBB21_278
	s_branch .LBB21_277
.LBB21_283:                             ;   in Loop: Header=BB21_280 Depth=4
	s_add_i32 s74, s74, 1
	s_mov_b64 s[50:51], -1
                                        ; implicit-def: $vgpr10
	s_and_saveexec_b64 s[54:55], s[52:53]
	s_cbranch_execz .LBB21_278
	s_branch .LBB21_277
.LBB21_284:                             ;   in Loop: Header=BB21_272 Depth=3
	s_or_b64 exec, exec, s[46:47]
	s_xor_b64 s[24:25], s[56:57], -1
	s_and_saveexec_b64 s[46:47], s[24:25]
	s_xor_b64 s[24:25], exec, s[46:47]
	s_cbranch_execz .LBB21_286
; %bb.285:                              ;   in Loop: Header=BB21_272 Depth=3
	v_or_b32_e32 v104, 64, v104
	s_waitcnt lgkmcnt(0)
	ds_write_b32 v0, v10
	s_trap 2
.LBB21_286:                             ;   in Loop: Header=BB21_272 Depth=3
	s_or_b64 exec, exec, s[24:25]
.LBB21_287:                             ;   in Loop: Header=BB21_272 Depth=3
	s_or_b64 exec, exec, s[44:45]
	v_and_b32_e32 v10, 0x108, v104
	v_cmp_ne_u32_e32 vcc, s69, v10
	;;#ASMSTART
	s_wakeup
	;;#ASMEND
                                        ; implicit-def: $vgpr10_vgpr11
	s_and_saveexec_b64 s[24:25], vcc
	s_xor_b64 s[24:25], exec, s[24:25]
; %bb.288:                              ;   in Loop: Header=BB21_272 Depth=3
	v_and_b32_e32 v10, 7, v58
	v_mov_b32_e32 v11, v3
                                        ; implicit-def: $vgpr58_vgpr59
; %bb.289:                              ;   in Loop: Header=BB21_272 Depth=3
	s_andn2_saveexec_b64 s[24:25], s[24:25]
	s_cbranch_execz .LBB21_291
; %bb.290:                              ;   in Loop: Header=BB21_272 Depth=3
	v_and_b32_e32 v10, 7, v58
	v_ashrrev_i32_e32 v25, 31, v24
	v_mov_b32_e32 v11, v3
	v_mad_u64_u32 v[12:13], s[44:45], v10, 24, v[6:7]
	v_lshlrev_b64 v[14:15], 1, v[24:25]
	flat_store_dwordx2 v[12:13], v[14:15] offset:8
.LBB21_291:                             ;   in Loop: Header=BB21_272 Depth=3
	s_or_b64 exec, exec, s[24:25]
	v_and_b32_e32 v12, 0x100, v104
	v_cmp_ne_u32_e32 vcc, 0, v12
	s_mov_b64 s[24:25], -1
                                        ; implicit-def: $vgpr12_vgpr13
	s_and_saveexec_b64 s[44:45], vcc
	s_cbranch_execz .LBB21_295
; %bb.292:                              ;   in Loop: Header=BB21_272 Depth=3
	v_mad_u64_u32 v[14:15], s[24:25], v10, 24, v[6:7]
	v_mov_b32_e32 v12, v15
	v_mad_u64_u32 v[12:13], s[24:25], v11, 24, v[12:13]
	v_mov_b32_e32 v15, v12
	flat_load_dword v12, v[14:15]
	s_waitcnt vmcnt(0) lgkmcnt(0)
	v_cmp_ne_u32_e32 vcc, 1, v12
	v_cmp_eq_u32_e64 s[24:25], 1, v12
                                        ; implicit-def: $vgpr12_vgpr13
	s_and_saveexec_b64 s[46:47], s[24:25]
	s_cbranch_execz .LBB21_294
; %bb.293:                              ;   in Loop: Header=BB21_272 Depth=3
	flat_load_dword v12, v[14:15] offset:4 sc0 sc1
	s_waitcnt vmcnt(0) lgkmcnt(0)
	v_ashrrev_i32_e32 v13, 31, v12
	v_lshrrev_b64 v[12:13], 1, v[12:13]
.LBB21_294:                             ;   in Loop: Header=BB21_272 Depth=3
	s_or_b64 exec, exec, s[46:47]
	s_orn2_b64 s[24:25], vcc, exec
.LBB21_295:                             ;   in Loop: Header=BB21_272 Depth=3
	s_or_b64 exec, exec, s[44:45]
	s_and_saveexec_b64 s[44:45], s[24:25]
; %bb.296:                              ;   in Loop: Header=BB21_272 Depth=3
	v_mul_lo_u32 v11, v11, v30
	v_mul_lo_u32 v14, v10, v83
	v_mad_u64_u32 v[12:13], s[24:25], v10, v30, 0
	v_add3_u32 v13, v13, v14, v11
; %bb.297:                              ;   in Loop: Header=BB21_272 Depth=3
	s_or_b64 exec, exec, s[44:45]
	v_cmp_eq_u32_e32 vcc, 0, v2
	v_lshl_add_u64 v[10:11], v[12:13], 1, v[66:67]
	s_nop 0
	v_cndmask_b32_e32 v2, v108, v109, vcc
	v_add_u32_e32 v2, v0, v2
	ds_write_b64 v2, v[10:11] offset:584
	v_and_b32_e32 v2, 0x2000, v104
	v_cmp_ne_u32_e32 vcc, 0, v2
	s_and_saveexec_b64 s[24:25], vcc
	s_cbranch_execz .LBB21_299
; %bb.298:                              ;   in Loop: Header=BB21_272 Depth=3
	ds_read_b64 v[10:11], v0 offset:872
	s_waitcnt lgkmcnt(0)
	v_lshl_add_u64 v[10:11], v[10:11], 0, 1
	ds_write_b64 v0, v[10:11] offset:872
.LBB21_299:                             ;   in Loop: Header=BB21_272 Depth=3
	s_or_b64 exec, exec, s[24:25]
	v_mov_b64_e32 v[58:59], v[8:9]
.LBB21_300:                             ;   in Loop: Header=BB21_272 Depth=3
	s_or_b64 exec, exec, s[26:27]
	s_and_saveexec_b64 s[24:25], s[4:5]
	s_cbranch_execz .LBB21_319
; %bb.301:                              ;   in Loop: Header=BB21_272 Depth=3
	s_and_saveexec_b64 s[26:27], s[76:77]
	s_xor_b64 s[26:27], exec, s[26:27]
	s_cbranch_execz .LBB21_316
; %bb.302:                              ;   in Loop: Header=BB21_272 Depth=3
	s_and_saveexec_b64 s[44:45], s[12:13]
	s_cbranch_execz .LBB21_315
; %bb.303:                              ;   in Loop: Header=BB21_272 Depth=3
	s_mov_b64 s[56:57], exec
	v_mbcnt_lo_u32_b32 v2, s56, 0
	v_mbcnt_hi_u32_b32 v2, s57, v2
	v_cmp_eq_u32_e32 vcc, 0, v2
	s_waitcnt lgkmcnt(0)
	s_and_saveexec_b64 s[46:47], vcc
	s_cbranch_execz .LBB21_305
; %bb.304:                              ;   in Loop: Header=BB21_272 Depth=3
	s_bcnt1_i32_b64 s56, s[56:57]
	v_mov_b32_e32 v2, s56
	ds_add_u64 v0, v[2:3]
	s_trap 2
.LBB21_305:                             ;   in Loop: Header=BB21_272 Depth=3
	s_or_b64 exec, exec, s[46:47]
	s_trap 2
	ds_read_b64 v[8:9], v0
	s_waitcnt lgkmcnt(0)
	v_lshl_add_u64 v[70:71], v[70:71], 0, v[84:85]
	v_cmp_lt_u64_e32 vcc, v[8:9], v[70:71]
	s_and_saveexec_b64 s[46:47], vcc
	s_cbranch_execz .LBB21_314
; %bb.306:                              ;   in Loop: Header=BB21_272 Depth=3
	s_mov_b32 s74, 0
	s_mov_b64 s[56:57], 0
                                        ; implicit-def: $sgpr58_sgpr59
                                        ; implicit-def: $sgpr60_sgpr61
	s_branch .LBB21_308
.LBB21_307:                             ;   in Loop: Header=BB21_308 Depth=4
	s_or_b64 exec, exec, s[48:49]
	s_and_b64 vcc, exec, vcc
	s_or_b64 s[56:57], vcc, s[56:57]
	s_andn2_b64 s[58:59], s[58:59], exec
	s_and_b64 vcc, s[60:61], exec
	s_or_b64 s[58:59], s[58:59], vcc
	s_andn2_b64 exec, exec, s[56:57]
	s_cbranch_execz .LBB21_312
.LBB21_308:                             ;   Parent Loop BB21_47 Depth=1
                                        ;     Parent Loop BB21_269 Depth=2
                                        ;       Parent Loop BB21_272 Depth=3
                                        ; =>      This Inner Loop Header: Depth=4
	s_add_i32 s74, s74, 1
	s_cmpk_lg_i32 s74, 0x2710
	s_cselect_b64 s[38:39], -1, 0
	s_and_b64 vcc, exec, s[38:39]
	s_cbranch_vccz .LBB21_310
; %bb.309:                              ;   in Loop: Header=BB21_308 Depth=4
	s_mov_b64 vcc, -1
	s_or_b64 s[60:61], s[60:61], exec
	s_and_saveexec_b64 s[48:49], s[38:39]
	s_cbranch_execz .LBB21_307
	s_branch .LBB21_311
.LBB21_310:                             ;   in Loop: Header=BB21_308 Depth=4
	s_trap 2
	ds_read_b64 v[8:9], v0
	s_andn2_b64 s[38:39], s[38:39], exec
	s_mov_b32 s74, 0
	s_waitcnt vmcnt(0) lgkmcnt(0)
	flat_load_dword v2, v[8:9] sc0 sc1
	s_waitcnt vmcnt(0) lgkmcnt(0)
	buffer_inv sc0 sc1
	v_cmp_eq_u32_e32 vcc, 0, v2
	s_and_b64 vcc, vcc, exec
	s_or_b64 s[38:39], s[38:39], vcc
	s_mov_b64 vcc, -1
	s_or_b64 s[60:61], s[60:61], exec
	s_and_saveexec_b64 s[48:49], s[38:39]
	s_cbranch_execz .LBB21_307
.LBB21_311:                             ;   in Loop: Header=BB21_308 Depth=4
	s_sleep 1
	s_trap 2
	ds_read_b64 v[8:9], v0
	s_waitcnt lgkmcnt(0)
	s_andn2_b64 s[60:61], s[60:61], exec
	v_cmp_ge_u64_e32 vcc, v[8:9], v[70:71]
	s_orn2_b64 vcc, vcc, exec
	s_branch .LBB21_307
.LBB21_312:                             ;   in Loop: Header=BB21_272 Depth=3
	s_or_b64 exec, exec, s[56:57]
	s_and_saveexec_b64 s[56:57], s[58:59]
	s_xor_b64 s[56:57], exec, s[56:57]
	s_cbranch_execz .LBB21_314
; %bb.313:                              ;   in Loop: Header=BB21_272 Depth=3
	ds_write_b32 v0, v107
	s_trap 2
.LBB21_314:                             ;   in Loop: Header=BB21_272 Depth=3
	s_or_b64 exec, exec, s[46:47]
	;;#ASMSTART
	s_wakeup
	;;#ASMEND
.LBB21_315:                             ;   in Loop: Header=BB21_272 Depth=3
	s_or_b64 exec, exec, s[44:45]
.LBB21_316:                             ;   in Loop: Header=BB21_272 Depth=3
	s_andn2_saveexec_b64 s[26:27], s[26:27]
	s_cbranch_execz .LBB21_318
; %bb.317:                              ;   in Loop: Header=BB21_272 Depth=3
	s_waitcnt lgkmcnt(0)
	s_barrier
.LBB21_318:                             ;   in Loop: Header=BB21_272 Depth=3
	s_or_b64 exec, exec, s[26:27]
.LBB21_319:                             ;   in Loop: Header=BB21_272 Depth=3
	s_or_b64 exec, exec, s[24:25]
	s_trap 2
	ds_read_b32 v8, v0
	v_and_b32_e32 v2, 0x4000, v104
	v_cmp_ne_u32_e32 vcc, 0, v2
	s_xor_b64 s[24:25], s[2:3], -1
	s_and_b64 s[26:27], s[24:25], vcc
	s_and_saveexec_b64 s[24:25], s[26:27]
	s_cbranch_execz .LBB21_338
; %bb.320:                              ;   in Loop: Header=BB21_272 Depth=3
	s_and_saveexec_b64 s[26:27], s[76:77]
	s_xor_b64 s[26:27], exec, s[26:27]
	s_cbranch_execz .LBB21_335
; %bb.321:                              ;   in Loop: Header=BB21_272 Depth=3
	s_and_saveexec_b64 s[44:45], s[12:13]
	s_cbranch_execz .LBB21_334
; %bb.322:                              ;   in Loop: Header=BB21_272 Depth=3
	s_mov_b64 s[56:57], exec
	v_mbcnt_lo_u32_b32 v2, s56, 0
	v_mbcnt_hi_u32_b32 v2, s57, v2
	v_cmp_eq_u32_e32 vcc, 0, v2
	s_waitcnt lgkmcnt(0)
	s_and_saveexec_b64 s[46:47], vcc
	s_cbranch_execz .LBB21_324
; %bb.323:                              ;   in Loop: Header=BB21_272 Depth=3
	s_bcnt1_i32_b64 s56, s[56:57]
	v_mov_b32_e32 v2, s56
	ds_add_u64 v0, v[2:3]
	s_trap 2
.LBB21_324:                             ;   in Loop: Header=BB21_272 Depth=3
	s_or_b64 exec, exec, s[46:47]
	s_trap 2
	ds_read_b64 v[10:11], v0
	s_waitcnt lgkmcnt(0)
	v_lshl_add_u64 v[70:71], v[70:71], 0, v[84:85]
	v_cmp_lt_u64_e32 vcc, v[10:11], v[70:71]
	s_and_saveexec_b64 s[46:47], vcc
	s_cbranch_execz .LBB21_333
; %bb.325:                              ;   in Loop: Header=BB21_272 Depth=3
	s_mov_b32 s74, 0
	s_mov_b64 s[56:57], 0
                                        ; implicit-def: $sgpr58_sgpr59
                                        ; implicit-def: $sgpr60_sgpr61
	s_branch .LBB21_327
.LBB21_326:                             ;   in Loop: Header=BB21_327 Depth=4
	s_or_b64 exec, exec, s[48:49]
	s_and_b64 vcc, exec, vcc
	s_or_b64 s[56:57], vcc, s[56:57]
	s_andn2_b64 s[58:59], s[58:59], exec
	s_and_b64 vcc, s[60:61], exec
	s_or_b64 s[58:59], s[58:59], vcc
	s_andn2_b64 exec, exec, s[56:57]
	s_cbranch_execz .LBB21_331
.LBB21_327:                             ;   Parent Loop BB21_47 Depth=1
                                        ;     Parent Loop BB21_269 Depth=2
                                        ;       Parent Loop BB21_272 Depth=3
                                        ; =>      This Inner Loop Header: Depth=4
	s_add_i32 s74, s74, 1
	s_cmpk_lg_i32 s74, 0x2710
	s_cselect_b64 s[38:39], -1, 0
	s_and_b64 vcc, exec, s[38:39]
	s_cbranch_vccz .LBB21_329
; %bb.328:                              ;   in Loop: Header=BB21_327 Depth=4
	s_mov_b64 vcc, -1
	s_or_b64 s[60:61], s[60:61], exec
	s_and_saveexec_b64 s[48:49], s[38:39]
	s_cbranch_execz .LBB21_326
	s_branch .LBB21_330
.LBB21_329:                             ;   in Loop: Header=BB21_327 Depth=4
	s_trap 2
	ds_read_b64 v[10:11], v0
	s_andn2_b64 s[38:39], s[38:39], exec
	s_mov_b32 s74, 0
	s_waitcnt vmcnt(0) lgkmcnt(0)
	flat_load_dword v2, v[10:11] sc0 sc1
	s_waitcnt vmcnt(0) lgkmcnt(0)
	buffer_inv sc0 sc1
	v_cmp_eq_u32_e32 vcc, 0, v2
	s_and_b64 vcc, vcc, exec
	s_or_b64 s[38:39], s[38:39], vcc
	s_mov_b64 vcc, -1
	s_or_b64 s[60:61], s[60:61], exec
	s_and_saveexec_b64 s[48:49], s[38:39]
	s_cbranch_execz .LBB21_326
.LBB21_330:                             ;   in Loop: Header=BB21_327 Depth=4
	s_sleep 1
	s_trap 2
	ds_read_b64 v[10:11], v0
	s_waitcnt lgkmcnt(0)
	s_andn2_b64 s[60:61], s[60:61], exec
	v_cmp_ge_u64_e32 vcc, v[10:11], v[70:71]
	s_orn2_b64 vcc, vcc, exec
	s_branch .LBB21_326
.LBB21_331:                             ;   in Loop: Header=BB21_272 Depth=3
	s_or_b64 exec, exec, s[56:57]
	s_and_saveexec_b64 s[56:57], s[58:59]
	s_xor_b64 s[56:57], exec, s[56:57]
	s_cbranch_execz .LBB21_333
; %bb.332:                              ;   in Loop: Header=BB21_272 Depth=3
	ds_write_b32 v0, v107
	s_trap 2
.LBB21_333:                             ;   in Loop: Header=BB21_272 Depth=3
	s_or_b64 exec, exec, s[46:47]
	;;#ASMSTART
	s_wakeup
	;;#ASMEND
.LBB21_334:                             ;   in Loop: Header=BB21_272 Depth=3
	s_or_b64 exec, exec, s[44:45]
.LBB21_335:                             ;   in Loop: Header=BB21_272 Depth=3
	s_andn2_saveexec_b64 s[26:27], s[26:27]
	s_cbranch_execz .LBB21_337
; %bb.336:                              ;   in Loop: Header=BB21_272 Depth=3
	s_waitcnt lgkmcnt(0)
	s_barrier
.LBB21_337:                             ;   in Loop: Header=BB21_272 Depth=3
	s_or_b64 exec, exec, s[26:27]
.LBB21_338:                             ;   in Loop: Header=BB21_272 Depth=3
	s_or_b64 exec, exec, s[24:25]
	s_trap 2
	ds_read_b64 v[34:35], v0
	s_waitcnt lgkmcnt(0)
	v_cmp_eq_u64_e32 vcc, 0, v[34:35]
	s_cbranch_vccnz .LBB21_346
; %bb.339:                              ;   in Loop: Header=BB21_272 Depth=3
	s_trap 2
	ds_read_b64 v[36:37], v0
	s_waitcnt lgkmcnt(0)
	v_cmp_eq_u64_e32 vcc, 0, v[36:37]
	s_cbranch_vccnz .LBB21_346
; %bb.340:                              ;   in Loop: Header=BB21_272 Depth=3
	s_trap 2
	ds_read_b64 v[10:11], v0
	s_mov_b64 s[26:27], -1
	s_waitcnt lgkmcnt(0)
	v_readfirstlane_b32 s60, v10
	s_and_saveexec_b64 s[24:25], s[18:19]
	s_cbranch_execz .LBB21_342
; %bb.341:                              ;   in Loop: Header=BB21_272 Depth=3
	ds_read_b32 v2, v0 offset:720
	s_waitcnt lgkmcnt(0)
	v_and_b32_e32 v2, 15, v2
	v_cmp_eq_u32_e32 vcc, 0, v2
	s_orn2_b64 s[26:27], vcc, exec
.LBB21_342:                             ;   in Loop: Header=BB21_272 Depth=3
	s_or_b64 exec, exec, s[24:25]
	s_and_saveexec_b64 s[24:25], s[16:17]
	s_cbranch_execz .LBB21_344
; %bb.343:                              ;   in Loop: Header=BB21_272 Depth=3
	ds_read_b32 v2, v0 offset:784
	s_waitcnt lgkmcnt(0)
	v_and_b32_e32 v2, 15, v2
	v_cmp_eq_u32_e32 vcc, 0, v2
	s_and_b64 s[44:45], s[26:27], vcc
	s_andn2_b64 s[26:27], s[26:27], exec
	s_and_b64 s[44:45], s[44:45], exec
	s_or_b64 s[26:27], s[26:27], s[44:45]
.LBB21_344:                             ;   in Loop: Header=BB21_272 Depth=3
	s_or_b64 exec, exec, s[24:25]
	v_cmp_eq_u32_e32 vcc, 0, v8
	s_xor_b64 s[26:27], s[26:27], -1
	v_cndmask_b32_e64 v8, 0, 1, s[26:27]
	v_cndmask_b32_e32 v2, 0, v24, vcc
	v_lshlrev_b32_e32 v25, 1, v2
	s_mov_b64 s[24:25], -1
	v_cmp_ne_u32_e32 vcc, 0, v8
	v_mov_b32_e32 v14, 0
	s_cbranch_vccz .LBB21_351
; %bb.345:                              ;   in Loop: Header=BB21_272 Depth=3
	v_mov_b32_e32 v15, v0
	s_and_saveexec_b64 s[26:27], s[24:25]
	s_cbranch_execnz .LBB21_458
	s_branch .LBB21_502
.LBB21_346:                             ;   in Loop: Header=BB21_272 Depth=3
	s_mov_b64 s[24:25], 0
	s_and_saveexec_b64 s[26:27], s[4:5]
	s_cbranch_execnz .LBB21_503
.LBB21_347:                             ;   in Loop: Header=BB21_272 Depth=3
	s_or_b64 exec, exec, s[26:27]
                                        ; implicit-def: $vgpr2
	s_and_saveexec_b64 s[26:27], s[20:21]
	s_xor_b64 s[26:27], exec, s[26:27]
	s_cbranch_execz .LBB21_521
.LBB21_348:                             ;   in Loop: Header=BB21_272 Depth=3
	v_and_b32_e32 v8, 16, v104
	v_cmp_ne_u32_e32 vcc, 0, v8
	v_and_b32_e32 v2, 16, v104
	s_and_b64 s[44:45], vcc, s[24:25]
	s_and_saveexec_b64 s[24:25], s[44:45]
	s_cbranch_execz .LBB21_350
; %bb.349:                              ;   in Loop: Header=BB21_272 Depth=3
	v_mov_b32_e32 v2, 1
	buffer_wbl2 sc1
	s_waitcnt vmcnt(0) lgkmcnt(0)
	buffer_inv sc1
.LBB21_350:                             ;   in Loop: Header=BB21_272 Depth=3
	s_or_b64 exec, exec, s[24:25]
	s_andn2_saveexec_b64 s[24:25], s[26:27]
	s_cbranch_execz .LBB21_540
	s_branch .LBB21_522
.LBB21_351:                             ;   in Loop: Header=BB21_272 Depth=3
	v_ashrrev_i32_e32 v8, 31, v25
	v_lshrrev_b32_e32 v8, 21, v8
	v_add_u32_e32 v8, v25, v8
	v_ashrrev_i32_e32 v73, 11, v8
	v_sub_u32_e32 v27, v73, v106
	v_cmp_lt_i32_e32 vcc, 0, v27
	s_and_saveexec_b64 s[26:27], vcc
	s_cbranch_execz .LBB21_419
; %bb.352:                              ;   in Loop: Header=BB21_272 Depth=3
	s_trap 2
	ds_read_b64 v[8:9], v0
	s_and_b32 s74, s60, 1
	s_cmp_eq_u64 s[74:75], 0
	v_lshl_add_u64 v[38:39], v[34:35], 0, v[112:113]
	v_lshl_add_u64 v[48:49], v[36:37], 0, v[112:113]
	s_waitcnt lgkmcnt(0)
	v_lshl_add_u64 v[50:51], v[8:9], 0, v[112:113]
	s_mov_b64 s[44:45], 0
	s_cselect_b64 vcc, -1, 0
	s_branch .LBB21_354
.LBB21_353:                             ;   in Loop: Header=BB21_354 Depth=4
	s_or_b64 exec, exec, s[46:47]
	v_lshrrev_b32_e32 v15, 16, v20
	v_and_or_b32 v17, v17, s80, v15
	v_lshrrev_b32_e32 v15, 16, v74
	v_lshrrev_b32_e32 v12, 16, v12
	v_and_or_b32 v16, v16, s80, v15
	v_lshrrev_b32_e32 v15, 16, v21
	v_and_or_b32 v9, v9, s80, v12
	;; [unrolled: 2-line block ×4, first 2 shown]
	v_lshrrev_b32_e32 v12, 16, v13
	v_sub_u32_e32 v27, v27, v84
	v_and_or_b32 v19, v19, s80, v15
	v_and_or_b32 v10, v10, s80, v12
	v_lshrrev_b32_e32 v12, 16, v14
	v_cmp_gt_i32_e64 s[24:25], 1, v27
	v_and_or_b32 v11, v11, s80, v12
	global_store_dwordx4 v[48:49], v[16:19], off
	global_store_dwordx4 v[48:49], v[8:11], off offset:1024
	v_lshl_add_u64 v[38:39], v[38:39], 0, v[114:115]
	v_lshl_add_u64 v[50:51], v[50:51], 0, v[114:115]
	s_or_b64 s[44:45], s[24:25], s[44:45]
	v_lshl_add_u64 v[48:49], v[48:49], 0, v[114:115]
	s_andn2_b64 exec, exec, s[44:45]
	s_cbranch_execz .LBB21_418
.LBB21_354:                             ;   Parent Loop BB21_47 Depth=1
                                        ;     Parent Loop BB21_269 Depth=2
                                        ;       Parent Loop BB21_272 Depth=3
                                        ; =>      This Inner Loop Header: Depth=4
	global_load_dwordx4 v[16:19], v[38:39], off nt
	global_load_dwordx4 v[20:23], v[50:51], off nt
	global_load_dwordx4 v[8:11], v[38:39], off offset:1024 nt
	global_load_dwordx4 v[12:15], v[50:51], off offset:1024 nt
	s_waitcnt vmcnt(0)
	v_lshlrev_b32_e32 v82, 16, v16
	v_lshlrev_b32_e32 v74, 16, v20
	v_max_f32_e32 v74, v74, v74
	v_max_f32_e32 v82, v82, v82
	v_min_f32_e32 v75, v82, v74
	v_max_f32_e32 v82, v82, v74
	v_cndmask_b32_e32 v75, v82, v75, vcc
	v_and_b32_e32 v82, 0x7f800000, v75
	v_cmp_ne_u32_e64 s[24:25], s70, v82
                                        ; implicit-def: $vgpr74
	s_and_saveexec_b64 s[46:47], s[24:25]
	s_xor_b64 s[24:25], exec, s[46:47]
; %bb.355:                              ;   in Loop: Header=BB21_354 Depth=4
	v_bfe_u32 v82, v75, 16, 1
	v_add3_u32 v74, v75, v82, s71
                                        ; implicit-def: $vgpr75
; %bb.356:                              ;   in Loop: Header=BB21_354 Depth=4
	s_andn2_saveexec_b64 s[46:47], s[24:25]
; %bb.357:                              ;   in Loop: Header=BB21_354 Depth=4
	v_or_b32_e32 v82, 0x10000, v75
	v_cmp_eq_u32_sdwa s[24:25], v75, v3 src0_sel:WORD_0 src1_sel:DWORD
	s_nop 1
	v_cndmask_b32_e64 v74, v82, v75, s[24:25]
; %bb.358:                              ;   in Loop: Header=BB21_354 Depth=4
	s_or_b64 exec, exec, s[46:47]
	v_and_b32_e32 v16, 0xffff0000, v16
	v_and_b32_e32 v20, 0xffff0000, v20
	v_max_f32_e32 v20, v20, v20
	v_max_f32_e32 v16, v16, v16
	v_min_f32_e32 v82, v16, v20
	v_max_f32_e32 v16, v16, v20
	v_cndmask_b32_e32 v20, v16, v82, vcc
	v_and_b32_e32 v16, 0x7f800000, v20
	v_cmp_ne_u32_e64 s[24:25], s70, v16
                                        ; implicit-def: $vgpr16
	s_and_saveexec_b64 s[46:47], s[24:25]
	s_xor_b64 s[24:25], exec, s[46:47]
; %bb.359:                              ;   in Loop: Header=BB21_354 Depth=4
	v_bfe_u32 v16, v20, 16, 1
	v_add3_u32 v16, v20, v16, s71
                                        ; implicit-def: $vgpr20
; %bb.360:                              ;   in Loop: Header=BB21_354 Depth=4
	s_andn2_saveexec_b64 s[46:47], s[24:25]
; %bb.361:                              ;   in Loop: Header=BB21_354 Depth=4
	v_or_b32_e32 v16, 0x10000, v20
	v_cmp_eq_u32_sdwa s[24:25], v20, v3 src0_sel:WORD_0 src1_sel:DWORD
	s_nop 1
	v_cndmask_b32_e64 v16, v16, v20, s[24:25]
; %bb.362:                              ;   in Loop: Header=BB21_354 Depth=4
	s_or_b64 exec, exec, s[46:47]
	v_lshlrev_b32_e32 v20, 16, v17
	v_lshlrev_b32_e32 v82, 16, v21
	v_max_f32_e32 v82, v82, v82
	v_max_f32_e32 v20, v20, v20
	v_min_f32_e32 v75, v20, v82
	v_max_f32_e32 v20, v20, v82
	v_cndmask_b32_e32 v75, v20, v75, vcc
	v_and_b32_e32 v20, 0x7f800000, v75
	v_cmp_ne_u32_e64 s[24:25], s70, v20
                                        ; implicit-def: $vgpr20
	s_and_saveexec_b64 s[46:47], s[24:25]
	s_xor_b64 s[24:25], exec, s[46:47]
; %bb.363:                              ;   in Loop: Header=BB21_354 Depth=4
	v_bfe_u32 v20, v75, 16, 1
	v_add3_u32 v20, v75, v20, s71
                                        ; implicit-def: $vgpr75
; %bb.364:                              ;   in Loop: Header=BB21_354 Depth=4
	s_andn2_saveexec_b64 s[46:47], s[24:25]
; %bb.365:                              ;   in Loop: Header=BB21_354 Depth=4
	v_or_b32_e32 v20, 0x10000, v75
	v_cmp_eq_u32_sdwa s[24:25], v75, v3 src0_sel:WORD_0 src1_sel:DWORD
	s_nop 1
	v_cndmask_b32_e64 v20, v20, v75, s[24:25]
; %bb.366:                              ;   in Loop: Header=BB21_354 Depth=4
	s_or_b64 exec, exec, s[46:47]
	v_and_b32_e32 v17, 0xffff0000, v17
	v_and_b32_e32 v21, 0xffff0000, v21
	v_max_f32_e32 v21, v21, v21
	v_max_f32_e32 v17, v17, v17
	v_min_f32_e32 v82, v17, v21
	v_max_f32_e32 v17, v17, v21
	v_cndmask_b32_e32 v21, v17, v82, vcc
	v_and_b32_e32 v17, 0x7f800000, v21
	v_cmp_ne_u32_e64 s[24:25], s70, v17
                                        ; implicit-def: $vgpr17
	s_and_saveexec_b64 s[46:47], s[24:25]
	s_xor_b64 s[24:25], exec, s[46:47]
; %bb.367:                              ;   in Loop: Header=BB21_354 Depth=4
	v_bfe_u32 v17, v21, 16, 1
	v_add3_u32 v17, v21, v17, s71
                                        ; implicit-def: $vgpr21
; %bb.368:                              ;   in Loop: Header=BB21_354 Depth=4
	s_andn2_saveexec_b64 s[46:47], s[24:25]
; %bb.369:                              ;   in Loop: Header=BB21_354 Depth=4
	v_or_b32_e32 v17, 0x10000, v21
	v_cmp_eq_u32_sdwa s[24:25], v21, v3 src0_sel:WORD_0 src1_sel:DWORD
	s_nop 1
	v_cndmask_b32_e64 v17, v17, v21, s[24:25]
; %bb.370:                              ;   in Loop: Header=BB21_354 Depth=4
	s_or_b64 exec, exec, s[46:47]
	v_lshlrev_b32_e32 v21, 16, v18
	v_lshlrev_b32_e32 v82, 16, v22
	v_max_f32_e32 v82, v82, v82
	v_max_f32_e32 v21, v21, v21
	v_min_f32_e32 v75, v21, v82
	v_max_f32_e32 v21, v21, v82
	v_cndmask_b32_e32 v75, v21, v75, vcc
	v_and_b32_e32 v21, 0x7f800000, v75
	v_cmp_ne_u32_e64 s[24:25], s70, v21
                                        ; implicit-def: $vgpr21
	s_and_saveexec_b64 s[46:47], s[24:25]
	s_xor_b64 s[24:25], exec, s[46:47]
; %bb.371:                              ;   in Loop: Header=BB21_354 Depth=4
	v_bfe_u32 v21, v75, 16, 1
	v_add3_u32 v21, v75, v21, s71
                                        ; implicit-def: $vgpr75
; %bb.372:                              ;   in Loop: Header=BB21_354 Depth=4
	s_andn2_saveexec_b64 s[46:47], s[24:25]
; %bb.373:                              ;   in Loop: Header=BB21_354 Depth=4
	v_or_b32_e32 v21, 0x10000, v75
	v_cmp_eq_u32_sdwa s[24:25], v75, v3 src0_sel:WORD_0 src1_sel:DWORD
	s_nop 1
	v_cndmask_b32_e64 v21, v21, v75, s[24:25]
; %bb.374:                              ;   in Loop: Header=BB21_354 Depth=4
	s_or_b64 exec, exec, s[46:47]
	v_and_b32_e32 v18, 0xffff0000, v18
	v_and_b32_e32 v22, 0xffff0000, v22
	v_max_f32_e32 v22, v22, v22
	v_max_f32_e32 v18, v18, v18
	v_min_f32_e32 v82, v18, v22
	v_max_f32_e32 v18, v18, v22
	v_cndmask_b32_e32 v22, v18, v82, vcc
	v_and_b32_e32 v18, 0x7f800000, v22
	v_cmp_ne_u32_e64 s[24:25], s70, v18
                                        ; implicit-def: $vgpr18
	s_and_saveexec_b64 s[46:47], s[24:25]
	s_xor_b64 s[24:25], exec, s[46:47]
; %bb.375:                              ;   in Loop: Header=BB21_354 Depth=4
	v_bfe_u32 v18, v22, 16, 1
	v_add3_u32 v18, v22, v18, s71
                                        ; implicit-def: $vgpr22
; %bb.376:                              ;   in Loop: Header=BB21_354 Depth=4
	s_andn2_saveexec_b64 s[46:47], s[24:25]
; %bb.377:                              ;   in Loop: Header=BB21_354 Depth=4
	v_or_b32_e32 v18, 0x10000, v22
	v_cmp_eq_u32_sdwa s[24:25], v22, v3 src0_sel:WORD_0 src1_sel:DWORD
	s_nop 1
	v_cndmask_b32_e64 v18, v18, v22, s[24:25]
; %bb.378:                              ;   in Loop: Header=BB21_354 Depth=4
	s_or_b64 exec, exec, s[46:47]
	v_lshlrev_b32_e32 v22, 16, v19
	v_lshlrev_b32_e32 v82, 16, v23
	v_max_f32_e32 v82, v82, v82
	v_max_f32_e32 v22, v22, v22
	v_min_f32_e32 v75, v22, v82
	v_max_f32_e32 v22, v22, v82
	v_cndmask_b32_e32 v75, v22, v75, vcc
	v_and_b32_e32 v22, 0x7f800000, v75
	v_cmp_ne_u32_e64 s[24:25], s70, v22
                                        ; implicit-def: $vgpr22
	s_and_saveexec_b64 s[46:47], s[24:25]
	s_xor_b64 s[24:25], exec, s[46:47]
; %bb.379:                              ;   in Loop: Header=BB21_354 Depth=4
	v_bfe_u32 v22, v75, 16, 1
	v_add3_u32 v22, v75, v22, s71
                                        ; implicit-def: $vgpr75
; %bb.380:                              ;   in Loop: Header=BB21_354 Depth=4
	s_andn2_saveexec_b64 s[46:47], s[24:25]
; %bb.381:                              ;   in Loop: Header=BB21_354 Depth=4
	v_or_b32_e32 v22, 0x10000, v75
	v_cmp_eq_u32_sdwa s[24:25], v75, v3 src0_sel:WORD_0 src1_sel:DWORD
	s_nop 1
	v_cndmask_b32_e64 v22, v22, v75, s[24:25]
; %bb.382:                              ;   in Loop: Header=BB21_354 Depth=4
	s_or_b64 exec, exec, s[46:47]
	v_and_b32_e32 v19, 0xffff0000, v19
	v_and_b32_e32 v23, 0xffff0000, v23
	v_max_f32_e32 v23, v23, v23
	v_max_f32_e32 v19, v19, v19
	v_min_f32_e32 v82, v19, v23
	v_max_f32_e32 v19, v19, v23
	v_cndmask_b32_e32 v23, v19, v82, vcc
	v_and_b32_e32 v19, 0x7f800000, v23
	v_cmp_ne_u32_e64 s[24:25], s70, v19
                                        ; implicit-def: $vgpr19
	s_and_saveexec_b64 s[46:47], s[24:25]
	s_xor_b64 s[24:25], exec, s[46:47]
; %bb.383:                              ;   in Loop: Header=BB21_354 Depth=4
	v_bfe_u32 v19, v23, 16, 1
	v_add3_u32 v19, v23, v19, s71
                                        ; implicit-def: $vgpr23
; %bb.384:                              ;   in Loop: Header=BB21_354 Depth=4
	s_andn2_saveexec_b64 s[46:47], s[24:25]
; %bb.385:                              ;   in Loop: Header=BB21_354 Depth=4
	v_or_b32_e32 v19, 0x10000, v23
	v_cmp_eq_u32_sdwa s[24:25], v23, v3 src0_sel:WORD_0 src1_sel:DWORD
	s_nop 1
	v_cndmask_b32_e64 v19, v19, v23, s[24:25]
; %bb.386:                              ;   in Loop: Header=BB21_354 Depth=4
	s_or_b64 exec, exec, s[46:47]
	v_lshlrev_b32_e32 v23, 16, v8
	v_lshlrev_b32_e32 v82, 16, v12
	v_max_f32_e32 v82, v82, v82
	v_max_f32_e32 v23, v23, v23
	v_min_f32_e32 v75, v23, v82
	v_max_f32_e32 v23, v23, v82
	v_cndmask_b32_e32 v75, v23, v75, vcc
	v_and_b32_e32 v23, 0x7f800000, v75
	v_cmp_ne_u32_e64 s[24:25], s70, v23
                                        ; implicit-def: $vgpr23
	s_and_saveexec_b64 s[46:47], s[24:25]
	s_xor_b64 s[24:25], exec, s[46:47]
; %bb.387:                              ;   in Loop: Header=BB21_354 Depth=4
	v_bfe_u32 v23, v75, 16, 1
	v_add3_u32 v23, v75, v23, s71
                                        ; implicit-def: $vgpr75
; %bb.388:                              ;   in Loop: Header=BB21_354 Depth=4
	s_andn2_saveexec_b64 s[46:47], s[24:25]
; %bb.389:                              ;   in Loop: Header=BB21_354 Depth=4
	v_or_b32_e32 v23, 0x10000, v75
	v_cmp_eq_u32_sdwa s[24:25], v75, v3 src0_sel:WORD_0 src1_sel:DWORD
	s_nop 1
	v_cndmask_b32_e64 v23, v23, v75, s[24:25]
; %bb.390:                              ;   in Loop: Header=BB21_354 Depth=4
	s_or_b64 exec, exec, s[46:47]
	v_and_b32_e32 v8, 0xffff0000, v8
	v_and_b32_e32 v12, 0xffff0000, v12
	v_max_f32_e32 v12, v12, v12
	v_max_f32_e32 v8, v8, v8
	v_min_f32_e32 v82, v8, v12
	v_max_f32_e32 v8, v8, v12
	v_cndmask_b32_e32 v12, v8, v82, vcc
	v_and_b32_e32 v8, 0x7f800000, v12
	v_cmp_ne_u32_e64 s[24:25], s70, v8
                                        ; implicit-def: $vgpr8
	s_and_saveexec_b64 s[46:47], s[24:25]
	s_xor_b64 s[24:25], exec, s[46:47]
; %bb.391:                              ;   in Loop: Header=BB21_354 Depth=4
	v_bfe_u32 v8, v12, 16, 1
	v_add3_u32 v8, v12, v8, s71
                                        ; implicit-def: $vgpr12
; %bb.392:                              ;   in Loop: Header=BB21_354 Depth=4
	s_andn2_saveexec_b64 s[46:47], s[24:25]
; %bb.393:                              ;   in Loop: Header=BB21_354 Depth=4
	v_or_b32_e32 v8, 0x10000, v12
	v_cmp_eq_u32_sdwa s[24:25], v12, v3 src0_sel:WORD_0 src1_sel:DWORD
	s_nop 1
	v_cndmask_b32_e64 v8, v8, v12, s[24:25]
; %bb.394:                              ;   in Loop: Header=BB21_354 Depth=4
	s_or_b64 exec, exec, s[46:47]
	v_lshlrev_b32_e32 v12, 16, v9
	v_lshlrev_b32_e32 v82, 16, v13
	v_max_f32_e32 v82, v82, v82
	v_max_f32_e32 v12, v12, v12
	v_min_f32_e32 v75, v12, v82
	v_max_f32_e32 v12, v12, v82
	v_cndmask_b32_e32 v75, v12, v75, vcc
	v_and_b32_e32 v12, 0x7f800000, v75
	v_cmp_ne_u32_e64 s[24:25], s70, v12
                                        ; implicit-def: $vgpr12
	s_and_saveexec_b64 s[46:47], s[24:25]
	s_xor_b64 s[24:25], exec, s[46:47]
; %bb.395:                              ;   in Loop: Header=BB21_354 Depth=4
	v_bfe_u32 v12, v75, 16, 1
	v_add3_u32 v12, v75, v12, s71
                                        ; implicit-def: $vgpr75
; %bb.396:                              ;   in Loop: Header=BB21_354 Depth=4
	s_andn2_saveexec_b64 s[46:47], s[24:25]
; %bb.397:                              ;   in Loop: Header=BB21_354 Depth=4
	v_or_b32_e32 v12, 0x10000, v75
	v_cmp_eq_u32_sdwa s[24:25], v75, v3 src0_sel:WORD_0 src1_sel:DWORD
	s_nop 1
	v_cndmask_b32_e64 v12, v12, v75, s[24:25]
; %bb.398:                              ;   in Loop: Header=BB21_354 Depth=4
	s_or_b64 exec, exec, s[46:47]
	v_and_b32_e32 v9, 0xffff0000, v9
	v_and_b32_e32 v13, 0xffff0000, v13
	v_max_f32_e32 v13, v13, v13
	v_max_f32_e32 v9, v9, v9
	v_min_f32_e32 v82, v9, v13
	v_max_f32_e32 v9, v9, v13
	v_cndmask_b32_e32 v13, v9, v82, vcc
	v_and_b32_e32 v9, 0x7f800000, v13
	v_cmp_ne_u32_e64 s[24:25], s70, v9
                                        ; implicit-def: $vgpr9
	s_and_saveexec_b64 s[46:47], s[24:25]
	s_xor_b64 s[24:25], exec, s[46:47]
; %bb.399:                              ;   in Loop: Header=BB21_354 Depth=4
	v_bfe_u32 v9, v13, 16, 1
	v_add3_u32 v9, v13, v9, s71
                                        ; implicit-def: $vgpr13
; %bb.400:                              ;   in Loop: Header=BB21_354 Depth=4
	s_andn2_saveexec_b64 s[46:47], s[24:25]
; %bb.401:                              ;   in Loop: Header=BB21_354 Depth=4
	v_or_b32_e32 v9, 0x10000, v13
	v_cmp_eq_u32_sdwa s[24:25], v13, v3 src0_sel:WORD_0 src1_sel:DWORD
	s_nop 1
	v_cndmask_b32_e64 v9, v9, v13, s[24:25]
; %bb.402:                              ;   in Loop: Header=BB21_354 Depth=4
	s_or_b64 exec, exec, s[46:47]
	v_lshlrev_b32_e32 v13, 16, v10
	v_lshlrev_b32_e32 v82, 16, v14
	v_max_f32_e32 v82, v82, v82
	v_max_f32_e32 v13, v13, v13
	v_min_f32_e32 v75, v13, v82
	v_max_f32_e32 v13, v13, v82
	v_cndmask_b32_e32 v75, v13, v75, vcc
	v_and_b32_e32 v13, 0x7f800000, v75
	v_cmp_ne_u32_e64 s[24:25], s70, v13
                                        ; implicit-def: $vgpr13
	s_and_saveexec_b64 s[46:47], s[24:25]
	s_xor_b64 s[24:25], exec, s[46:47]
; %bb.403:                              ;   in Loop: Header=BB21_354 Depth=4
	v_bfe_u32 v13, v75, 16, 1
	v_add3_u32 v13, v75, v13, s71
                                        ; implicit-def: $vgpr75
; %bb.404:                              ;   in Loop: Header=BB21_354 Depth=4
	s_andn2_saveexec_b64 s[46:47], s[24:25]
; %bb.405:                              ;   in Loop: Header=BB21_354 Depth=4
	v_or_b32_e32 v13, 0x10000, v75
	v_cmp_eq_u32_sdwa s[24:25], v75, v3 src0_sel:WORD_0 src1_sel:DWORD
	s_nop 1
	v_cndmask_b32_e64 v13, v13, v75, s[24:25]
; %bb.406:                              ;   in Loop: Header=BB21_354 Depth=4
	s_or_b64 exec, exec, s[46:47]
	v_and_b32_e32 v10, 0xffff0000, v10
	v_and_b32_e32 v14, 0xffff0000, v14
	v_max_f32_e32 v14, v14, v14
	v_max_f32_e32 v10, v10, v10
	v_min_f32_e32 v82, v10, v14
	v_max_f32_e32 v10, v10, v14
	v_cndmask_b32_e32 v14, v10, v82, vcc
	v_and_b32_e32 v10, 0x7f800000, v14
	v_cmp_ne_u32_e64 s[24:25], s70, v10
                                        ; implicit-def: $vgpr10
	s_and_saveexec_b64 s[46:47], s[24:25]
	s_xor_b64 s[24:25], exec, s[46:47]
; %bb.407:                              ;   in Loop: Header=BB21_354 Depth=4
	v_bfe_u32 v10, v14, 16, 1
	v_add3_u32 v10, v14, v10, s71
                                        ; implicit-def: $vgpr14
; %bb.408:                              ;   in Loop: Header=BB21_354 Depth=4
	s_andn2_saveexec_b64 s[46:47], s[24:25]
; %bb.409:                              ;   in Loop: Header=BB21_354 Depth=4
	v_or_b32_e32 v10, 0x10000, v14
	v_cmp_eq_u32_sdwa s[24:25], v14, v3 src0_sel:WORD_0 src1_sel:DWORD
	s_nop 1
	v_cndmask_b32_e64 v10, v10, v14, s[24:25]
; %bb.410:                              ;   in Loop: Header=BB21_354 Depth=4
	s_or_b64 exec, exec, s[46:47]
	v_lshlrev_b32_e32 v14, 16, v11
	v_lshlrev_b32_e32 v82, 16, v15
	v_max_f32_e32 v82, v82, v82
	v_max_f32_e32 v14, v14, v14
	v_min_f32_e32 v75, v14, v82
	v_max_f32_e32 v14, v14, v82
	v_cndmask_b32_e32 v75, v14, v75, vcc
	v_and_b32_e32 v14, 0x7f800000, v75
	v_cmp_ne_u32_e64 s[24:25], s70, v14
                                        ; implicit-def: $vgpr14
	s_and_saveexec_b64 s[46:47], s[24:25]
	s_xor_b64 s[24:25], exec, s[46:47]
; %bb.411:                              ;   in Loop: Header=BB21_354 Depth=4
	v_bfe_u32 v14, v75, 16, 1
	v_add3_u32 v14, v75, v14, s71
                                        ; implicit-def: $vgpr75
; %bb.412:                              ;   in Loop: Header=BB21_354 Depth=4
	s_andn2_saveexec_b64 s[46:47], s[24:25]
; %bb.413:                              ;   in Loop: Header=BB21_354 Depth=4
	v_or_b32_e32 v14, 0x10000, v75
	v_cmp_eq_u32_sdwa s[24:25], v75, v3 src0_sel:WORD_0 src1_sel:DWORD
	s_nop 1
	v_cndmask_b32_e64 v14, v14, v75, s[24:25]
; %bb.414:                              ;   in Loop: Header=BB21_354 Depth=4
	s_or_b64 exec, exec, s[46:47]
	v_and_b32_e32 v11, 0xffff0000, v11
	v_and_b32_e32 v15, 0xffff0000, v15
	v_max_f32_e32 v15, v15, v15
	v_max_f32_e32 v11, v11, v11
	v_min_f32_e32 v82, v11, v15
	v_max_f32_e32 v11, v11, v15
	v_cndmask_b32_e32 v15, v11, v82, vcc
	v_and_b32_e32 v11, 0x7f800000, v15
	v_cmp_ne_u32_e64 s[24:25], s70, v11
                                        ; implicit-def: $vgpr11
	s_and_saveexec_b64 s[46:47], s[24:25]
	s_xor_b64 s[24:25], exec, s[46:47]
; %bb.415:                              ;   in Loop: Header=BB21_354 Depth=4
	v_bfe_u32 v11, v15, 16, 1
	v_add3_u32 v11, v15, v11, s71
                                        ; implicit-def: $vgpr15
; %bb.416:                              ;   in Loop: Header=BB21_354 Depth=4
	s_andn2_saveexec_b64 s[46:47], s[24:25]
	s_cbranch_execz .LBB21_353
; %bb.417:                              ;   in Loop: Header=BB21_354 Depth=4
	v_or_b32_e32 v11, 0x10000, v15
	v_cmp_eq_u32_sdwa s[24:25], v15, v3 src0_sel:WORD_0 src1_sel:DWORD
	s_nop 1
	v_cndmask_b32_e64 v11, v11, v15, s[24:25]
	s_branch .LBB21_353
.LBB21_418:                             ;   in Loop: Header=BB21_272 Depth=3
	s_or_b64 exec, exec, s[44:45]
.LBB21_419:                             ;   in Loop: Header=BB21_272 Depth=3
	s_or_b64 exec, exec, s[26:27]
	v_lshlrev_b32_e32 v22, 11, v73
	v_cmp_ne_u32_e32 vcc, v25, v22
	s_mov_b64 s[24:25], 0
	v_mov_b32_e32 v14, 0
                                        ; implicit-def: $vgpr15
	s_and_saveexec_b64 s[44:45], vcc
	s_cbranch_execz .LBB21_457
; %bb.420:                              ;   in Loop: Header=BB21_272 Depth=3
	v_lshlrev_b32_e32 v8, 6, v27
	v_sub_u32_e32 v8, v105, v8
	v_ashrrev_i32_e32 v10, 31, v8
	v_lshrrev_b32_e32 v10, 26, v10
	v_add_u32_e32 v10, v8, v10
	v_sub_u32_e32 v9, v25, v22
	v_ashrrev_i32_e32 v11, 6, v10
	v_and_b32_e32 v10, 0xffffffc0, v10
	v_sub_u32_e32 v23, v8, v10
	v_ashrrev_i32_e32 v10, 31, v9
	v_lshrrev_b32_e32 v10, 22, v10
	v_add_u32_e32 v10, v9, v10
	v_and_b32_e32 v27, 0xfffffc00, v10
	v_lshlrev_b32_e32 v8, 4, v23
	v_sub_u32_e32 v38, v9, v27
	v_lshl_add_u32 v8, v11, 10, v8
	v_ashrrev_i32_e32 v12, 10, v10
	v_cmp_lt_i32_e32 vcc, 15, v38
	v_sub_u32_e32 v48, v9, v8
	s_nop 0
	v_addc_co_u32_e64 v9, s[24:25], 0, v12, vcc
	v_sub_u32_e32 v39, v9, v11
	v_cmp_lt_i32_e64 s[24:25], 15, v48
	s_and_saveexec_b64 s[46:47], s[24:25]
	s_cbranch_execz .LBB21_456
; %bb.421:                              ;   in Loop: Header=BB21_272 Depth=3
	s_trap 2
	ds_read_b64 v[10:11], v0
	v_add_u32_e32 v8, v8, v22
	s_and_b32 s74, s60, 1
	v_ashrrev_i32_e32 v9, 31, v8
	s_cmp_eq_u64 s[74:75], 0
	v_lshl_add_u64 v[16:17], v[8:9], 0, v[34:35]
	s_waitcnt lgkmcnt(0)
	v_lshl_add_u64 v[18:19], v[10:11], 0, v[8:9]
	v_lshl_add_u64 v[20:21], v[8:9], 0, v[36:37]
	s_mov_b64 s[56:57], 0
	s_cselect_b64 s[24:25], -1, 0
	s_branch .LBB21_423
.LBB21_422:                             ;   in Loop: Header=BB21_423 Depth=4
	s_or_b64 exec, exec, s[58:59]
	v_lshrrev_b32_e32 v12, 16, v12
	v_and_or_b32 v9, v9, s80, v12
	v_lshrrev_b32_e32 v12, 16, v49
	v_and_or_b32 v8, v8, s80, v12
	;; [unrolled: 2-line block ×3, first 2 shown]
	v_lshrrev_b32_e32 v12, 16, v14
	v_sub_u32_e32 v48, v48, v100
	v_and_or_b32 v11, v11, s80, v12
	v_cmp_gt_i32_e64 s[26:27], 16, v48
	global_store_dwordx4 v[20:21], v[8:11], off
	v_lshl_add_u64 v[16:17], v[16:17], 0, v[100:101]
	v_lshl_add_u64 v[18:19], v[18:19], 0, v[100:101]
	;; [unrolled: 1-line block ×3, first 2 shown]
	s_or_b64 s[56:57], s[26:27], s[56:57]
	v_sub_u32_e32 v39, v39, v84
	s_andn2_b64 exec, exec, s[56:57]
	s_cbranch_execz .LBB21_455
.LBB21_423:                             ;   Parent Loop BB21_47 Depth=1
                                        ;     Parent Loop BB21_269 Depth=2
                                        ;       Parent Loop BB21_272 Depth=3
                                        ; =>      This Inner Loop Header: Depth=4
	global_load_dwordx4 v[8:11], v[18:19], off nt
	global_load_dwordx4 v[12:15], v[16:17], off nt
	s_waitcnt vmcnt(0)
	v_lshlrev_b32_e32 v49, 16, v8
	v_lshlrev_b32_e32 v50, 16, v12
	v_max_f32_e32 v49, v49, v49
	v_max_f32_e32 v50, v50, v50
	v_min_f32_e32 v51, v50, v49
	v_max_f32_e32 v49, v50, v49
	v_cndmask_b32_e64 v50, v49, v51, s[24:25]
	v_and_b32_e32 v49, 0x7f800000, v50
	v_cmp_ne_u32_e64 s[26:27], s70, v49
                                        ; implicit-def: $vgpr49
	s_and_saveexec_b64 s[58:59], s[26:27]
	s_xor_b64 s[26:27], exec, s[58:59]
; %bb.424:                              ;   in Loop: Header=BB21_423 Depth=4
	v_bfe_u32 v49, v50, 16, 1
	v_add3_u32 v49, v50, v49, s71
                                        ; implicit-def: $vgpr50
; %bb.425:                              ;   in Loop: Header=BB21_423 Depth=4
	s_andn2_saveexec_b64 s[58:59], s[26:27]
; %bb.426:                              ;   in Loop: Header=BB21_423 Depth=4
	v_or_b32_e32 v49, 0x10000, v50
	v_cmp_eq_u32_sdwa s[26:27], v50, v3 src0_sel:WORD_0 src1_sel:DWORD
	s_nop 1
	v_cndmask_b32_e64 v49, v49, v50, s[26:27]
; %bb.427:                              ;   in Loop: Header=BB21_423 Depth=4
	s_or_b64 exec, exec, s[58:59]
	v_and_b32_e32 v8, 0xffff0000, v8
	v_and_b32_e32 v12, 0xffff0000, v12
	v_max_f32_e32 v8, v8, v8
	v_max_f32_e32 v12, v12, v12
	v_min_f32_e32 v50, v12, v8
	v_max_f32_e32 v8, v12, v8
	v_cndmask_b32_e64 v12, v8, v50, s[24:25]
	v_and_b32_e32 v8, 0x7f800000, v12
	v_cmp_ne_u32_e64 s[26:27], s70, v8
                                        ; implicit-def: $vgpr8
	s_and_saveexec_b64 s[58:59], s[26:27]
	s_xor_b64 s[26:27], exec, s[58:59]
; %bb.428:                              ;   in Loop: Header=BB21_423 Depth=4
	v_bfe_u32 v8, v12, 16, 1
	v_add3_u32 v8, v12, v8, s71
                                        ; implicit-def: $vgpr12
; %bb.429:                              ;   in Loop: Header=BB21_423 Depth=4
	s_andn2_saveexec_b64 s[58:59], s[26:27]
; %bb.430:                              ;   in Loop: Header=BB21_423 Depth=4
	v_or_b32_e32 v8, 0x10000, v12
	v_cmp_eq_u32_sdwa s[26:27], v12, v3 src0_sel:WORD_0 src1_sel:DWORD
	s_nop 1
	v_cndmask_b32_e64 v8, v8, v12, s[26:27]
; %bb.431:                              ;   in Loop: Header=BB21_423 Depth=4
	s_or_b64 exec, exec, s[58:59]
	v_lshlrev_b32_e32 v12, 16, v9
	v_lshlrev_b32_e32 v50, 16, v13
	v_max_f32_e32 v12, v12, v12
	v_max_f32_e32 v50, v50, v50
	v_min_f32_e32 v51, v50, v12
	v_max_f32_e32 v12, v50, v12
	v_cndmask_b32_e64 v50, v12, v51, s[24:25]
	v_and_b32_e32 v12, 0x7f800000, v50
	v_cmp_ne_u32_e64 s[26:27], s70, v12
                                        ; implicit-def: $vgpr12
	s_and_saveexec_b64 s[58:59], s[26:27]
	s_xor_b64 s[26:27], exec, s[58:59]
; %bb.432:                              ;   in Loop: Header=BB21_423 Depth=4
	v_bfe_u32 v12, v50, 16, 1
	v_add3_u32 v12, v50, v12, s71
                                        ; implicit-def: $vgpr50
; %bb.433:                              ;   in Loop: Header=BB21_423 Depth=4
	s_andn2_saveexec_b64 s[58:59], s[26:27]
; %bb.434:                              ;   in Loop: Header=BB21_423 Depth=4
	v_or_b32_e32 v12, 0x10000, v50
	v_cmp_eq_u32_sdwa s[26:27], v50, v3 src0_sel:WORD_0 src1_sel:DWORD
	s_nop 1
	v_cndmask_b32_e64 v12, v12, v50, s[26:27]
; %bb.435:                              ;   in Loop: Header=BB21_423 Depth=4
	s_or_b64 exec, exec, s[58:59]
	v_and_b32_e32 v13, 0xffff0000, v13
	v_and_b32_e32 v9, 0xffff0000, v9
	v_max_f32_e32 v9, v9, v9
	v_max_f32_e32 v13, v13, v13
	v_min_f32_e32 v50, v13, v9
	v_max_f32_e32 v9, v13, v9
	v_cndmask_b32_e64 v13, v9, v50, s[24:25]
	v_and_b32_e32 v9, 0x7f800000, v13
	v_cmp_ne_u32_e64 s[26:27], s70, v9
                                        ; implicit-def: $vgpr9
	s_and_saveexec_b64 s[58:59], s[26:27]
	s_xor_b64 s[26:27], exec, s[58:59]
; %bb.436:                              ;   in Loop: Header=BB21_423 Depth=4
	v_bfe_u32 v9, v13, 16, 1
	v_add3_u32 v9, v13, v9, s71
                                        ; implicit-def: $vgpr13
; %bb.437:                              ;   in Loop: Header=BB21_423 Depth=4
	s_andn2_saveexec_b64 s[58:59], s[26:27]
; %bb.438:                              ;   in Loop: Header=BB21_423 Depth=4
	v_or_b32_e32 v9, 0x10000, v13
	v_cmp_eq_u32_sdwa s[26:27], v13, v3 src0_sel:WORD_0 src1_sel:DWORD
	s_nop 1
	v_cndmask_b32_e64 v9, v9, v13, s[26:27]
; %bb.439:                              ;   in Loop: Header=BB21_423 Depth=4
	s_or_b64 exec, exec, s[58:59]
	v_lshlrev_b32_e32 v13, 16, v10
	v_lshlrev_b32_e32 v50, 16, v14
	v_max_f32_e32 v13, v13, v13
	v_max_f32_e32 v50, v50, v50
	v_min_f32_e32 v51, v50, v13
	v_max_f32_e32 v13, v50, v13
	v_cndmask_b32_e64 v50, v13, v51, s[24:25]
	v_and_b32_e32 v13, 0x7f800000, v50
	v_cmp_ne_u32_e64 s[26:27], s70, v13
                                        ; implicit-def: $vgpr13
	s_and_saveexec_b64 s[58:59], s[26:27]
	s_xor_b64 s[26:27], exec, s[58:59]
; %bb.440:                              ;   in Loop: Header=BB21_423 Depth=4
	v_bfe_u32 v13, v50, 16, 1
	v_add3_u32 v13, v50, v13, s71
                                        ; implicit-def: $vgpr50
; %bb.441:                              ;   in Loop: Header=BB21_423 Depth=4
	s_andn2_saveexec_b64 s[58:59], s[26:27]
; %bb.442:                              ;   in Loop: Header=BB21_423 Depth=4
	v_or_b32_e32 v13, 0x10000, v50
	v_cmp_eq_u32_sdwa s[26:27], v50, v3 src0_sel:WORD_0 src1_sel:DWORD
	s_nop 1
	v_cndmask_b32_e64 v13, v13, v50, s[26:27]
; %bb.443:                              ;   in Loop: Header=BB21_423 Depth=4
	s_or_b64 exec, exec, s[58:59]
	v_and_b32_e32 v14, 0xffff0000, v14
	v_and_b32_e32 v10, 0xffff0000, v10
	v_max_f32_e32 v10, v10, v10
	v_max_f32_e32 v14, v14, v14
	v_min_f32_e32 v50, v14, v10
	v_max_f32_e32 v10, v14, v10
	v_cndmask_b32_e64 v14, v10, v50, s[24:25]
	v_and_b32_e32 v10, 0x7f800000, v14
	v_cmp_ne_u32_e64 s[26:27], s70, v10
                                        ; implicit-def: $vgpr10
	s_and_saveexec_b64 s[58:59], s[26:27]
	s_xor_b64 s[26:27], exec, s[58:59]
; %bb.444:                              ;   in Loop: Header=BB21_423 Depth=4
	v_bfe_u32 v10, v14, 16, 1
	v_add3_u32 v10, v14, v10, s71
                                        ; implicit-def: $vgpr14
; %bb.445:                              ;   in Loop: Header=BB21_423 Depth=4
	s_andn2_saveexec_b64 s[58:59], s[26:27]
; %bb.446:                              ;   in Loop: Header=BB21_423 Depth=4
	v_or_b32_e32 v10, 0x10000, v14
	v_cmp_eq_u32_sdwa s[26:27], v14, v3 src0_sel:WORD_0 src1_sel:DWORD
	s_nop 1
	v_cndmask_b32_e64 v10, v10, v14, s[26:27]
; %bb.447:                              ;   in Loop: Header=BB21_423 Depth=4
	s_or_b64 exec, exec, s[58:59]
	v_lshlrev_b32_e32 v14, 16, v11
	v_lshlrev_b32_e32 v50, 16, v15
	v_max_f32_e32 v14, v14, v14
	v_max_f32_e32 v50, v50, v50
	v_min_f32_e32 v51, v50, v14
	v_max_f32_e32 v14, v50, v14
	v_cndmask_b32_e64 v50, v14, v51, s[24:25]
	v_and_b32_e32 v14, 0x7f800000, v50
	v_cmp_ne_u32_e64 s[26:27], s70, v14
                                        ; implicit-def: $vgpr14
	s_and_saveexec_b64 s[58:59], s[26:27]
	s_xor_b64 s[26:27], exec, s[58:59]
; %bb.448:                              ;   in Loop: Header=BB21_423 Depth=4
	v_bfe_u32 v14, v50, 16, 1
	v_add3_u32 v14, v50, v14, s71
                                        ; implicit-def: $vgpr50
; %bb.449:                              ;   in Loop: Header=BB21_423 Depth=4
	s_andn2_saveexec_b64 s[58:59], s[26:27]
; %bb.450:                              ;   in Loop: Header=BB21_423 Depth=4
	v_or_b32_e32 v14, 0x10000, v50
	v_cmp_eq_u32_sdwa s[26:27], v50, v3 src0_sel:WORD_0 src1_sel:DWORD
	s_nop 1
	v_cndmask_b32_e64 v14, v14, v50, s[26:27]
; %bb.451:                              ;   in Loop: Header=BB21_423 Depth=4
	s_or_b64 exec, exec, s[58:59]
	v_and_b32_e32 v15, 0xffff0000, v15
	v_and_b32_e32 v11, 0xffff0000, v11
	v_max_f32_e32 v11, v11, v11
	v_max_f32_e32 v15, v15, v15
	v_min_f32_e32 v50, v15, v11
	v_max_f32_e32 v11, v15, v11
	v_cndmask_b32_e64 v15, v11, v50, s[24:25]
	v_and_b32_e32 v11, 0x7f800000, v15
	v_cmp_ne_u32_e64 s[26:27], s70, v11
                                        ; implicit-def: $vgpr11
	s_and_saveexec_b64 s[58:59], s[26:27]
	s_xor_b64 s[26:27], exec, s[58:59]
; %bb.452:                              ;   in Loop: Header=BB21_423 Depth=4
	v_bfe_u32 v11, v15, 16, 1
	v_add3_u32 v11, v15, v11, s71
                                        ; implicit-def: $vgpr15
; %bb.453:                              ;   in Loop: Header=BB21_423 Depth=4
	s_andn2_saveexec_b64 s[58:59], s[26:27]
	s_cbranch_execz .LBB21_422
; %bb.454:                              ;   in Loop: Header=BB21_423 Depth=4
	v_or_b32_e32 v11, 0x10000, v15
	v_cmp_eq_u32_sdwa s[26:27], v15, v3 src0_sel:WORD_0 src1_sel:DWORD
	s_nop 1
	v_cndmask_b32_e64 v11, v11, v15, s[26:27]
	s_branch .LBB21_422
.LBB21_455:                             ;   in Loop: Header=BB21_272 Depth=3
	s_or_b64 exec, exec, s[56:57]
.LBB21_456:                             ;   in Loop: Header=BB21_272 Depth=3
	s_or_b64 exec, exec, s[46:47]
	v_and_b32_e32 v8, 14, v25
	v_sub_u32_e32 v9, v38, v8
	v_cndmask_b32_e32 v9, 0, v9, vcc
	v_cndmask_b32_e32 v25, v38, v8, vcc
	v_cmp_lt_i32_e32 vcc, 0, v39
	v_add3_u32 v14, v27, v22, v9
	s_nop 0
	v_cndmask_b32_e32 v8, 0, v84, vcc
	v_sub_u32_e32 v8, v8, v39
	v_cmp_ne_u32_e32 vcc, 0, v25
	v_lshl_add_u32 v15, v8, 6, v23
	s_and_b64 s[24:25], vcc, exec
.LBB21_457:                             ;   in Loop: Header=BB21_272 Depth=3
	s_or_b64 exec, exec, s[44:45]
	s_and_saveexec_b64 s[26:27], s[24:25]
	s_cbranch_execz .LBB21_502
.LBB21_458:                             ;   in Loop: Header=BB21_272 Depth=3
	v_ashrrev_i32_e32 v8, 31, v15
	v_ashrrev_i32_e32 v9, 31, v25
	v_lshrrev_b32_e32 v8, 26, v8
	v_lshrrev_b32_e32 v9, 22, v9
	v_add_u32_e32 v8, v15, v8
	v_add_u32_e32 v9, v25, v9
	v_ashrrev_i32_e32 v16, 6, v8
	v_ashrrev_i32_e32 v18, 10, v9
	v_sub_u32_e32 v17, v18, v16
	v_cmp_lt_i32_e32 vcc, 0, v17
	s_and_saveexec_b64 s[44:45], vcc
	s_cbranch_execz .LBB21_494
; %bb.459:                              ;   in Loop: Header=BB21_272 Depth=3
	v_and_b32_e32 v8, 0x7fffffc0, v8
	s_trap 2
	ds_read_b64 v[10:11], v0
	v_sub_u32_e32 v8, v15, v8
	v_lshlrev_b32_e32 v8, 1, v8
	v_lshlrev_b32_e32 v9, 10, v16
	v_add3_u32 v12, v8, v14, v9
	s_and_b32 s74, s60, 1
	v_ashrrev_i32_e32 v13, 31, v12
	s_cmp_eq_u64 s[74:75], 0
	v_lshl_add_u64 v[20:21], v[36:37], 0, s[36:37]
	v_lshl_add_u64 v[8:9], v[12:13], 0, v[34:35]
	s_waitcnt lgkmcnt(0)
	v_lshl_add_u64 v[10:11], v[10:11], 0, v[12:13]
	s_mov_b64 s[46:47], 0
	s_cselect_b64 s[24:25], -1, 0
	v_lshl_add_u64 v[12:13], v[20:21], 0, v[12:13]
	s_branch .LBB21_461
.LBB21_460:                             ;   in Loop: Header=BB21_461 Depth=4
	s_or_b64 exec, exec, s[56:57]
	v_add_co_u32_e32 v74, vcc, 0xfffffc80, v12
	v_sub_u32_e32 v17, v17, v84
	s_nop 0
	v_addc_co_u32_e32 v75, vcc, -1, v13, vcc
	flat_store_short_d16_hi v[74:75], v19 nt
	v_add_co_u32_e32 v74, vcc, 0xfffffd00, v12
	v_lshl_add_u64 v[8:9], v[8:9], 0, v[100:101]
	s_nop 0
	v_addc_co_u32_e32 v75, vcc, -1, v13, vcc
	flat_store_short_d16_hi v[74:75], v22 nt
	v_add_co_u32_e32 v74, vcc, 0xfffffd80, v12
	v_lshl_add_u64 v[10:11], v[10:11], 0, v[100:101]
	s_nop 0
	v_addc_co_u32_e32 v75, vcc, -1, v13, vcc
	flat_store_short_d16_hi v[74:75], v38 nt
	v_add_co_u32_e32 v74, vcc, 0xfffffe00, v12
	s_nop 1
	v_addc_co_u32_e32 v75, vcc, -1, v13, vcc
	flat_store_short_d16_hi v[74:75], v48 nt
	v_add_co_u32_e32 v48, vcc, 0xfffffe80, v12
	;; [unrolled: 4-line block ×3, first 2 shown]
	s_nop 1
	v_addc_co_u32_e32 v49, vcc, -1, v13, vcc
	v_add_co_u32_e32 v38, vcc, 0xffffff80, v12
	flat_store_short_d16_hi v[48:49], v39 nt
	s_nop 0
	v_addc_co_u32_e32 v39, vcc, -1, v13, vcc
	v_cmp_gt_i32_e32 vcc, 1, v17
	flat_store_short_d16_hi v[38:39], v23 nt
	flat_store_short_d16_hi v[12:13], v20 nt
	s_or_b64 s[46:47], vcc, s[46:47]
	v_lshl_add_u64 v[12:13], v[12:13], 0, v[100:101]
	s_andn2_b64 exec, exec, s[46:47]
	s_cbranch_execz .LBB21_493
.LBB21_461:                             ;   Parent Loop BB21_47 Depth=1
                                        ;     Parent Loop BB21_269 Depth=2
                                        ;       Parent Loop BB21_272 Depth=3
                                        ; =>      This Inner Loop Header: Depth=4
	flat_load_ushort v38, v[8:9] offset:256 nt
	flat_load_ushort v48, v[8:9] offset:384 nt
	;; [unrolled: 1-line block ×6, first 2 shown]
	flat_load_ushort v19, v[8:9] nt
	flat_load_ushort v74, v[10:11] offset:256 nt
	flat_load_ushort v73, v[10:11] offset:384 nt
	;; [unrolled: 1-line block ×6, first 2 shown]
	flat_load_ushort v82, v[10:11] nt
	flat_load_ushort v22, v[8:9] offset:128 nt
	flat_load_ushort v75, v[10:11] offset:128 nt
	s_waitcnt vmcnt(0) lgkmcnt(0)
	v_lshlrev_b32_e32 v19, 16, v19
	v_max_f32_e32 v19, v19, v19
	v_lshlrev_b32_e32 v82, 16, v82
	v_max_f32_e32 v82, v82, v82
	v_min_f32_e32 v76, v19, v82
	v_max_f32_e32 v19, v19, v82
	v_cndmask_b32_e64 v76, v19, v76, s[24:25]
	v_and_b32_e32 v19, 0x7f800000, v76
	v_cmp_ne_u32_e32 vcc, s70, v19
                                        ; implicit-def: $vgpr19
	s_and_saveexec_b64 s[56:57], vcc
	s_xor_b64 s[56:57], exec, s[56:57]
; %bb.462:                              ;   in Loop: Header=BB21_461 Depth=4
	v_bfe_u32 v19, v76, 16, 1
	v_add3_u32 v19, v76, v19, s71
                                        ; implicit-def: $vgpr76
; %bb.463:                              ;   in Loop: Header=BB21_461 Depth=4
	s_andn2_saveexec_b64 s[56:57], s[56:57]
; %bb.464:                              ;   in Loop: Header=BB21_461 Depth=4
	v_or_b32_e32 v19, 0x10000, v76
	v_cmp_eq_u32_sdwa vcc, v76, v3 src0_sel:WORD_0 src1_sel:DWORD
	s_nop 1
	v_cndmask_b32_e32 v19, v19, v76, vcc
; %bb.465:                              ;   in Loop: Header=BB21_461 Depth=4
	s_or_b64 exec, exec, s[56:57]
	v_lshlrev_b32_e32 v22, 16, v22
	v_lshlrev_b32_e32 v82, 16, v75
	v_max_f32_e32 v82, v82, v82
	v_max_f32_e32 v22, v22, v22
	v_min_f32_e32 v75, v22, v82
	v_max_f32_e32 v22, v22, v82
	v_cndmask_b32_e64 v75, v22, v75, s[24:25]
	v_and_b32_e32 v22, 0x7f800000, v75
	v_cmp_ne_u32_e32 vcc, s70, v22
                                        ; implicit-def: $vgpr22
	s_and_saveexec_b64 s[56:57], vcc
	s_xor_b64 s[56:57], exec, s[56:57]
; %bb.466:                              ;   in Loop: Header=BB21_461 Depth=4
	v_bfe_u32 v22, v75, 16, 1
	v_add3_u32 v22, v75, v22, s71
                                        ; implicit-def: $vgpr75
; %bb.467:                              ;   in Loop: Header=BB21_461 Depth=4
	s_andn2_saveexec_b64 s[56:57], s[56:57]
; %bb.468:                              ;   in Loop: Header=BB21_461 Depth=4
	v_or_b32_e32 v22, 0x10000, v75
	v_cmp_eq_u32_sdwa vcc, v75, v3 src0_sel:WORD_0 src1_sel:DWORD
	s_nop 1
	v_cndmask_b32_e32 v22, v22, v75, vcc
; %bb.469:                              ;   in Loop: Header=BB21_461 Depth=4
	s_or_b64 exec, exec, s[56:57]
	v_lshlrev_b32_e32 v38, 16, v38
	v_lshlrev_b32_e32 v82, 16, v74
	v_max_f32_e32 v82, v82, v82
	v_max_f32_e32 v38, v38, v38
	v_min_f32_e32 v74, v38, v82
	v_max_f32_e32 v38, v38, v82
	v_cndmask_b32_e64 v74, v38, v74, s[24:25]
	v_and_b32_e32 v38, 0x7f800000, v74
	v_cmp_ne_u32_e32 vcc, s70, v38
                                        ; implicit-def: $vgpr38
	s_and_saveexec_b64 s[56:57], vcc
	s_xor_b64 s[56:57], exec, s[56:57]
; %bb.470:                              ;   in Loop: Header=BB21_461 Depth=4
	v_bfe_u32 v38, v74, 16, 1
	v_add3_u32 v38, v74, v38, s71
                                        ; implicit-def: $vgpr74
; %bb.471:                              ;   in Loop: Header=BB21_461 Depth=4
	s_andn2_saveexec_b64 s[56:57], s[56:57]
; %bb.472:                              ;   in Loop: Header=BB21_461 Depth=4
	v_or_b32_e32 v38, 0x10000, v74
	v_cmp_eq_u32_sdwa vcc, v74, v3 src0_sel:WORD_0 src1_sel:DWORD
	s_nop 1
	v_cndmask_b32_e32 v38, v38, v74, vcc
; %bb.473:                              ;   in Loop: Header=BB21_461 Depth=4
	s_or_b64 exec, exec, s[56:57]
	v_lshlrev_b32_e32 v48, 16, v48
	v_lshlrev_b32_e32 v82, 16, v73
	v_max_f32_e32 v82, v82, v82
	v_max_f32_e32 v48, v48, v48
	v_min_f32_e32 v73, v48, v82
	v_max_f32_e32 v48, v48, v82
	v_cndmask_b32_e64 v73, v48, v73, s[24:25]
	v_and_b32_e32 v48, 0x7f800000, v73
	v_cmp_ne_u32_e32 vcc, s70, v48
                                        ; implicit-def: $vgpr48
	s_and_saveexec_b64 s[56:57], vcc
	s_xor_b64 s[56:57], exec, s[56:57]
; %bb.474:                              ;   in Loop: Header=BB21_461 Depth=4
	v_bfe_u32 v48, v73, 16, 1
	v_add3_u32 v48, v73, v48, s71
                                        ; implicit-def: $vgpr73
; %bb.475:                              ;   in Loop: Header=BB21_461 Depth=4
	s_andn2_saveexec_b64 s[56:57], s[56:57]
; %bb.476:                              ;   in Loop: Header=BB21_461 Depth=4
	v_or_b32_e32 v48, 0x10000, v73
	v_cmp_eq_u32_sdwa vcc, v73, v3 src0_sel:WORD_0 src1_sel:DWORD
	s_nop 1
	v_cndmask_b32_e32 v48, v48, v73, vcc
; %bb.477:                              ;   in Loop: Header=BB21_461 Depth=4
	s_or_b64 exec, exec, s[56:57]
	v_lshlrev_b32_e32 v50, 16, v50
	v_lshlrev_b32_e32 v51, 16, v51
	v_max_f32_e32 v51, v51, v51
	v_max_f32_e32 v50, v50, v50
	v_min_f32_e32 v82, v50, v51
	v_max_f32_e32 v50, v50, v51
	v_cndmask_b32_e64 v51, v50, v82, s[24:25]
	v_and_b32_e32 v50, 0x7f800000, v51
	v_cmp_ne_u32_e32 vcc, s70, v50
                                        ; implicit-def: $vgpr50
	s_and_saveexec_b64 s[56:57], vcc
	s_xor_b64 s[56:57], exec, s[56:57]
; %bb.478:                              ;   in Loop: Header=BB21_461 Depth=4
	v_bfe_u32 v50, v51, 16, 1
	v_add3_u32 v50, v51, v50, s71
                                        ; implicit-def: $vgpr51
; %bb.479:                              ;   in Loop: Header=BB21_461 Depth=4
	s_andn2_saveexec_b64 s[56:57], s[56:57]
; %bb.480:                              ;   in Loop: Header=BB21_461 Depth=4
	v_or_b32_e32 v50, 0x10000, v51
	v_cmp_eq_u32_sdwa vcc, v51, v3 src0_sel:WORD_0 src1_sel:DWORD
	s_nop 1
	v_cndmask_b32_e32 v50, v50, v51, vcc
; %bb.481:                              ;   in Loop: Header=BB21_461 Depth=4
	s_or_b64 exec, exec, s[56:57]
	v_lshlrev_b32_e32 v39, 16, v39
	v_lshlrev_b32_e32 v49, 16, v49
	v_max_f32_e32 v49, v49, v49
	v_max_f32_e32 v39, v39, v39
	v_min_f32_e32 v51, v39, v49
	v_max_f32_e32 v39, v39, v49
	v_cndmask_b32_e64 v49, v39, v51, s[24:25]
	v_and_b32_e32 v39, 0x7f800000, v49
	v_cmp_ne_u32_e32 vcc, s70, v39
                                        ; implicit-def: $vgpr39
	s_and_saveexec_b64 s[56:57], vcc
	s_xor_b64 s[56:57], exec, s[56:57]
; %bb.482:                              ;   in Loop: Header=BB21_461 Depth=4
	v_bfe_u32 v39, v49, 16, 1
	v_add3_u32 v39, v49, v39, s71
                                        ; implicit-def: $vgpr49
; %bb.483:                              ;   in Loop: Header=BB21_461 Depth=4
	s_andn2_saveexec_b64 s[56:57], s[56:57]
; %bb.484:                              ;   in Loop: Header=BB21_461 Depth=4
	v_or_b32_e32 v39, 0x10000, v49
	v_cmp_eq_u32_sdwa vcc, v49, v3 src0_sel:WORD_0 src1_sel:DWORD
	s_nop 1
	v_cndmask_b32_e32 v39, v39, v49, vcc
; %bb.485:                              ;   in Loop: Header=BB21_461 Depth=4
	s_or_b64 exec, exec, s[56:57]
	v_lshlrev_b32_e32 v23, 16, v23
	v_lshlrev_b32_e32 v27, 16, v27
	v_max_f32_e32 v27, v27, v27
	v_max_f32_e32 v23, v23, v23
	v_min_f32_e32 v49, v23, v27
	v_max_f32_e32 v23, v23, v27
	v_cndmask_b32_e64 v27, v23, v49, s[24:25]
	v_and_b32_e32 v23, 0x7f800000, v27
	v_cmp_ne_u32_e32 vcc, s70, v23
                                        ; implicit-def: $vgpr23
	s_and_saveexec_b64 s[56:57], vcc
	s_xor_b64 s[56:57], exec, s[56:57]
; %bb.486:                              ;   in Loop: Header=BB21_461 Depth=4
	v_bfe_u32 v23, v27, 16, 1
	v_add3_u32 v23, v27, v23, s71
                                        ; implicit-def: $vgpr27
; %bb.487:                              ;   in Loop: Header=BB21_461 Depth=4
	s_andn2_saveexec_b64 s[56:57], s[56:57]
; %bb.488:                              ;   in Loop: Header=BB21_461 Depth=4
	v_or_b32_e32 v23, 0x10000, v27
	v_cmp_eq_u32_sdwa vcc, v27, v3 src0_sel:WORD_0 src1_sel:DWORD
	s_nop 1
	v_cndmask_b32_e32 v23, v23, v27, vcc
; %bb.489:                              ;   in Loop: Header=BB21_461 Depth=4
	s_or_b64 exec, exec, s[56:57]
	v_lshlrev_b32_e32 v20, 16, v20
	v_lshlrev_b32_e32 v21, 16, v21
	v_max_f32_e32 v21, v21, v21
	v_max_f32_e32 v20, v20, v20
	v_min_f32_e32 v27, v20, v21
	v_max_f32_e32 v20, v20, v21
	v_cndmask_b32_e64 v21, v20, v27, s[24:25]
	v_and_b32_e32 v20, 0x7f800000, v21
	v_cmp_ne_u32_e32 vcc, s70, v20
                                        ; implicit-def: $vgpr20
	s_and_saveexec_b64 s[56:57], vcc
	s_xor_b64 s[56:57], exec, s[56:57]
; %bb.490:                              ;   in Loop: Header=BB21_461 Depth=4
	v_bfe_u32 v20, v21, 16, 1
	v_add3_u32 v20, v21, v20, s71
                                        ; implicit-def: $vgpr21
; %bb.491:                              ;   in Loop: Header=BB21_461 Depth=4
	s_andn2_saveexec_b64 s[56:57], s[56:57]
	s_cbranch_execz .LBB21_460
; %bb.492:                              ;   in Loop: Header=BB21_461 Depth=4
	v_or_b32_e32 v20, 0x10000, v21
	v_cmp_eq_u32_sdwa vcc, v21, v3 src0_sel:WORD_0 src1_sel:DWORD
	s_nop 1
	v_cndmask_b32_e32 v20, v20, v21, vcc
	s_branch .LBB21_460
.LBB21_493:                             ;   in Loop: Header=BB21_272 Depth=3
	s_or_b64 exec, exec, s[46:47]
.LBB21_494:                             ;   in Loop: Header=BB21_272 Depth=3
	s_or_b64 exec, exec, s[44:45]
	v_lshlrev_b32_e32 v8, 10, v18
	v_cmp_ne_u32_e32 vcc, v25, v8
	s_and_b64 exec, exec, vcc
	s_cbranch_execz .LBB21_502
; %bb.495:                              ;   in Loop: Header=BB21_272 Depth=3
	v_lshlrev_b32_e32 v9, 6, v16
	v_sub_u32_e32 v9, v15, v9
	v_lshlrev_b32_e32 v10, 6, v17
	v_sub_u32_e32 v9, v9, v10
	v_ashrrev_i32_e32 v10, 31, v9
	v_lshrrev_b32_e32 v10, 26, v10
	v_add_u32_e32 v10, v9, v10
	v_and_b32_e32 v11, 0x7fffffc0, v10
	v_sub_u32_e32 v9, v9, v11
	v_lshlrev_b32_e32 v10, 1, v10
	v_and_b32_e32 v10, 0xffffff80, v10
	v_lshlrev_b32_e32 v9, 1, v9
	v_add3_u32 v8, v10, v9, v8
	v_sub_u32_e32 v15, v25, v8
	v_cmp_lt_i32_e32 vcc, 1, v15
	s_and_b64 exec, exec, vcc
	s_cbranch_execz .LBB21_502
; %bb.496:                              ;   in Loop: Header=BB21_272 Depth=3
	s_trap 2
	ds_read_b64 v[10:11], v0
	v_add_u32_e32 v12, v8, v14
	s_and_b32 s74, s60, 1
	v_ashrrev_i32_e32 v13, 31, v12
	s_cmp_eq_u64 s[74:75], 0
	v_lshl_add_u64 v[8:9], v[12:13], 0, v[34:35]
	s_waitcnt lgkmcnt(0)
	v_lshl_add_u64 v[10:11], v[10:11], 0, v[12:13]
	v_lshl_add_u64 v[12:13], v[12:13], 0, v[36:37]
	s_mov_b64 s[44:45], 0
	s_cselect_b64 vcc, -1, 0
	s_branch .LBB21_498
.LBB21_497:                             ;   in Loop: Header=BB21_498 Depth=4
	s_or_b64 exec, exec, s[46:47]
	v_sub_u32_e32 v15, v15, v102
	v_cmp_gt_i32_e64 s[24:25], 2, v15
	flat_store_short_d16_hi v[12:13], v16 nt
	v_lshl_add_u64 v[8:9], v[8:9], 0, v[102:103]
	v_lshl_add_u64 v[10:11], v[10:11], 0, v[102:103]
	s_or_b64 s[44:45], s[24:25], s[44:45]
	v_lshl_add_u64 v[12:13], v[12:13], 0, v[102:103]
	s_andn2_b64 exec, exec, s[44:45]
	s_cbranch_execz .LBB21_502
.LBB21_498:                             ;   Parent Loop BB21_47 Depth=1
                                        ;     Parent Loop BB21_269 Depth=2
                                        ;       Parent Loop BB21_272 Depth=3
                                        ; =>      This Inner Loop Header: Depth=4
	flat_load_ushort v14, v[10:11] nt
	flat_load_ushort v16, v[8:9] nt
	s_waitcnt vmcnt(0) lgkmcnt(0)
	v_lshlrev_b32_e32 v14, 16, v14
	v_lshlrev_b32_e32 v16, 16, v16
	v_max_f32_e32 v14, v14, v14
	v_max_f32_e32 v16, v16, v16
	v_min_f32_e32 v17, v16, v14
	v_max_f32_e32 v14, v16, v14
	v_cndmask_b32_e32 v14, v14, v17, vcc
	v_and_b32_e32 v16, 0x7f800000, v14
	v_cmp_ne_u32_e64 s[24:25], s70, v16
                                        ; implicit-def: $vgpr16
	s_and_saveexec_b64 s[46:47], s[24:25]
	s_xor_b64 s[24:25], exec, s[46:47]
; %bb.499:                              ;   in Loop: Header=BB21_498 Depth=4
	v_bfe_u32 v16, v14, 16, 1
	v_add3_u32 v16, v14, v16, s71
                                        ; implicit-def: $vgpr14
; %bb.500:                              ;   in Loop: Header=BB21_498 Depth=4
	s_andn2_saveexec_b64 s[46:47], s[24:25]
	s_cbranch_execz .LBB21_497
; %bb.501:                              ;   in Loop: Header=BB21_498 Depth=4
	v_or_b32_e32 v16, 0x10000, v14
	v_cmp_eq_u32_sdwa s[24:25], v14, v3 src0_sel:WORD_0 src1_sel:DWORD
	s_nop 1
	v_cndmask_b32_e64 v16, v16, v14, s[24:25]
	s_branch .LBB21_497
.LBB21_502:                             ;   in Loop: Header=BB21_272 Depth=3
	s_or_b64 exec, exec, s[26:27]
	v_cmp_lt_i32_e64 s[24:25], 0, v2
	s_and_saveexec_b64 s[26:27], s[4:5]
	s_cbranch_execz .LBB21_347
.LBB21_503:                             ;   in Loop: Header=BB21_272 Depth=3
	s_and_saveexec_b64 s[44:45], s[76:77]
	s_xor_b64 s[44:45], exec, s[44:45]
	s_cbranch_execz .LBB21_518
; %bb.504:                              ;   in Loop: Header=BB21_272 Depth=3
	s_and_saveexec_b64 s[46:47], s[12:13]
	s_cbranch_execz .LBB21_517
; %bb.505:                              ;   in Loop: Header=BB21_272 Depth=3
	s_mov_b64 s[58:59], exec
	v_mbcnt_lo_u32_b32 v2, s58, 0
	v_mbcnt_hi_u32_b32 v2, s59, v2
	v_cmp_eq_u32_e32 vcc, 0, v2
	s_waitcnt lgkmcnt(0)
	s_and_saveexec_b64 s[56:57], vcc
	s_cbranch_execz .LBB21_507
; %bb.506:                              ;   in Loop: Header=BB21_272 Depth=3
	s_bcnt1_i32_b64 s58, s[58:59]
	v_mov_b32_e32 v2, s58
	ds_add_u64 v0, v[2:3]
	s_trap 2
.LBB21_507:                             ;   in Loop: Header=BB21_272 Depth=3
	s_or_b64 exec, exec, s[56:57]
	s_trap 2
	ds_read_b64 v[8:9], v0
	s_waitcnt lgkmcnt(0)
	v_lshl_add_u64 v[70:71], v[70:71], 0, v[84:85]
	v_cmp_lt_u64_e32 vcc, v[8:9], v[70:71]
	s_and_saveexec_b64 s[56:57], vcc
	s_cbranch_execz .LBB21_516
; %bb.508:                              ;   in Loop: Header=BB21_272 Depth=3
	s_mov_b32 s74, 0
	s_mov_b64 s[58:59], 0
                                        ; implicit-def: $sgpr60_sgpr61
                                        ; implicit-def: $sgpr38_sgpr39
	s_branch .LBB21_510
.LBB21_509:                             ;   in Loop: Header=BB21_510 Depth=4
	s_or_b64 exec, exec, s[50:51]
	s_and_b64 vcc, exec, vcc
	s_or_b64 s[58:59], vcc, s[58:59]
	s_andn2_b64 s[60:61], s[60:61], exec
	s_and_b64 vcc, s[38:39], exec
	s_or_b64 s[60:61], s[60:61], vcc
	s_andn2_b64 exec, exec, s[58:59]
	s_cbranch_execz .LBB21_514
.LBB21_510:                             ;   Parent Loop BB21_47 Depth=1
                                        ;     Parent Loop BB21_269 Depth=2
                                        ;       Parent Loop BB21_272 Depth=3
                                        ; =>      This Inner Loop Header: Depth=4
	s_add_i32 s74, s74, 1
	s_cmpk_lg_i32 s74, 0x2710
	s_cselect_b64 s[48:49], -1, 0
	s_and_b64 vcc, exec, s[48:49]
	s_cbranch_vccz .LBB21_512
; %bb.511:                              ;   in Loop: Header=BB21_510 Depth=4
	s_mov_b64 vcc, -1
	s_or_b64 s[38:39], s[38:39], exec
	s_and_saveexec_b64 s[50:51], s[48:49]
	s_cbranch_execz .LBB21_509
	s_branch .LBB21_513
.LBB21_512:                             ;   in Loop: Header=BB21_510 Depth=4
	s_trap 2
	ds_read_b64 v[8:9], v0
	s_andn2_b64 s[48:49], s[48:49], exec
	s_mov_b32 s74, 0
	s_waitcnt vmcnt(0) lgkmcnt(0)
	flat_load_dword v2, v[8:9] sc0 sc1
	s_waitcnt vmcnt(0) lgkmcnt(0)
	buffer_inv sc0 sc1
	v_cmp_eq_u32_e32 vcc, 0, v2
	s_and_b64 vcc, vcc, exec
	s_or_b64 s[48:49], s[48:49], vcc
	s_mov_b64 vcc, -1
	s_or_b64 s[38:39], s[38:39], exec
	s_and_saveexec_b64 s[50:51], s[48:49]
	s_cbranch_execz .LBB21_509
.LBB21_513:                             ;   in Loop: Header=BB21_510 Depth=4
	s_sleep 1
	s_trap 2
	ds_read_b64 v[8:9], v0
	s_waitcnt lgkmcnt(0)
	s_andn2_b64 s[38:39], s[38:39], exec
	v_cmp_ge_u64_e32 vcc, v[8:9], v[70:71]
	s_orn2_b64 vcc, vcc, exec
	s_branch .LBB21_509
.LBB21_514:                             ;   in Loop: Header=BB21_272 Depth=3
	s_or_b64 exec, exec, s[58:59]
	s_and_saveexec_b64 s[58:59], s[60:61]
	s_xor_b64 s[58:59], exec, s[58:59]
	s_cbranch_execz .LBB21_516
; %bb.515:                              ;   in Loop: Header=BB21_272 Depth=3
	ds_write_b32 v0, v107
	s_trap 2
.LBB21_516:                             ;   in Loop: Header=BB21_272 Depth=3
	s_or_b64 exec, exec, s[56:57]
	;;#ASMSTART
	s_wakeup
	;;#ASMEND
.LBB21_517:                             ;   in Loop: Header=BB21_272 Depth=3
	s_or_b64 exec, exec, s[46:47]
.LBB21_518:                             ;   in Loop: Header=BB21_272 Depth=3
	s_andn2_saveexec_b64 s[44:45], s[44:45]
	s_cbranch_execz .LBB21_520
; %bb.519:                              ;   in Loop: Header=BB21_272 Depth=3
	s_waitcnt lgkmcnt(0)
	s_barrier
.LBB21_520:                             ;   in Loop: Header=BB21_272 Depth=3
	s_or_b64 exec, exec, s[44:45]
	s_or_b64 exec, exec, s[26:27]
                                        ; implicit-def: $vgpr2
	s_and_saveexec_b64 s[26:27], s[20:21]
	s_xor_b64 s[26:27], exec, s[26:27]
	s_cbranch_execnz .LBB21_348
.LBB21_521:                             ;   in Loop: Header=BB21_272 Depth=3
	s_andn2_saveexec_b64 s[24:25], s[26:27]
	s_cbranch_execz .LBB21_540
.LBB21_522:                             ;   in Loop: Header=BB21_272 Depth=3
	s_and_saveexec_b64 s[26:27], s[76:77]
	s_xor_b64 s[26:27], exec, s[26:27]
	s_cbranch_execz .LBB21_537
; %bb.523:                              ;   in Loop: Header=BB21_272 Depth=3
	s_and_saveexec_b64 s[44:45], s[12:13]
	s_cbranch_execz .LBB21_536
; %bb.524:                              ;   in Loop: Header=BB21_272 Depth=3
	s_mov_b64 s[56:57], exec
	v_mbcnt_lo_u32_b32 v2, s56, 0
	v_mbcnt_hi_u32_b32 v2, s57, v2
	v_cmp_eq_u32_e32 vcc, 0, v2
	;;#ASMSTART
	s_waitcnt lgkmcnt(0) vmcnt(0)
	;;#ASMEND
	s_and_saveexec_b64 s[46:47], vcc
	s_cbranch_execz .LBB21_526
; %bb.525:                              ;   in Loop: Header=BB21_272 Depth=3
	s_bcnt1_i32_b64 s56, s[56:57]
	v_mov_b32_e32 v2, s56
	s_waitcnt lgkmcnt(0)
	ds_add_u64 v0, v[2:3]
	s_trap 2
.LBB21_526:                             ;   in Loop: Header=BB21_272 Depth=3
	s_or_b64 exec, exec, s[46:47]
	s_trap 2
	ds_read_b64 v[8:9], v0
	s_waitcnt lgkmcnt(0)
	v_lshl_add_u64 v[70:71], v[70:71], 0, v[84:85]
	v_cmp_lt_u64_e32 vcc, v[8:9], v[70:71]
	s_and_saveexec_b64 s[46:47], vcc
	s_cbranch_execz .LBB21_535
; %bb.527:                              ;   in Loop: Header=BB21_272 Depth=3
	s_mov_b32 s74, 0
	s_mov_b64 s[56:57], 0
                                        ; implicit-def: $sgpr58_sgpr59
                                        ; implicit-def: $sgpr60_sgpr61
	s_branch .LBB21_529
.LBB21_528:                             ;   in Loop: Header=BB21_529 Depth=4
	s_or_b64 exec, exec, s[48:49]
	s_and_b64 vcc, exec, vcc
	s_or_b64 s[56:57], vcc, s[56:57]
	s_andn2_b64 s[58:59], s[58:59], exec
	s_and_b64 vcc, s[60:61], exec
	s_or_b64 s[58:59], s[58:59], vcc
	s_andn2_b64 exec, exec, s[56:57]
	s_cbranch_execz .LBB21_533
.LBB21_529:                             ;   Parent Loop BB21_47 Depth=1
                                        ;     Parent Loop BB21_269 Depth=2
                                        ;       Parent Loop BB21_272 Depth=3
                                        ; =>      This Inner Loop Header: Depth=4
	s_add_i32 s74, s74, 1
	s_cmpk_lg_i32 s74, 0x2710
	s_cselect_b64 s[38:39], -1, 0
	s_and_b64 vcc, exec, s[38:39]
	s_cbranch_vccz .LBB21_531
; %bb.530:                              ;   in Loop: Header=BB21_529 Depth=4
	s_mov_b64 vcc, -1
	s_or_b64 s[60:61], s[60:61], exec
	s_and_saveexec_b64 s[48:49], s[38:39]
	s_cbranch_execz .LBB21_528
	s_branch .LBB21_532
.LBB21_531:                             ;   in Loop: Header=BB21_529 Depth=4
	s_trap 2
	ds_read_b64 v[8:9], v0
	s_andn2_b64 s[38:39], s[38:39], exec
	s_mov_b32 s74, 0
	s_waitcnt vmcnt(0) lgkmcnt(0)
	flat_load_dword v2, v[8:9] sc0 sc1
	s_waitcnt vmcnt(0) lgkmcnt(0)
	buffer_inv sc0 sc1
	v_cmp_eq_u32_e32 vcc, 0, v2
	s_and_b64 vcc, vcc, exec
	s_or_b64 s[38:39], s[38:39], vcc
	s_mov_b64 vcc, -1
	s_or_b64 s[60:61], s[60:61], exec
	s_and_saveexec_b64 s[48:49], s[38:39]
	s_cbranch_execz .LBB21_528
.LBB21_532:                             ;   in Loop: Header=BB21_529 Depth=4
	s_sleep 1
	s_trap 2
	ds_read_b64 v[8:9], v0
	s_waitcnt lgkmcnt(0)
	s_andn2_b64 s[60:61], s[60:61], exec
	v_cmp_ge_u64_e32 vcc, v[8:9], v[70:71]
	s_orn2_b64 vcc, vcc, exec
	s_branch .LBB21_528
.LBB21_533:                             ;   in Loop: Header=BB21_272 Depth=3
	s_or_b64 exec, exec, s[56:57]
	s_and_saveexec_b64 s[56:57], s[58:59]
	s_xor_b64 s[56:57], exec, s[56:57]
	s_cbranch_execz .LBB21_535
; %bb.534:                              ;   in Loop: Header=BB21_272 Depth=3
	ds_write_b32 v0, v107
	s_trap 2
.LBB21_535:                             ;   in Loop: Header=BB21_272 Depth=3
	s_or_b64 exec, exec, s[46:47]
	;;#ASMSTART
	s_wakeup
	;;#ASMEND
.LBB21_536:                             ;   in Loop: Header=BB21_272 Depth=3
	s_or_b64 exec, exec, s[44:45]
.LBB21_537:                             ;   in Loop: Header=BB21_272 Depth=3
	s_andn2_saveexec_b64 s[26:27], s[26:27]
	s_cbranch_execz .LBB21_539
; %bb.538:                              ;   in Loop: Header=BB21_272 Depth=3
	;;#ASMSTART
	s_waitcnt lgkmcnt(0) vmcnt(0)
	;;#ASMEND
	s_barrier
.LBB21_539:                             ;   in Loop: Header=BB21_272 Depth=3
	s_or_b64 exec, exec, s[26:27]
	v_and_b32_e32 v2, 16, v104
.LBB21_540:                             ;   in Loop: Header=BB21_272 Depth=3
	s_or_b64 exec, exec, s[24:25]
	v_cmp_ne_u32_e32 vcc, 0, v2
	s_xor_b64 s[24:25], s[6:7], -1
	s_and_b64 s[26:27], vcc, s[24:25]
	s_and_saveexec_b64 s[24:25], s[26:27]
	s_cbranch_execz .LBB21_542
; %bb.541:                              ;   in Loop: Header=BB21_272 Depth=3
	flat_store_dword v[68:69], v107 sc0 sc1
.LBB21_542:                             ;   in Loop: Header=BB21_272 Depth=3
	s_or_b64 exec, exec, s[24:25]
	v_and_b32_e32 v2, 48, v104
	v_cmp_ne_u32_e32 vcc, 0, v2
	s_and_saveexec_b64 s[24:25], vcc
	s_cbranch_execz .LBB21_271
; %bb.543:                              ;   in Loop: Header=BB21_272 Depth=3
	v_lshl_add_u64 v[58:59], v[58:59], 0, 2
	flat_store_dwordx2 v[64:65], v[58:59] sc0 sc1
	s_branch .LBB21_271
.LBB21_544:                             ;   in Loop: Header=BB21_269 Depth=2
	s_or_b64 exec, exec, s[40:41]
.LBB21_545:                             ;   in Loop: Header=BB21_269 Depth=2
	s_or_b64 exec, exec, s[28:29]
	v_cmp_gt_i32_e32 vcc, 2, v2
	s_and_saveexec_b64 s[26:27], vcc
	s_cbranch_execz .LBB21_268
; %bb.546:                              ;   in Loop: Header=BB21_269 Depth=2
	v_cmp_eq_u32_e64 s[40:41], 0, v2
	s_mov_b64 s[28:29], 0
	s_branch .LBB21_548
.LBB21_547:                             ;   in Loop: Header=BB21_548 Depth=3
	s_or_b64 exec, exec, s[24:25]
	v_add_u32_e32 v26, v24, v26
	s_mov_b64 s[40:41], 0
	s_andn2_b64 exec, exec, s[28:29]
	s_cbranch_execz .LBB21_267
.LBB21_548:                             ;   Parent Loop BB21_47 Depth=1
                                        ;     Parent Loop BB21_269 Depth=2
                                        ; =>    This Loop Header: Depth=3
                                        ;         Child Loop BB21_554 Depth 4
                                        ;         Child Loop BB21_582 Depth 4
	;; [unrolled: 1-line block ×3, first 2 shown]
	v_sub_u32_e32 v2, v72, v26
	v_min_i32_e32 v24, v24, v2
	v_and_b32_e32 v2, 12, v104
	v_cmp_ne_u32_e32 vcc, 0, v2
	s_and_saveexec_b64 s[42:43], vcc
	s_cbranch_execz .LBB21_574
; %bb.549:                              ;   in Loop: Header=BB21_548 Depth=3
	v_and_b32_e32 v2, 8, v104
	s_waitcnt vmcnt(0) lgkmcnt(0)
	v_lshl_add_u64 v[10:11], v[80:81], 0, v[2:3]
	v_lshl_add_u64 v[8:9], v[58:59], 0, 2
	v_cmp_lt_u64_e32 vcc, v[10:11], v[8:9]
	s_and_saveexec_b64 s[44:45], vcc
	s_cbranch_execz .LBB21_561
; %bb.550:                              ;   in Loop: Header=BB21_548 Depth=3
	v_and_b32_e32 v10, 64, v104
	s_mov_b32 s74, 0
	v_cmp_eq_u32_e32 vcc, 0, v10
	s_mov_b64 s[46:47], 0
                                        ; implicit-def: $sgpr56_sgpr57
                                        ; implicit-def: $sgpr58_sgpr59
                                        ; implicit-def: $sgpr60_sgpr61
	s_branch .LBB21_554
.LBB21_551:                             ;   in Loop: Header=BB21_554 Depth=4
	s_waitcnt vmcnt(0) lgkmcnt(0)
	v_lshl_add_u64 v[12:13], v[80:81], 0, v[2:3]
	v_cmp_ge_u64_e64 s[24:25], v[12:13], v[8:9]
	s_or_b64 s[50:51], s[50:51], exec
	s_orn2_b64 s[48:49], s[24:25], exec
.LBB21_552:                             ;   in Loop: Header=BB21_554 Depth=4
	s_or_b64 exec, exec, s[54:55]
	s_andn2_b64 s[24:25], s[60:61], exec
	s_and_b64 s[60:61], s[50:51], exec
	s_or_b64 s[60:61], s[24:25], s[60:61]
	s_andn2_b64 s[24:25], s[58:59], exec
	s_and_b64 s[58:59], s[48:49], exec
	s_or_b64 s[58:59], s[24:25], s[58:59]
.LBB21_553:                             ;   in Loop: Header=BB21_554 Depth=4
	s_or_b64 exec, exec, s[38:39]
	s_and_b64 s[24:25], exec, s[58:59]
	s_or_b64 s[46:47], s[24:25], s[46:47]
	s_andn2_b64 s[24:25], s[56:57], exec
	s_and_b64 s[56:57], s[60:61], exec
	s_or_b64 s[56:57], s[24:25], s[56:57]
	s_andn2_b64 exec, exec, s[46:47]
	s_cbranch_execz .LBB21_558
.LBB21_554:                             ;   Parent Loop BB21_47 Depth=1
                                        ;     Parent Loop BB21_269 Depth=2
                                        ;       Parent Loop BB21_548 Depth=3
                                        ; =>      This Inner Loop Header: Depth=4
	s_sleep 1
	s_waitcnt vmcnt(0) lgkmcnt(0)
	flat_load_dwordx2 v[80:81], v[64:65] sc0 sc1
	s_or_b64 s[60:61], s[60:61], exec
	s_or_b64 s[58:59], s[58:59], exec
                                        ; implicit-def: $vgpr10
	s_and_saveexec_b64 s[38:39], vcc
	s_cbranch_execz .LBB21_553
; %bb.555:                              ;   in Loop: Header=BB21_554 Depth=4
	s_cmpk_lt_i32 s74, 0x270f
	s_cselect_b64 s[52:53], -1, 0
	s_cmpk_gt_i32 s74, 0x270e
	s_mov_b64 s[48:49], -1
	s_cbranch_scc0 .LBB21_557
; %bb.556:                              ;   in Loop: Header=BB21_554 Depth=4
	s_trap 2
	ds_read_b64 v[10:11], v0
	s_andn2_b64 s[52:53], s[52:53], exec
	s_mov_b32 s74, 0
	s_mov_b64 s[50:51], 0
	s_waitcnt vmcnt(0) lgkmcnt(0)
	flat_load_dword v10, v[10:11] sc0 sc1
	s_waitcnt vmcnt(0) lgkmcnt(0)
	buffer_inv sc0 sc1
	v_cmp_eq_u32_e64 s[24:25], 0, v10
	s_and_b64 s[24:25], s[24:25], exec
	s_or_b64 s[52:53], s[52:53], s[24:25]
	s_and_saveexec_b64 s[54:55], s[52:53]
	s_cbranch_execz .LBB21_552
	s_branch .LBB21_551
.LBB21_557:                             ;   in Loop: Header=BB21_554 Depth=4
	s_add_i32 s74, s74, 1
	s_mov_b64 s[50:51], -1
                                        ; implicit-def: $vgpr10
	s_and_saveexec_b64 s[54:55], s[52:53]
	s_cbranch_execz .LBB21_552
	s_branch .LBB21_551
.LBB21_558:                             ;   in Loop: Header=BB21_548 Depth=3
	s_or_b64 exec, exec, s[46:47]
	s_xor_b64 s[24:25], s[56:57], -1
	s_and_saveexec_b64 s[46:47], s[24:25]
	s_xor_b64 s[24:25], exec, s[46:47]
	s_cbranch_execz .LBB21_560
; %bb.559:                              ;   in Loop: Header=BB21_548 Depth=3
	v_or_b32_e32 v104, 64, v104
	s_waitcnt lgkmcnt(0)
	ds_write_b32 v0, v10
	s_trap 2
.LBB21_560:                             ;   in Loop: Header=BB21_548 Depth=3
	s_or_b64 exec, exec, s[24:25]
.LBB21_561:                             ;   in Loop: Header=BB21_548 Depth=3
	s_or_b64 exec, exec, s[44:45]
	v_and_b32_e32 v10, 0x108, v104
	v_cmp_ne_u32_e32 vcc, s69, v10
	;;#ASMSTART
	s_wakeup
	;;#ASMEND
                                        ; implicit-def: $vgpr10_vgpr11
	s_and_saveexec_b64 s[24:25], vcc
	s_xor_b64 s[24:25], exec, s[24:25]
; %bb.562:                              ;   in Loop: Header=BB21_548 Depth=3
	v_and_b32_e32 v10, 7, v58
	v_mov_b32_e32 v11, v3
                                        ; implicit-def: $vgpr58_vgpr59
; %bb.563:                              ;   in Loop: Header=BB21_548 Depth=3
	s_andn2_saveexec_b64 s[24:25], s[24:25]
	s_cbranch_execz .LBB21_565
; %bb.564:                              ;   in Loop: Header=BB21_548 Depth=3
	v_and_b32_e32 v10, 7, v58
	v_ashrrev_i32_e32 v25, 31, v24
	v_mov_b32_e32 v11, v3
	v_mad_u64_u32 v[12:13], s[44:45], v10, 24, v[6:7]
	v_lshlrev_b64 v[14:15], 1, v[24:25]
	flat_store_dwordx2 v[12:13], v[14:15] offset:8
.LBB21_565:                             ;   in Loop: Header=BB21_548 Depth=3
	s_or_b64 exec, exec, s[24:25]
	v_and_b32_e32 v12, 0x100, v104
	v_cmp_ne_u32_e32 vcc, 0, v12
	s_mov_b64 s[24:25], -1
                                        ; implicit-def: $vgpr12_vgpr13
	s_and_saveexec_b64 s[44:45], vcc
	s_cbranch_execz .LBB21_569
; %bb.566:                              ;   in Loop: Header=BB21_548 Depth=3
	v_mad_u64_u32 v[14:15], s[24:25], v10, 24, v[6:7]
	v_mov_b32_e32 v12, v15
	v_mad_u64_u32 v[12:13], s[24:25], v11, 24, v[12:13]
	v_mov_b32_e32 v15, v12
	flat_load_dword v12, v[14:15]
	s_waitcnt vmcnt(0) lgkmcnt(0)
	v_cmp_ne_u32_e32 vcc, 1, v12
	v_cmp_eq_u32_e64 s[24:25], 1, v12
                                        ; implicit-def: $vgpr12_vgpr13
	s_and_saveexec_b64 s[46:47], s[24:25]
	s_cbranch_execz .LBB21_568
; %bb.567:                              ;   in Loop: Header=BB21_548 Depth=3
	flat_load_dword v12, v[14:15] offset:4 sc0 sc1
	s_waitcnt vmcnt(0) lgkmcnt(0)
	v_ashrrev_i32_e32 v13, 31, v12
	v_lshrrev_b64 v[12:13], 1, v[12:13]
.LBB21_568:                             ;   in Loop: Header=BB21_548 Depth=3
	s_or_b64 exec, exec, s[46:47]
	s_orn2_b64 s[24:25], vcc, exec
.LBB21_569:                             ;   in Loop: Header=BB21_548 Depth=3
	s_or_b64 exec, exec, s[44:45]
	s_and_saveexec_b64 s[44:45], s[24:25]
; %bb.570:                              ;   in Loop: Header=BB21_548 Depth=3
	v_mul_lo_u32 v11, v11, v30
	v_mul_lo_u32 v14, v10, v83
	v_mad_u64_u32 v[12:13], s[24:25], v10, v30, 0
	v_add3_u32 v13, v13, v14, v11
; %bb.571:                              ;   in Loop: Header=BB21_548 Depth=3
	s_or_b64 exec, exec, s[44:45]
	v_cmp_eq_u32_e32 vcc, 0, v2
	v_lshl_add_u64 v[10:11], v[12:13], 1, v[66:67]
	s_nop 0
	v_cndmask_b32_e32 v2, v108, v109, vcc
	v_add_u32_e32 v2, v0, v2
	ds_write_b64 v2, v[10:11] offset:584
	v_and_b32_e32 v2, 0x2000, v104
	v_cmp_ne_u32_e32 vcc, 0, v2
	s_and_saveexec_b64 s[24:25], vcc
	s_cbranch_execz .LBB21_573
; %bb.572:                              ;   in Loop: Header=BB21_548 Depth=3
	ds_read_b64 v[10:11], v0 offset:872
	s_waitcnt lgkmcnt(0)
	v_lshl_add_u64 v[10:11], v[10:11], 0, 1
	ds_write_b64 v0, v[10:11] offset:872
.LBB21_573:                             ;   in Loop: Header=BB21_548 Depth=3
	s_or_b64 exec, exec, s[24:25]
	v_mov_b64_e32 v[58:59], v[8:9]
.LBB21_574:                             ;   in Loop: Header=BB21_548 Depth=3
	s_or_b64 exec, exec, s[42:43]
	s_xor_b64 s[24:25], s[40:41], -1
	s_and_b64 s[24:25], exec, s[24:25]
	s_or_b64 s[28:29], s[24:25], s[28:29]
	s_and_saveexec_b64 s[24:25], s[4:5]
	s_cbranch_execz .LBB21_593
; %bb.575:                              ;   in Loop: Header=BB21_548 Depth=3
	s_and_saveexec_b64 s[40:41], s[76:77]
	s_xor_b64 s[40:41], exec, s[40:41]
	s_cbranch_execz .LBB21_590
; %bb.576:                              ;   in Loop: Header=BB21_548 Depth=3
	s_and_saveexec_b64 s[42:43], s[12:13]
	s_cbranch_execz .LBB21_589
; %bb.577:                              ;   in Loop: Header=BB21_548 Depth=3
	s_mov_b64 s[46:47], exec
	v_mbcnt_lo_u32_b32 v2, s46, 0
	v_mbcnt_hi_u32_b32 v2, s47, v2
	v_cmp_eq_u32_e32 vcc, 0, v2
	s_waitcnt lgkmcnt(0)
	s_and_saveexec_b64 s[44:45], vcc
	s_cbranch_execz .LBB21_579
; %bb.578:                              ;   in Loop: Header=BB21_548 Depth=3
	s_bcnt1_i32_b64 s46, s[46:47]
	v_mov_b32_e32 v2, s46
	ds_add_u64 v0, v[2:3]
	s_trap 2
.LBB21_579:                             ;   in Loop: Header=BB21_548 Depth=3
	s_or_b64 exec, exec, s[44:45]
	s_trap 2
	ds_read_b64 v[8:9], v0
	s_waitcnt lgkmcnt(0)
	v_lshl_add_u64 v[70:71], v[70:71], 0, v[84:85]
	v_cmp_lt_u64_e32 vcc, v[8:9], v[70:71]
	s_and_saveexec_b64 s[44:45], vcc
	s_cbranch_execz .LBB21_588
; %bb.580:                              ;   in Loop: Header=BB21_548 Depth=3
	s_mov_b32 s74, 0
	s_mov_b64 s[46:47], 0
                                        ; implicit-def: $sgpr56_sgpr57
                                        ; implicit-def: $sgpr58_sgpr59
	s_branch .LBB21_582
.LBB21_581:                             ;   in Loop: Header=BB21_582 Depth=4
	s_or_b64 exec, exec, s[38:39]
	s_and_b64 s[60:61], exec, vcc
	s_or_b64 s[46:47], s[60:61], s[46:47]
	s_andn2_b64 s[56:57], s[56:57], exec
	s_and_b64 s[60:61], s[58:59], exec
	s_or_b64 s[56:57], s[56:57], s[60:61]
	s_andn2_b64 exec, exec, s[46:47]
	s_cbranch_execz .LBB21_586
.LBB21_582:                             ;   Parent Loop BB21_47 Depth=1
                                        ;     Parent Loop BB21_269 Depth=2
                                        ;       Parent Loop BB21_548 Depth=3
                                        ; =>      This Inner Loop Header: Depth=4
	s_add_i32 s74, s74, 1
	s_cmpk_lg_i32 s74, 0x2710
	s_cselect_b64 s[60:61], -1, 0
	s_and_b64 vcc, exec, s[60:61]
	s_cbranch_vccz .LBB21_584
; %bb.583:                              ;   in Loop: Header=BB21_582 Depth=4
	s_mov_b64 vcc, -1
	s_or_b64 s[58:59], s[58:59], exec
	s_and_saveexec_b64 s[38:39], s[60:61]
	s_cbranch_execz .LBB21_581
	s_branch .LBB21_585
.LBB21_584:                             ;   in Loop: Header=BB21_582 Depth=4
	s_trap 2
	ds_read_b64 v[8:9], v0
	s_andn2_b64 s[60:61], s[60:61], exec
	s_mov_b32 s74, 0
	s_waitcnt vmcnt(0) lgkmcnt(0)
	flat_load_dword v2, v[8:9] sc0 sc1
	s_waitcnt vmcnt(0) lgkmcnt(0)
	buffer_inv sc0 sc1
	v_cmp_eq_u32_e32 vcc, 0, v2
	s_and_b64 vcc, vcc, exec
	s_or_b64 s[60:61], s[60:61], vcc
	s_mov_b64 vcc, -1
	s_or_b64 s[58:59], s[58:59], exec
	s_and_saveexec_b64 s[38:39], s[60:61]
	s_cbranch_execz .LBB21_581
.LBB21_585:                             ;   in Loop: Header=BB21_582 Depth=4
	s_sleep 1
	s_trap 2
	ds_read_b64 v[8:9], v0
	s_waitcnt lgkmcnt(0)
	s_andn2_b64 s[58:59], s[58:59], exec
	v_cmp_ge_u64_e32 vcc, v[8:9], v[70:71]
	s_orn2_b64 vcc, vcc, exec
	s_branch .LBB21_581
.LBB21_586:                             ;   in Loop: Header=BB21_548 Depth=3
	s_or_b64 exec, exec, s[46:47]
	s_and_saveexec_b64 s[46:47], s[56:57]
	s_xor_b64 s[46:47], exec, s[46:47]
	s_cbranch_execz .LBB21_588
; %bb.587:                              ;   in Loop: Header=BB21_548 Depth=3
	ds_write_b32 v0, v107
	s_trap 2
.LBB21_588:                             ;   in Loop: Header=BB21_548 Depth=3
	s_or_b64 exec, exec, s[44:45]
	;;#ASMSTART
	s_wakeup
	;;#ASMEND
.LBB21_589:                             ;   in Loop: Header=BB21_548 Depth=3
	s_or_b64 exec, exec, s[42:43]
.LBB21_590:                             ;   in Loop: Header=BB21_548 Depth=3
	s_andn2_saveexec_b64 s[40:41], s[40:41]
	s_cbranch_execz .LBB21_592
; %bb.591:                              ;   in Loop: Header=BB21_548 Depth=3
	s_waitcnt lgkmcnt(0)
	s_barrier
.LBB21_592:                             ;   in Loop: Header=BB21_548 Depth=3
	s_or_b64 exec, exec, s[40:41]
.LBB21_593:                             ;   in Loop: Header=BB21_548 Depth=3
	s_or_b64 exec, exec, s[24:25]
                                        ; implicit-def: $vgpr2
	s_and_saveexec_b64 s[24:25], s[30:31]
	s_xor_b64 s[24:25], exec, s[24:25]
	s_cbranch_execz .LBB21_605
; %bb.594:                              ;   in Loop: Header=BB21_548 Depth=3
	s_and_saveexec_b64 s[40:41], s[76:77]
	s_xor_b64 s[40:41], exec, s[40:41]
	s_cbranch_execz .LBB21_610
; %bb.595:                              ;   in Loop: Header=BB21_548 Depth=3
	s_and_saveexec_b64 s[42:43], s[12:13]
	s_cbranch_execz .LBB21_609
; %bb.596:                              ;   in Loop: Header=BB21_548 Depth=3
	s_mov_b64 s[46:47], exec
	v_mbcnt_lo_u32_b32 v2, s46, 0
	v_mbcnt_hi_u32_b32 v2, s47, v2
	v_cmp_eq_u32_e32 vcc, 0, v2
	;;#ASMSTART
	s_waitcnt lgkmcnt(0) vmcnt(0)
	;;#ASMEND
	s_and_saveexec_b64 s[44:45], vcc
	s_cbranch_execz .LBB21_598
; %bb.597:                              ;   in Loop: Header=BB21_548 Depth=3
	s_bcnt1_i32_b64 s46, s[46:47]
	v_mov_b32_e32 v2, s46
	s_waitcnt lgkmcnt(0)
	ds_add_u64 v0, v[2:3]
	s_trap 2
.LBB21_598:                             ;   in Loop: Header=BB21_548 Depth=3
	s_or_b64 exec, exec, s[44:45]
	s_trap 2
	ds_read_b64 v[8:9], v0
	s_waitcnt lgkmcnt(0)
	v_lshl_add_u64 v[70:71], v[70:71], 0, v[84:85]
	v_cmp_lt_u64_e32 vcc, v[8:9], v[70:71]
	s_and_saveexec_b64 s[44:45], vcc
	s_cbranch_execz .LBB21_608
; %bb.599:                              ;   in Loop: Header=BB21_548 Depth=3
	s_mov_b32 s74, 0
	s_mov_b64 s[46:47], 0
                                        ; implicit-def: $sgpr56_sgpr57
                                        ; implicit-def: $sgpr58_sgpr59
	s_branch .LBB21_601
.LBB21_600:                             ;   in Loop: Header=BB21_601 Depth=4
	s_or_b64 exec, exec, s[38:39]
	s_and_b64 s[60:61], exec, vcc
	s_or_b64 s[46:47], s[60:61], s[46:47]
	s_andn2_b64 s[56:57], s[56:57], exec
	s_and_b64 s[60:61], s[58:59], exec
	s_or_b64 s[56:57], s[56:57], s[60:61]
	s_andn2_b64 exec, exec, s[46:47]
	s_cbranch_execz .LBB21_606
.LBB21_601:                             ;   Parent Loop BB21_47 Depth=1
                                        ;     Parent Loop BB21_269 Depth=2
                                        ;       Parent Loop BB21_548 Depth=3
                                        ; =>      This Inner Loop Header: Depth=4
	s_add_i32 s74, s74, 1
	s_cmpk_lg_i32 s74, 0x2710
	s_cselect_b64 s[60:61], -1, 0
	s_and_b64 vcc, exec, s[60:61]
	s_cbranch_vccz .LBB21_603
; %bb.602:                              ;   in Loop: Header=BB21_601 Depth=4
	s_mov_b64 vcc, -1
	s_or_b64 s[58:59], s[58:59], exec
	s_and_saveexec_b64 s[38:39], s[60:61]
	s_cbranch_execz .LBB21_600
	s_branch .LBB21_604
.LBB21_603:                             ;   in Loop: Header=BB21_601 Depth=4
	s_trap 2
	ds_read_b64 v[8:9], v0
	s_andn2_b64 s[60:61], s[60:61], exec
	s_mov_b32 s74, 0
	s_waitcnt vmcnt(0) lgkmcnt(0)
	flat_load_dword v2, v[8:9] sc0 sc1
	s_waitcnt vmcnt(0) lgkmcnt(0)
	buffer_inv sc0 sc1
	v_cmp_eq_u32_e32 vcc, 0, v2
	s_and_b64 vcc, vcc, exec
	s_or_b64 s[60:61], s[60:61], vcc
	s_mov_b64 vcc, -1
	s_or_b64 s[58:59], s[58:59], exec
	s_and_saveexec_b64 s[38:39], s[60:61]
	s_cbranch_execz .LBB21_600
.LBB21_604:                             ;   in Loop: Header=BB21_601 Depth=4
	s_sleep 1
	s_trap 2
	ds_read_b64 v[8:9], v0
	s_waitcnt lgkmcnt(0)
	s_andn2_b64 s[58:59], s[58:59], exec
	v_cmp_ge_u64_e32 vcc, v[8:9], v[70:71]
	s_orn2_b64 vcc, vcc, exec
	s_branch .LBB21_600
.LBB21_605:                             ;   in Loop: Header=BB21_548 Depth=3
	s_andn2_saveexec_b64 s[24:25], s[24:25]
	s_cbranch_execnz .LBB21_613
	s_branch .LBB21_616
.LBB21_606:                             ;   in Loop: Header=BB21_548 Depth=3
	s_or_b64 exec, exec, s[46:47]
	s_and_saveexec_b64 s[46:47], s[56:57]
	s_xor_b64 s[46:47], exec, s[46:47]
	s_cbranch_execz .LBB21_608
; %bb.607:                              ;   in Loop: Header=BB21_548 Depth=3
	ds_write_b32 v0, v107
	s_trap 2
.LBB21_608:                             ;   in Loop: Header=BB21_548 Depth=3
	s_or_b64 exec, exec, s[44:45]
	;;#ASMSTART
	s_wakeup
	;;#ASMEND
.LBB21_609:                             ;   in Loop: Header=BB21_548 Depth=3
	s_or_b64 exec, exec, s[42:43]
.LBB21_610:                             ;   in Loop: Header=BB21_548 Depth=3
	s_andn2_saveexec_b64 s[40:41], s[40:41]
	s_cbranch_execz .LBB21_612
; %bb.611:                              ;   in Loop: Header=BB21_548 Depth=3
	;;#ASMSTART
	s_waitcnt lgkmcnt(0) vmcnt(0)
	;;#ASMEND
	s_barrier
.LBB21_612:                             ;   in Loop: Header=BB21_548 Depth=3
	s_or_b64 exec, exec, s[40:41]
	v_and_b32_e32 v2, 16, v104
	s_andn2_saveexec_b64 s[24:25], s[24:25]
	s_cbranch_execz .LBB21_616
.LBB21_613:                             ;   in Loop: Header=BB21_548 Depth=3
	s_trap 2
	ds_read_b32 v8, v0
	v_cmp_lt_i32_e32 vcc, 0, v24
	v_and_b32_e32 v9, 16, v104
	v_and_b32_e32 v2, 16, v104
	s_waitcnt lgkmcnt(0)
	v_readfirstlane_b32 s40, v8
	s_cmp_eq_u32 s40, 0
	s_cselect_b64 s[40:41], -1, 0
	s_and_b64 s[40:41], vcc, s[40:41]
	v_cmp_ne_u32_e32 vcc, 0, v9
	s_and_b64 s[42:43], vcc, s[40:41]
	s_and_saveexec_b64 s[40:41], s[42:43]
	s_cbranch_execz .LBB21_615
; %bb.614:                              ;   in Loop: Header=BB21_548 Depth=3
	v_mov_b32_e32 v2, 1
	buffer_wbl2 sc1
	s_waitcnt vmcnt(0)
	buffer_inv sc1
.LBB21_615:                             ;   in Loop: Header=BB21_548 Depth=3
	s_or_b64 exec, exec, s[40:41]
.LBB21_616:                             ;   in Loop: Header=BB21_548 Depth=3
	s_or_b64 exec, exec, s[24:25]
	v_cmp_ne_u32_e32 vcc, 0, v2
	s_xor_b64 s[24:25], s[6:7], -1
	s_and_b64 s[40:41], vcc, s[24:25]
	s_and_saveexec_b64 s[24:25], s[40:41]
	s_cbranch_execz .LBB21_618
; %bb.617:                              ;   in Loop: Header=BB21_548 Depth=3
	flat_store_dword v[68:69], v107 sc0 sc1
.LBB21_618:                             ;   in Loop: Header=BB21_548 Depth=3
	s_or_b64 exec, exec, s[24:25]
	v_and_b32_e32 v2, 48, v104
	v_cmp_ne_u32_e32 vcc, 0, v2
	s_and_saveexec_b64 s[24:25], vcc
	s_cbranch_execz .LBB21_547
; %bb.619:                              ;   in Loop: Header=BB21_548 Depth=3
	v_lshl_add_u64 v[58:59], v[58:59], 0, 2
	flat_store_dwordx2 v[64:65], v[58:59] sc0 sc1
	s_branch .LBB21_547
.LBB21_620:                             ;   in Loop: Header=BB21_47 Depth=1
	v_mul_lo_u32 v2, v57, s66
	v_mul_lo_u32 v10, v56, s67
	v_mad_u64_u32 v[8:9], s[24:25], v56, s66, 0
	v_add3_u32 v9, v9, v10, v2
	v_sub_co_u32_e32 v10, vcc, v60, v8
	v_mov_b32_e32 v2, 0
	s_nop 0
	v_subb_co_u32_e32 v11, vcc, v61, v9, vcc
	v_cmp_lt_i64_e32 vcc, v[56:57], v[10:11]
	v_mov_b32_e32 v38, 0
	s_nop 0
	v_cndmask_b32_e32 v10, v10, v56, vcc
	v_max_i32_e32 v120, 0, v10
	v_add_u32_e32 v11, 31, v120
	v_ashrrev_i32_e32 v12, 31, v11
	v_lshrrev_b32_e32 v12, 27, v12
	v_add_u32_e32 v11, v11, v12
	v_ashrrev_i32_e32 v11, 5, v11
	v_lshlrev_b32_e32 v11, 4, v11
	v_cmp_lt_i32_e32 vcc, 0, v10
	v_max_i32_e32 v36, s84, v11
	s_and_b64 s[24:25], s[34:35], vcc
	s_and_saveexec_b64 s[38:39], s[24:25]
	s_cbranch_execz .LBB21_1252
; %bb.621:                              ;   in Loop: Header=BB21_47 Depth=1
	v_lshl_add_u64 v[8:9], v[8:9], 0, v[62:63]
	s_mov_b32 s97, 1
	s_mov_b64 s[50:51], -1
	v_mov_b32_e32 v38, 0
	s_mov_b64 s[48:49], 0
	v_lshlrev_b64 v[48:49], 1, v[8:9]
	s_branch .LBB21_623
.LBB21_622:                             ;   in Loop: Header=BB21_623 Depth=2
	s_or_b64 exec, exec, s[24:25]
	v_add_u32_e32 v38, v36, v38
	v_cmp_ge_i32_e32 vcc, v38, v120
	s_xor_b64 s[24:25], s[50:51], -1
	s_or_b64 s[24:25], s[24:25], vcc
	s_and_b64 s[24:25], exec, s[24:25]
	s_or_b64 s[48:49], s[24:25], s[48:49]
	s_mov_b64 s[50:51], 0
	v_mov_b32_e32 v2, s97
	s_mov_b32 s97, 2
	s_andn2_b64 exec, exec, s[48:49]
	s_cbranch_execz .LBB21_1327
.LBB21_623:                             ;   Parent Loop BB21_47 Depth=1
                                        ; =>  This Loop Header: Depth=2
                                        ;       Child Loop BB21_631 Depth 3
                                        ;       Child Loop BB21_659 Depth 3
	;; [unrolled: 1-line block ×9, first 2 shown]
                                        ;         Child Loop BB21_873 Depth 4
                                        ;       Child Loop BB21_881 Depth 3
                                        ;       Child Loop BB21_949 Depth 3
                                        ;         Child Loop BB21_954 Depth 4
                                        ;       Child Loop BB21_1218 Depth 3
                                        ;       Child Loop BB21_1237 Depth 3
	s_and_saveexec_b64 s[24:25], s[0:1]
	s_cbranch_execz .LBB21_625
; %bb.624:                              ;   in Loop: Header=BB21_623 Depth=2
	s_trap 2
	ds_read2_b64 v[8:11], v0 offset1:1
	ds_read_b64 v[12:13], v0
	v_ashrrev_i32_e32 v39, 31, v38
	v_lshlrev_b64 v[14:15], 1, v[38:39]
	s_waitcnt lgkmcnt(0)
	v_lshl_add_u64 v[8:9], v[8:9], 0, v[48:49]
	v_lshl_add_u64 v[8:9], v[8:9], 0, v[14:15]
	ds_write_b64 v0, v[8:9]
	v_lshl_add_u64 v[8:9], v[10:11], 0, v[48:49]
	v_lshl_add_u64 v[8:9], v[8:9], 0, v[14:15]
	ds_write_b64 v0, v[8:9]
	v_lshl_add_u64 v[8:9], v[12:13], 0, v[48:49]
	v_lshl_add_u64 v[8:9], v[8:9], 0, v[14:15]
	v_cmp_ne_u64_e32 vcc, 0, v[12:13]
	s_nop 1
	v_cndmask_b32_e32 v9, 0, v9, vcc
	v_cndmask_b32_e32 v8, 0, v8, vcc
	ds_write_b64 v0, v[8:9]
.LBB21_625:                             ;   in Loop: Header=BB21_623 Depth=2
	s_or_b64 exec, exec, s[24:25]
	v_sub_u32_e32 v2, v120, v38
	v_min_i32_e32 v36, v36, v2
	v_and_b32_e32 v2, 12, v104
	v_cmp_ne_u32_e32 vcc, 0, v2
	s_and_saveexec_b64 s[26:27], vcc
	s_cbranch_execz .LBB21_651
; %bb.626:                              ;   in Loop: Header=BB21_623 Depth=2
	v_and_b32_e32 v2, 8, v104
	s_waitcnt vmcnt(0) lgkmcnt(0)
	v_lshl_add_u64 v[10:11], v[80:81], 0, v[2:3]
	v_lshl_add_u64 v[8:9], v[58:59], 0, 2
	v_cmp_lt_u64_e32 vcc, v[10:11], v[8:9]
	s_and_saveexec_b64 s[28:29], vcc
	s_cbranch_execz .LBB21_638
; %bb.627:                              ;   in Loop: Header=BB21_623 Depth=2
	v_and_b32_e32 v10, 64, v104
	s_mov_b32 s74, 0
	v_cmp_eq_u32_e32 vcc, 0, v10
	s_mov_b64 s[40:41], 0
                                        ; implicit-def: $sgpr42_sgpr43
                                        ; implicit-def: $sgpr44_sgpr45
                                        ; implicit-def: $sgpr46_sgpr47
	s_branch .LBB21_631
.LBB21_628:                             ;   in Loop: Header=BB21_631 Depth=3
	s_waitcnt vmcnt(0) lgkmcnt(0)
	v_lshl_add_u64 v[12:13], v[80:81], 0, v[2:3]
	v_cmp_ge_u64_e64 s[24:25], v[12:13], v[8:9]
	s_or_b64 s[60:61], s[60:61], exec
	s_orn2_b64 s[58:59], s[24:25], exec
.LBB21_629:                             ;   in Loop: Header=BB21_631 Depth=3
	s_or_b64 exec, exec, s[54:55]
	s_andn2_b64 s[24:25], s[46:47], exec
	s_and_b64 s[46:47], s[60:61], exec
	s_or_b64 s[46:47], s[24:25], s[46:47]
	s_andn2_b64 s[24:25], s[44:45], exec
	s_and_b64 s[44:45], s[58:59], exec
	s_or_b64 s[44:45], s[24:25], s[44:45]
.LBB21_630:                             ;   in Loop: Header=BB21_631 Depth=3
	s_or_b64 exec, exec, s[56:57]
	s_and_b64 s[24:25], exec, s[44:45]
	s_or_b64 s[40:41], s[24:25], s[40:41]
	s_andn2_b64 s[24:25], s[42:43], exec
	s_and_b64 s[42:43], s[46:47], exec
	s_or_b64 s[42:43], s[24:25], s[42:43]
	s_andn2_b64 exec, exec, s[40:41]
	s_cbranch_execz .LBB21_635
.LBB21_631:                             ;   Parent Loop BB21_47 Depth=1
                                        ;     Parent Loop BB21_623 Depth=2
                                        ; =>    This Inner Loop Header: Depth=3
	s_sleep 1
	s_waitcnt vmcnt(0) lgkmcnt(0)
	flat_load_dwordx2 v[80:81], v[64:65] sc0 sc1
	s_or_b64 s[46:47], s[46:47], exec
	s_or_b64 s[44:45], s[44:45], exec
                                        ; implicit-def: $vgpr10
	s_and_saveexec_b64 s[56:57], vcc
	s_cbranch_execz .LBB21_630
; %bb.632:                              ;   in Loop: Header=BB21_631 Depth=3
	s_cmpk_lt_i32 s74, 0x270f
	s_cselect_b64 s[52:53], -1, 0
	s_cmpk_gt_i32 s74, 0x270e
	s_mov_b64 s[58:59], -1
	s_cbranch_scc0 .LBB21_634
; %bb.633:                              ;   in Loop: Header=BB21_631 Depth=3
	s_trap 2
	ds_read_b64 v[10:11], v0
	s_andn2_b64 s[52:53], s[52:53], exec
	s_mov_b32 s74, 0
	s_mov_b64 s[60:61], 0
	s_waitcnt vmcnt(0) lgkmcnt(0)
	flat_load_dword v10, v[10:11] sc0 sc1
	s_waitcnt vmcnt(0) lgkmcnt(0)
	buffer_inv sc0 sc1
	v_cmp_eq_u32_e64 s[24:25], 0, v10
	s_and_b64 s[24:25], s[24:25], exec
	s_or_b64 s[52:53], s[52:53], s[24:25]
	s_and_saveexec_b64 s[54:55], s[52:53]
	s_cbranch_execz .LBB21_629
	s_branch .LBB21_628
.LBB21_634:                             ;   in Loop: Header=BB21_631 Depth=3
	s_add_i32 s74, s74, 1
	s_mov_b64 s[60:61], -1
                                        ; implicit-def: $vgpr10
	s_and_saveexec_b64 s[54:55], s[52:53]
	s_cbranch_execz .LBB21_629
	s_branch .LBB21_628
.LBB21_635:                             ;   in Loop: Header=BB21_623 Depth=2
	s_or_b64 exec, exec, s[40:41]
	s_xor_b64 s[24:25], s[42:43], -1
	s_and_saveexec_b64 s[40:41], s[24:25]
	s_xor_b64 s[24:25], exec, s[40:41]
	s_cbranch_execz .LBB21_637
; %bb.636:                              ;   in Loop: Header=BB21_623 Depth=2
	v_or_b32_e32 v104, 64, v104
	s_waitcnt lgkmcnt(0)
	ds_write_b32 v0, v10
	s_trap 2
.LBB21_637:                             ;   in Loop: Header=BB21_623 Depth=2
	s_or_b64 exec, exec, s[24:25]
.LBB21_638:                             ;   in Loop: Header=BB21_623 Depth=2
	s_or_b64 exec, exec, s[28:29]
	v_and_b32_e32 v10, 0x108, v104
	v_cmp_ne_u32_e32 vcc, s69, v10
	;;#ASMSTART
	s_wakeup
	;;#ASMEND
                                        ; implicit-def: $vgpr10_vgpr11
	s_and_saveexec_b64 s[24:25], vcc
	s_xor_b64 s[24:25], exec, s[24:25]
; %bb.639:                              ;   in Loop: Header=BB21_623 Depth=2
	v_and_b32_e32 v10, 7, v58
	v_mov_b32_e32 v11, v3
                                        ; implicit-def: $vgpr58_vgpr59
; %bb.640:                              ;   in Loop: Header=BB21_623 Depth=2
	s_andn2_saveexec_b64 s[24:25], s[24:25]
	s_cbranch_execz .LBB21_642
; %bb.641:                              ;   in Loop: Header=BB21_623 Depth=2
	v_and_b32_e32 v10, 7, v58
	v_ashrrev_i32_e32 v37, 31, v36
	v_mov_b32_e32 v11, v3
	v_mad_u64_u32 v[12:13], s[28:29], v10, 24, v[6:7]
	v_lshlrev_b64 v[14:15], 1, v[36:37]
	flat_store_dwordx2 v[12:13], v[14:15] offset:8
.LBB21_642:                             ;   in Loop: Header=BB21_623 Depth=2
	s_or_b64 exec, exec, s[24:25]
	v_and_b32_e32 v12, 0x100, v104
	v_cmp_ne_u32_e32 vcc, 0, v12
	s_mov_b64 s[24:25], -1
                                        ; implicit-def: $vgpr12_vgpr13
	s_and_saveexec_b64 s[28:29], vcc
	s_cbranch_execz .LBB21_646
; %bb.643:                              ;   in Loop: Header=BB21_623 Depth=2
	v_mad_u64_u32 v[14:15], s[24:25], v10, 24, v[6:7]
	v_mov_b32_e32 v12, v15
	v_mad_u64_u32 v[12:13], s[24:25], v11, 24, v[12:13]
	v_mov_b32_e32 v15, v12
	flat_load_dword v12, v[14:15]
	s_waitcnt vmcnt(0) lgkmcnt(0)
	v_cmp_ne_u32_e32 vcc, 1, v12
	v_cmp_eq_u32_e64 s[24:25], 1, v12
                                        ; implicit-def: $vgpr12_vgpr13
	s_and_saveexec_b64 s[40:41], s[24:25]
	s_cbranch_execz .LBB21_645
; %bb.644:                              ;   in Loop: Header=BB21_623 Depth=2
	flat_load_dword v12, v[14:15] offset:4 sc0 sc1
	s_waitcnt vmcnt(0) lgkmcnt(0)
	v_ashrrev_i32_e32 v13, 31, v12
	v_lshrrev_b64 v[12:13], 1, v[12:13]
.LBB21_645:                             ;   in Loop: Header=BB21_623 Depth=2
	s_or_b64 exec, exec, s[40:41]
	s_orn2_b64 s[24:25], vcc, exec
.LBB21_646:                             ;   in Loop: Header=BB21_623 Depth=2
	s_or_b64 exec, exec, s[28:29]
	s_and_saveexec_b64 s[28:29], s[24:25]
; %bb.647:                              ;   in Loop: Header=BB21_623 Depth=2
	v_mul_lo_u32 v11, v11, v30
	v_mul_lo_u32 v14, v10, v83
	v_mad_u64_u32 v[12:13], s[24:25], v10, v30, 0
	v_add3_u32 v13, v13, v14, v11
; %bb.648:                              ;   in Loop: Header=BB21_623 Depth=2
	s_or_b64 exec, exec, s[28:29]
	v_cmp_eq_u32_e32 vcc, 0, v2
	v_lshl_add_u64 v[10:11], v[12:13], 1, v[66:67]
	s_nop 0
	v_cndmask_b32_e32 v2, v110, v109, vcc
	v_add_u32_e32 v2, v0, v2
	ds_write_b64 v2, v[10:11] offset:584
	v_and_b32_e32 v2, 0x2000, v104
	v_cmp_ne_u32_e32 vcc, 0, v2
	s_and_saveexec_b64 s[24:25], vcc
	s_cbranch_execz .LBB21_650
; %bb.649:                              ;   in Loop: Header=BB21_623 Depth=2
	ds_read_b64 v[10:11], v0 offset:872
	s_waitcnt lgkmcnt(0)
	v_lshl_add_u64 v[10:11], v[10:11], 0, 1
	ds_write_b64 v0, v[10:11] offset:872
.LBB21_650:                             ;   in Loop: Header=BB21_623 Depth=2
	s_or_b64 exec, exec, s[24:25]
	v_mov_b64_e32 v[58:59], v[8:9]
.LBB21_651:                             ;   in Loop: Header=BB21_623 Depth=2
	s_or_b64 exec, exec, s[26:27]
	s_and_saveexec_b64 s[24:25], s[4:5]
	s_cbranch_execz .LBB21_670
; %bb.652:                              ;   in Loop: Header=BB21_623 Depth=2
	s_and_saveexec_b64 s[26:27], s[76:77]
	s_xor_b64 s[26:27], exec, s[26:27]
	s_cbranch_execz .LBB21_667
; %bb.653:                              ;   in Loop: Header=BB21_623 Depth=2
	s_and_saveexec_b64 s[28:29], s[12:13]
	s_cbranch_execz .LBB21_666
; %bb.654:                              ;   in Loop: Header=BB21_623 Depth=2
	s_mov_b64 s[42:43], exec
	v_mbcnt_lo_u32_b32 v2, s42, 0
	v_mbcnt_hi_u32_b32 v2, s43, v2
	v_cmp_eq_u32_e32 vcc, 0, v2
	s_waitcnt lgkmcnt(0)
	s_and_saveexec_b64 s[40:41], vcc
	s_cbranch_execz .LBB21_656
; %bb.655:                              ;   in Loop: Header=BB21_623 Depth=2
	s_bcnt1_i32_b64 s42, s[42:43]
	v_mov_b32_e32 v2, s42
	ds_add_u64 v0, v[2:3]
	s_trap 2
.LBB21_656:                             ;   in Loop: Header=BB21_623 Depth=2
	s_or_b64 exec, exec, s[40:41]
	s_trap 2
	ds_read_b64 v[8:9], v0
	s_waitcnt lgkmcnt(0)
	v_lshl_add_u64 v[70:71], v[70:71], 0, v[84:85]
	v_cmp_lt_u64_e32 vcc, v[8:9], v[70:71]
	s_and_saveexec_b64 s[40:41], vcc
	s_cbranch_execz .LBB21_665
; %bb.657:                              ;   in Loop: Header=BB21_623 Depth=2
	s_mov_b32 s74, 0
	s_mov_b64 s[42:43], 0
                                        ; implicit-def: $sgpr44_sgpr45
                                        ; implicit-def: $sgpr46_sgpr47
	s_branch .LBB21_659
.LBB21_658:                             ;   in Loop: Header=BB21_659 Depth=3
	s_or_b64 exec, exec, s[58:59]
	s_and_b64 s[56:57], exec, s[60:61]
	s_or_b64 s[42:43], s[56:57], s[42:43]
	s_andn2_b64 s[44:45], s[44:45], exec
	s_and_b64 s[56:57], s[46:47], exec
	s_or_b64 s[44:45], s[44:45], s[56:57]
	s_andn2_b64 exec, exec, s[42:43]
	s_cbranch_execz .LBB21_663
.LBB21_659:                             ;   Parent Loop BB21_47 Depth=1
                                        ;     Parent Loop BB21_623 Depth=2
                                        ; =>    This Inner Loop Header: Depth=3
	s_add_i32 s74, s74, 1
	s_cmpk_lg_i32 s74, 0x2710
	s_cselect_b64 s[56:57], -1, 0
	s_and_b64 vcc, exec, s[56:57]
	s_cbranch_vccz .LBB21_661
; %bb.660:                              ;   in Loop: Header=BB21_659 Depth=3
	s_mov_b64 s[60:61], -1
	s_or_b64 s[46:47], s[46:47], exec
	s_and_saveexec_b64 s[58:59], s[56:57]
	s_cbranch_execz .LBB21_658
	s_branch .LBB21_662
.LBB21_661:                             ;   in Loop: Header=BB21_659 Depth=3
	s_trap 2
	ds_read_b64 v[8:9], v0
	s_andn2_b64 s[56:57], s[56:57], exec
	s_mov_b32 s74, 0
	s_waitcnt vmcnt(0) lgkmcnt(0)
	flat_load_dword v2, v[8:9] sc0 sc1
	s_waitcnt vmcnt(0) lgkmcnt(0)
	buffer_inv sc0 sc1
	v_cmp_eq_u32_e32 vcc, 0, v2
	s_and_b64 s[58:59], vcc, exec
	s_or_b64 s[56:57], s[56:57], s[58:59]
	s_mov_b64 s[60:61], -1
	s_or_b64 s[46:47], s[46:47], exec
	s_and_saveexec_b64 s[58:59], s[56:57]
	s_cbranch_execz .LBB21_658
.LBB21_662:                             ;   in Loop: Header=BB21_659 Depth=3
	s_sleep 1
	s_trap 2
	ds_read_b64 v[8:9], v0
	s_waitcnt lgkmcnt(0)
	s_andn2_b64 s[46:47], s[46:47], exec
	v_cmp_ge_u64_e32 vcc, v[8:9], v[70:71]
	s_orn2_b64 s[60:61], vcc, exec
	s_branch .LBB21_658
.LBB21_663:                             ;   in Loop: Header=BB21_623 Depth=2
	s_or_b64 exec, exec, s[42:43]
	s_and_saveexec_b64 s[42:43], s[44:45]
	s_xor_b64 s[42:43], exec, s[42:43]
	s_cbranch_execz .LBB21_665
; %bb.664:                              ;   in Loop: Header=BB21_623 Depth=2
	ds_write_b32 v0, v107
	s_trap 2
.LBB21_665:                             ;   in Loop: Header=BB21_623 Depth=2
	s_or_b64 exec, exec, s[40:41]
	;;#ASMSTART
	s_wakeup
	;;#ASMEND
.LBB21_666:                             ;   in Loop: Header=BB21_623 Depth=2
	s_or_b64 exec, exec, s[28:29]
.LBB21_667:                             ;   in Loop: Header=BB21_623 Depth=2
	s_andn2_saveexec_b64 s[26:27], s[26:27]
	s_cbranch_execz .LBB21_669
; %bb.668:                              ;   in Loop: Header=BB21_623 Depth=2
	s_waitcnt lgkmcnt(0)
	s_barrier
.LBB21_669:                             ;   in Loop: Header=BB21_623 Depth=2
	s_or_b64 exec, exec, s[26:27]
.LBB21_670:                             ;   in Loop: Header=BB21_623 Depth=2
	s_or_b64 exec, exec, s[24:25]
	s_trap 2
	ds_read_b32 v8, v0
	v_and_b32_e32 v2, 0x4000, v104
	v_cmp_ne_u32_e32 vcc, 0, v2
	s_xor_b64 s[24:25], s[2:3], -1
	s_and_b64 s[26:27], s[24:25], vcc
	s_and_saveexec_b64 s[24:25], s[26:27]
	s_cbranch_execz .LBB21_689
; %bb.671:                              ;   in Loop: Header=BB21_623 Depth=2
	s_and_saveexec_b64 s[26:27], s[76:77]
	s_xor_b64 s[26:27], exec, s[26:27]
	s_cbranch_execz .LBB21_686
; %bb.672:                              ;   in Loop: Header=BB21_623 Depth=2
	s_and_saveexec_b64 s[28:29], s[12:13]
	s_cbranch_execz .LBB21_685
; %bb.673:                              ;   in Loop: Header=BB21_623 Depth=2
	s_mov_b64 s[42:43], exec
	v_mbcnt_lo_u32_b32 v2, s42, 0
	v_mbcnt_hi_u32_b32 v2, s43, v2
	v_cmp_eq_u32_e32 vcc, 0, v2
	s_waitcnt lgkmcnt(0)
	s_and_saveexec_b64 s[40:41], vcc
	s_cbranch_execz .LBB21_675
; %bb.674:                              ;   in Loop: Header=BB21_623 Depth=2
	s_bcnt1_i32_b64 s42, s[42:43]
	v_mov_b32_e32 v2, s42
	ds_add_u64 v0, v[2:3]
	s_trap 2
.LBB21_675:                             ;   in Loop: Header=BB21_623 Depth=2
	s_or_b64 exec, exec, s[40:41]
	s_trap 2
	ds_read_b64 v[10:11], v0
	s_waitcnt lgkmcnt(0)
	v_lshl_add_u64 v[70:71], v[70:71], 0, v[84:85]
	v_cmp_lt_u64_e32 vcc, v[10:11], v[70:71]
	s_and_saveexec_b64 s[40:41], vcc
	s_cbranch_execz .LBB21_684
; %bb.676:                              ;   in Loop: Header=BB21_623 Depth=2
	s_mov_b32 s74, 0
	s_mov_b64 s[42:43], 0
                                        ; implicit-def: $sgpr44_sgpr45
                                        ; implicit-def: $sgpr46_sgpr47
	s_branch .LBB21_678
.LBB21_677:                             ;   in Loop: Header=BB21_678 Depth=3
	s_or_b64 exec, exec, s[58:59]
	s_and_b64 s[56:57], exec, s[60:61]
	s_or_b64 s[42:43], s[56:57], s[42:43]
	s_andn2_b64 s[44:45], s[44:45], exec
	s_and_b64 s[56:57], s[46:47], exec
	s_or_b64 s[44:45], s[44:45], s[56:57]
	s_andn2_b64 exec, exec, s[42:43]
	s_cbranch_execz .LBB21_682
.LBB21_678:                             ;   Parent Loop BB21_47 Depth=1
                                        ;     Parent Loop BB21_623 Depth=2
                                        ; =>    This Inner Loop Header: Depth=3
	s_add_i32 s74, s74, 1
	s_cmpk_lg_i32 s74, 0x2710
	s_cselect_b64 s[56:57], -1, 0
	s_and_b64 vcc, exec, s[56:57]
	s_cbranch_vccz .LBB21_680
; %bb.679:                              ;   in Loop: Header=BB21_678 Depth=3
	s_mov_b64 s[60:61], -1
	s_or_b64 s[46:47], s[46:47], exec
	s_and_saveexec_b64 s[58:59], s[56:57]
	s_cbranch_execz .LBB21_677
	s_branch .LBB21_681
.LBB21_680:                             ;   in Loop: Header=BB21_678 Depth=3
	s_trap 2
	ds_read_b64 v[10:11], v0
	s_andn2_b64 s[56:57], s[56:57], exec
	s_mov_b32 s74, 0
	s_waitcnt vmcnt(0) lgkmcnt(0)
	flat_load_dword v2, v[10:11] sc0 sc1
	s_waitcnt vmcnt(0) lgkmcnt(0)
	buffer_inv sc0 sc1
	v_cmp_eq_u32_e32 vcc, 0, v2
	s_and_b64 s[58:59], vcc, exec
	s_or_b64 s[56:57], s[56:57], s[58:59]
	s_mov_b64 s[60:61], -1
	s_or_b64 s[46:47], s[46:47], exec
	s_and_saveexec_b64 s[58:59], s[56:57]
	s_cbranch_execz .LBB21_677
.LBB21_681:                             ;   in Loop: Header=BB21_678 Depth=3
	s_sleep 1
	s_trap 2
	ds_read_b64 v[10:11], v0
	s_waitcnt lgkmcnt(0)
	s_andn2_b64 s[46:47], s[46:47], exec
	v_cmp_ge_u64_e32 vcc, v[10:11], v[70:71]
	s_orn2_b64 s[60:61], vcc, exec
	s_branch .LBB21_677
.LBB21_682:                             ;   in Loop: Header=BB21_623 Depth=2
	s_or_b64 exec, exec, s[42:43]
	s_and_saveexec_b64 s[42:43], s[44:45]
	s_xor_b64 s[42:43], exec, s[42:43]
	s_cbranch_execz .LBB21_684
; %bb.683:                              ;   in Loop: Header=BB21_623 Depth=2
	ds_write_b32 v0, v107
	s_trap 2
.LBB21_684:                             ;   in Loop: Header=BB21_623 Depth=2
	s_or_b64 exec, exec, s[40:41]
	;;#ASMSTART
	s_wakeup
	;;#ASMEND
.LBB21_685:                             ;   in Loop: Header=BB21_623 Depth=2
	s_or_b64 exec, exec, s[28:29]
.LBB21_686:                             ;   in Loop: Header=BB21_623 Depth=2
	s_andn2_saveexec_b64 s[26:27], s[26:27]
	s_cbranch_execz .LBB21_688
; %bb.687:                              ;   in Loop: Header=BB21_623 Depth=2
	s_waitcnt lgkmcnt(0)
	s_barrier
.LBB21_688:                             ;   in Loop: Header=BB21_623 Depth=2
	s_or_b64 exec, exec, s[26:27]
.LBB21_689:                             ;   in Loop: Header=BB21_623 Depth=2
	s_or_b64 exec, exec, s[24:25]
	s_trap 2
	ds_read_b64 v[72:73], v0
	s_waitcnt lgkmcnt(0)
	v_cmp_eq_u64_e32 vcc, 0, v[72:73]
	s_cbranch_vccnz .LBB21_698
; %bb.690:                              ;   in Loop: Header=BB21_623 Depth=2
	s_trap 2
	ds_read_b64 v[50:51], v0
	s_waitcnt lgkmcnt(0)
	v_cmp_eq_u64_e32 vcc, 0, v[50:51]
	s_cbranch_vccnz .LBB21_698
; %bb.691:                              ;   in Loop: Header=BB21_623 Depth=2
	s_trap 2
	ds_read_b64 v[74:75], v0
	v_cmp_eq_u32_e32 vcc, 0, v8
	s_waitcnt lgkmcnt(0)
	v_readfirstlane_b32 s98, v74
	v_cndmask_b32_e32 v37, 0, v36, vcc
	v_cmp_ne_u64_e32 vcc, 0, v[74:75]
	s_cbranch_vccz .LBB21_703
; %bb.692:                              ;   in Loop: Header=BB21_623 Depth=2
	s_trap 2
	ds_read_b64 v[76:77], v0
	s_mov_b64 s[26:27], -1
	s_and_saveexec_b64 s[24:25], s[18:19]
	s_cbranch_execz .LBB21_694
; %bb.693:                              ;   in Loop: Header=BB21_623 Depth=2
	ds_read_b32 v2, v0 offset:720
	s_waitcnt lgkmcnt(0)
	v_and_b32_e32 v2, 15, v2
	v_cmp_eq_u32_e32 vcc, 0, v2
	s_orn2_b64 s[26:27], vcc, exec
.LBB21_694:                             ;   in Loop: Header=BB21_623 Depth=2
	s_or_b64 exec, exec, s[24:25]
	s_and_saveexec_b64 s[24:25], s[18:19]
	s_cbranch_execz .LBB21_696
; %bb.695:                              ;   in Loop: Header=BB21_623 Depth=2
	ds_read_b32 v2, v0 offset:784
	s_waitcnt lgkmcnt(0)
	v_and_b32_e32 v2, 15, v2
	v_cmp_eq_u32_e32 vcc, 0, v2
	s_and_b64 s[28:29], s[26:27], vcc
	s_andn2_b64 s[26:27], s[26:27], exec
	s_and_b64 s[28:29], s[28:29], exec
	s_or_b64 s[26:27], s[26:27], s[28:29]
.LBB21_696:                             ;   in Loop: Header=BB21_623 Depth=2
	s_or_b64 exec, exec, s[24:25]
	s_xor_b64 s[26:27], s[26:27], -1
	v_cndmask_b32_e64 v2, 0, 1, s[26:27]
	v_lshlrev_b32_e32 v39, 1, v37
	s_mov_b64 s[24:25], -1
	v_mov_b32_e32 v18, 0
	v_cmp_ne_u32_e32 vcc, 0, v2
	s_cbranch_vccz .LBB21_705
; %bb.697:                              ;   in Loop: Header=BB21_623 Depth=2
	v_mov_b32_e32 v19, v0
	s_and_saveexec_b64 s[40:41], s[24:25]
	s_cbranch_execnz .LBB21_878
	s_branch .LBB21_956
.LBB21_698:                             ;   in Loop: Header=BB21_623 Depth=2
	s_mov_b64 s[24:25], 0
	s_and_saveexec_b64 s[26:27], s[4:5]
	s_cbranch_execnz .LBB21_1211
.LBB21_699:                             ;   in Loop: Header=BB21_623 Depth=2
	s_or_b64 exec, exec, s[26:27]
                                        ; implicit-def: $vgpr2
	s_and_saveexec_b64 s[26:27], s[20:21]
	s_xor_b64 s[26:27], exec, s[26:27]
	s_cbranch_execz .LBB21_1229
.LBB21_700:                             ;   in Loop: Header=BB21_623 Depth=2
	v_and_b32_e32 v8, 16, v104
	v_cmp_ne_u32_e32 vcc, 0, v8
	v_and_b32_e32 v2, 16, v104
	s_and_b64 s[28:29], vcc, s[24:25]
	s_and_saveexec_b64 s[24:25], s[28:29]
	s_cbranch_execz .LBB21_702
; %bb.701:                              ;   in Loop: Header=BB21_623 Depth=2
	v_mov_b32_e32 v2, 1
	buffer_wbl2 sc1
	s_waitcnt vmcnt(0) lgkmcnt(0)
	buffer_inv sc1
.LBB21_702:                             ;   in Loop: Header=BB21_623 Depth=2
	s_or_b64 exec, exec, s[24:25]
	s_andn2_saveexec_b64 s[24:25], s[26:27]
	s_cbranch_execz .LBB21_1248
	s_branch .LBB21_1230
.LBB21_703:                             ;   in Loop: Header=BB21_623 Depth=2
	s_cbranch_execnz .LBB21_957
.LBB21_704:                             ;   in Loop: Header=BB21_623 Depth=2
	v_cmp_lt_i32_e64 s[24:25], 0, v37
	s_and_saveexec_b64 s[26:27], s[4:5]
	s_cbranch_execnz .LBB21_1211
	s_branch .LBB21_699
.LBB21_705:                             ;   in Loop: Header=BB21_623 Depth=2
	v_ashrrev_i32_e32 v2, 31, v39
	v_lshrrev_b32_e32 v2, 21, v2
	v_add_u32_e32 v2, v39, v2
	v_ashrrev_i32_e32 v121, 11, v2
	v_sub_u32_e32 v2, v121, v106
	v_cmp_lt_i32_e32 vcc, 0, v2
	s_and_saveexec_b64 s[26:27], vcc
	s_cbranch_execz .LBB21_837
; %bb.706:                              ;   in Loop: Header=BB21_623 Depth=2
	s_trap 2
	ds_read_b64 v[8:9], v0
	s_and_b32 s74, s98, 1
	s_cmp_eq_u64 s[74:75], 0
	s_waitcnt lgkmcnt(0)
	v_lshl_add_u64 v[78:79], v[76:77], 0, v[112:113]
	v_lshl_add_u64 v[88:89], v[50:51], 0, v[112:113]
	;; [unrolled: 1-line block ×5, first 2 shown]
	s_mov_b64 s[28:29], 0
	s_cselect_b64 vcc, -1, 0
	s_branch .LBB21_708
.LBB21_707:                             ;   in Loop: Header=BB21_708 Depth=3
	s_or_b64 exec, exec, s[40:41]
	v_or_b32_sdwa v9, v9, v16 dst_sel:DWORD dst_unused:UNUSED_PAD src0_sel:DWORD src1_sel:WORD_1
	v_lshrrev_b32_e32 v16, 16, v32
	v_or_b32_sdwa v10, v10, v17 dst_sel:DWORD dst_unused:UNUSED_PAD src0_sel:DWORD src1_sel:WORD_1
	v_and_or_b32 v17, v21, s80, v16
	v_lshrrev_b32_e32 v16, 16, v23
	v_or_b32_sdwa v11, v11, v18 dst_sel:DWORD dst_unused:UNUSED_PAD src0_sel:DWORD src1_sel:WORD_1
	v_and_or_b32 v16, v20, s80, v16
	v_lshrrev_b32_e32 v18, 16, v33
	v_lshrrev_b32_e32 v20, 16, v34
	v_sub_u32_e32 v2, v2, v84
	v_and_or_b32 v18, v22, s80, v18
	v_and_or_b32 v19, v19, s80, v20
	v_cmp_gt_i32_e64 s[24:25], 1, v2
	v_or_b32_sdwa v8, v8, v27 dst_sel:DWORD dst_unused:UNUSED_PAD src0_sel:DWORD src1_sel:WORD_1
	v_or_b32_sdwa v13, v13, v24 dst_sel:DWORD dst_unused:UNUSED_PAD src0_sel:DWORD src1_sel:WORD_1
	;; [unrolled: 1-line block ×5, first 2 shown]
	global_store_dwordx4 v[88:89], v[16:19], off offset:1024
	global_store_dwordx4 v[90:91], v[12:15], off
	global_store_dwordx4 v[90:91], v[8:11], off offset:1024
	v_lshl_add_u64 v[92:93], v[92:93], 0, v[114:115]
	v_lshl_add_u64 v[94:95], v[94:95], 0, v[114:115]
	;; [unrolled: 1-line block ×4, first 2 shown]
	s_or_b64 s[28:29], s[24:25], s[28:29]
	v_lshl_add_u64 v[78:79], v[78:79], 0, v[114:115]
	s_andn2_b64 exec, exec, s[28:29]
	s_cbranch_execz .LBB21_836
.LBB21_708:                             ;   Parent Loop BB21_47 Depth=1
                                        ;     Parent Loop BB21_623 Depth=2
                                        ; =>    This Inner Loop Header: Depth=3
	global_load_dwordx4 v[24:27], v[92:93], off nt
	global_load_dwordx4 v[32:35], v[94:95], off nt
	global_load_dwordx4 v[16:19], v[92:93], off offset:1024 nt
	global_load_dwordx4 v[12:15], v[78:79], off nt
	global_load_dwordx4 v[8:11], v[78:79], off offset:1024 nt
	global_load_dwordx4 v[20:23], v[94:95], off offset:1024 nt
	s_waitcnt vmcnt(0)
	v_lshlrev_b32_e32 v122, 16, v24
	v_lshlrev_b32_e32 v123, 16, v32
	v_max_f32_e32 v123, v123, v123
	v_max_f32_e32 v122, v122, v122
	v_min_f32_e32 v124, v122, v123
	v_max_f32_e32 v122, v122, v123
	v_cndmask_b32_e32 v123, v122, v124, vcc
	v_and_b32_e32 v122, 0x7f800000, v123
	v_cmp_ne_u32_e64 s[24:25], s70, v122
                                        ; implicit-def: $vgpr122
	s_and_saveexec_b64 s[40:41], s[24:25]
	s_xor_b64 s[24:25], exec, s[40:41]
; %bb.709:                              ;   in Loop: Header=BB21_708 Depth=3
	v_bfe_u32 v122, v123, 16, 1
	v_add3_u32 v122, v123, v122, s71
                                        ; implicit-def: $vgpr123
; %bb.710:                              ;   in Loop: Header=BB21_708 Depth=3
	s_andn2_saveexec_b64 s[40:41], s[24:25]
; %bb.711:                              ;   in Loop: Header=BB21_708 Depth=3
	v_or_b32_e32 v122, 0x10000, v123
	v_cmp_eq_u32_sdwa s[24:25], v123, v3 src0_sel:WORD_0 src1_sel:DWORD
	s_nop 1
	v_cndmask_b32_e64 v122, v122, v123, s[24:25]
; %bb.712:                              ;   in Loop: Header=BB21_708 Depth=3
	s_or_b64 exec, exec, s[40:41]
	v_and_b32_e32 v24, 0xffff0000, v24
	v_and_b32_e32 v32, 0xffff0000, v32
	v_max_f32_e32 v32, v32, v32
	v_max_f32_e32 v24, v24, v24
	v_min_f32_e32 v123, v24, v32
	v_max_f32_e32 v24, v24, v32
	v_cndmask_b32_e32 v24, v24, v123, vcc
	v_and_b32_e32 v32, 0x7f800000, v24
	v_cmp_ne_u32_e64 s[24:25], s70, v32
                                        ; implicit-def: $vgpr32
	s_and_saveexec_b64 s[40:41], s[24:25]
	s_xor_b64 s[24:25], exec, s[40:41]
; %bb.713:                              ;   in Loop: Header=BB21_708 Depth=3
	v_bfe_u32 v32, v24, 16, 1
	v_add3_u32 v32, v24, v32, s71
                                        ; implicit-def: $vgpr24
; %bb.714:                              ;   in Loop: Header=BB21_708 Depth=3
	s_andn2_saveexec_b64 s[40:41], s[24:25]
; %bb.715:                              ;   in Loop: Header=BB21_708 Depth=3
	v_or_b32_e32 v32, 0x10000, v24
	v_cmp_eq_u32_sdwa s[24:25], v24, v3 src0_sel:WORD_0 src1_sel:DWORD
	s_nop 1
	v_cndmask_b32_e64 v32, v32, v24, s[24:25]
; %bb.716:                              ;   in Loop: Header=BB21_708 Depth=3
	s_or_b64 exec, exec, s[40:41]
	v_lshlrev_b32_e32 v24, 16, v25
	v_lshlrev_b32_e32 v123, 16, v33
	v_max_f32_e32 v123, v123, v123
	v_max_f32_e32 v24, v24, v24
	v_min_f32_e32 v124, v24, v123
	v_max_f32_e32 v24, v24, v123
	v_cndmask_b32_e32 v123, v24, v124, vcc
	v_and_b32_e32 v24, 0x7f800000, v123
	v_cmp_ne_u32_e64 s[24:25], s70, v24
                                        ; implicit-def: $vgpr24
	s_and_saveexec_b64 s[40:41], s[24:25]
	s_xor_b64 s[24:25], exec, s[40:41]
; %bb.717:                              ;   in Loop: Header=BB21_708 Depth=3
	v_bfe_u32 v24, v123, 16, 1
	v_add3_u32 v24, v123, v24, s71
                                        ; implicit-def: $vgpr123
; %bb.718:                              ;   in Loop: Header=BB21_708 Depth=3
	s_andn2_saveexec_b64 s[40:41], s[24:25]
; %bb.719:                              ;   in Loop: Header=BB21_708 Depth=3
	v_or_b32_e32 v24, 0x10000, v123
	v_cmp_eq_u32_sdwa s[24:25], v123, v3 src0_sel:WORD_0 src1_sel:DWORD
	s_nop 1
	v_cndmask_b32_e64 v24, v24, v123, s[24:25]
; %bb.720:                              ;   in Loop: Header=BB21_708 Depth=3
	s_or_b64 exec, exec, s[40:41]
	v_and_b32_e32 v25, 0xffff0000, v25
	v_and_b32_e32 v33, 0xffff0000, v33
	v_max_f32_e32 v33, v33, v33
	v_max_f32_e32 v25, v25, v25
	v_min_f32_e32 v123, v25, v33
	v_max_f32_e32 v25, v25, v33
	v_cndmask_b32_e32 v25, v25, v123, vcc
	v_and_b32_e32 v33, 0x7f800000, v25
	v_cmp_ne_u32_e64 s[24:25], s70, v33
                                        ; implicit-def: $vgpr33
	s_and_saveexec_b64 s[40:41], s[24:25]
	s_xor_b64 s[24:25], exec, s[40:41]
; %bb.721:                              ;   in Loop: Header=BB21_708 Depth=3
	v_bfe_u32 v33, v25, 16, 1
	v_add3_u32 v33, v25, v33, s71
                                        ; implicit-def: $vgpr25
; %bb.722:                              ;   in Loop: Header=BB21_708 Depth=3
	s_andn2_saveexec_b64 s[40:41], s[24:25]
; %bb.723:                              ;   in Loop: Header=BB21_708 Depth=3
	v_or_b32_e32 v33, 0x10000, v25
	v_cmp_eq_u32_sdwa s[24:25], v25, v3 src0_sel:WORD_0 src1_sel:DWORD
	s_nop 1
	v_cndmask_b32_e64 v33, v33, v25, s[24:25]
; %bb.724:                              ;   in Loop: Header=BB21_708 Depth=3
	s_or_b64 exec, exec, s[40:41]
	v_lshlrev_b32_e32 v25, 16, v26
	v_lshlrev_b32_e32 v123, 16, v34
	v_max_f32_e32 v123, v123, v123
	v_max_f32_e32 v25, v25, v25
	v_min_f32_e32 v124, v25, v123
	v_max_f32_e32 v25, v25, v123
	v_cndmask_b32_e32 v123, v25, v124, vcc
	v_and_b32_e32 v25, 0x7f800000, v123
	v_cmp_ne_u32_e64 s[24:25], s70, v25
                                        ; implicit-def: $vgpr25
	s_and_saveexec_b64 s[40:41], s[24:25]
	s_xor_b64 s[24:25], exec, s[40:41]
; %bb.725:                              ;   in Loop: Header=BB21_708 Depth=3
	v_bfe_u32 v25, v123, 16, 1
	v_add3_u32 v25, v123, v25, s71
                                        ; implicit-def: $vgpr123
; %bb.726:                              ;   in Loop: Header=BB21_708 Depth=3
	s_andn2_saveexec_b64 s[40:41], s[24:25]
; %bb.727:                              ;   in Loop: Header=BB21_708 Depth=3
	v_or_b32_e32 v25, 0x10000, v123
	v_cmp_eq_u32_sdwa s[24:25], v123, v3 src0_sel:WORD_0 src1_sel:DWORD
	s_nop 1
	v_cndmask_b32_e64 v25, v25, v123, s[24:25]
; %bb.728:                              ;   in Loop: Header=BB21_708 Depth=3
	s_or_b64 exec, exec, s[40:41]
	v_and_b32_e32 v26, 0xffff0000, v26
	v_and_b32_e32 v34, 0xffff0000, v34
	v_max_f32_e32 v34, v34, v34
	v_max_f32_e32 v26, v26, v26
	v_min_f32_e32 v123, v26, v34
	v_max_f32_e32 v26, v26, v34
	v_cndmask_b32_e32 v26, v26, v123, vcc
	v_and_b32_e32 v34, 0x7f800000, v26
	v_cmp_ne_u32_e64 s[24:25], s70, v34
                                        ; implicit-def: $vgpr34
	s_and_saveexec_b64 s[40:41], s[24:25]
	s_xor_b64 s[24:25], exec, s[40:41]
; %bb.729:                              ;   in Loop: Header=BB21_708 Depth=3
	v_bfe_u32 v34, v26, 16, 1
	v_add3_u32 v34, v26, v34, s71
                                        ; implicit-def: $vgpr26
; %bb.730:                              ;   in Loop: Header=BB21_708 Depth=3
	s_andn2_saveexec_b64 s[40:41], s[24:25]
; %bb.731:                              ;   in Loop: Header=BB21_708 Depth=3
	v_or_b32_e32 v34, 0x10000, v26
	v_cmp_eq_u32_sdwa s[24:25], v26, v3 src0_sel:WORD_0 src1_sel:DWORD
	s_nop 1
	v_cndmask_b32_e64 v34, v34, v26, s[24:25]
; %bb.732:                              ;   in Loop: Header=BB21_708 Depth=3
	s_or_b64 exec, exec, s[40:41]
	v_lshlrev_b32_e32 v26, 16, v27
	v_lshlrev_b32_e32 v123, 16, v35
	v_max_f32_e32 v123, v123, v123
	v_max_f32_e32 v26, v26, v26
	v_min_f32_e32 v124, v26, v123
	v_max_f32_e32 v26, v26, v123
	v_cndmask_b32_e32 v123, v26, v124, vcc
	v_and_b32_e32 v26, 0x7f800000, v123
	v_cmp_ne_u32_e64 s[24:25], s70, v26
                                        ; implicit-def: $vgpr26
	s_and_saveexec_b64 s[40:41], s[24:25]
	s_xor_b64 s[24:25], exec, s[40:41]
; %bb.733:                              ;   in Loop: Header=BB21_708 Depth=3
	v_bfe_u32 v26, v123, 16, 1
	v_add3_u32 v26, v123, v26, s71
                                        ; implicit-def: $vgpr123
; %bb.734:                              ;   in Loop: Header=BB21_708 Depth=3
	s_andn2_saveexec_b64 s[40:41], s[24:25]
; %bb.735:                              ;   in Loop: Header=BB21_708 Depth=3
	v_or_b32_e32 v26, 0x10000, v123
	v_cmp_eq_u32_sdwa s[24:25], v123, v3 src0_sel:WORD_0 src1_sel:DWORD
	s_nop 1
	v_cndmask_b32_e64 v26, v26, v123, s[24:25]
; %bb.736:                              ;   in Loop: Header=BB21_708 Depth=3
	s_or_b64 exec, exec, s[40:41]
	v_and_b32_e32 v27, 0xffff0000, v27
	v_and_b32_e32 v35, 0xffff0000, v35
	v_max_f32_e32 v35, v35, v35
	v_max_f32_e32 v27, v27, v27
	v_min_f32_e32 v123, v27, v35
	v_max_f32_e32 v27, v27, v35
	v_cndmask_b32_e32 v27, v27, v123, vcc
	v_and_b32_e32 v35, 0x7f800000, v27
	v_cmp_ne_u32_e64 s[24:25], s70, v35
                                        ; implicit-def: $vgpr35
	s_and_saveexec_b64 s[40:41], s[24:25]
	s_xor_b64 s[24:25], exec, s[40:41]
; %bb.737:                              ;   in Loop: Header=BB21_708 Depth=3
	v_bfe_u32 v35, v27, 16, 1
	v_add3_u32 v35, v27, v35, s71
                                        ; implicit-def: $vgpr27
; %bb.738:                              ;   in Loop: Header=BB21_708 Depth=3
	s_andn2_saveexec_b64 s[40:41], s[24:25]
; %bb.739:                              ;   in Loop: Header=BB21_708 Depth=3
	v_or_b32_e32 v35, 0x10000, v27
	v_cmp_eq_u32_sdwa s[24:25], v27, v3 src0_sel:WORD_0 src1_sel:DWORD
	s_nop 1
	v_cndmask_b32_e64 v35, v35, v27, s[24:25]
; %bb.740:                              ;   in Loop: Header=BB21_708 Depth=3
	s_or_b64 exec, exec, s[40:41]
	v_lshlrev_b32_e32 v27, 16, v16
	v_lshlrev_b32_e32 v123, 16, v20
	v_max_f32_e32 v123, v123, v123
	v_max_f32_e32 v27, v27, v27
	v_min_f32_e32 v124, v27, v123
	v_max_f32_e32 v27, v27, v123
	v_cndmask_b32_e32 v123, v27, v124, vcc
	v_and_b32_e32 v27, 0x7f800000, v123
	v_cmp_ne_u32_e64 s[24:25], s70, v27
                                        ; implicit-def: $vgpr27
	s_and_saveexec_b64 s[40:41], s[24:25]
	s_xor_b64 s[24:25], exec, s[40:41]
; %bb.741:                              ;   in Loop: Header=BB21_708 Depth=3
	v_bfe_u32 v27, v123, 16, 1
	v_add3_u32 v27, v123, v27, s71
                                        ; implicit-def: $vgpr123
; %bb.742:                              ;   in Loop: Header=BB21_708 Depth=3
	s_andn2_saveexec_b64 s[40:41], s[24:25]
; %bb.743:                              ;   in Loop: Header=BB21_708 Depth=3
	v_or_b32_e32 v27, 0x10000, v123
	v_cmp_eq_u32_sdwa s[24:25], v123, v3 src0_sel:WORD_0 src1_sel:DWORD
	s_nop 1
	v_cndmask_b32_e64 v27, v27, v123, s[24:25]
; %bb.744:                              ;   in Loop: Header=BB21_708 Depth=3
	s_or_b64 exec, exec, s[40:41]
	v_and_b32_e32 v16, 0xffff0000, v16
	v_and_b32_e32 v20, 0xffff0000, v20
	v_max_f32_e32 v20, v20, v20
	v_max_f32_e32 v16, v16, v16
	v_min_f32_e32 v123, v16, v20
	v_max_f32_e32 v16, v16, v20
	v_cndmask_b32_e32 v16, v16, v123, vcc
	v_and_b32_e32 v20, 0x7f800000, v16
	v_cmp_ne_u32_e64 s[24:25], s70, v20
                                        ; implicit-def: $vgpr20
	s_and_saveexec_b64 s[40:41], s[24:25]
	s_xor_b64 s[24:25], exec, s[40:41]
; %bb.745:                              ;   in Loop: Header=BB21_708 Depth=3
	v_bfe_u32 v20, v16, 16, 1
	v_add3_u32 v20, v16, v20, s71
                                        ; implicit-def: $vgpr16
; %bb.746:                              ;   in Loop: Header=BB21_708 Depth=3
	s_andn2_saveexec_b64 s[40:41], s[24:25]
; %bb.747:                              ;   in Loop: Header=BB21_708 Depth=3
	v_or_b32_e32 v20, 0x10000, v16
	v_cmp_eq_u32_sdwa s[24:25], v16, v3 src0_sel:WORD_0 src1_sel:DWORD
	s_nop 1
	v_cndmask_b32_e64 v20, v20, v16, s[24:25]
; %bb.748:                              ;   in Loop: Header=BB21_708 Depth=3
	s_or_b64 exec, exec, s[40:41]
	v_lshlrev_b32_e32 v16, 16, v17
	v_lshlrev_b32_e32 v123, 16, v21
	v_max_f32_e32 v123, v123, v123
	v_max_f32_e32 v16, v16, v16
	v_min_f32_e32 v124, v16, v123
	v_max_f32_e32 v16, v16, v123
	v_cndmask_b32_e32 v123, v16, v124, vcc
	v_and_b32_e32 v16, 0x7f800000, v123
	v_cmp_ne_u32_e64 s[24:25], s70, v16
                                        ; implicit-def: $vgpr16
	s_and_saveexec_b64 s[40:41], s[24:25]
	s_xor_b64 s[24:25], exec, s[40:41]
; %bb.749:                              ;   in Loop: Header=BB21_708 Depth=3
	v_bfe_u32 v16, v123, 16, 1
	v_add3_u32 v16, v123, v16, s71
                                        ; implicit-def: $vgpr123
; %bb.750:                              ;   in Loop: Header=BB21_708 Depth=3
	s_andn2_saveexec_b64 s[40:41], s[24:25]
; %bb.751:                              ;   in Loop: Header=BB21_708 Depth=3
	v_or_b32_e32 v16, 0x10000, v123
	v_cmp_eq_u32_sdwa s[24:25], v123, v3 src0_sel:WORD_0 src1_sel:DWORD
	s_nop 1
	v_cndmask_b32_e64 v16, v16, v123, s[24:25]
; %bb.752:                              ;   in Loop: Header=BB21_708 Depth=3
	s_or_b64 exec, exec, s[40:41]
	v_and_b32_e32 v17, 0xffff0000, v17
	v_and_b32_e32 v21, 0xffff0000, v21
	v_max_f32_e32 v21, v21, v21
	v_max_f32_e32 v17, v17, v17
	v_min_f32_e32 v123, v17, v21
	v_max_f32_e32 v17, v17, v21
	v_cndmask_b32_e32 v17, v17, v123, vcc
	v_and_b32_e32 v21, 0x7f800000, v17
	v_cmp_ne_u32_e64 s[24:25], s70, v21
                                        ; implicit-def: $vgpr21
	s_and_saveexec_b64 s[40:41], s[24:25]
	s_xor_b64 s[24:25], exec, s[40:41]
; %bb.753:                              ;   in Loop: Header=BB21_708 Depth=3
	v_bfe_u32 v21, v17, 16, 1
	v_add3_u32 v21, v17, v21, s71
                                        ; implicit-def: $vgpr17
; %bb.754:                              ;   in Loop: Header=BB21_708 Depth=3
	s_andn2_saveexec_b64 s[40:41], s[24:25]
; %bb.755:                              ;   in Loop: Header=BB21_708 Depth=3
	v_or_b32_e32 v21, 0x10000, v17
	v_cmp_eq_u32_sdwa s[24:25], v17, v3 src0_sel:WORD_0 src1_sel:DWORD
	s_nop 1
	v_cndmask_b32_e64 v21, v21, v17, s[24:25]
; %bb.756:                              ;   in Loop: Header=BB21_708 Depth=3
	s_or_b64 exec, exec, s[40:41]
	v_lshlrev_b32_e32 v17, 16, v18
	v_lshlrev_b32_e32 v123, 16, v22
	v_max_f32_e32 v123, v123, v123
	v_max_f32_e32 v17, v17, v17
	v_min_f32_e32 v124, v17, v123
	v_max_f32_e32 v17, v17, v123
	v_cndmask_b32_e32 v123, v17, v124, vcc
	v_and_b32_e32 v17, 0x7f800000, v123
	v_cmp_ne_u32_e64 s[24:25], s70, v17
                                        ; implicit-def: $vgpr17
	s_and_saveexec_b64 s[40:41], s[24:25]
	s_xor_b64 s[24:25], exec, s[40:41]
; %bb.757:                              ;   in Loop: Header=BB21_708 Depth=3
	v_bfe_u32 v17, v123, 16, 1
	v_add3_u32 v17, v123, v17, s71
                                        ; implicit-def: $vgpr123
; %bb.758:                              ;   in Loop: Header=BB21_708 Depth=3
	s_andn2_saveexec_b64 s[40:41], s[24:25]
; %bb.759:                              ;   in Loop: Header=BB21_708 Depth=3
	v_or_b32_e32 v17, 0x10000, v123
	v_cmp_eq_u32_sdwa s[24:25], v123, v3 src0_sel:WORD_0 src1_sel:DWORD
	s_nop 1
	v_cndmask_b32_e64 v17, v17, v123, s[24:25]
; %bb.760:                              ;   in Loop: Header=BB21_708 Depth=3
	s_or_b64 exec, exec, s[40:41]
	v_and_b32_e32 v18, 0xffff0000, v18
	v_and_b32_e32 v22, 0xffff0000, v22
	v_max_f32_e32 v22, v22, v22
	v_max_f32_e32 v18, v18, v18
	v_min_f32_e32 v123, v18, v22
	v_max_f32_e32 v18, v18, v22
	v_cndmask_b32_e32 v18, v18, v123, vcc
	v_and_b32_e32 v22, 0x7f800000, v18
	v_cmp_ne_u32_e64 s[24:25], s70, v22
                                        ; implicit-def: $vgpr22
	s_and_saveexec_b64 s[40:41], s[24:25]
	s_xor_b64 s[24:25], exec, s[40:41]
; %bb.761:                              ;   in Loop: Header=BB21_708 Depth=3
	v_bfe_u32 v22, v18, 16, 1
	v_add3_u32 v22, v18, v22, s71
                                        ; implicit-def: $vgpr18
; %bb.762:                              ;   in Loop: Header=BB21_708 Depth=3
	s_andn2_saveexec_b64 s[40:41], s[24:25]
; %bb.763:                              ;   in Loop: Header=BB21_708 Depth=3
	v_or_b32_e32 v22, 0x10000, v18
	v_cmp_eq_u32_sdwa s[24:25], v18, v3 src0_sel:WORD_0 src1_sel:DWORD
	s_nop 1
	v_cndmask_b32_e64 v22, v22, v18, s[24:25]
; %bb.764:                              ;   in Loop: Header=BB21_708 Depth=3
	s_or_b64 exec, exec, s[40:41]
	v_lshlrev_b32_e32 v18, 16, v19
	v_lshlrev_b32_e32 v123, 16, v23
	v_max_f32_e32 v123, v123, v123
	v_max_f32_e32 v18, v18, v18
	v_min_f32_e32 v124, v18, v123
	v_max_f32_e32 v18, v18, v123
	v_cndmask_b32_e32 v123, v18, v124, vcc
	v_and_b32_e32 v18, 0x7f800000, v123
	v_cmp_ne_u32_e64 s[24:25], s70, v18
                                        ; implicit-def: $vgpr18
	s_and_saveexec_b64 s[40:41], s[24:25]
	s_xor_b64 s[24:25], exec, s[40:41]
; %bb.765:                              ;   in Loop: Header=BB21_708 Depth=3
	v_bfe_u32 v18, v123, 16, 1
	v_add3_u32 v18, v123, v18, s71
                                        ; implicit-def: $vgpr123
; %bb.766:                              ;   in Loop: Header=BB21_708 Depth=3
	s_andn2_saveexec_b64 s[40:41], s[24:25]
; %bb.767:                              ;   in Loop: Header=BB21_708 Depth=3
	v_or_b32_e32 v18, 0x10000, v123
	v_cmp_eq_u32_sdwa s[24:25], v123, v3 src0_sel:WORD_0 src1_sel:DWORD
	s_nop 1
	v_cndmask_b32_e64 v18, v18, v123, s[24:25]
; %bb.768:                              ;   in Loop: Header=BB21_708 Depth=3
	s_or_b64 exec, exec, s[40:41]
	v_and_b32_e32 v19, 0xffff0000, v19
	v_and_b32_e32 v23, 0xffff0000, v23
	v_max_f32_e32 v23, v23, v23
	v_max_f32_e32 v19, v19, v19
	v_min_f32_e32 v123, v19, v23
	v_max_f32_e32 v19, v19, v23
	v_cndmask_b32_e32 v23, v19, v123, vcc
	v_and_b32_e32 v19, 0x7f800000, v23
	v_cmp_ne_u32_e64 s[24:25], s70, v19
                                        ; implicit-def: $vgpr19
	s_and_saveexec_b64 s[40:41], s[24:25]
	s_xor_b64 s[24:25], exec, s[40:41]
; %bb.769:                              ;   in Loop: Header=BB21_708 Depth=3
	v_bfe_u32 v19, v23, 16, 1
	v_add3_u32 v19, v23, v19, s71
                                        ; implicit-def: $vgpr23
; %bb.770:                              ;   in Loop: Header=BB21_708 Depth=3
	s_andn2_saveexec_b64 s[40:41], s[24:25]
; %bb.771:                              ;   in Loop: Header=BB21_708 Depth=3
	v_or_b32_e32 v19, 0x10000, v23
	v_cmp_eq_u32_sdwa s[24:25], v23, v3 src0_sel:WORD_0 src1_sel:DWORD
	s_nop 1
	v_cndmask_b32_e64 v19, v19, v23, s[24:25]
; %bb.772:                              ;   in Loop: Header=BB21_708 Depth=3
	s_or_b64 exec, exec, s[40:41]
	v_and_b32_e32 v23, 0xffff0000, v122
	v_lshlrev_b32_e32 v123, 16, v12
	v_max_f32_e32 v23, v23, v23
	v_max_f32_e32 v123, v123, v123
	v_min_f32_e32 v124, v23, v123
	v_max_f32_e32 v23, v23, v123
	v_cndmask_b32_e32 v123, v23, v124, vcc
	v_and_b32_e32 v23, 0x7f800000, v123
	v_cmp_ne_u32_e64 s[24:25], s70, v23
                                        ; implicit-def: $vgpr23
	s_and_saveexec_b64 s[40:41], s[24:25]
	s_xor_b64 s[24:25], exec, s[40:41]
; %bb.773:                              ;   in Loop: Header=BB21_708 Depth=3
	v_bfe_u32 v23, v123, 16, 1
	v_add3_u32 v23, v123, v23, s71
                                        ; implicit-def: $vgpr123
; %bb.774:                              ;   in Loop: Header=BB21_708 Depth=3
	s_andn2_saveexec_b64 s[40:41], s[24:25]
; %bb.775:                              ;   in Loop: Header=BB21_708 Depth=3
	v_or_b32_e32 v23, 0x10000, v123
	v_cmp_eq_u32_sdwa s[24:25], v123, v3 src0_sel:WORD_0 src1_sel:DWORD
	s_nop 1
	v_cndmask_b32_e64 v23, v23, v123, s[24:25]
; %bb.776:                              ;   in Loop: Header=BB21_708 Depth=3
	s_or_b64 exec, exec, s[40:41]
	v_and_b32_e32 v123, 0xffff0000, v12
	v_and_b32_e32 v12, 0xffff0000, v32
	v_max_f32_e32 v32, v123, v123
	v_max_f32_e32 v123, v12, v12
	v_min_f32_e32 v124, v123, v32
	v_max_f32_e32 v32, v123, v32
	v_cndmask_b32_e32 v123, v32, v124, vcc
	v_and_b32_e32 v32, 0x7f800000, v123
	v_cmp_ne_u32_e64 s[24:25], s70, v32
                                        ; implicit-def: $vgpr32
	s_and_saveexec_b64 s[40:41], s[24:25]
	s_xor_b64 s[24:25], exec, s[40:41]
; %bb.777:                              ;   in Loop: Header=BB21_708 Depth=3
	v_bfe_u32 v32, v123, 16, 1
	v_add3_u32 v32, v123, v32, s71
                                        ; implicit-def: $vgpr123
; %bb.778:                              ;   in Loop: Header=BB21_708 Depth=3
	s_andn2_saveexec_b64 s[40:41], s[24:25]
; %bb.779:                              ;   in Loop: Header=BB21_708 Depth=3
	v_or_b32_e32 v32, 0x10000, v123
	v_cmp_eq_u32_sdwa s[24:25], v123, v3 src0_sel:WORD_0 src1_sel:DWORD
	s_nop 1
	v_cndmask_b32_e64 v32, v32, v123, s[24:25]
; %bb.780:                              ;   in Loop: Header=BB21_708 Depth=3
	s_or_b64 exec, exec, s[40:41]
	v_and_b32_e32 v123, 0xffff0000, v24
	v_lshlrev_b32_e32 v124, 16, v13
	v_max_f32_e32 v123, v123, v123
	v_max_f32_e32 v124, v124, v124
	v_min_f32_e32 v125, v123, v124
	v_max_f32_e32 v123, v123, v124
	v_cndmask_b32_e32 v124, v123, v125, vcc
	v_and_b32_e32 v123, 0x7f800000, v124
	v_cmp_ne_u32_e64 s[24:25], s70, v123
                                        ; implicit-def: $vgpr123
	s_and_saveexec_b64 s[40:41], s[24:25]
	s_xor_b64 s[24:25], exec, s[40:41]
; %bb.781:                              ;   in Loop: Header=BB21_708 Depth=3
	v_bfe_u32 v123, v124, 16, 1
	v_add3_u32 v123, v124, v123, s71
                                        ; implicit-def: $vgpr124
; %bb.782:                              ;   in Loop: Header=BB21_708 Depth=3
	s_andn2_saveexec_b64 s[40:41], s[24:25]
; %bb.783:                              ;   in Loop: Header=BB21_708 Depth=3
	v_or_b32_e32 v123, 0x10000, v124
	v_cmp_eq_u32_sdwa s[24:25], v124, v3 src0_sel:WORD_0 src1_sel:DWORD
	s_nop 1
	v_cndmask_b32_e64 v123, v123, v124, s[24:25]
; %bb.784:                              ;   in Loop: Header=BB21_708 Depth=3
	s_or_b64 exec, exec, s[40:41]
	v_and_b32_e32 v124, 0xffff0000, v13
	v_and_b32_e32 v13, 0xffff0000, v33
	v_max_f32_e32 v33, v124, v124
	v_max_f32_e32 v124, v13, v13
	v_min_f32_e32 v125, v124, v33
	v_max_f32_e32 v33, v124, v33
	v_cndmask_b32_e32 v124, v33, v125, vcc
	v_and_b32_e32 v33, 0x7f800000, v124
	v_cmp_ne_u32_e64 s[24:25], s70, v33
                                        ; implicit-def: $vgpr33
	s_and_saveexec_b64 s[40:41], s[24:25]
	s_xor_b64 s[24:25], exec, s[40:41]
; %bb.785:                              ;   in Loop: Header=BB21_708 Depth=3
	v_bfe_u32 v33, v124, 16, 1
	v_add3_u32 v33, v124, v33, s71
                                        ; implicit-def: $vgpr124
; %bb.786:                              ;   in Loop: Header=BB21_708 Depth=3
	s_andn2_saveexec_b64 s[40:41], s[24:25]
; %bb.787:                              ;   in Loop: Header=BB21_708 Depth=3
	v_or_b32_e32 v33, 0x10000, v124
	v_cmp_eq_u32_sdwa s[24:25], v124, v3 src0_sel:WORD_0 src1_sel:DWORD
	s_nop 1
	v_cndmask_b32_e64 v33, v33, v124, s[24:25]
; %bb.788:                              ;   in Loop: Header=BB21_708 Depth=3
	s_or_b64 exec, exec, s[40:41]
	v_and_b32_e32 v124, 0xffff0000, v25
	v_lshlrev_b32_e32 v125, 16, v14
	v_max_f32_e32 v124, v124, v124
	v_max_f32_e32 v125, v125, v125
	v_min_f32_e32 v126, v124, v125
	v_max_f32_e32 v124, v124, v125
	v_cndmask_b32_e32 v125, v124, v126, vcc
	v_and_b32_e32 v124, 0x7f800000, v125
	v_cmp_ne_u32_e64 s[24:25], s70, v124
                                        ; implicit-def: $vgpr124
	s_and_saveexec_b64 s[40:41], s[24:25]
	s_xor_b64 s[24:25], exec, s[40:41]
; %bb.789:                              ;   in Loop: Header=BB21_708 Depth=3
	v_bfe_u32 v124, v125, 16, 1
	v_add3_u32 v124, v125, v124, s71
                                        ; implicit-def: $vgpr125
; %bb.790:                              ;   in Loop: Header=BB21_708 Depth=3
	s_andn2_saveexec_b64 s[40:41], s[24:25]
; %bb.791:                              ;   in Loop: Header=BB21_708 Depth=3
	v_or_b32_e32 v124, 0x10000, v125
	v_cmp_eq_u32_sdwa s[24:25], v125, v3 src0_sel:WORD_0 src1_sel:DWORD
	s_nop 1
	v_cndmask_b32_e64 v124, v124, v125, s[24:25]
; %bb.792:                              ;   in Loop: Header=BB21_708 Depth=3
	s_or_b64 exec, exec, s[40:41]
	v_and_b32_e32 v125, 0xffff0000, v14
	v_and_b32_e32 v14, 0xffff0000, v34
	v_max_f32_e32 v34, v125, v125
	v_max_f32_e32 v125, v14, v14
	v_min_f32_e32 v126, v125, v34
	v_max_f32_e32 v34, v125, v34
	v_cndmask_b32_e32 v125, v34, v126, vcc
	v_and_b32_e32 v34, 0x7f800000, v125
	v_cmp_ne_u32_e64 s[24:25], s70, v34
                                        ; implicit-def: $vgpr34
	s_and_saveexec_b64 s[40:41], s[24:25]
	s_xor_b64 s[24:25], exec, s[40:41]
; %bb.793:                              ;   in Loop: Header=BB21_708 Depth=3
	v_bfe_u32 v34, v125, 16, 1
	v_add3_u32 v34, v125, v34, s71
                                        ; implicit-def: $vgpr125
; %bb.794:                              ;   in Loop: Header=BB21_708 Depth=3
	s_andn2_saveexec_b64 s[40:41], s[24:25]
; %bb.795:                              ;   in Loop: Header=BB21_708 Depth=3
	v_or_b32_e32 v34, 0x10000, v125
	v_cmp_eq_u32_sdwa s[24:25], v125, v3 src0_sel:WORD_0 src1_sel:DWORD
	s_nop 1
	v_cndmask_b32_e64 v34, v34, v125, s[24:25]
; %bb.796:                              ;   in Loop: Header=BB21_708 Depth=3
	s_or_b64 exec, exec, s[40:41]
	v_and_b32_e32 v125, 0xffff0000, v26
	v_lshlrev_b32_e32 v126, 16, v15
	v_max_f32_e32 v125, v125, v125
	v_max_f32_e32 v126, v126, v126
	v_min_f32_e32 v82, v125, v126
	v_max_f32_e32 v125, v125, v126
	v_cndmask_b32_e32 v126, v125, v82, vcc
	v_and_b32_e32 v82, 0x7f800000, v126
	v_cmp_ne_u32_e64 s[24:25], s70, v82
                                        ; implicit-def: $vgpr125
	s_and_saveexec_b64 s[40:41], s[24:25]
	s_xor_b64 s[24:25], exec, s[40:41]
; %bb.797:                              ;   in Loop: Header=BB21_708 Depth=3
	v_bfe_u32 v82, v126, 16, 1
	v_add3_u32 v125, v126, v82, s71
                                        ; implicit-def: $vgpr126
; %bb.798:                              ;   in Loop: Header=BB21_708 Depth=3
	s_andn2_saveexec_b64 s[40:41], s[24:25]
; %bb.799:                              ;   in Loop: Header=BB21_708 Depth=3
	v_or_b32_e32 v82, 0x10000, v126
	v_cmp_eq_u32_sdwa s[24:25], v126, v3 src0_sel:WORD_0 src1_sel:DWORD
	s_nop 1
	v_cndmask_b32_e64 v125, v82, v126, s[24:25]
; %bb.800:                              ;   in Loop: Header=BB21_708 Depth=3
	s_or_b64 exec, exec, s[40:41]
	v_and_b32_e32 v82, 0xffff0000, v15
	v_and_b32_e32 v15, 0xffff0000, v35
	v_max_f32_e32 v35, v82, v82
	v_max_f32_e32 v82, v15, v15
	v_min_f32_e32 v126, v82, v35
	v_max_f32_e32 v35, v82, v35
	v_cndmask_b32_e32 v126, v35, v126, vcc
	v_and_b32_e32 v35, 0x7f800000, v126
	v_cmp_ne_u32_e64 s[24:25], s70, v35
                                        ; implicit-def: $vgpr35
	s_and_saveexec_b64 s[40:41], s[24:25]
	s_xor_b64 s[24:25], exec, s[40:41]
; %bb.801:                              ;   in Loop: Header=BB21_708 Depth=3
	v_bfe_u32 v35, v126, 16, 1
	v_add3_u32 v35, v126, v35, s71
                                        ; implicit-def: $vgpr126
; %bb.802:                              ;   in Loop: Header=BB21_708 Depth=3
	s_andn2_saveexec_b64 s[40:41], s[24:25]
; %bb.803:                              ;   in Loop: Header=BB21_708 Depth=3
	v_or_b32_e32 v35, 0x10000, v126
	v_cmp_eq_u32_sdwa s[24:25], v126, v3 src0_sel:WORD_0 src1_sel:DWORD
	s_nop 1
	v_cndmask_b32_e64 v35, v35, v126, s[24:25]
; %bb.804:                              ;   in Loop: Header=BB21_708 Depth=3
	s_or_b64 exec, exec, s[40:41]
	v_lshrrev_b32_e32 v23, 16, v23
	v_and_or_b32 v32, v32, s80, v23
	v_lshrrev_b32_e32 v23, 16, v124
	v_lshrrev_b32_e32 v82, 16, v123
	v_and_or_b32 v34, v34, s80, v23
	v_lshrrev_b32_e32 v23, 16, v125
	v_and_or_b32 v33, v33, s80, v82
	v_and_or_b32 v35, v35, s80, v23
	global_store_dwordx4 v[88:89], v[32:35], off
	v_and_b32_e32 v23, 0xffff0000, v27
	v_max_f32_e32 v23, v23, v23
	v_lshlrev_b32_e32 v32, 16, v8
	v_max_f32_e32 v32, v32, v32
	v_min_f32_e32 v33, v23, v32
	v_max_f32_e32 v23, v23, v32
	v_cndmask_b32_e32 v32, v23, v33, vcc
	v_and_b32_e32 v23, 0x7f800000, v32
	v_cmp_ne_u32_e64 s[24:25], s70, v23
                                        ; implicit-def: $vgpr23
	s_and_saveexec_b64 s[40:41], s[24:25]
	s_xor_b64 s[24:25], exec, s[40:41]
; %bb.805:                              ;   in Loop: Header=BB21_708 Depth=3
	v_bfe_u32 v23, v32, 16, 1
	v_add3_u32 v23, v32, v23, s71
                                        ; implicit-def: $vgpr32
; %bb.806:                              ;   in Loop: Header=BB21_708 Depth=3
	s_andn2_saveexec_b64 s[40:41], s[24:25]
; %bb.807:                              ;   in Loop: Header=BB21_708 Depth=3
	v_or_b32_e32 v23, 0x10000, v32
	v_cmp_eq_u32_sdwa s[24:25], v32, v3 src0_sel:WORD_0 src1_sel:DWORD
	s_nop 1
	v_cndmask_b32_e64 v23, v23, v32, s[24:25]
; %bb.808:                              ;   in Loop: Header=BB21_708 Depth=3
	s_or_b64 exec, exec, s[40:41]
	v_and_b32_e32 v32, 0xffff0000, v8
	v_and_b32_e32 v8, 0xffff0000, v20
	v_max_f32_e32 v20, v32, v32
	v_max_f32_e32 v32, v8, v8
	v_min_f32_e32 v33, v32, v20
	v_max_f32_e32 v20, v32, v20
	v_cndmask_b32_e32 v32, v20, v33, vcc
	v_and_b32_e32 v20, 0x7f800000, v32
	v_cmp_ne_u32_e64 s[24:25], s70, v20
                                        ; implicit-def: $vgpr20
	s_and_saveexec_b64 s[40:41], s[24:25]
	s_xor_b64 s[24:25], exec, s[40:41]
; %bb.809:                              ;   in Loop: Header=BB21_708 Depth=3
	v_bfe_u32 v20, v32, 16, 1
	v_add3_u32 v20, v32, v20, s71
                                        ; implicit-def: $vgpr32
; %bb.810:                              ;   in Loop: Header=BB21_708 Depth=3
	s_andn2_saveexec_b64 s[40:41], s[24:25]
; %bb.811:                              ;   in Loop: Header=BB21_708 Depth=3
	v_or_b32_e32 v20, 0x10000, v32
	v_cmp_eq_u32_sdwa s[24:25], v32, v3 src0_sel:WORD_0 src1_sel:DWORD
	s_nop 1
	v_cndmask_b32_e64 v20, v20, v32, s[24:25]
; %bb.812:                              ;   in Loop: Header=BB21_708 Depth=3
	s_or_b64 exec, exec, s[40:41]
	v_and_b32_e32 v32, 0xffff0000, v16
	v_lshlrev_b32_e32 v33, 16, v9
	v_max_f32_e32 v32, v32, v32
	v_max_f32_e32 v33, v33, v33
	v_min_f32_e32 v34, v32, v33
	v_max_f32_e32 v32, v32, v33
	v_cndmask_b32_e32 v33, v32, v34, vcc
	v_and_b32_e32 v32, 0x7f800000, v33
	v_cmp_ne_u32_e64 s[24:25], s70, v32
                                        ; implicit-def: $vgpr32
	s_and_saveexec_b64 s[40:41], s[24:25]
	s_xor_b64 s[24:25], exec, s[40:41]
; %bb.813:                              ;   in Loop: Header=BB21_708 Depth=3
	v_bfe_u32 v32, v33, 16, 1
	v_add3_u32 v32, v33, v32, s71
                                        ; implicit-def: $vgpr33
; %bb.814:                              ;   in Loop: Header=BB21_708 Depth=3
	s_andn2_saveexec_b64 s[40:41], s[24:25]
; %bb.815:                              ;   in Loop: Header=BB21_708 Depth=3
	v_or_b32_e32 v32, 0x10000, v33
	v_cmp_eq_u32_sdwa s[24:25], v33, v3 src0_sel:WORD_0 src1_sel:DWORD
	s_nop 1
	v_cndmask_b32_e64 v32, v32, v33, s[24:25]
; %bb.816:                              ;   in Loop: Header=BB21_708 Depth=3
	s_or_b64 exec, exec, s[40:41]
	v_and_b32_e32 v33, 0xffff0000, v9
	v_and_b32_e32 v9, 0xffff0000, v21
	v_max_f32_e32 v21, v33, v33
	v_max_f32_e32 v33, v9, v9
	v_min_f32_e32 v34, v33, v21
	v_max_f32_e32 v21, v33, v21
	v_cndmask_b32_e32 v33, v21, v34, vcc
	v_and_b32_e32 v21, 0x7f800000, v33
	v_cmp_ne_u32_e64 s[24:25], s70, v21
                                        ; implicit-def: $vgpr21
	s_and_saveexec_b64 s[40:41], s[24:25]
	s_xor_b64 s[24:25], exec, s[40:41]
; %bb.817:                              ;   in Loop: Header=BB21_708 Depth=3
	v_bfe_u32 v21, v33, 16, 1
	v_add3_u32 v21, v33, v21, s71
                                        ; implicit-def: $vgpr33
; %bb.818:                              ;   in Loop: Header=BB21_708 Depth=3
	s_andn2_saveexec_b64 s[40:41], s[24:25]
; %bb.819:                              ;   in Loop: Header=BB21_708 Depth=3
	v_or_b32_e32 v21, 0x10000, v33
	v_cmp_eq_u32_sdwa s[24:25], v33, v3 src0_sel:WORD_0 src1_sel:DWORD
	s_nop 1
	v_cndmask_b32_e64 v21, v21, v33, s[24:25]
; %bb.820:                              ;   in Loop: Header=BB21_708 Depth=3
	s_or_b64 exec, exec, s[40:41]
	v_and_b32_e32 v33, 0xffff0000, v17
	v_lshlrev_b32_e32 v34, 16, v10
	v_max_f32_e32 v33, v33, v33
	v_max_f32_e32 v34, v34, v34
	v_min_f32_e32 v35, v33, v34
	v_max_f32_e32 v33, v33, v34
	v_cndmask_b32_e32 v34, v33, v35, vcc
	v_and_b32_e32 v33, 0x7f800000, v34
	v_cmp_ne_u32_e64 s[24:25], s70, v33
                                        ; implicit-def: $vgpr33
	s_and_saveexec_b64 s[40:41], s[24:25]
	s_xor_b64 s[24:25], exec, s[40:41]
; %bb.821:                              ;   in Loop: Header=BB21_708 Depth=3
	v_bfe_u32 v33, v34, 16, 1
	v_add3_u32 v33, v34, v33, s71
                                        ; implicit-def: $vgpr34
; %bb.822:                              ;   in Loop: Header=BB21_708 Depth=3
	s_andn2_saveexec_b64 s[40:41], s[24:25]
; %bb.823:                              ;   in Loop: Header=BB21_708 Depth=3
	v_or_b32_e32 v33, 0x10000, v34
	v_cmp_eq_u32_sdwa s[24:25], v34, v3 src0_sel:WORD_0 src1_sel:DWORD
	s_nop 1
	v_cndmask_b32_e64 v33, v33, v34, s[24:25]
; %bb.824:                              ;   in Loop: Header=BB21_708 Depth=3
	s_or_b64 exec, exec, s[40:41]
	v_and_b32_e32 v34, 0xffff0000, v10
	v_and_b32_e32 v10, 0xffff0000, v22
	v_max_f32_e32 v22, v34, v34
	v_max_f32_e32 v34, v10, v10
	v_min_f32_e32 v35, v34, v22
	v_max_f32_e32 v22, v34, v22
	v_cndmask_b32_e32 v34, v22, v35, vcc
	v_and_b32_e32 v22, 0x7f800000, v34
	v_cmp_ne_u32_e64 s[24:25], s70, v22
                                        ; implicit-def: $vgpr22
	s_and_saveexec_b64 s[40:41], s[24:25]
	s_xor_b64 s[24:25], exec, s[40:41]
; %bb.825:                              ;   in Loop: Header=BB21_708 Depth=3
	v_bfe_u32 v22, v34, 16, 1
	v_add3_u32 v22, v34, v22, s71
                                        ; implicit-def: $vgpr34
; %bb.826:                              ;   in Loop: Header=BB21_708 Depth=3
	s_andn2_saveexec_b64 s[40:41], s[24:25]
; %bb.827:                              ;   in Loop: Header=BB21_708 Depth=3
	v_or_b32_e32 v22, 0x10000, v34
	v_cmp_eq_u32_sdwa s[24:25], v34, v3 src0_sel:WORD_0 src1_sel:DWORD
	s_nop 1
	v_cndmask_b32_e64 v22, v22, v34, s[24:25]
; %bb.828:                              ;   in Loop: Header=BB21_708 Depth=3
	s_or_b64 exec, exec, s[40:41]
	v_and_b32_e32 v34, 0xffff0000, v18
	v_lshlrev_b32_e32 v35, 16, v11
	v_max_f32_e32 v34, v34, v34
	v_max_f32_e32 v35, v35, v35
	v_min_f32_e32 v82, v34, v35
	v_max_f32_e32 v34, v34, v35
	v_cndmask_b32_e32 v35, v34, v82, vcc
	v_and_b32_e32 v34, 0x7f800000, v35
	v_cmp_ne_u32_e64 s[24:25], s70, v34
                                        ; implicit-def: $vgpr34
	s_and_saveexec_b64 s[40:41], s[24:25]
	s_xor_b64 s[24:25], exec, s[40:41]
; %bb.829:                              ;   in Loop: Header=BB21_708 Depth=3
	v_bfe_u32 v34, v35, 16, 1
	v_add3_u32 v34, v35, v34, s71
                                        ; implicit-def: $vgpr35
; %bb.830:                              ;   in Loop: Header=BB21_708 Depth=3
	s_andn2_saveexec_b64 s[40:41], s[24:25]
; %bb.831:                              ;   in Loop: Header=BB21_708 Depth=3
	v_or_b32_e32 v34, 0x10000, v35
	v_cmp_eq_u32_sdwa s[24:25], v35, v3 src0_sel:WORD_0 src1_sel:DWORD
	s_nop 1
	v_cndmask_b32_e64 v34, v34, v35, s[24:25]
; %bb.832:                              ;   in Loop: Header=BB21_708 Depth=3
	s_or_b64 exec, exec, s[40:41]
	v_and_b32_e32 v35, 0xffff0000, v11
	v_and_b32_e32 v11, 0xffff0000, v19
	v_max_f32_e32 v19, v35, v35
	v_max_f32_e32 v35, v11, v11
	v_min_f32_e32 v82, v35, v19
	v_max_f32_e32 v19, v35, v19
	v_cndmask_b32_e32 v35, v19, v82, vcc
	v_and_b32_e32 v19, 0x7f800000, v35
	v_cmp_ne_u32_e64 s[24:25], s70, v19
                                        ; implicit-def: $vgpr19
	s_and_saveexec_b64 s[40:41], s[24:25]
	s_xor_b64 s[24:25], exec, s[40:41]
; %bb.833:                              ;   in Loop: Header=BB21_708 Depth=3
	v_bfe_u32 v19, v35, 16, 1
	v_add3_u32 v19, v35, v19, s71
                                        ; implicit-def: $vgpr35
; %bb.834:                              ;   in Loop: Header=BB21_708 Depth=3
	s_andn2_saveexec_b64 s[40:41], s[24:25]
	s_cbranch_execz .LBB21_707
; %bb.835:                              ;   in Loop: Header=BB21_708 Depth=3
	v_or_b32_e32 v19, 0x10000, v35
	v_cmp_eq_u32_sdwa s[24:25], v35, v3 src0_sel:WORD_0 src1_sel:DWORD
	s_nop 1
	v_cndmask_b32_e64 v19, v19, v35, s[24:25]
	s_branch .LBB21_707
.LBB21_836:                             ;   in Loop: Header=BB21_623 Depth=2
	s_or_b64 exec, exec, s[28:29]
.LBB21_837:                             ;   in Loop: Header=BB21_623 Depth=2
	s_or_b64 exec, exec, s[26:27]
	v_lshlrev_b32_e32 v34, 11, v121
	v_cmp_ne_u32_e32 vcc, v39, v34
	s_mov_b64 s[24:25], 0
	v_mov_b32_e32 v18, 0
                                        ; implicit-def: $vgpr19
	s_and_saveexec_b64 s[52:53], vcc
	s_cbranch_execz .LBB21_877
; %bb.838:                              ;   in Loop: Header=BB21_623 Depth=2
	v_lshlrev_b32_e32 v2, 6, v2
	v_sub_u32_e32 v2, v105, v2
	v_ashrrev_i32_e32 v9, 31, v2
	v_lshrrev_b32_e32 v9, 26, v9
	v_add_u32_e32 v9, v2, v9
	v_sub_u32_e32 v8, v39, v34
	v_ashrrev_i32_e32 v10, 6, v9
	v_and_b32_e32 v9, 0xffffffc0, v9
	v_sub_u32_e32 v35, v2, v9
	v_ashrrev_i32_e32 v9, 31, v8
	v_lshrrev_b32_e32 v9, 22, v9
	v_add_u32_e32 v9, v8, v9
	v_and_b32_e32 v78, 0xfffffc00, v9
	v_lshlrev_b32_e32 v2, 4, v35
	v_sub_u32_e32 v79, v8, v78
	v_lshl_add_u32 v2, v10, 10, v2
	v_ashrrev_i32_e32 v11, 10, v9
	v_cmp_lt_i32_e64 s[24:25], 15, v79
	v_sub_u32_e32 v89, v8, v2
	s_nop 0
	v_addc_co_u32_e64 v8, vcc, 0, v11, s[24:25]
	v_sub_u32_e32 v88, v8, v10
	v_cmp_lt_i32_e32 vcc, 15, v89
	s_and_saveexec_b64 s[54:55], vcc
	s_cbranch_execz .LBB21_876
; %bb.839:                              ;   in Loop: Header=BB21_623 Depth=2
	s_trap 2
	ds_read_b64 v[10:11], v0
	v_add_u32_e32 v8, v2, v34
	s_and_b32 s74, s98, 1
	v_ashrrev_i32_e32 v9, 31, v8
	s_cmp_eq_u64 s[74:75], 0
	s_waitcnt lgkmcnt(0)
	v_lshl_add_u64 v[20:21], v[8:9], 0, v[76:77]
	v_lshl_add_u64 v[22:23], v[8:9], 0, v[50:51]
	;; [unrolled: 1-line block ×5, first 2 shown]
	s_mov_b64 s[64:65], 0
	s_cselect_b64 s[26:27], -1, 0
.LBB21_840:                             ;   Parent Loop BB21_47 Depth=1
                                        ;     Parent Loop BB21_623 Depth=2
                                        ; =>    This Loop Header: Depth=3
                                        ;         Child Loop BB21_873 Depth 4
	global_load_dwordx4 v[12:15], v[32:33], off nt
	global_load_dwordx4 v[16:19], v[26:27], off nt
	;; [unrolled: 1-line block ×3, first 2 shown]
	s_waitcnt vmcnt(0)
	v_lshlrev_b32_e32 v2, 16, v12
	v_lshlrev_b32_e32 v82, 16, v16
	v_max_f32_e32 v2, v2, v2
	v_max_f32_e32 v82, v82, v82
	v_min_f32_e32 v90, v82, v2
	v_max_f32_e32 v2, v82, v2
	v_cndmask_b32_e64 v2, v2, v90, s[26:27]
	v_and_b32_e32 v82, 0x7f800000, v2
	v_cmp_ne_u32_e32 vcc, s70, v82
                                        ; implicit-def: $vgpr90
	s_and_saveexec_b64 s[28:29], vcc
	s_xor_b64 s[28:29], exec, s[28:29]
; %bb.841:                              ;   in Loop: Header=BB21_840 Depth=3
	v_bfe_u32 v82, v2, 16, 1
	v_add3_u32 v90, v2, v82, s71
                                        ; implicit-def: $vgpr2
; %bb.842:                              ;   in Loop: Header=BB21_840 Depth=3
	s_andn2_saveexec_b64 s[28:29], s[28:29]
; %bb.843:                              ;   in Loop: Header=BB21_840 Depth=3
	v_or_b32_e32 v82, 0x10000, v2
	v_cmp_eq_u32_sdwa vcc, v2, v3 src0_sel:WORD_0 src1_sel:DWORD
	s_nop 1
	v_cndmask_b32_e32 v90, v82, v2, vcc
; %bb.844:                              ;   in Loop: Header=BB21_840 Depth=3
	s_or_b64 exec, exec, s[28:29]
	v_and_b32_e32 v2, 0xffff0000, v12
	v_and_b32_e32 v12, 0xffff0000, v16
	v_max_f32_e32 v2, v2, v2
	v_max_f32_e32 v12, v12, v12
	v_min_f32_e32 v16, v12, v2
	v_max_f32_e32 v2, v12, v2
	v_cndmask_b32_e64 v12, v2, v16, s[26:27]
	v_and_b32_e32 v2, 0x7f800000, v12
	v_cmp_ne_u32_e32 vcc, s70, v2
                                        ; implicit-def: $vgpr2
	s_and_saveexec_b64 s[28:29], vcc
	s_xor_b64 s[28:29], exec, s[28:29]
; %bb.845:                              ;   in Loop: Header=BB21_840 Depth=3
	v_bfe_u32 v2, v12, 16, 1
	v_add3_u32 v2, v12, v2, s71
                                        ; implicit-def: $vgpr12
; %bb.846:                              ;   in Loop: Header=BB21_840 Depth=3
	s_andn2_saveexec_b64 s[28:29], s[28:29]
; %bb.847:                              ;   in Loop: Header=BB21_840 Depth=3
	v_or_b32_e32 v2, 0x10000, v12
	v_cmp_eq_u32_sdwa vcc, v12, v3 src0_sel:WORD_0 src1_sel:DWORD
	s_nop 1
	v_cndmask_b32_e32 v2, v2, v12, vcc
; %bb.848:                              ;   in Loop: Header=BB21_840 Depth=3
	s_or_b64 exec, exec, s[28:29]
	v_lshlrev_b32_e32 v12, 16, v13
	v_lshlrev_b32_e32 v16, 16, v17
	v_max_f32_e32 v12, v12, v12
	v_max_f32_e32 v16, v16, v16
	v_min_f32_e32 v82, v16, v12
	v_max_f32_e32 v12, v16, v12
	v_cndmask_b32_e64 v12, v12, v82, s[26:27]
	v_and_b32_e32 v16, 0x7f800000, v12
	v_cmp_ne_u32_e32 vcc, s70, v16
                                        ; implicit-def: $vgpr16
	s_and_saveexec_b64 s[28:29], vcc
	s_xor_b64 s[28:29], exec, s[28:29]
; %bb.849:                              ;   in Loop: Header=BB21_840 Depth=3
	v_bfe_u32 v16, v12, 16, 1
	v_add3_u32 v16, v12, v16, s71
                                        ; implicit-def: $vgpr12
; %bb.850:                              ;   in Loop: Header=BB21_840 Depth=3
	s_andn2_saveexec_b64 s[28:29], s[28:29]
; %bb.851:                              ;   in Loop: Header=BB21_840 Depth=3
	v_or_b32_e32 v16, 0x10000, v12
	v_cmp_eq_u32_sdwa vcc, v12, v3 src0_sel:WORD_0 src1_sel:DWORD
	s_nop 1
	v_cndmask_b32_e32 v16, v16, v12, vcc
; %bb.852:                              ;   in Loop: Header=BB21_840 Depth=3
	s_or_b64 exec, exec, s[28:29]
	v_and_b32_e32 v12, 0xffff0000, v17
	v_and_b32_e32 v13, 0xffff0000, v13
	v_max_f32_e32 v13, v13, v13
	v_max_f32_e32 v12, v12, v12
	v_min_f32_e32 v17, v12, v13
	v_max_f32_e32 v12, v12, v13
	v_cndmask_b32_e64 v13, v12, v17, s[26:27]
	v_and_b32_e32 v12, 0x7f800000, v13
	v_cmp_ne_u32_e32 vcc, s70, v12
                                        ; implicit-def: $vgpr12
	s_and_saveexec_b64 s[28:29], vcc
	s_xor_b64 s[28:29], exec, s[28:29]
; %bb.853:                              ;   in Loop: Header=BB21_840 Depth=3
	v_bfe_u32 v12, v13, 16, 1
	v_add3_u32 v12, v13, v12, s71
                                        ; implicit-def: $vgpr13
; %bb.854:                              ;   in Loop: Header=BB21_840 Depth=3
	s_andn2_saveexec_b64 s[28:29], s[28:29]
; %bb.855:                              ;   in Loop: Header=BB21_840 Depth=3
	v_or_b32_e32 v12, 0x10000, v13
	v_cmp_eq_u32_sdwa vcc, v13, v3 src0_sel:WORD_0 src1_sel:DWORD
	s_nop 1
	v_cndmask_b32_e32 v12, v12, v13, vcc
; %bb.856:                              ;   in Loop: Header=BB21_840 Depth=3
	s_or_b64 exec, exec, s[28:29]
	v_lshlrev_b32_e32 v13, 16, v14
	v_lshlrev_b32_e32 v17, 16, v18
	v_max_f32_e32 v13, v13, v13
	v_max_f32_e32 v17, v17, v17
	v_min_f32_e32 v82, v17, v13
	v_max_f32_e32 v13, v17, v13
	v_cndmask_b32_e64 v13, v13, v82, s[26:27]
	v_and_b32_e32 v17, 0x7f800000, v13
	v_cmp_ne_u32_e32 vcc, s70, v17
                                        ; implicit-def: $vgpr17
	s_and_saveexec_b64 s[28:29], vcc
	s_xor_b64 s[28:29], exec, s[28:29]
; %bb.857:                              ;   in Loop: Header=BB21_840 Depth=3
	v_bfe_u32 v17, v13, 16, 1
	v_add3_u32 v17, v13, v17, s71
                                        ; implicit-def: $vgpr13
; %bb.858:                              ;   in Loop: Header=BB21_840 Depth=3
	s_andn2_saveexec_b64 s[28:29], s[28:29]
; %bb.859:                              ;   in Loop: Header=BB21_840 Depth=3
	v_or_b32_e32 v17, 0x10000, v13
	v_cmp_eq_u32_sdwa vcc, v13, v3 src0_sel:WORD_0 src1_sel:DWORD
	s_nop 1
	v_cndmask_b32_e32 v17, v17, v13, vcc
; %bb.860:                              ;   in Loop: Header=BB21_840 Depth=3
	s_or_b64 exec, exec, s[28:29]
	v_and_b32_e32 v13, 0xffff0000, v18
	v_and_b32_e32 v14, 0xffff0000, v14
	v_max_f32_e32 v14, v14, v14
	v_max_f32_e32 v13, v13, v13
	v_min_f32_e32 v18, v13, v14
	v_max_f32_e32 v13, v13, v14
	v_cndmask_b32_e64 v13, v13, v18, s[26:27]
	v_and_b32_e32 v14, 0x7f800000, v13
	v_cmp_ne_u32_e32 vcc, s70, v14
                                        ; implicit-def: $vgpr18
	s_and_saveexec_b64 s[28:29], vcc
	s_xor_b64 s[28:29], exec, s[28:29]
; %bb.861:                              ;   in Loop: Header=BB21_840 Depth=3
	v_bfe_u32 v14, v13, 16, 1
	v_add3_u32 v18, v13, v14, s71
                                        ; implicit-def: $vgpr13
; %bb.862:                              ;   in Loop: Header=BB21_840 Depth=3
	s_andn2_saveexec_b64 s[28:29], s[28:29]
; %bb.863:                              ;   in Loop: Header=BB21_840 Depth=3
	v_or_b32_e32 v14, 0x10000, v13
	v_cmp_eq_u32_sdwa vcc, v13, v3 src0_sel:WORD_0 src1_sel:DWORD
	s_nop 1
	v_cndmask_b32_e32 v18, v14, v13, vcc
; %bb.864:                              ;   in Loop: Header=BB21_840 Depth=3
	s_or_b64 exec, exec, s[28:29]
	v_lshlrev_b32_e32 v13, 16, v15
	v_lshlrev_b32_e32 v14, 16, v19
	v_max_f32_e32 v13, v13, v13
	v_max_f32_e32 v14, v14, v14
	v_min_f32_e32 v82, v14, v13
	v_max_f32_e32 v13, v14, v13
	v_cndmask_b32_e64 v13, v13, v82, s[26:27]
	v_and_b32_e32 v14, 0x7f800000, v13
	v_cmp_ne_u32_e32 vcc, s70, v14
                                        ; implicit-def: $vgpr14
	s_and_saveexec_b64 s[28:29], vcc
	s_xor_b64 s[28:29], exec, s[28:29]
; %bb.865:                              ;   in Loop: Header=BB21_840 Depth=3
	v_bfe_u32 v14, v13, 16, 1
	v_add3_u32 v14, v13, v14, s71
                                        ; implicit-def: $vgpr13
; %bb.866:                              ;   in Loop: Header=BB21_840 Depth=3
	s_andn2_saveexec_b64 s[28:29], s[28:29]
; %bb.867:                              ;   in Loop: Header=BB21_840 Depth=3
	v_or_b32_e32 v14, 0x10000, v13
	v_cmp_eq_u32_sdwa vcc, v13, v3 src0_sel:WORD_0 src1_sel:DWORD
	s_nop 1
	v_cndmask_b32_e32 v14, v14, v13, vcc
; %bb.868:                              ;   in Loop: Header=BB21_840 Depth=3
	s_or_b64 exec, exec, s[28:29]
	v_and_b32_e32 v13, 0xffff0000, v19
	v_and_b32_e32 v15, 0xffff0000, v15
	v_max_f32_e32 v15, v15, v15
	v_max_f32_e32 v13, v13, v13
	v_min_f32_e32 v19, v13, v15
	v_max_f32_e32 v13, v13, v15
	v_cndmask_b32_e64 v13, v13, v19, s[26:27]
	v_and_b32_e32 v15, 0x7f800000, v13
	v_cmp_ne_u32_e32 vcc, s70, v15
                                        ; implicit-def: $vgpr15
	s_and_saveexec_b64 s[28:29], vcc
	s_xor_b64 s[28:29], exec, s[28:29]
; %bb.869:                              ;   in Loop: Header=BB21_840 Depth=3
	v_bfe_u32 v15, v13, 16, 1
	v_add3_u32 v15, v13, v15, s71
                                        ; implicit-def: $vgpr13
; %bb.870:                              ;   in Loop: Header=BB21_840 Depth=3
	s_andn2_saveexec_b64 s[28:29], s[28:29]
; %bb.871:                              ;   in Loop: Header=BB21_840 Depth=3
	v_or_b32_e32 v15, 0x10000, v13
	v_cmp_eq_u32_sdwa vcc, v13, v3 src0_sel:WORD_0 src1_sel:DWORD
	s_nop 1
	v_cndmask_b32_e32 v15, v15, v13, vcc
; %bb.872:                              ;   in Loop: Header=BB21_840 Depth=3
	s_or_b64 exec, exec, s[28:29]
	v_and_b32_e32 v82, 0xffff0000, v2
	v_or_b32_sdwa v2, v82, v90 dst_sel:DWORD dst_unused:UNUSED_PAD src0_sel:DWORD src1_sel:WORD_1
	v_and_b32_e32 v92, 0xffff0000, v8
	v_and_b32_e32 v90, 0xffff0000, v90
	v_lshlrev_b32_e32 v8, 16, v8
	v_max_f32_e32 v90, v90, v90
	v_max_f32_e32 v8, v8, v8
	v_min_f32_e32 v93, v90, v8
	v_max_f32_e32 v8, v90, v8
	v_cndmask_b32_e64 v8, v8, v93, s[26:27]
	v_and_b32_e32 v90, 0x7f800000, v8
	v_cmp_eq_u32_e32 vcc, s70, v90
	v_bfe_u32 v90, v8, 16, 1
	v_cmp_eq_u32_sdwa s[28:29], v8, v3 src0_sel:WORD_0 src1_sel:DWORD
	v_or_b32_e32 v93, 0x10000, v8
	v_max_f32_e32 v82, v82, v82
	v_max_f32_e32 v92, v92, v92
	v_add3_u32 v90, v8, v90, s71
	v_cndmask_b32_e64 v8, v93, v8, s[28:29]
	v_min_f32_e32 v93, v82, v92
	v_max_f32_e32 v82, v82, v92
	v_cndmask_b32_e64 v82, v82, v93, s[26:27]
	v_and_b32_e32 v92, 0x7f800000, v82
	v_and_b32_e32 v19, 0xffff0000, v12
	v_cmp_eq_u32_e64 s[28:29], s70, v92
	v_bfe_u32 v92, v82, 16, 1
	v_cmp_eq_u32_sdwa s[40:41], v82, v3 src0_sel:WORD_0 src1_sel:DWORD
	v_or_b32_e32 v93, 0x10000, v82
	v_or_b32_sdwa v13, v19, v16 dst_sel:DWORD dst_unused:UNUSED_PAD src0_sel:DWORD src1_sel:WORD_1
	v_add3_u32 v92, v82, v92, s71
	v_cndmask_b32_e64 v82, v93, v82, s[40:41]
	v_and_b32_e32 v93, 0xffff0000, v9
	v_and_b32_e32 v16, 0xffff0000, v16
	v_lshlrev_b32_e32 v9, 16, v9
	v_max_f32_e32 v16, v16, v16
	v_max_f32_e32 v9, v9, v9
	v_min_f32_e32 v94, v16, v9
	v_max_f32_e32 v9, v16, v9
	v_cndmask_b32_e64 v9, v9, v94, s[26:27]
	v_and_b32_e32 v16, 0x7f800000, v9
	v_cmp_eq_u32_e64 s[40:41], s70, v16
	v_bfe_u32 v16, v9, 16, 1
	v_cmp_eq_u32_sdwa s[42:43], v9, v3 src0_sel:WORD_0 src1_sel:DWORD
	v_or_b32_e32 v94, 0x10000, v9
	v_max_f32_e32 v19, v19, v19
	v_max_f32_e32 v93, v93, v93
	v_add3_u32 v16, v9, v16, s71
	v_cndmask_b32_e64 v9, v94, v9, s[42:43]
	v_min_f32_e32 v94, v19, v93
	v_max_f32_e32 v19, v19, v93
	v_cndmask_b32_e64 v19, v19, v94, s[26:27]
	v_and_b32_e32 v93, 0x7f800000, v19
	v_and_b32_e32 v18, 0xffff0000, v18
	v_cmp_eq_u32_e64 s[42:43], s70, v93
	v_bfe_u32 v93, v19, 16, 1
	v_cmp_eq_u32_sdwa s[44:45], v19, v3 src0_sel:WORD_0 src1_sel:DWORD
	v_or_b32_e32 v94, 0x10000, v19
	v_or_b32_sdwa v12, v18, v17 dst_sel:DWORD dst_unused:UNUSED_PAD src0_sel:DWORD src1_sel:WORD_1
	v_add3_u32 v93, v19, v93, s71
	v_cndmask_b32_e64 v19, v94, v19, s[44:45]
	v_and_b32_e32 v94, 0xffff0000, v10
	v_and_b32_e32 v17, 0xffff0000, v17
	v_lshlrev_b32_e32 v10, 16, v10
	v_max_f32_e32 v17, v17, v17
	v_max_f32_e32 v10, v10, v10
	v_min_f32_e32 v95, v17, v10
	v_max_f32_e32 v10, v17, v10
	v_cndmask_b32_e64 v10, v10, v95, s[26:27]
	v_and_b32_e32 v17, 0x7f800000, v10
	v_cmp_eq_u32_e64 s[44:45], s70, v17
	;; [unrolled: 29-line block ×3, first 2 shown]
	v_bfe_u32 v14, v11, 16, 1
	v_cmp_eq_u32_sdwa s[58:59], v11, v3 src0_sel:WORD_0 src1_sel:DWORD
	v_or_b32_e32 v121, 0x10000, v11
	v_max_f32_e32 v91, v91, v91
	v_max_f32_e32 v95, v95, v95
	v_add3_u32 v14, v11, v14, s71
	v_cndmask_b32_e64 v11, v121, v11, s[58:59]
	v_min_f32_e32 v121, v91, v95
	v_max_f32_e32 v91, v91, v95
	v_cndmask_b32_e64 v91, v91, v121, s[26:27]
	v_and_b32_e32 v95, 0x7f800000, v91
	v_cmp_eq_u32_e64 s[58:59], s70, v95
	v_bfe_u32 v95, v91, 16, 1
	v_cmp_eq_u32_sdwa s[60:61], v91, v3 src0_sel:WORD_0 src1_sel:DWORD
	v_or_b32_e32 v121, 0x10000, v91
	v_add3_u32 v95, v91, v95, s71
	v_cndmask_b32_e64 v91, v121, v91, s[60:61]
	v_cndmask_b32_e32 v8, v90, v8, vcc
	v_cndmask_b32_e64 v9, v16, v9, s[40:41]
	v_cndmask_b32_e64 v10, v17, v10, s[44:45]
	;; [unrolled: 1-line block ×7, first 2 shown]
	v_lshrrev_b32_e32 v9, 16, v9
	v_lshrrev_b32_e32 v8, 16, v8
	;; [unrolled: 1-line block ×4, first 2 shown]
	v_and_or_b32 v9, v16, s80, v9
	v_and_or_b32 v8, v82, s80, v8
	;; [unrolled: 1-line block ×4, first 2 shown]
	s_mov_b64 s[44:45], 0
	s_mov_b64 s[42:43], -1
.LBB21_873:                             ;   Parent Loop BB21_47 Depth=1
                                        ;     Parent Loop BB21_623 Depth=2
                                        ;       Parent Loop BB21_840 Depth=3
                                        ; =>      This Inner Loop Header: Depth=4
	v_cndmask_b32_e64 v14, 0, 1, s[42:43]
	s_cmp_eq_u32 s44, 1
	v_cmp_ne_u32_e32 vcc, 1, v14
	s_cselect_b64 s[28:29], -1, 0
	v_cndmask_b32_e64 v17, v13, v9, s[42:43]
	v_cndmask_b32_e64 v16, v2, v8, s[42:43]
	;; [unrolled: 1-line block ×4, first 2 shown]
	v_cndmask_b32_e32 v91, v23, v25, vcc
	v_cndmask_b32_e64 v93, v23, v25, s[28:29]
	s_cmp_eq_u32 s44, 0
	v_cndmask_b32_e32 v90, v22, v24, vcc
	v_cndmask_b32_e64 v92, v22, v24, s[28:29]
	global_store_dwordx4 v[90:91], v[16:19], off
	s_cselect_b64 vcc, -1, 0
	s_and_b64 s[40:41], exec, s[42:43]
	v_lshl_add_u64 v[16:17], v[92:93], 0, s[88:89]
	s_mov_b64 s[44:45], 1
	s_mov_b64 s[42:43], 0
	v_cndmask_b32_e64 v25, v25, v17, s[28:29]
	v_cndmask_b32_e64 v24, v24, v16, s[28:29]
	v_cndmask_b32_e32 v23, v23, v17, vcc
	v_cndmask_b32_e32 v22, v22, v16, vcc
	s_mov_b64 vcc, s[40:41]
	s_cbranch_vccnz .LBB21_873
; %bb.874:                              ;   in Loop: Header=BB21_840 Depth=3
	v_sub_u32_e32 v89, v89, v100
	v_cmp_gt_i32_e32 vcc, 16, v89
	v_lshl_add_u64 v[26:27], v[26:27], 0, v[44:45]
	v_lshl_add_u64 v[32:33], v[32:33], 0, v[44:45]
	;; [unrolled: 1-line block ×5, first 2 shown]
	s_or_b64 s[64:65], vcc, s[64:65]
	v_sub_u32_e32 v88, v88, v84
	s_andn2_b64 exec, exec, s[64:65]
	s_cbranch_execnz .LBB21_840
; %bb.875:                              ;   in Loop: Header=BB21_623 Depth=2
	s_or_b64 exec, exec, s[64:65]
.LBB21_876:                             ;   in Loop: Header=BB21_623 Depth=2
	s_or_b64 exec, exec, s[54:55]
	v_and_b32_e32 v2, 14, v39
	v_cmp_lt_i32_e32 vcc, 0, v88
	v_sub_u32_e32 v8, v79, v2
	v_cndmask_b32_e64 v39, v79, v2, s[24:25]
	v_cndmask_b32_e32 v2, 0, v84, vcc
	v_cndmask_b32_e64 v8, 0, v8, s[24:25]
	v_sub_u32_e32 v2, v2, v88
	v_cmp_ne_u32_e32 vcc, 0, v39
	v_add3_u32 v18, v78, v34, v8
	v_lshl_add_u32 v19, v2, 6, v35
	s_and_b64 s[24:25], vcc, exec
.LBB21_877:                             ;   in Loop: Header=BB21_623 Depth=2
	s_or_b64 exec, exec, s[52:53]
	s_and_saveexec_b64 s[40:41], s[24:25]
	s_cbranch_execz .LBB21_956
.LBB21_878:                             ;   in Loop: Header=BB21_623 Depth=2
	v_ashrrev_i32_e32 v2, 31, v19
	v_ashrrev_i32_e32 v9, 31, v39
	v_lshrrev_b32_e32 v2, 26, v2
	v_lshrrev_b32_e32 v9, 22, v9
	v_add_u32_e32 v8, v19, v2
	v_add_u32_e32 v9, v39, v9
	v_ashrrev_i32_e32 v2, 6, v8
	v_ashrrev_i32_e32 v21, 10, v9
	v_sub_u32_e32 v20, v21, v2
	v_cmp_lt_i32_e32 vcc, 0, v20
	s_and_saveexec_b64 s[26:27], vcc
	s_cbranch_execz .LBB21_946
; %bb.879:                              ;   in Loop: Header=BB21_623 Depth=2
	v_and_b32_e32 v8, 0x7fffffc0, v8
	s_trap 2
	ds_read_b64 v[14:15], v0
	v_sub_u32_e32 v8, v19, v8
	v_lshlrev_b32_e32 v8, 1, v8
	v_lshlrev_b32_e32 v9, 10, v2
	v_add3_u32 v16, v8, v18, v9
	s_and_b32 s74, s98, 1
	v_ashrrev_i32_e32 v17, 31, v16
	s_cmp_eq_u64 s[74:75], 0
	s_waitcnt lgkmcnt(0)
	v_lshl_add_u64 v[22:23], v[76:77], 0, s[36:37]
	v_lshl_add_u64 v[8:9], v[16:17], 0, v[50:51]
	;; [unrolled: 1-line block ×5, first 2 shown]
	s_mov_b64 s[28:29], 0
	s_cselect_b64 s[24:25], -1, 0
	v_lshl_add_u64 v[16:17], v[22:23], 0, v[16:17]
	s_branch .LBB21_881
.LBB21_880:                             ;   in Loop: Header=BB21_881 Depth=3
	s_or_b64 exec, exec, s[42:43]
	v_sub_u32_e32 v20, v20, v84
	v_cmp_gt_i32_e32 vcc, 1, v20
	flat_store_short_d16_hi v[8:9], v23 offset:896 nt
	flat_store_short_d16_hi v[10:11], v25 nt
	flat_store_short_d16_hi v[10:11], v27 offset:128 nt
	flat_store_short_d16_hi v[10:11], v33 offset:256 nt
	;; [unrolled: 1-line block ×7, first 2 shown]
	v_lshl_add_u64 v[12:13], v[12:13], 0, v[100:101]
	v_lshl_add_u64 v[14:15], v[14:15], 0, v[100:101]
	;; [unrolled: 1-line block ×4, first 2 shown]
	s_or_b64 s[28:29], vcc, s[28:29]
	v_lshl_add_u64 v[16:17], v[16:17], 0, v[100:101]
	s_andn2_b64 exec, exec, s[28:29]
	s_cbranch_execz .LBB21_945
.LBB21_881:                             ;   Parent Loop BB21_47 Depth=1
                                        ;     Parent Loop BB21_623 Depth=2
                                        ; =>    This Inner Loop Header: Depth=3
	v_add_co_u32_e32 v22, vcc, 0xfffffc80, v16
	s_nop 1
	v_addc_co_u32_e32 v23, vcc, -1, v17, vcc
	flat_load_ushort v79, v[22:23] nt
	flat_load_ushort v27, v[12:13] offset:128 nt
	v_add_co_u32_e32 v22, vcc, 0xfffffd00, v16
	s_nop 1
	v_addc_co_u32_e32 v23, vcc, -1, v17, vcc
	flat_load_ushort v78, v[22:23] nt
	flat_load_ushort v33, v[12:13] offset:256 nt
	;; [unrolled: 5-line block ×6, first 2 shown]
	v_add_co_u32_e32 v22, vcc, s68, v16
	s_nop 1
	v_addc_co_u32_e32 v23, vcc, -1, v17, vcc
	flat_load_ushort v23, v[22:23] nt
	s_nop 0
	flat_load_ushort v91, v[12:13] offset:896 nt
	flat_load_ushort v22, v[16:17] nt
	flat_load_ushort v123, v[14:15] offset:128 nt
	flat_load_ushort v122, v[14:15] offset:256 nt
	;; [unrolled: 1-line block ×7, first 2 shown]
	flat_load_ushort v25, v[12:13] nt
	flat_load_ushort v82, v[14:15] nt
	s_waitcnt vmcnt(0) lgkmcnt(0)
	v_lshlrev_b32_e32 v25, 16, v25
	v_lshlrev_b32_e32 v82, 16, v82
	v_max_f32_e32 v82, v82, v82
	v_max_f32_e32 v25, v25, v25
	v_min_f32_e32 v124, v25, v82
	v_max_f32_e32 v25, v25, v82
	v_cndmask_b32_e64 v124, v25, v124, s[24:25]
	v_and_b32_e32 v25, 0x7f800000, v124
	v_cmp_ne_u32_e32 vcc, s70, v25
                                        ; implicit-def: $vgpr25
	s_and_saveexec_b64 s[42:43], vcc
	s_xor_b64 s[42:43], exec, s[42:43]
; %bb.882:                              ;   in Loop: Header=BB21_881 Depth=3
	v_bfe_u32 v25, v124, 16, 1
	v_add3_u32 v25, v124, v25, s71
                                        ; implicit-def: $vgpr124
; %bb.883:                              ;   in Loop: Header=BB21_881 Depth=3
	s_andn2_saveexec_b64 s[42:43], s[42:43]
; %bb.884:                              ;   in Loop: Header=BB21_881 Depth=3
	v_or_b32_e32 v25, 0x10000, v124
	v_cmp_eq_u32_sdwa vcc, v124, v3 src0_sel:WORD_0 src1_sel:DWORD
	s_nop 1
	v_cndmask_b32_e32 v25, v25, v124, vcc
; %bb.885:                              ;   in Loop: Header=BB21_881 Depth=3
	s_or_b64 exec, exec, s[42:43]
	v_lshlrev_b32_e32 v27, 16, v27
	v_lshlrev_b32_e32 v82, 16, v123
	v_max_f32_e32 v82, v82, v82
	v_max_f32_e32 v27, v27, v27
	v_min_f32_e32 v123, v27, v82
	v_max_f32_e32 v27, v27, v82
	v_cndmask_b32_e64 v123, v27, v123, s[24:25]
	v_and_b32_e32 v27, 0x7f800000, v123
	v_cmp_ne_u32_e32 vcc, s70, v27
                                        ; implicit-def: $vgpr27
	s_and_saveexec_b64 s[42:43], vcc
	s_xor_b64 s[42:43], exec, s[42:43]
; %bb.886:                              ;   in Loop: Header=BB21_881 Depth=3
	v_bfe_u32 v27, v123, 16, 1
	v_add3_u32 v27, v123, v27, s71
                                        ; implicit-def: $vgpr123
; %bb.887:                              ;   in Loop: Header=BB21_881 Depth=3
	s_andn2_saveexec_b64 s[42:43], s[42:43]
; %bb.888:                              ;   in Loop: Header=BB21_881 Depth=3
	v_or_b32_e32 v27, 0x10000, v123
	v_cmp_eq_u32_sdwa vcc, v123, v3 src0_sel:WORD_0 src1_sel:DWORD
	s_nop 1
	v_cndmask_b32_e32 v27, v27, v123, vcc
; %bb.889:                              ;   in Loop: Header=BB21_881 Depth=3
	s_or_b64 exec, exec, s[42:43]
	v_lshlrev_b32_e32 v33, 16, v33
	v_lshlrev_b32_e32 v82, 16, v122
	v_max_f32_e32 v82, v82, v82
	v_max_f32_e32 v33, v33, v33
	v_min_f32_e32 v122, v33, v82
	v_max_f32_e32 v33, v33, v82
	v_cndmask_b32_e64 v122, v33, v122, s[24:25]
	v_and_b32_e32 v33, 0x7f800000, v122
	v_cmp_ne_u32_e32 vcc, s70, v33
                                        ; implicit-def: $vgpr33
	s_and_saveexec_b64 s[42:43], vcc
	s_xor_b64 s[42:43], exec, s[42:43]
; %bb.890:                              ;   in Loop: Header=BB21_881 Depth=3
	v_bfe_u32 v33, v122, 16, 1
	v_add3_u32 v33, v122, v33, s71
                                        ; implicit-def: $vgpr122
; %bb.891:                              ;   in Loop: Header=BB21_881 Depth=3
	s_andn2_saveexec_b64 s[42:43], s[42:43]
; %bb.892:                              ;   in Loop: Header=BB21_881 Depth=3
	v_or_b32_e32 v33, 0x10000, v122
	v_cmp_eq_u32_sdwa vcc, v122, v3 src0_sel:WORD_0 src1_sel:DWORD
	s_nop 1
	v_cndmask_b32_e32 v33, v33, v122, vcc
; %bb.893:                              ;   in Loop: Header=BB21_881 Depth=3
	s_or_b64 exec, exec, s[42:43]
	v_lshlrev_b32_e32 v35, 16, v35
	v_lshlrev_b32_e32 v82, 16, v121
	v_max_f32_e32 v82, v82, v82
	v_max_f32_e32 v35, v35, v35
	v_min_f32_e32 v121, v35, v82
	v_max_f32_e32 v35, v35, v82
	v_cndmask_b32_e64 v121, v35, v121, s[24:25]
	v_and_b32_e32 v35, 0x7f800000, v121
	v_cmp_ne_u32_e32 vcc, s70, v35
                                        ; implicit-def: $vgpr35
	s_and_saveexec_b64 s[42:43], vcc
	s_xor_b64 s[42:43], exec, s[42:43]
; %bb.894:                              ;   in Loop: Header=BB21_881 Depth=3
	v_bfe_u32 v35, v121, 16, 1
	v_add3_u32 v35, v121, v35, s71
                                        ; implicit-def: $vgpr121
; %bb.895:                              ;   in Loop: Header=BB21_881 Depth=3
	s_andn2_saveexec_b64 s[42:43], s[42:43]
; %bb.896:                              ;   in Loop: Header=BB21_881 Depth=3
	v_or_b32_e32 v35, 0x10000, v121
	v_cmp_eq_u32_sdwa vcc, v121, v3 src0_sel:WORD_0 src1_sel:DWORD
	s_nop 1
	v_cndmask_b32_e32 v35, v35, v121, vcc
; %bb.897:                              ;   in Loop: Header=BB21_881 Depth=3
	s_or_b64 exec, exec, s[42:43]
	v_lshlrev_b32_e32 v82, 16, v88
	v_lshlrev_b32_e32 v88, 16, v95
	v_max_f32_e32 v88, v88, v88
	v_max_f32_e32 v82, v82, v82
	v_min_f32_e32 v95, v82, v88
	v_max_f32_e32 v82, v82, v88
	v_cndmask_b32_e64 v95, v82, v95, s[24:25]
	v_and_b32_e32 v82, 0x7f800000, v95
	v_cmp_ne_u32_e32 vcc, s70, v82
                                        ; implicit-def: $vgpr88
	s_and_saveexec_b64 s[42:43], vcc
	s_xor_b64 s[42:43], exec, s[42:43]
; %bb.898:                              ;   in Loop: Header=BB21_881 Depth=3
	v_bfe_u32 v82, v95, 16, 1
	v_add3_u32 v88, v95, v82, s71
                                        ; implicit-def: $vgpr95
; %bb.899:                              ;   in Loop: Header=BB21_881 Depth=3
	s_andn2_saveexec_b64 s[42:43], s[42:43]
; %bb.900:                              ;   in Loop: Header=BB21_881 Depth=3
	v_or_b32_e32 v82, 0x10000, v95
	v_cmp_eq_u32_sdwa vcc, v95, v3 src0_sel:WORD_0 src1_sel:DWORD
	s_nop 1
	v_cndmask_b32_e32 v88, v82, v95, vcc
; %bb.901:                              ;   in Loop: Header=BB21_881 Depth=3
	s_or_b64 exec, exec, s[42:43]
	v_lshlrev_b32_e32 v82, 16, v89
	v_lshlrev_b32_e32 v89, 16, v94
	v_max_f32_e32 v89, v89, v89
	v_max_f32_e32 v82, v82, v82
	v_min_f32_e32 v94, v82, v89
	v_max_f32_e32 v82, v82, v89
	v_cndmask_b32_e64 v94, v82, v94, s[24:25]
	v_and_b32_e32 v82, 0x7f800000, v94
	v_cmp_ne_u32_e32 vcc, s70, v82
                                        ; implicit-def: $vgpr89
	s_and_saveexec_b64 s[42:43], vcc
	s_xor_b64 s[42:43], exec, s[42:43]
; %bb.902:                              ;   in Loop: Header=BB21_881 Depth=3
	v_bfe_u32 v82, v94, 16, 1
	v_add3_u32 v89, v94, v82, s71
                                        ; implicit-def: $vgpr94
; %bb.903:                              ;   in Loop: Header=BB21_881 Depth=3
	s_andn2_saveexec_b64 s[42:43], s[42:43]
; %bb.904:                              ;   in Loop: Header=BB21_881 Depth=3
	v_or_b32_e32 v82, 0x10000, v94
	v_cmp_eq_u32_sdwa vcc, v94, v3 src0_sel:WORD_0 src1_sel:DWORD
	s_nop 1
	v_cndmask_b32_e32 v89, v82, v94, vcc
; %bb.905:                              ;   in Loop: Header=BB21_881 Depth=3
	s_or_b64 exec, exec, s[42:43]
	v_lshlrev_b32_e32 v82, 16, v90
	v_lshlrev_b32_e32 v90, 16, v93
	v_max_f32_e32 v90, v90, v90
	v_max_f32_e32 v82, v82, v82
	v_min_f32_e32 v93, v82, v90
	v_max_f32_e32 v82, v82, v90
	v_cndmask_b32_e64 v93, v82, v93, s[24:25]
	v_and_b32_e32 v82, 0x7f800000, v93
	v_cmp_ne_u32_e32 vcc, s70, v82
                                        ; implicit-def: $vgpr90
	s_and_saveexec_b64 s[42:43], vcc
	s_xor_b64 s[42:43], exec, s[42:43]
; %bb.906:                              ;   in Loop: Header=BB21_881 Depth=3
	v_bfe_u32 v82, v93, 16, 1
	v_add3_u32 v90, v93, v82, s71
                                        ; implicit-def: $vgpr93
; %bb.907:                              ;   in Loop: Header=BB21_881 Depth=3
	s_andn2_saveexec_b64 s[42:43], s[42:43]
; %bb.908:                              ;   in Loop: Header=BB21_881 Depth=3
	v_or_b32_e32 v82, 0x10000, v93
	v_cmp_eq_u32_sdwa vcc, v93, v3 src0_sel:WORD_0 src1_sel:DWORD
	s_nop 1
	v_cndmask_b32_e32 v90, v82, v93, vcc
; %bb.909:                              ;   in Loop: Header=BB21_881 Depth=3
	s_or_b64 exec, exec, s[42:43]
	v_lshlrev_b32_e32 v82, 16, v91
	v_lshlrev_b32_e32 v91, 16, v92
	v_max_f32_e32 v91, v91, v91
	v_max_f32_e32 v82, v82, v82
	v_min_f32_e32 v92, v82, v91
	v_max_f32_e32 v82, v82, v91
	v_cndmask_b32_e64 v92, v82, v92, s[24:25]
	v_and_b32_e32 v82, 0x7f800000, v92
	v_cmp_ne_u32_e32 vcc, s70, v82
                                        ; implicit-def: $vgpr91
	s_and_saveexec_b64 s[42:43], vcc
	s_xor_b64 s[42:43], exec, s[42:43]
; %bb.910:                              ;   in Loop: Header=BB21_881 Depth=3
	v_bfe_u32 v82, v92, 16, 1
	v_add3_u32 v91, v92, v82, s71
                                        ; implicit-def: $vgpr92
; %bb.911:                              ;   in Loop: Header=BB21_881 Depth=3
	s_andn2_saveexec_b64 s[42:43], s[42:43]
; %bb.912:                              ;   in Loop: Header=BB21_881 Depth=3
	v_or_b32_e32 v82, 0x10000, v92
	v_cmp_eq_u32_sdwa vcc, v92, v3 src0_sel:WORD_0 src1_sel:DWORD
	s_nop 1
	v_cndmask_b32_e32 v91, v82, v92, vcc
; %bb.913:                              ;   in Loop: Header=BB21_881 Depth=3
	s_or_b64 exec, exec, s[42:43]
	v_and_b32_e32 v82, 0xffff0000, v25
	v_lshlrev_b32_e32 v79, 16, v79
	v_max_f32_e32 v82, v82, v82
	v_max_f32_e32 v79, v79, v79
	v_min_f32_e32 v92, v82, v79
	v_max_f32_e32 v82, v82, v79
	v_cndmask_b32_e64 v79, v82, v92, s[24:25]
	v_and_b32_e32 v82, 0x7f800000, v79
	v_cmp_ne_u32_e32 vcc, s70, v82
                                        ; implicit-def: $vgpr92
	s_and_saveexec_b64 s[42:43], vcc
	s_xor_b64 s[42:43], exec, s[42:43]
; %bb.914:                              ;   in Loop: Header=BB21_881 Depth=3
	v_bfe_u32 v82, v79, 16, 1
	v_add3_u32 v92, v79, v82, s71
                                        ; implicit-def: $vgpr79
; %bb.915:                              ;   in Loop: Header=BB21_881 Depth=3
	s_andn2_saveexec_b64 s[42:43], s[42:43]
; %bb.916:                              ;   in Loop: Header=BB21_881 Depth=3
	v_or_b32_e32 v82, 0x10000, v79
	v_cmp_eq_u32_sdwa vcc, v79, v3 src0_sel:WORD_0 src1_sel:DWORD
	s_nop 1
	v_cndmask_b32_e32 v92, v82, v79, vcc
; %bb.917:                              ;   in Loop: Header=BB21_881 Depth=3
	s_or_b64 exec, exec, s[42:43]
	v_and_b32_e32 v82, 0xffff0000, v27
	v_lshlrev_b32_e32 v78, 16, v78
	v_max_f32_e32 v82, v82, v82
	v_max_f32_e32 v78, v78, v78
	v_min_f32_e32 v79, v82, v78
	v_max_f32_e32 v82, v82, v78
	v_cndmask_b32_e64 v78, v82, v79, s[24:25]
	v_and_b32_e32 v82, 0x7f800000, v78
	v_cmp_ne_u32_e32 vcc, s70, v82
	flat_store_short_d16_hi v[8:9], v92 nt
                                        ; implicit-def: $vgpr79
	s_and_saveexec_b64 s[42:43], vcc
	s_xor_b64 s[42:43], exec, s[42:43]
; %bb.918:                              ;   in Loop: Header=BB21_881 Depth=3
	v_bfe_u32 v82, v78, 16, 1
	v_add3_u32 v79, v78, v82, s71
                                        ; implicit-def: $vgpr78
; %bb.919:                              ;   in Loop: Header=BB21_881 Depth=3
	s_andn2_saveexec_b64 s[42:43], s[42:43]
; %bb.920:                              ;   in Loop: Header=BB21_881 Depth=3
	v_or_b32_e32 v82, 0x10000, v78
	v_cmp_eq_u32_sdwa vcc, v78, v3 src0_sel:WORD_0 src1_sel:DWORD
	s_nop 1
	v_cndmask_b32_e32 v79, v82, v78, vcc
; %bb.921:                              ;   in Loop: Header=BB21_881 Depth=3
	s_or_b64 exec, exec, s[42:43]
	v_and_b32_e32 v82, 0xffff0000, v33
	v_lshlrev_b32_e32 v34, 16, v34
	v_max_f32_e32 v82, v82, v82
	v_max_f32_e32 v34, v34, v34
	v_min_f32_e32 v78, v82, v34
	v_max_f32_e32 v34, v82, v34
	v_cndmask_b32_e64 v34, v34, v78, s[24:25]
	v_and_b32_e32 v82, 0x7f800000, v34
	v_cmp_ne_u32_e32 vcc, s70, v82
	flat_store_short_d16_hi v[8:9], v79 offset:128 nt
                                        ; implicit-def: $vgpr78
	s_and_saveexec_b64 s[42:43], vcc
	s_xor_b64 s[42:43], exec, s[42:43]
; %bb.922:                              ;   in Loop: Header=BB21_881 Depth=3
	v_bfe_u32 v82, v34, 16, 1
	v_add3_u32 v78, v34, v82, s71
                                        ; implicit-def: $vgpr34
; %bb.923:                              ;   in Loop: Header=BB21_881 Depth=3
	s_andn2_saveexec_b64 s[42:43], s[42:43]
; %bb.924:                              ;   in Loop: Header=BB21_881 Depth=3
	v_or_b32_e32 v82, 0x10000, v34
	v_cmp_eq_u32_sdwa vcc, v34, v3 src0_sel:WORD_0 src1_sel:DWORD
	s_nop 1
	v_cndmask_b32_e32 v78, v82, v34, vcc
; %bb.925:                              ;   in Loop: Header=BB21_881 Depth=3
	s_or_b64 exec, exec, s[42:43]
	v_and_b32_e32 v34, 0xffff0000, v35
	v_lshlrev_b32_e32 v32, 16, v32
	v_max_f32_e32 v34, v34, v34
	v_max_f32_e32 v32, v32, v32
	v_min_f32_e32 v82, v34, v32
	v_max_f32_e32 v32, v34, v32
	v_cndmask_b32_e64 v32, v32, v82, s[24:25]
	v_and_b32_e32 v34, 0x7f800000, v32
	v_cmp_ne_u32_e32 vcc, s70, v34
	flat_store_short_d16_hi v[8:9], v78 offset:256 nt
                                        ; implicit-def: $vgpr34
	s_and_saveexec_b64 s[42:43], vcc
	s_xor_b64 s[42:43], exec, s[42:43]
; %bb.926:                              ;   in Loop: Header=BB21_881 Depth=3
	v_bfe_u32 v34, v32, 16, 1
	v_add3_u32 v34, v32, v34, s71
                                        ; implicit-def: $vgpr32
; %bb.927:                              ;   in Loop: Header=BB21_881 Depth=3
	s_andn2_saveexec_b64 s[42:43], s[42:43]
; %bb.928:                              ;   in Loop: Header=BB21_881 Depth=3
	v_or_b32_e32 v34, 0x10000, v32
	v_cmp_eq_u32_sdwa vcc, v32, v3 src0_sel:WORD_0 src1_sel:DWORD
	s_nop 1
	v_cndmask_b32_e32 v34, v34, v32, vcc
; %bb.929:                              ;   in Loop: Header=BB21_881 Depth=3
	s_or_b64 exec, exec, s[42:43]
	v_and_b32_e32 v32, 0xffff0000, v88
	v_lshlrev_b32_e32 v26, 16, v26
	v_max_f32_e32 v32, v32, v32
	v_max_f32_e32 v26, v26, v26
	flat_store_short_d16_hi v[8:9], v34 offset:384 nt
	v_min_f32_e32 v34, v32, v26
	v_max_f32_e32 v26, v32, v26
	v_cndmask_b32_e64 v26, v26, v34, s[24:25]
	v_and_b32_e32 v32, 0x7f800000, v26
	v_cmp_ne_u32_e32 vcc, s70, v32
                                        ; implicit-def: $vgpr32
	s_and_saveexec_b64 s[42:43], vcc
	s_xor_b64 s[42:43], exec, s[42:43]
; %bb.930:                              ;   in Loop: Header=BB21_881 Depth=3
	v_bfe_u32 v32, v26, 16, 1
	v_add3_u32 v32, v26, v32, s71
                                        ; implicit-def: $vgpr26
; %bb.931:                              ;   in Loop: Header=BB21_881 Depth=3
	s_andn2_saveexec_b64 s[42:43], s[42:43]
; %bb.932:                              ;   in Loop: Header=BB21_881 Depth=3
	v_or_b32_e32 v32, 0x10000, v26
	v_cmp_eq_u32_sdwa vcc, v26, v3 src0_sel:WORD_0 src1_sel:DWORD
	s_nop 1
	v_cndmask_b32_e32 v32, v32, v26, vcc
; %bb.933:                              ;   in Loop: Header=BB21_881 Depth=3
	s_or_b64 exec, exec, s[42:43]
	v_and_b32_e32 v26, 0xffff0000, v89
	v_lshlrev_b32_e32 v24, 16, v24
	v_max_f32_e32 v26, v26, v26
	v_max_f32_e32 v24, v24, v24
	flat_store_short_d16_hi v[8:9], v32 offset:512 nt
	v_min_f32_e32 v32, v26, v24
	v_max_f32_e32 v24, v26, v24
	v_cndmask_b32_e64 v24, v24, v32, s[24:25]
	v_and_b32_e32 v26, 0x7f800000, v24
	v_cmp_ne_u32_e32 vcc, s70, v26
                                        ; implicit-def: $vgpr26
	s_and_saveexec_b64 s[42:43], vcc
	s_xor_b64 s[42:43], exec, s[42:43]
; %bb.934:                              ;   in Loop: Header=BB21_881 Depth=3
	v_bfe_u32 v26, v24, 16, 1
	v_add3_u32 v26, v24, v26, s71
                                        ; implicit-def: $vgpr24
; %bb.935:                              ;   in Loop: Header=BB21_881 Depth=3
	s_andn2_saveexec_b64 s[42:43], s[42:43]
; %bb.936:                              ;   in Loop: Header=BB21_881 Depth=3
	v_or_b32_e32 v26, 0x10000, v24
	v_cmp_eq_u32_sdwa vcc, v24, v3 src0_sel:WORD_0 src1_sel:DWORD
	s_nop 1
	v_cndmask_b32_e32 v26, v26, v24, vcc
; %bb.937:                              ;   in Loop: Header=BB21_881 Depth=3
	s_or_b64 exec, exec, s[42:43]
	v_and_b32_e32 v24, 0xffff0000, v90
	v_lshlrev_b32_e32 v23, 16, v23
	v_max_f32_e32 v24, v24, v24
	v_max_f32_e32 v23, v23, v23
	flat_store_short_d16_hi v[8:9], v26 offset:640 nt
	v_min_f32_e32 v26, v24, v23
	v_max_f32_e32 v23, v24, v23
	v_cndmask_b32_e64 v23, v23, v26, s[24:25]
	v_and_b32_e32 v24, 0x7f800000, v23
	v_cmp_ne_u32_e32 vcc, s70, v24
                                        ; implicit-def: $vgpr24
	s_and_saveexec_b64 s[42:43], vcc
	s_xor_b64 s[42:43], exec, s[42:43]
; %bb.938:                              ;   in Loop: Header=BB21_881 Depth=3
	v_bfe_u32 v24, v23, 16, 1
	v_add3_u32 v24, v23, v24, s71
                                        ; implicit-def: $vgpr23
; %bb.939:                              ;   in Loop: Header=BB21_881 Depth=3
	s_andn2_saveexec_b64 s[42:43], s[42:43]
; %bb.940:                              ;   in Loop: Header=BB21_881 Depth=3
	v_or_b32_e32 v24, 0x10000, v23
	v_cmp_eq_u32_sdwa vcc, v23, v3 src0_sel:WORD_0 src1_sel:DWORD
	s_nop 1
	v_cndmask_b32_e32 v24, v24, v23, vcc
; %bb.941:                              ;   in Loop: Header=BB21_881 Depth=3
	s_or_b64 exec, exec, s[42:43]
	v_and_b32_e32 v23, 0xffff0000, v91
	v_lshlrev_b32_e32 v22, 16, v22
	v_max_f32_e32 v23, v23, v23
	v_max_f32_e32 v22, v22, v22
	flat_store_short_d16_hi v[8:9], v24 offset:768 nt
	v_min_f32_e32 v24, v23, v22
	v_max_f32_e32 v22, v23, v22
	v_cndmask_b32_e64 v22, v22, v24, s[24:25]
	v_and_b32_e32 v23, 0x7f800000, v22
	v_cmp_ne_u32_e32 vcc, s70, v23
                                        ; implicit-def: $vgpr23
	s_and_saveexec_b64 s[42:43], vcc
	s_xor_b64 s[42:43], exec, s[42:43]
; %bb.942:                              ;   in Loop: Header=BB21_881 Depth=3
	v_bfe_u32 v23, v22, 16, 1
	v_add3_u32 v23, v22, v23, s71
                                        ; implicit-def: $vgpr22
; %bb.943:                              ;   in Loop: Header=BB21_881 Depth=3
	s_andn2_saveexec_b64 s[42:43], s[42:43]
	s_cbranch_execz .LBB21_880
; %bb.944:                              ;   in Loop: Header=BB21_881 Depth=3
	v_or_b32_e32 v23, 0x10000, v22
	v_cmp_eq_u32_sdwa vcc, v22, v3 src0_sel:WORD_0 src1_sel:DWORD
	s_nop 1
	v_cndmask_b32_e32 v23, v23, v22, vcc
	s_branch .LBB21_880
.LBB21_945:                             ;   in Loop: Header=BB21_623 Depth=2
	s_or_b64 exec, exec, s[28:29]
.LBB21_946:                             ;   in Loop: Header=BB21_623 Depth=2
	s_or_b64 exec, exec, s[26:27]
	v_lshlrev_b32_e32 v8, 10, v21
	v_cmp_ne_u32_e32 vcc, v39, v8
	s_and_b64 exec, exec, vcc
	s_cbranch_execz .LBB21_956
; %bb.947:                              ;   in Loop: Header=BB21_623 Depth=2
	v_lshlrev_b32_e32 v2, 6, v2
	v_sub_u32_e32 v2, v19, v2
	v_lshlrev_b32_e32 v9, 6, v20
	v_sub_u32_e32 v2, v2, v9
	v_ashrrev_i32_e32 v9, 31, v2
	v_lshrrev_b32_e32 v9, 26, v9
	v_add_u32_e32 v9, v2, v9
	v_and_b32_e32 v10, 0x7fffffc0, v9
	v_sub_u32_e32 v2, v2, v10
	v_lshlrev_b32_e32 v9, 1, v9
	v_and_b32_e32 v9, 0xffffff80, v9
	v_lshlrev_b32_e32 v2, 1, v2
	v_add3_u32 v8, v9, v2, v8
	v_sub_u32_e32 v2, v39, v8
	v_cmp_lt_i32_e32 vcc, 1, v2
	s_and_b64 exec, exec, vcc
	s_cbranch_execz .LBB21_956
; %bb.948:                              ;   in Loop: Header=BB21_623 Depth=2
	v_add_u32_e32 v16, v8, v18
	s_trap 2
	ds_read_b64 v[18:19], v0
	s_and_b32 s74, s98, 1
	v_ashrrev_i32_e32 v17, 31, v16
	s_cmp_eq_u64 s[74:75], 0
	s_waitcnt lgkmcnt(0)
	v_lshl_add_u64 v[8:9], v[16:17], 0, v[76:77]
	v_lshl_add_u64 v[10:11], v[16:17], 0, v[50:51]
	;; [unrolled: 1-line block ×5, first 2 shown]
	s_mov_b64 s[42:43], 0
	s_cselect_b64 s[24:25], -1, 0
.LBB21_949:                             ;   Parent Loop BB21_47 Depth=1
                                        ;     Parent Loop BB21_623 Depth=2
                                        ; =>    This Loop Header: Depth=3
                                        ;         Child Loop BB21_954 Depth 4
	flat_load_ushort v18, v[16:17] nt
	flat_load_ushort v20, v[14:15] nt
	;; [unrolled: 1-line block ×3, first 2 shown]
	s_waitcnt vmcnt(0) lgkmcnt(0)
	v_lshlrev_b32_e32 v18, 16, v18
	v_lshlrev_b32_e32 v20, 16, v20
	v_max_f32_e32 v18, v18, v18
	v_max_f32_e32 v20, v20, v20
	v_min_f32_e32 v21, v20, v18
	v_max_f32_e32 v18, v20, v18
	v_cndmask_b32_e64 v20, v18, v21, s[24:25]
	v_and_b32_e32 v18, 0x7f800000, v20
	v_cmp_ne_u32_e32 vcc, s70, v18
                                        ; implicit-def: $vgpr18
	s_and_saveexec_b64 s[26:27], vcc
	s_xor_b64 s[26:27], exec, s[26:27]
; %bb.950:                              ;   in Loop: Header=BB21_949 Depth=3
	v_bfe_u32 v18, v20, 16, 1
	v_add3_u32 v18, v20, v18, s71
                                        ; implicit-def: $vgpr20
; %bb.951:                              ;   in Loop: Header=BB21_949 Depth=3
	s_andn2_saveexec_b64 s[26:27], s[26:27]
; %bb.952:                              ;   in Loop: Header=BB21_949 Depth=3
	v_or_b32_e32 v18, 0x10000, v20
	v_cmp_eq_u32_sdwa vcc, v20, v3 src0_sel:WORD_0 src1_sel:DWORD
	s_nop 1
	v_cndmask_b32_e32 v18, v18, v20, vcc
; %bb.953:                              ;   in Loop: Header=BB21_949 Depth=3
	s_or_b64 exec, exec, s[26:27]
	v_and_b32_e32 v20, 0xffff0000, v18
	v_lshlrev_b32_e32 v19, 16, v19
	v_max_f32_e32 v20, v20, v20
	v_max_f32_e32 v19, v19, v19
	v_min_f32_e32 v21, v20, v19
	v_max_f32_e32 v19, v20, v19
	v_cndmask_b32_e64 v19, v19, v21, s[24:25]
	v_and_b32_e32 v20, 0x7f800000, v19
	v_bfe_u32 v21, v19, 16, 1
	v_or_b32_e32 v22, 0x10000, v19
	v_cmp_eq_u32_sdwa vcc, v19, v3 src0_sel:WORD_0 src1_sel:DWORD
	v_add3_u32 v21, v19, v21, s71
	s_mov_b64 s[46:47], 0
	v_cndmask_b32_e32 v19, v22, v19, vcc
	v_cmp_eq_u32_e32 vcc, s70, v20
	s_mov_b64 s[44:45], -1
	s_nop 0
	v_cndmask_b32_e32 v19, v21, v19, vcc
.LBB21_954:                             ;   Parent Loop BB21_47 Depth=1
                                        ;     Parent Loop BB21_623 Depth=2
                                        ;       Parent Loop BB21_949 Depth=3
                                        ; =>      This Inner Loop Header: Depth=4
	v_cndmask_b32_e64 v20, 0, 1, s[44:45]
	s_cmp_eq_u32 s46, 1
	v_cmp_ne_u32_e32 vcc, 1, v20
	s_cselect_b64 s[26:27], -1, 0
	v_cndmask_b32_e64 v24, v18, v19, s[44:45]
	v_cndmask_b32_e32 v21, v11, v13, vcc
	v_cndmask_b32_e64 v23, v11, v13, s[26:27]
	s_cmp_eq_u32 s46, 0
	v_cndmask_b32_e32 v20, v10, v12, vcc
	v_cndmask_b32_e64 v22, v10, v12, s[26:27]
	flat_store_short_d16_hi v[20:21], v24 nt
	v_lshl_add_u64 v[20:21], v[22:23], 0, s[90:91]
	s_cselect_b64 vcc, -1, 0
	s_and_b64 s[28:29], exec, s[44:45]
	s_mov_b64 s[46:47], 1
	s_mov_b64 s[44:45], 0
	v_cndmask_b32_e64 v13, v13, v21, s[26:27]
	v_cndmask_b32_e64 v12, v12, v20, s[26:27]
	v_cndmask_b32_e32 v11, v11, v21, vcc
	v_cndmask_b32_e32 v10, v10, v20, vcc
	s_mov_b64 vcc, s[28:29]
	s_cbranch_vccnz .LBB21_954
; %bb.955:                              ;   in Loop: Header=BB21_949 Depth=3
	v_sub_u32_e32 v2, v2, v102
	v_cmp_gt_i32_e32 vcc, 2, v2
	v_lshl_add_u64 v[14:15], v[14:15], 0, v[46:47]
	v_lshl_add_u64 v[16:17], v[16:17], 0, v[46:47]
	;; [unrolled: 1-line block ×4, first 2 shown]
	s_or_b64 s[42:43], vcc, s[42:43]
	v_lshl_add_u64 v[8:9], v[8:9], 0, v[46:47]
	s_andn2_b64 exec, exec, s[42:43]
	s_cbranch_execnz .LBB21_949
.LBB21_956:                             ;   in Loop: Header=BB21_623 Depth=2
	s_or_b64 exec, exec, s[40:41]
	s_branch .LBB21_704
.LBB21_957:                             ;   in Loop: Header=BB21_623 Depth=2
	s_mov_b64 s[26:27], -1
	s_and_saveexec_b64 s[24:25], s[18:19]
	s_cbranch_execz .LBB21_959
; %bb.958:                              ;   in Loop: Header=BB21_623 Depth=2
	ds_read_b32 v2, v0 offset:720
	s_waitcnt lgkmcnt(0)
	v_and_b32_e32 v2, 15, v2
	v_cmp_eq_u32_e32 vcc, 0, v2
	s_orn2_b64 s[26:27], vcc, exec
.LBB21_959:                             ;   in Loop: Header=BB21_623 Depth=2
	s_or_b64 exec, exec, s[24:25]
	s_and_saveexec_b64 s[24:25], s[14:15]
	s_cbranch_execz .LBB21_961
; %bb.960:                              ;   in Loop: Header=BB21_623 Depth=2
	ds_read_b32 v2, v0 offset:784
	s_waitcnt lgkmcnt(0)
	v_and_b32_e32 v2, 15, v2
	v_cmp_eq_u32_e32 vcc, 0, v2
	s_and_b64 s[28:29], s[26:27], vcc
	s_andn2_b64 s[26:27], s[26:27], exec
	s_and_b64 s[28:29], s[28:29], exec
	s_or_b64 s[26:27], s[26:27], s[28:29]
.LBB21_961:                             ;   in Loop: Header=BB21_623 Depth=2
	s_or_b64 exec, exec, s[24:25]
	s_xor_b64 s[26:27], s[26:27], -1
	v_cndmask_b32_e64 v8, 0, 1, s[26:27]
	v_lshlrev_b32_e32 v2, 1, v37
	s_mov_b64 s[24:25], -1
	v_mov_b32_e32 v16, 0
	v_cmp_ne_u32_e32 vcc, 0, v8
	s_cbranch_vccz .LBB21_963
; %bb.962:                              ;   in Loop: Header=BB21_623 Depth=2
	v_mov_b32_e32 v17, v0
	s_and_saveexec_b64 s[26:27], s[24:25]
	s_cbranch_execnz .LBB21_1134
	s_branch .LBB21_1210
.LBB21_963:                             ;   in Loop: Header=BB21_623 Depth=2
	v_ashrrev_i32_e32 v8, 31, v2
	v_lshrrev_b32_e32 v8, 21, v8
	v_add_u32_e32 v8, v2, v8
	v_ashrrev_i32_e32 v88, 11, v8
	v_sub_u32_e32 v39, v88, v106
	v_cmp_lt_i32_e32 vcc, 0, v39
	s_and_saveexec_b64 s[26:27], vcc
	s_cbranch_execz .LBB21_1095
; %bb.964:                              ;   in Loop: Header=BB21_623 Depth=2
	s_trap 2
	ds_read_b64 v[8:9], v0
	s_and_b32 s74, s98, 1
	s_cmp_eq_u64 s[74:75], 0
	v_lshl_add_u64 v[74:75], v[72:73], 0, v[112:113]
	s_mov_b64 s[28:29], 0
	s_waitcnt lgkmcnt(0)
	v_lshl_add_u64 v[76:77], v[8:9], 0, v[112:113]
	s_cselect_b64 vcc, -1, 0
	v_mov_b64_e32 v[78:79], v[112:113]
	s_branch .LBB21_966
.LBB21_965:                             ;   in Loop: Header=BB21_966 Depth=3
	s_or_b64 exec, exec, s[40:41]
	v_lshrrev_b32_e32 v14, 16, v14
	v_and_or_b32 v8, v8, s80, v14
	v_lshrrev_b32_e32 v14, 16, v16
	v_sub_u32_e32 v39, v39, v84
	v_lshrrev_b32_e32 v15, 16, v15
	v_and_or_b32 v10, v10, s80, v14
	v_lshrrev_b32_e32 v14, 16, v17
	v_cmp_gt_i32_e64 s[24:25], 1, v39
	v_and_or_b32 v9, v9, s80, v15
	v_and_or_b32 v11, v11, s80, v14
	v_lshl_add_u64 v[74:75], v[74:75], 0, v[114:115]
	v_lshl_add_u64 v[76:77], v[76:77], 0, v[114:115]
	s_or_b64 s[28:29], s[24:25], s[28:29]
	v_lshl_add_u64 v[78:79], v[78:79], 0, v[114:115]
	global_store_dwordx4 v[12:13], v[8:11], off offset:1024
	s_andn2_b64 exec, exec, s[28:29]
	s_cbranch_execz .LBB21_1094
.LBB21_966:                             ;   Parent Loop BB21_47 Depth=1
                                        ;     Parent Loop BB21_623 Depth=2
                                        ; =>    This Inner Loop Header: Depth=3
	global_load_dwordx4 v[24:27], v[74:75], off nt
	global_load_dwordx4 v[32:35], v[76:77], off nt
	global_load_dwordx4 v[16:19], v[74:75], off offset:1024 nt
	global_load_dwordx4 v[12:15], v[78:79], off nt
	global_load_dwordx4 v[8:11], v[78:79], off offset:1024 nt
	global_load_dwordx4 v[20:23], v[76:77], off offset:1024 nt
	s_waitcnt vmcnt(0)
	v_lshlrev_b32_e32 v89, 16, v24
	v_lshlrev_b32_e32 v90, 16, v32
	v_max_f32_e32 v90, v90, v90
	v_max_f32_e32 v89, v89, v89
	v_min_f32_e32 v91, v89, v90
	v_max_f32_e32 v89, v89, v90
	v_cndmask_b32_e32 v90, v89, v91, vcc
	v_and_b32_e32 v89, 0x7f800000, v90
	v_cmp_ne_u32_e64 s[24:25], s70, v89
                                        ; implicit-def: $vgpr89
	s_and_saveexec_b64 s[40:41], s[24:25]
	s_xor_b64 s[24:25], exec, s[40:41]
; %bb.967:                              ;   in Loop: Header=BB21_966 Depth=3
	v_bfe_u32 v89, v90, 16, 1
	v_add3_u32 v89, v90, v89, s71
                                        ; implicit-def: $vgpr90
; %bb.968:                              ;   in Loop: Header=BB21_966 Depth=3
	s_andn2_saveexec_b64 s[40:41], s[24:25]
; %bb.969:                              ;   in Loop: Header=BB21_966 Depth=3
	v_or_b32_e32 v89, 0x10000, v90
	v_cmp_eq_u32_sdwa s[24:25], v90, v3 src0_sel:WORD_0 src1_sel:DWORD
	s_nop 1
	v_cndmask_b32_e64 v89, v89, v90, s[24:25]
; %bb.970:                              ;   in Loop: Header=BB21_966 Depth=3
	s_or_b64 exec, exec, s[40:41]
	v_and_b32_e32 v24, 0xffff0000, v24
	v_and_b32_e32 v32, 0xffff0000, v32
	v_max_f32_e32 v32, v32, v32
	v_max_f32_e32 v24, v24, v24
	v_min_f32_e32 v90, v24, v32
	v_max_f32_e32 v24, v24, v32
	v_cndmask_b32_e32 v32, v24, v90, vcc
	v_and_b32_e32 v24, 0x7f800000, v32
	v_cmp_ne_u32_e64 s[24:25], s70, v24
                                        ; implicit-def: $vgpr24
	s_and_saveexec_b64 s[40:41], s[24:25]
	s_xor_b64 s[24:25], exec, s[40:41]
; %bb.971:                              ;   in Loop: Header=BB21_966 Depth=3
	v_bfe_u32 v24, v32, 16, 1
	v_add3_u32 v24, v32, v24, s71
                                        ; implicit-def: $vgpr32
; %bb.972:                              ;   in Loop: Header=BB21_966 Depth=3
	s_andn2_saveexec_b64 s[40:41], s[24:25]
; %bb.973:                              ;   in Loop: Header=BB21_966 Depth=3
	v_or_b32_e32 v24, 0x10000, v32
	v_cmp_eq_u32_sdwa s[24:25], v32, v3 src0_sel:WORD_0 src1_sel:DWORD
	s_nop 1
	v_cndmask_b32_e64 v24, v24, v32, s[24:25]
; %bb.974:                              ;   in Loop: Header=BB21_966 Depth=3
	s_or_b64 exec, exec, s[40:41]
	v_lshlrev_b32_e32 v32, 16, v25
	v_lshlrev_b32_e32 v90, 16, v33
	v_max_f32_e32 v90, v90, v90
	v_max_f32_e32 v32, v32, v32
	v_min_f32_e32 v91, v32, v90
	v_max_f32_e32 v32, v32, v90
	v_cndmask_b32_e32 v90, v32, v91, vcc
	v_and_b32_e32 v32, 0x7f800000, v90
	v_cmp_ne_u32_e64 s[24:25], s70, v32
                                        ; implicit-def: $vgpr32
	s_and_saveexec_b64 s[40:41], s[24:25]
	s_xor_b64 s[24:25], exec, s[40:41]
; %bb.975:                              ;   in Loop: Header=BB21_966 Depth=3
	v_bfe_u32 v32, v90, 16, 1
	v_add3_u32 v32, v90, v32, s71
                                        ; implicit-def: $vgpr90
; %bb.976:                              ;   in Loop: Header=BB21_966 Depth=3
	s_andn2_saveexec_b64 s[40:41], s[24:25]
; %bb.977:                              ;   in Loop: Header=BB21_966 Depth=3
	v_or_b32_e32 v32, 0x10000, v90
	v_cmp_eq_u32_sdwa s[24:25], v90, v3 src0_sel:WORD_0 src1_sel:DWORD
	s_nop 1
	v_cndmask_b32_e64 v32, v32, v90, s[24:25]
; %bb.978:                              ;   in Loop: Header=BB21_966 Depth=3
	s_or_b64 exec, exec, s[40:41]
	v_and_b32_e32 v25, 0xffff0000, v25
	v_and_b32_e32 v33, 0xffff0000, v33
	v_max_f32_e32 v33, v33, v33
	v_max_f32_e32 v25, v25, v25
	v_min_f32_e32 v90, v25, v33
	v_max_f32_e32 v25, v25, v33
	v_cndmask_b32_e32 v33, v25, v90, vcc
	v_and_b32_e32 v25, 0x7f800000, v33
	v_cmp_ne_u32_e64 s[24:25], s70, v25
                                        ; implicit-def: $vgpr25
	s_and_saveexec_b64 s[40:41], s[24:25]
	s_xor_b64 s[24:25], exec, s[40:41]
; %bb.979:                              ;   in Loop: Header=BB21_966 Depth=3
	v_bfe_u32 v25, v33, 16, 1
	v_add3_u32 v25, v33, v25, s71
                                        ; implicit-def: $vgpr33
; %bb.980:                              ;   in Loop: Header=BB21_966 Depth=3
	s_andn2_saveexec_b64 s[40:41], s[24:25]
; %bb.981:                              ;   in Loop: Header=BB21_966 Depth=3
	v_or_b32_e32 v25, 0x10000, v33
	v_cmp_eq_u32_sdwa s[24:25], v33, v3 src0_sel:WORD_0 src1_sel:DWORD
	s_nop 1
	v_cndmask_b32_e64 v25, v25, v33, s[24:25]
; %bb.982:                              ;   in Loop: Header=BB21_966 Depth=3
	s_or_b64 exec, exec, s[40:41]
	v_lshlrev_b32_e32 v33, 16, v26
	v_lshlrev_b32_e32 v90, 16, v34
	v_max_f32_e32 v90, v90, v90
	v_max_f32_e32 v33, v33, v33
	v_min_f32_e32 v91, v33, v90
	v_max_f32_e32 v33, v33, v90
	v_cndmask_b32_e32 v90, v33, v91, vcc
	v_and_b32_e32 v33, 0x7f800000, v90
	v_cmp_ne_u32_e64 s[24:25], s70, v33
                                        ; implicit-def: $vgpr33
	s_and_saveexec_b64 s[40:41], s[24:25]
	s_xor_b64 s[24:25], exec, s[40:41]
; %bb.983:                              ;   in Loop: Header=BB21_966 Depth=3
	v_bfe_u32 v33, v90, 16, 1
	v_add3_u32 v33, v90, v33, s71
                                        ; implicit-def: $vgpr90
; %bb.984:                              ;   in Loop: Header=BB21_966 Depth=3
	s_andn2_saveexec_b64 s[40:41], s[24:25]
; %bb.985:                              ;   in Loop: Header=BB21_966 Depth=3
	v_or_b32_e32 v33, 0x10000, v90
	v_cmp_eq_u32_sdwa s[24:25], v90, v3 src0_sel:WORD_0 src1_sel:DWORD
	s_nop 1
	v_cndmask_b32_e64 v33, v33, v90, s[24:25]
; %bb.986:                              ;   in Loop: Header=BB21_966 Depth=3
	s_or_b64 exec, exec, s[40:41]
	v_and_b32_e32 v26, 0xffff0000, v26
	v_and_b32_e32 v34, 0xffff0000, v34
	v_max_f32_e32 v34, v34, v34
	v_max_f32_e32 v26, v26, v26
	v_min_f32_e32 v90, v26, v34
	v_max_f32_e32 v26, v26, v34
	v_cndmask_b32_e32 v34, v26, v90, vcc
	v_and_b32_e32 v26, 0x7f800000, v34
	v_cmp_ne_u32_e64 s[24:25], s70, v26
                                        ; implicit-def: $vgpr26
	s_and_saveexec_b64 s[40:41], s[24:25]
	s_xor_b64 s[24:25], exec, s[40:41]
; %bb.987:                              ;   in Loop: Header=BB21_966 Depth=3
	v_bfe_u32 v26, v34, 16, 1
	v_add3_u32 v26, v34, v26, s71
                                        ; implicit-def: $vgpr34
; %bb.988:                              ;   in Loop: Header=BB21_966 Depth=3
	s_andn2_saveexec_b64 s[40:41], s[24:25]
; %bb.989:                              ;   in Loop: Header=BB21_966 Depth=3
	v_or_b32_e32 v26, 0x10000, v34
	v_cmp_eq_u32_sdwa s[24:25], v34, v3 src0_sel:WORD_0 src1_sel:DWORD
	s_nop 1
	v_cndmask_b32_e64 v26, v26, v34, s[24:25]
; %bb.990:                              ;   in Loop: Header=BB21_966 Depth=3
	s_or_b64 exec, exec, s[40:41]
	v_lshlrev_b32_e32 v34, 16, v27
	v_lshlrev_b32_e32 v90, 16, v35
	v_max_f32_e32 v90, v90, v90
	v_max_f32_e32 v34, v34, v34
	v_min_f32_e32 v91, v34, v90
	v_max_f32_e32 v34, v34, v90
	v_cndmask_b32_e32 v90, v34, v91, vcc
	v_and_b32_e32 v34, 0x7f800000, v90
	v_cmp_ne_u32_e64 s[24:25], s70, v34
                                        ; implicit-def: $vgpr34
	s_and_saveexec_b64 s[40:41], s[24:25]
	s_xor_b64 s[24:25], exec, s[40:41]
; %bb.991:                              ;   in Loop: Header=BB21_966 Depth=3
	v_bfe_u32 v34, v90, 16, 1
	v_add3_u32 v34, v90, v34, s71
                                        ; implicit-def: $vgpr90
; %bb.992:                              ;   in Loop: Header=BB21_966 Depth=3
	s_andn2_saveexec_b64 s[40:41], s[24:25]
; %bb.993:                              ;   in Loop: Header=BB21_966 Depth=3
	v_or_b32_e32 v34, 0x10000, v90
	v_cmp_eq_u32_sdwa s[24:25], v90, v3 src0_sel:WORD_0 src1_sel:DWORD
	s_nop 1
	v_cndmask_b32_e64 v34, v34, v90, s[24:25]
; %bb.994:                              ;   in Loop: Header=BB21_966 Depth=3
	s_or_b64 exec, exec, s[40:41]
	v_and_b32_e32 v27, 0xffff0000, v27
	v_and_b32_e32 v35, 0xffff0000, v35
	v_max_f32_e32 v35, v35, v35
	v_max_f32_e32 v27, v27, v27
	v_min_f32_e32 v90, v27, v35
	v_max_f32_e32 v27, v27, v35
	v_cndmask_b32_e32 v35, v27, v90, vcc
	v_and_b32_e32 v27, 0x7f800000, v35
	v_cmp_ne_u32_e64 s[24:25], s70, v27
                                        ; implicit-def: $vgpr27
	s_and_saveexec_b64 s[40:41], s[24:25]
	s_xor_b64 s[24:25], exec, s[40:41]
; %bb.995:                              ;   in Loop: Header=BB21_966 Depth=3
	v_bfe_u32 v27, v35, 16, 1
	v_add3_u32 v27, v35, v27, s71
                                        ; implicit-def: $vgpr35
; %bb.996:                              ;   in Loop: Header=BB21_966 Depth=3
	s_andn2_saveexec_b64 s[40:41], s[24:25]
; %bb.997:                              ;   in Loop: Header=BB21_966 Depth=3
	v_or_b32_e32 v27, 0x10000, v35
	v_cmp_eq_u32_sdwa s[24:25], v35, v3 src0_sel:WORD_0 src1_sel:DWORD
	s_nop 1
	v_cndmask_b32_e64 v27, v27, v35, s[24:25]
; %bb.998:                              ;   in Loop: Header=BB21_966 Depth=3
	s_or_b64 exec, exec, s[40:41]
	v_lshlrev_b32_e32 v35, 16, v16
	v_lshlrev_b32_e32 v90, 16, v20
	v_max_f32_e32 v90, v90, v90
	v_max_f32_e32 v35, v35, v35
	v_min_f32_e32 v91, v35, v90
	v_max_f32_e32 v35, v35, v90
	v_cndmask_b32_e32 v90, v35, v91, vcc
	v_and_b32_e32 v35, 0x7f800000, v90
	v_cmp_ne_u32_e64 s[24:25], s70, v35
                                        ; implicit-def: $vgpr35
	s_and_saveexec_b64 s[40:41], s[24:25]
	s_xor_b64 s[24:25], exec, s[40:41]
; %bb.999:                              ;   in Loop: Header=BB21_966 Depth=3
	v_bfe_u32 v35, v90, 16, 1
	v_add3_u32 v35, v90, v35, s71
                                        ; implicit-def: $vgpr90
; %bb.1000:                             ;   in Loop: Header=BB21_966 Depth=3
	s_andn2_saveexec_b64 s[40:41], s[24:25]
; %bb.1001:                             ;   in Loop: Header=BB21_966 Depth=3
	v_or_b32_e32 v35, 0x10000, v90
	v_cmp_eq_u32_sdwa s[24:25], v90, v3 src0_sel:WORD_0 src1_sel:DWORD
	s_nop 1
	v_cndmask_b32_e64 v35, v35, v90, s[24:25]
; %bb.1002:                             ;   in Loop: Header=BB21_966 Depth=3
	s_or_b64 exec, exec, s[40:41]
	v_and_b32_e32 v16, 0xffff0000, v16
	v_and_b32_e32 v20, 0xffff0000, v20
	v_max_f32_e32 v20, v20, v20
	v_max_f32_e32 v16, v16, v16
	v_min_f32_e32 v90, v16, v20
	v_max_f32_e32 v16, v16, v20
	v_cndmask_b32_e32 v20, v16, v90, vcc
	v_and_b32_e32 v16, 0x7f800000, v20
	v_cmp_ne_u32_e64 s[24:25], s70, v16
                                        ; implicit-def: $vgpr16
	s_and_saveexec_b64 s[40:41], s[24:25]
	s_xor_b64 s[24:25], exec, s[40:41]
; %bb.1003:                             ;   in Loop: Header=BB21_966 Depth=3
	v_bfe_u32 v16, v20, 16, 1
	v_add3_u32 v16, v20, v16, s71
                                        ; implicit-def: $vgpr20
; %bb.1004:                             ;   in Loop: Header=BB21_966 Depth=3
	s_andn2_saveexec_b64 s[40:41], s[24:25]
; %bb.1005:                             ;   in Loop: Header=BB21_966 Depth=3
	v_or_b32_e32 v16, 0x10000, v20
	v_cmp_eq_u32_sdwa s[24:25], v20, v3 src0_sel:WORD_0 src1_sel:DWORD
	s_nop 1
	v_cndmask_b32_e64 v16, v16, v20, s[24:25]
; %bb.1006:                             ;   in Loop: Header=BB21_966 Depth=3
	s_or_b64 exec, exec, s[40:41]
	v_lshlrev_b32_e32 v20, 16, v17
	v_lshlrev_b32_e32 v90, 16, v21
	v_max_f32_e32 v90, v90, v90
	v_max_f32_e32 v20, v20, v20
	v_min_f32_e32 v91, v20, v90
	v_max_f32_e32 v20, v20, v90
	v_cndmask_b32_e32 v90, v20, v91, vcc
	v_and_b32_e32 v20, 0x7f800000, v90
	v_cmp_ne_u32_e64 s[24:25], s70, v20
                                        ; implicit-def: $vgpr20
	s_and_saveexec_b64 s[40:41], s[24:25]
	s_xor_b64 s[24:25], exec, s[40:41]
; %bb.1007:                             ;   in Loop: Header=BB21_966 Depth=3
	v_bfe_u32 v20, v90, 16, 1
	v_add3_u32 v20, v90, v20, s71
                                        ; implicit-def: $vgpr90
; %bb.1008:                             ;   in Loop: Header=BB21_966 Depth=3
	s_andn2_saveexec_b64 s[40:41], s[24:25]
; %bb.1009:                             ;   in Loop: Header=BB21_966 Depth=3
	v_or_b32_e32 v20, 0x10000, v90
	v_cmp_eq_u32_sdwa s[24:25], v90, v3 src0_sel:WORD_0 src1_sel:DWORD
	s_nop 1
	v_cndmask_b32_e64 v20, v20, v90, s[24:25]
; %bb.1010:                             ;   in Loop: Header=BB21_966 Depth=3
	s_or_b64 exec, exec, s[40:41]
	v_and_b32_e32 v17, 0xffff0000, v17
	v_and_b32_e32 v21, 0xffff0000, v21
	v_max_f32_e32 v21, v21, v21
	v_max_f32_e32 v17, v17, v17
	v_min_f32_e32 v90, v17, v21
	v_max_f32_e32 v17, v17, v21
	v_cndmask_b32_e32 v21, v17, v90, vcc
	v_and_b32_e32 v17, 0x7f800000, v21
	v_cmp_ne_u32_e64 s[24:25], s70, v17
                                        ; implicit-def: $vgpr17
	s_and_saveexec_b64 s[40:41], s[24:25]
	s_xor_b64 s[24:25], exec, s[40:41]
; %bb.1011:                             ;   in Loop: Header=BB21_966 Depth=3
	v_bfe_u32 v17, v21, 16, 1
	v_add3_u32 v17, v21, v17, s71
                                        ; implicit-def: $vgpr21
; %bb.1012:                             ;   in Loop: Header=BB21_966 Depth=3
	s_andn2_saveexec_b64 s[40:41], s[24:25]
; %bb.1013:                             ;   in Loop: Header=BB21_966 Depth=3
	v_or_b32_e32 v17, 0x10000, v21
	v_cmp_eq_u32_sdwa s[24:25], v21, v3 src0_sel:WORD_0 src1_sel:DWORD
	s_nop 1
	v_cndmask_b32_e64 v17, v17, v21, s[24:25]
; %bb.1014:                             ;   in Loop: Header=BB21_966 Depth=3
	s_or_b64 exec, exec, s[40:41]
	v_lshlrev_b32_e32 v21, 16, v18
	v_lshlrev_b32_e32 v90, 16, v22
	v_max_f32_e32 v90, v90, v90
	v_max_f32_e32 v21, v21, v21
	v_min_f32_e32 v91, v21, v90
	v_max_f32_e32 v21, v21, v90
	v_cndmask_b32_e32 v90, v21, v91, vcc
	v_and_b32_e32 v21, 0x7f800000, v90
	v_cmp_ne_u32_e64 s[24:25], s70, v21
                                        ; implicit-def: $vgpr21
	s_and_saveexec_b64 s[40:41], s[24:25]
	s_xor_b64 s[24:25], exec, s[40:41]
; %bb.1015:                             ;   in Loop: Header=BB21_966 Depth=3
	v_bfe_u32 v21, v90, 16, 1
	v_add3_u32 v21, v90, v21, s71
                                        ; implicit-def: $vgpr90
; %bb.1016:                             ;   in Loop: Header=BB21_966 Depth=3
	s_andn2_saveexec_b64 s[40:41], s[24:25]
; %bb.1017:                             ;   in Loop: Header=BB21_966 Depth=3
	v_or_b32_e32 v21, 0x10000, v90
	v_cmp_eq_u32_sdwa s[24:25], v90, v3 src0_sel:WORD_0 src1_sel:DWORD
	s_nop 1
	v_cndmask_b32_e64 v21, v21, v90, s[24:25]
; %bb.1018:                             ;   in Loop: Header=BB21_966 Depth=3
	s_or_b64 exec, exec, s[40:41]
	v_and_b32_e32 v18, 0xffff0000, v18
	v_and_b32_e32 v22, 0xffff0000, v22
	v_max_f32_e32 v22, v22, v22
	v_max_f32_e32 v18, v18, v18
	v_min_f32_e32 v90, v18, v22
	v_max_f32_e32 v18, v18, v22
	v_cndmask_b32_e32 v22, v18, v90, vcc
	v_and_b32_e32 v18, 0x7f800000, v22
	v_cmp_ne_u32_e64 s[24:25], s70, v18
                                        ; implicit-def: $vgpr18
	s_and_saveexec_b64 s[40:41], s[24:25]
	s_xor_b64 s[24:25], exec, s[40:41]
; %bb.1019:                             ;   in Loop: Header=BB21_966 Depth=3
	v_bfe_u32 v18, v22, 16, 1
	v_add3_u32 v18, v22, v18, s71
                                        ; implicit-def: $vgpr22
; %bb.1020:                             ;   in Loop: Header=BB21_966 Depth=3
	s_andn2_saveexec_b64 s[40:41], s[24:25]
; %bb.1021:                             ;   in Loop: Header=BB21_966 Depth=3
	v_or_b32_e32 v18, 0x10000, v22
	v_cmp_eq_u32_sdwa s[24:25], v22, v3 src0_sel:WORD_0 src1_sel:DWORD
	s_nop 1
	v_cndmask_b32_e64 v18, v18, v22, s[24:25]
; %bb.1022:                             ;   in Loop: Header=BB21_966 Depth=3
	s_or_b64 exec, exec, s[40:41]
	v_lshlrev_b32_e32 v22, 16, v19
	v_lshlrev_b32_e32 v90, 16, v23
	v_max_f32_e32 v90, v90, v90
	v_max_f32_e32 v22, v22, v22
	v_min_f32_e32 v91, v22, v90
	v_max_f32_e32 v22, v22, v90
	v_cndmask_b32_e32 v90, v22, v91, vcc
	v_and_b32_e32 v22, 0x7f800000, v90
	v_cmp_ne_u32_e64 s[24:25], s70, v22
                                        ; implicit-def: $vgpr22
	s_and_saveexec_b64 s[40:41], s[24:25]
	s_xor_b64 s[24:25], exec, s[40:41]
; %bb.1023:                             ;   in Loop: Header=BB21_966 Depth=3
	v_bfe_u32 v22, v90, 16, 1
	v_add3_u32 v22, v90, v22, s71
                                        ; implicit-def: $vgpr90
; %bb.1024:                             ;   in Loop: Header=BB21_966 Depth=3
	s_andn2_saveexec_b64 s[40:41], s[24:25]
; %bb.1025:                             ;   in Loop: Header=BB21_966 Depth=3
	v_or_b32_e32 v22, 0x10000, v90
	v_cmp_eq_u32_sdwa s[24:25], v90, v3 src0_sel:WORD_0 src1_sel:DWORD
	s_nop 1
	v_cndmask_b32_e64 v22, v22, v90, s[24:25]
; %bb.1026:                             ;   in Loop: Header=BB21_966 Depth=3
	s_or_b64 exec, exec, s[40:41]
	v_and_b32_e32 v19, 0xffff0000, v19
	v_and_b32_e32 v23, 0xffff0000, v23
	v_max_f32_e32 v23, v23, v23
	v_max_f32_e32 v19, v19, v19
	v_min_f32_e32 v90, v19, v23
	v_max_f32_e32 v19, v19, v23
	v_cndmask_b32_e32 v23, v19, v90, vcc
	v_and_b32_e32 v19, 0x7f800000, v23
	v_cmp_ne_u32_e64 s[24:25], s70, v19
                                        ; implicit-def: $vgpr19
	s_and_saveexec_b64 s[40:41], s[24:25]
	s_xor_b64 s[24:25], exec, s[40:41]
; %bb.1027:                             ;   in Loop: Header=BB21_966 Depth=3
	v_bfe_u32 v19, v23, 16, 1
	v_add3_u32 v19, v23, v19, s71
                                        ; implicit-def: $vgpr23
; %bb.1028:                             ;   in Loop: Header=BB21_966 Depth=3
	s_andn2_saveexec_b64 s[40:41], s[24:25]
; %bb.1029:                             ;   in Loop: Header=BB21_966 Depth=3
	v_or_b32_e32 v19, 0x10000, v23
	v_cmp_eq_u32_sdwa s[24:25], v23, v3 src0_sel:WORD_0 src1_sel:DWORD
	s_nop 1
	v_cndmask_b32_e64 v19, v19, v23, s[24:25]
; %bb.1030:                             ;   in Loop: Header=BB21_966 Depth=3
	s_or_b64 exec, exec, s[40:41]
	v_and_b32_e32 v23, 0xffff0000, v89
	v_lshlrev_b32_e32 v89, 16, v12
	v_max_f32_e32 v23, v23, v23
	v_max_f32_e32 v89, v89, v89
	v_min_f32_e32 v90, v23, v89
	v_max_f32_e32 v23, v23, v89
	v_cndmask_b32_e32 v89, v23, v90, vcc
	v_and_b32_e32 v23, 0x7f800000, v89
	v_cmp_ne_u32_e64 s[24:25], s70, v23
                                        ; implicit-def: $vgpr23
	s_and_saveexec_b64 s[40:41], s[24:25]
	s_xor_b64 s[24:25], exec, s[40:41]
; %bb.1031:                             ;   in Loop: Header=BB21_966 Depth=3
	v_bfe_u32 v23, v89, 16, 1
	v_add3_u32 v23, v89, v23, s71
                                        ; implicit-def: $vgpr89
; %bb.1032:                             ;   in Loop: Header=BB21_966 Depth=3
	s_andn2_saveexec_b64 s[40:41], s[24:25]
; %bb.1033:                             ;   in Loop: Header=BB21_966 Depth=3
	v_or_b32_e32 v23, 0x10000, v89
	v_cmp_eq_u32_sdwa s[24:25], v89, v3 src0_sel:WORD_0 src1_sel:DWORD
	s_nop 1
	v_cndmask_b32_e64 v23, v23, v89, s[24:25]
; %bb.1034:                             ;   in Loop: Header=BB21_966 Depth=3
	s_or_b64 exec, exec, s[40:41]
	v_and_b32_e32 v12, 0xffff0000, v12
	v_and_b32_e32 v24, 0xffff0000, v24
	v_max_f32_e32 v12, v12, v12
	v_max_f32_e32 v24, v24, v24
	v_min_f32_e32 v89, v24, v12
	v_max_f32_e32 v12, v24, v12
	v_cndmask_b32_e32 v12, v12, v89, vcc
	v_and_b32_e32 v24, 0x7f800000, v12
	v_cmp_ne_u32_e64 s[24:25], s70, v24
                                        ; implicit-def: $vgpr24
	s_and_saveexec_b64 s[40:41], s[24:25]
	s_xor_b64 s[24:25], exec, s[40:41]
; %bb.1035:                             ;   in Loop: Header=BB21_966 Depth=3
	v_bfe_u32 v24, v12, 16, 1
	v_add3_u32 v24, v12, v24, s71
                                        ; implicit-def: $vgpr12
; %bb.1036:                             ;   in Loop: Header=BB21_966 Depth=3
	s_andn2_saveexec_b64 s[40:41], s[24:25]
; %bb.1037:                             ;   in Loop: Header=BB21_966 Depth=3
	v_or_b32_e32 v24, 0x10000, v12
	v_cmp_eq_u32_sdwa s[24:25], v12, v3 src0_sel:WORD_0 src1_sel:DWORD
	s_nop 1
	v_cndmask_b32_e64 v24, v24, v12, s[24:25]
; %bb.1038:                             ;   in Loop: Header=BB21_966 Depth=3
	s_or_b64 exec, exec, s[40:41]
	v_and_b32_e32 v12, 0xffff0000, v32
	v_lshlrev_b32_e32 v32, 16, v13
	v_max_f32_e32 v12, v12, v12
	v_max_f32_e32 v32, v32, v32
	v_min_f32_e32 v89, v12, v32
	v_max_f32_e32 v12, v12, v32
	v_cndmask_b32_e32 v12, v12, v89, vcc
	v_and_b32_e32 v32, 0x7f800000, v12
	v_cmp_ne_u32_e64 s[24:25], s70, v32
                                        ; implicit-def: $vgpr32
	s_and_saveexec_b64 s[40:41], s[24:25]
	s_xor_b64 s[24:25], exec, s[40:41]
; %bb.1039:                             ;   in Loop: Header=BB21_966 Depth=3
	v_bfe_u32 v32, v12, 16, 1
	v_add3_u32 v32, v12, v32, s71
                                        ; implicit-def: $vgpr12
; %bb.1040:                             ;   in Loop: Header=BB21_966 Depth=3
	s_andn2_saveexec_b64 s[40:41], s[24:25]
; %bb.1041:                             ;   in Loop: Header=BB21_966 Depth=3
	v_or_b32_e32 v32, 0x10000, v12
	v_cmp_eq_u32_sdwa s[24:25], v12, v3 src0_sel:WORD_0 src1_sel:DWORD
	s_nop 1
	v_cndmask_b32_e64 v32, v32, v12, s[24:25]
; %bb.1042:                             ;   in Loop: Header=BB21_966 Depth=3
	s_or_b64 exec, exec, s[40:41]
	v_and_b32_e32 v12, 0xffff0000, v13
	v_and_b32_e32 v13, 0xffff0000, v25
	v_max_f32_e32 v12, v12, v12
	v_max_f32_e32 v13, v13, v13
	v_min_f32_e32 v25, v13, v12
	v_max_f32_e32 v12, v13, v12
	v_cndmask_b32_e32 v12, v12, v25, vcc
	v_and_b32_e32 v13, 0x7f800000, v12
	v_cmp_ne_u32_e64 s[24:25], s70, v13
                                        ; implicit-def: $vgpr25
	s_and_saveexec_b64 s[40:41], s[24:25]
	s_xor_b64 s[24:25], exec, s[40:41]
; %bb.1043:                             ;   in Loop: Header=BB21_966 Depth=3
	v_bfe_u32 v13, v12, 16, 1
	v_add3_u32 v25, v12, v13, s71
                                        ; implicit-def: $vgpr12
; %bb.1044:                             ;   in Loop: Header=BB21_966 Depth=3
	s_andn2_saveexec_b64 s[40:41], s[24:25]
; %bb.1045:                             ;   in Loop: Header=BB21_966 Depth=3
	v_or_b32_e32 v13, 0x10000, v12
	v_cmp_eq_u32_sdwa s[24:25], v12, v3 src0_sel:WORD_0 src1_sel:DWORD
	s_nop 1
	v_cndmask_b32_e64 v25, v13, v12, s[24:25]
; %bb.1046:                             ;   in Loop: Header=BB21_966 Depth=3
	s_or_b64 exec, exec, s[40:41]
	v_and_b32_e32 v12, 0xffff0000, v33
	v_lshlrev_b32_e32 v13, 16, v14
	v_max_f32_e32 v12, v12, v12
	v_max_f32_e32 v13, v13, v13
	v_min_f32_e32 v33, v12, v13
	v_max_f32_e32 v12, v12, v13
	v_cndmask_b32_e32 v12, v12, v33, vcc
	v_and_b32_e32 v13, 0x7f800000, v12
	v_cmp_ne_u32_e64 s[24:25], s70, v13
                                        ; implicit-def: $vgpr33
	s_and_saveexec_b64 s[40:41], s[24:25]
	s_xor_b64 s[24:25], exec, s[40:41]
; %bb.1047:                             ;   in Loop: Header=BB21_966 Depth=3
	v_bfe_u32 v13, v12, 16, 1
	v_add3_u32 v33, v12, v13, s71
                                        ; implicit-def: $vgpr12
; %bb.1048:                             ;   in Loop: Header=BB21_966 Depth=3
	s_andn2_saveexec_b64 s[40:41], s[24:25]
; %bb.1049:                             ;   in Loop: Header=BB21_966 Depth=3
	v_or_b32_e32 v13, 0x10000, v12
	v_cmp_eq_u32_sdwa s[24:25], v12, v3 src0_sel:WORD_0 src1_sel:DWORD
	s_nop 1
	v_cndmask_b32_e64 v33, v13, v12, s[24:25]
; %bb.1050:                             ;   in Loop: Header=BB21_966 Depth=3
	s_or_b64 exec, exec, s[40:41]
	v_and_b32_e32 v12, 0xffff0000, v14
	v_and_b32_e32 v13, 0xffff0000, v26
	v_max_f32_e32 v12, v12, v12
	v_max_f32_e32 v13, v13, v13
	v_min_f32_e32 v14, v13, v12
	v_max_f32_e32 v12, v13, v12
	v_cndmask_b32_e32 v12, v12, v14, vcc
	v_and_b32_e32 v13, 0x7f800000, v12
	v_cmp_ne_u32_e64 s[24:25], s70, v13
                                        ; implicit-def: $vgpr14
	s_and_saveexec_b64 s[40:41], s[24:25]
	s_xor_b64 s[24:25], exec, s[40:41]
; %bb.1051:                             ;   in Loop: Header=BB21_966 Depth=3
	v_bfe_u32 v13, v12, 16, 1
	v_add3_u32 v14, v12, v13, s71
                                        ; implicit-def: $vgpr12
; %bb.1052:                             ;   in Loop: Header=BB21_966 Depth=3
	s_andn2_saveexec_b64 s[40:41], s[24:25]
; %bb.1053:                             ;   in Loop: Header=BB21_966 Depth=3
	v_or_b32_e32 v13, 0x10000, v12
	v_cmp_eq_u32_sdwa s[24:25], v12, v3 src0_sel:WORD_0 src1_sel:DWORD
	s_nop 1
	v_cndmask_b32_e64 v14, v13, v12, s[24:25]
; %bb.1054:                             ;   in Loop: Header=BB21_966 Depth=3
	s_or_b64 exec, exec, s[40:41]
	v_and_b32_e32 v12, 0xffff0000, v34
	v_lshlrev_b32_e32 v13, 16, v15
	v_max_f32_e32 v12, v12, v12
	v_max_f32_e32 v13, v13, v13
	v_min_f32_e32 v26, v12, v13
	v_max_f32_e32 v12, v12, v13
	v_cndmask_b32_e32 v12, v12, v26, vcc
	v_and_b32_e32 v13, 0x7f800000, v12
	v_cmp_ne_u32_e64 s[24:25], s70, v13
                                        ; implicit-def: $vgpr26
	s_and_saveexec_b64 s[40:41], s[24:25]
	s_xor_b64 s[24:25], exec, s[40:41]
; %bb.1055:                             ;   in Loop: Header=BB21_966 Depth=3
	v_bfe_u32 v13, v12, 16, 1
	v_add3_u32 v26, v12, v13, s71
                                        ; implicit-def: $vgpr12
; %bb.1056:                             ;   in Loop: Header=BB21_966 Depth=3
	s_andn2_saveexec_b64 s[40:41], s[24:25]
; %bb.1057:                             ;   in Loop: Header=BB21_966 Depth=3
	v_or_b32_e32 v13, 0x10000, v12
	v_cmp_eq_u32_sdwa s[24:25], v12, v3 src0_sel:WORD_0 src1_sel:DWORD
	s_nop 1
	v_cndmask_b32_e64 v26, v13, v12, s[24:25]
; %bb.1058:                             ;   in Loop: Header=BB21_966 Depth=3
	s_or_b64 exec, exec, s[40:41]
	v_and_b32_e32 v12, 0xffff0000, v15
	v_and_b32_e32 v13, 0xffff0000, v27
	v_max_f32_e32 v12, v12, v12
	v_max_f32_e32 v13, v13, v13
	v_min_f32_e32 v15, v13, v12
	v_max_f32_e32 v12, v13, v12
	v_cndmask_b32_e32 v12, v12, v15, vcc
	v_and_b32_e32 v13, 0x7f800000, v12
	v_cmp_ne_u32_e64 s[24:25], s70, v13
                                        ; implicit-def: $vgpr15
	s_and_saveexec_b64 s[40:41], s[24:25]
	s_xor_b64 s[24:25], exec, s[40:41]
; %bb.1059:                             ;   in Loop: Header=BB21_966 Depth=3
	v_bfe_u32 v13, v12, 16, 1
	v_add3_u32 v15, v12, v13, s71
                                        ; implicit-def: $vgpr12
; %bb.1060:                             ;   in Loop: Header=BB21_966 Depth=3
	s_andn2_saveexec_b64 s[40:41], s[24:25]
; %bb.1061:                             ;   in Loop: Header=BB21_966 Depth=3
	v_or_b32_e32 v13, 0x10000, v12
	v_cmp_eq_u32_sdwa s[24:25], v12, v3 src0_sel:WORD_0 src1_sel:DWORD
	s_nop 1
	v_cndmask_b32_e64 v15, v13, v12, s[24:25]
; %bb.1062:                             ;   in Loop: Header=BB21_966 Depth=3
	s_or_b64 exec, exec, s[40:41]
	v_lshrrev_b32_e32 v23, 16, v23
	v_and_or_b32 v90, v24, s80, v23
	v_lshrrev_b32_e32 v23, 16, v33
	v_and_or_b32 v92, v14, s80, v23
	v_lshrrev_b32_e32 v14, 16, v26
	v_and_b32_e32 v27, 0xffff0000, v35
	v_and_or_b32 v93, v15, s80, v14
	v_lshlrev_b32_e32 v14, 16, v8
	v_max_f32_e32 v15, v27, v27
	v_max_f32_e32 v14, v14, v14
	v_min_f32_e32 v23, v15, v14
	v_max_f32_e32 v14, v15, v14
	v_cndmask_b32_e32 v15, v14, v23, vcc
	v_lshrrev_b32_e32 v32, 16, v32
	v_and_b32_e32 v14, 0x7f800000, v15
	v_lshl_add_u64 v[12:13], v[50:51], 0, v[78:79]
	v_and_or_b32 v91, v25, s80, v32
	v_cmp_ne_u32_e64 s[24:25], s70, v14
	global_store_dwordx4 v[12:13], v[90:93], off
                                        ; implicit-def: $vgpr14
	s_and_saveexec_b64 s[40:41], s[24:25]
	s_xor_b64 s[24:25], exec, s[40:41]
; %bb.1063:                             ;   in Loop: Header=BB21_966 Depth=3
	v_bfe_u32 v14, v15, 16, 1
	v_add3_u32 v14, v15, v14, s71
                                        ; implicit-def: $vgpr15
; %bb.1064:                             ;   in Loop: Header=BB21_966 Depth=3
	s_andn2_saveexec_b64 s[40:41], s[24:25]
; %bb.1065:                             ;   in Loop: Header=BB21_966 Depth=3
	v_or_b32_e32 v14, 0x10000, v15
	v_cmp_eq_u32_sdwa s[24:25], v15, v3 src0_sel:WORD_0 src1_sel:DWORD
	s_nop 1
	v_cndmask_b32_e64 v14, v14, v15, s[24:25]
; %bb.1066:                             ;   in Loop: Header=BB21_966 Depth=3
	s_or_b64 exec, exec, s[40:41]
	v_and_b32_e32 v8, 0xffff0000, v8
	v_and_b32_e32 v15, 0xffff0000, v16
	v_max_f32_e32 v8, v8, v8
	v_max_f32_e32 v15, v15, v15
	v_min_f32_e32 v16, v15, v8
	v_max_f32_e32 v8, v15, v8
	v_cndmask_b32_e32 v15, v8, v16, vcc
	v_and_b32_e32 v8, 0x7f800000, v15
	v_cmp_ne_u32_e64 s[24:25], s70, v8
                                        ; implicit-def: $vgpr8
	s_and_saveexec_b64 s[40:41], s[24:25]
	s_xor_b64 s[24:25], exec, s[40:41]
; %bb.1067:                             ;   in Loop: Header=BB21_966 Depth=3
	v_bfe_u32 v8, v15, 16, 1
	v_add3_u32 v8, v15, v8, s71
                                        ; implicit-def: $vgpr15
; %bb.1068:                             ;   in Loop: Header=BB21_966 Depth=3
	s_andn2_saveexec_b64 s[40:41], s[24:25]
; %bb.1069:                             ;   in Loop: Header=BB21_966 Depth=3
	v_or_b32_e32 v8, 0x10000, v15
	v_cmp_eq_u32_sdwa s[24:25], v15, v3 src0_sel:WORD_0 src1_sel:DWORD
	s_nop 1
	v_cndmask_b32_e64 v8, v8, v15, s[24:25]
; %bb.1070:                             ;   in Loop: Header=BB21_966 Depth=3
	s_or_b64 exec, exec, s[40:41]
	v_and_b32_e32 v15, 0xffff0000, v20
	v_lshlrev_b32_e32 v16, 16, v9
	v_max_f32_e32 v15, v15, v15
	v_max_f32_e32 v16, v16, v16
	v_min_f32_e32 v20, v15, v16
	v_max_f32_e32 v15, v15, v16
	v_cndmask_b32_e32 v16, v15, v20, vcc
	v_and_b32_e32 v15, 0x7f800000, v16
	v_cmp_ne_u32_e64 s[24:25], s70, v15
                                        ; implicit-def: $vgpr15
	s_and_saveexec_b64 s[40:41], s[24:25]
	s_xor_b64 s[24:25], exec, s[40:41]
; %bb.1071:                             ;   in Loop: Header=BB21_966 Depth=3
	v_bfe_u32 v15, v16, 16, 1
	v_add3_u32 v15, v16, v15, s71
                                        ; implicit-def: $vgpr16
; %bb.1072:                             ;   in Loop: Header=BB21_966 Depth=3
	s_andn2_saveexec_b64 s[40:41], s[24:25]
; %bb.1073:                             ;   in Loop: Header=BB21_966 Depth=3
	v_or_b32_e32 v15, 0x10000, v16
	v_cmp_eq_u32_sdwa s[24:25], v16, v3 src0_sel:WORD_0 src1_sel:DWORD
	s_nop 1
	v_cndmask_b32_e64 v15, v15, v16, s[24:25]
; %bb.1074:                             ;   in Loop: Header=BB21_966 Depth=3
	s_or_b64 exec, exec, s[40:41]
	v_and_b32_e32 v9, 0xffff0000, v9
	v_and_b32_e32 v16, 0xffff0000, v17
	v_max_f32_e32 v9, v9, v9
	v_max_f32_e32 v16, v16, v16
	v_min_f32_e32 v17, v16, v9
	v_max_f32_e32 v9, v16, v9
	v_cndmask_b32_e32 v16, v9, v17, vcc
	v_and_b32_e32 v9, 0x7f800000, v16
	v_cmp_ne_u32_e64 s[24:25], s70, v9
                                        ; implicit-def: $vgpr9
	s_and_saveexec_b64 s[40:41], s[24:25]
	s_xor_b64 s[24:25], exec, s[40:41]
; %bb.1075:                             ;   in Loop: Header=BB21_966 Depth=3
	v_bfe_u32 v9, v16, 16, 1
	v_add3_u32 v9, v16, v9, s71
                                        ; implicit-def: $vgpr16
; %bb.1076:                             ;   in Loop: Header=BB21_966 Depth=3
	s_andn2_saveexec_b64 s[40:41], s[24:25]
; %bb.1077:                             ;   in Loop: Header=BB21_966 Depth=3
	v_or_b32_e32 v9, 0x10000, v16
	v_cmp_eq_u32_sdwa s[24:25], v16, v3 src0_sel:WORD_0 src1_sel:DWORD
	s_nop 1
	v_cndmask_b32_e64 v9, v9, v16, s[24:25]
; %bb.1078:                             ;   in Loop: Header=BB21_966 Depth=3
	s_or_b64 exec, exec, s[40:41]
	v_and_b32_e32 v16, 0xffff0000, v21
	v_lshlrev_b32_e32 v17, 16, v10
	v_max_f32_e32 v16, v16, v16
	v_max_f32_e32 v17, v17, v17
	v_min_f32_e32 v20, v16, v17
	v_max_f32_e32 v16, v16, v17
	v_cndmask_b32_e32 v17, v16, v20, vcc
	v_and_b32_e32 v16, 0x7f800000, v17
	v_cmp_ne_u32_e64 s[24:25], s70, v16
                                        ; implicit-def: $vgpr16
	s_and_saveexec_b64 s[40:41], s[24:25]
	s_xor_b64 s[24:25], exec, s[40:41]
; %bb.1079:                             ;   in Loop: Header=BB21_966 Depth=3
	v_bfe_u32 v16, v17, 16, 1
	v_add3_u32 v16, v17, v16, s71
                                        ; implicit-def: $vgpr17
; %bb.1080:                             ;   in Loop: Header=BB21_966 Depth=3
	s_andn2_saveexec_b64 s[40:41], s[24:25]
; %bb.1081:                             ;   in Loop: Header=BB21_966 Depth=3
	v_or_b32_e32 v16, 0x10000, v17
	v_cmp_eq_u32_sdwa s[24:25], v17, v3 src0_sel:WORD_0 src1_sel:DWORD
	s_nop 1
	v_cndmask_b32_e64 v16, v16, v17, s[24:25]
; %bb.1082:                             ;   in Loop: Header=BB21_966 Depth=3
	s_or_b64 exec, exec, s[40:41]
	v_and_b32_e32 v10, 0xffff0000, v10
	v_and_b32_e32 v17, 0xffff0000, v18
	v_max_f32_e32 v10, v10, v10
	v_max_f32_e32 v17, v17, v17
	v_min_f32_e32 v18, v17, v10
	v_max_f32_e32 v10, v17, v10
	v_cndmask_b32_e32 v17, v10, v18, vcc
	v_and_b32_e32 v10, 0x7f800000, v17
	v_cmp_ne_u32_e64 s[24:25], s70, v10
                                        ; implicit-def: $vgpr10
	s_and_saveexec_b64 s[40:41], s[24:25]
	s_xor_b64 s[24:25], exec, s[40:41]
; %bb.1083:                             ;   in Loop: Header=BB21_966 Depth=3
	v_bfe_u32 v10, v17, 16, 1
	v_add3_u32 v10, v17, v10, s71
                                        ; implicit-def: $vgpr17
; %bb.1084:                             ;   in Loop: Header=BB21_966 Depth=3
	s_andn2_saveexec_b64 s[40:41], s[24:25]
; %bb.1085:                             ;   in Loop: Header=BB21_966 Depth=3
	v_or_b32_e32 v10, 0x10000, v17
	v_cmp_eq_u32_sdwa s[24:25], v17, v3 src0_sel:WORD_0 src1_sel:DWORD
	s_nop 1
	v_cndmask_b32_e64 v10, v10, v17, s[24:25]
; %bb.1086:                             ;   in Loop: Header=BB21_966 Depth=3
	s_or_b64 exec, exec, s[40:41]
	v_and_b32_e32 v17, 0xffff0000, v22
	v_lshlrev_b32_e32 v18, 16, v11
	v_max_f32_e32 v17, v17, v17
	v_max_f32_e32 v18, v18, v18
	v_min_f32_e32 v20, v17, v18
	v_max_f32_e32 v17, v17, v18
	v_cndmask_b32_e32 v18, v17, v20, vcc
	v_and_b32_e32 v17, 0x7f800000, v18
	v_cmp_ne_u32_e64 s[24:25], s70, v17
                                        ; implicit-def: $vgpr17
	s_and_saveexec_b64 s[40:41], s[24:25]
	s_xor_b64 s[24:25], exec, s[40:41]
; %bb.1087:                             ;   in Loop: Header=BB21_966 Depth=3
	v_bfe_u32 v17, v18, 16, 1
	v_add3_u32 v17, v18, v17, s71
                                        ; implicit-def: $vgpr18
; %bb.1088:                             ;   in Loop: Header=BB21_966 Depth=3
	s_andn2_saveexec_b64 s[40:41], s[24:25]
; %bb.1089:                             ;   in Loop: Header=BB21_966 Depth=3
	v_or_b32_e32 v17, 0x10000, v18
	v_cmp_eq_u32_sdwa s[24:25], v18, v3 src0_sel:WORD_0 src1_sel:DWORD
	s_nop 1
	v_cndmask_b32_e64 v17, v17, v18, s[24:25]
; %bb.1090:                             ;   in Loop: Header=BB21_966 Depth=3
	s_or_b64 exec, exec, s[40:41]
	v_and_b32_e32 v11, 0xffff0000, v11
	v_and_b32_e32 v18, 0xffff0000, v19
	v_max_f32_e32 v11, v11, v11
	v_max_f32_e32 v18, v18, v18
	v_min_f32_e32 v19, v18, v11
	v_max_f32_e32 v11, v18, v11
	v_cndmask_b32_e32 v18, v11, v19, vcc
	v_and_b32_e32 v11, 0x7f800000, v18
	v_cmp_ne_u32_e64 s[24:25], s70, v11
                                        ; implicit-def: $vgpr11
	s_and_saveexec_b64 s[40:41], s[24:25]
	s_xor_b64 s[24:25], exec, s[40:41]
; %bb.1091:                             ;   in Loop: Header=BB21_966 Depth=3
	v_bfe_u32 v11, v18, 16, 1
	v_add3_u32 v11, v18, v11, s71
                                        ; implicit-def: $vgpr18
; %bb.1092:                             ;   in Loop: Header=BB21_966 Depth=3
	s_andn2_saveexec_b64 s[40:41], s[24:25]
	s_cbranch_execz .LBB21_965
; %bb.1093:                             ;   in Loop: Header=BB21_966 Depth=3
	v_or_b32_e32 v11, 0x10000, v18
	v_cmp_eq_u32_sdwa s[24:25], v18, v3 src0_sel:WORD_0 src1_sel:DWORD
	s_nop 1
	v_cndmask_b32_e64 v11, v11, v18, s[24:25]
	s_branch .LBB21_965
.LBB21_1094:                            ;   in Loop: Header=BB21_623 Depth=2
	s_or_b64 exec, exec, s[28:29]
.LBB21_1095:                            ;   in Loop: Header=BB21_623 Depth=2
	s_or_b64 exec, exec, s[26:27]
	v_lshlrev_b32_e32 v26, 11, v88
	v_cmp_ne_u32_e32 vcc, v2, v26
	s_mov_b64 s[24:25], 0
	v_mov_b32_e32 v16, 0
                                        ; implicit-def: $vgpr17
	s_and_saveexec_b64 s[28:29], vcc
	s_cbranch_execz .LBB21_1133
; %bb.1096:                             ;   in Loop: Header=BB21_623 Depth=2
	v_lshlrev_b32_e32 v8, 6, v39
	v_sub_u32_e32 v8, v105, v8
	v_ashrrev_i32_e32 v10, 31, v8
	v_lshrrev_b32_e32 v10, 26, v10
	v_add_u32_e32 v10, v8, v10
	v_sub_u32_e32 v9, v2, v26
	v_ashrrev_i32_e32 v11, 6, v10
	v_and_b32_e32 v10, 0xffffffc0, v10
	v_sub_u32_e32 v27, v8, v10
	v_ashrrev_i32_e32 v10, 31, v9
	v_lshrrev_b32_e32 v10, 22, v10
	v_add_u32_e32 v10, v9, v10
	v_and_b32_e32 v32, 0xfffffc00, v10
	v_lshlrev_b32_e32 v8, 4, v27
	v_sub_u32_e32 v33, v9, v32
	v_lshl_add_u32 v8, v11, 10, v8
	v_ashrrev_i32_e32 v12, 10, v10
	v_cmp_lt_i32_e32 vcc, 15, v33
	v_sub_u32_e32 v35, v9, v8
	s_nop 0
	v_addc_co_u32_e64 v9, s[24:25], 0, v12, vcc
	v_sub_u32_e32 v34, v9, v11
	v_cmp_lt_i32_e64 s[24:25], 15, v35
	s_and_saveexec_b64 s[40:41], s[24:25]
	s_cbranch_execz .LBB21_1132
; %bb.1097:                             ;   in Loop: Header=BB21_623 Depth=2
	s_trap 2
	ds_read_b64 v[10:11], v0
	v_add_u32_e32 v20, v8, v26
	s_and_b32 s74, s98, 1
	v_ashrrev_i32_e32 v21, 31, v20
	s_cmp_eq_u64 s[74:75], 0
	v_lshl_add_u64 v[22:23], v[20:21], 0, v[72:73]
	s_waitcnt lgkmcnt(0)
	v_lshl_add_u64 v[24:25], v[10:11], 0, v[20:21]
	s_mov_b64 s[42:43], 0
	s_cselect_b64 s[24:25], -1, 0
	s_branch .LBB21_1099
.LBB21_1098:                            ;   in Loop: Header=BB21_1099 Depth=3
	s_or_b64 exec, exec, s[44:45]
	v_and_b32_e32 v19, 0xffff0000, v74
	v_and_b32_e32 v39, 0xffff0000, v39
	v_and_b32_e32 v74, 0xffff0000, v75
	v_and_b32_e32 v75, 0xffff0000, v8
	v_lshlrev_b32_e32 v8, 16, v8
	v_max_f32_e32 v39, v39, v39
	v_max_f32_e32 v8, v8, v8
	v_min_f32_e32 v76, v39, v8
	v_max_f32_e32 v8, v39, v8
	v_and_b32_e32 v16, 0xffff0000, v16
	v_cndmask_b32_e64 v8, v8, v76, s[24:25]
	v_bfe_u32 v76, v8, 16, 1
	v_or_b32_e32 v77, 0x10000, v8
	v_cmp_eq_u32_sdwa s[26:27], v8, v3 src0_sel:WORD_0 src1_sel:DWORD
	v_max_f32_e32 v16, v16, v16
	v_max_f32_e32 v75, v75, v75
	v_and_b32_e32 v39, 0x7f800000, v8
	v_add3_u32 v76, v8, v76, s71
	v_cndmask_b32_e64 v8, v77, v8, s[26:27]
	v_min_f32_e32 v77, v16, v75
	v_max_f32_e32 v16, v16, v75
	v_cndmask_b32_e64 v16, v16, v77, s[24:25]
	v_bfe_u32 v77, v16, 16, 1
	v_or_b32_e32 v78, 0x10000, v16
	v_cmp_eq_u32_sdwa s[26:27], v16, v3 src0_sel:WORD_0 src1_sel:DWORD
	v_and_b32_e32 v75, 0x7f800000, v16
	v_add3_u32 v77, v16, v77, s71
	v_cndmask_b32_e64 v16, v78, v16, s[26:27]
	v_and_b32_e32 v78, 0xffff0000, v9
	v_lshlrev_b32_e32 v9, 16, v9
	v_max_f32_e32 v19, v19, v19
	v_max_f32_e32 v9, v9, v9
	v_min_f32_e32 v79, v19, v9
	v_max_f32_e32 v9, v19, v9
	v_and_b32_e32 v17, 0xffff0000, v17
	v_cndmask_b32_e64 v9, v9, v79, s[24:25]
	v_bfe_u32 v79, v9, 16, 1
	v_or_b32_e32 v88, 0x10000, v9
	v_cmp_eq_u32_sdwa s[26:27], v9, v3 src0_sel:WORD_0 src1_sel:DWORD
	v_max_f32_e32 v17, v17, v17
	v_max_f32_e32 v78, v78, v78
	v_and_b32_e32 v19, 0x7f800000, v9
	v_add3_u32 v79, v9, v79, s71
	v_cndmask_b32_e64 v9, v88, v9, s[26:27]
	v_min_f32_e32 v88, v17, v78
	v_max_f32_e32 v17, v17, v78
	v_cndmask_b32_e64 v17, v17, v88, s[24:25]
	v_bfe_u32 v88, v17, 16, 1
	v_or_b32_e32 v89, 0x10000, v17
	v_cmp_eq_u32_sdwa s[26:27], v17, v3 src0_sel:WORD_0 src1_sel:DWORD
	v_and_b32_e32 v78, 0x7f800000, v17
	v_add3_u32 v88, v17, v88, s71
	v_cndmask_b32_e64 v17, v89, v17, s[26:27]
	v_and_b32_e32 v89, 0xffff0000, v10
	v_lshlrev_b32_e32 v10, 16, v10
	v_max_f32_e32 v74, v74, v74
	v_max_f32_e32 v10, v10, v10
	v_min_f32_e32 v90, v74, v10
	v_max_f32_e32 v10, v74, v10
	v_and_b32_e32 v14, 0xffff0000, v14
	v_cndmask_b32_e64 v10, v10, v90, s[24:25]
	v_bfe_u32 v90, v10, 16, 1
	v_or_b32_e32 v91, 0x10000, v10
	v_cmp_eq_u32_sdwa s[26:27], v10, v3 src0_sel:WORD_0 src1_sel:DWORD
	v_max_f32_e32 v14, v14, v14
	v_max_f32_e32 v89, v89, v89
	v_and_b32_e32 v74, 0x7f800000, v10
	v_add3_u32 v90, v10, v90, s71
	v_cndmask_b32_e64 v10, v91, v10, s[26:27]
	v_min_f32_e32 v91, v14, v89
	v_max_f32_e32 v14, v14, v89
	v_cndmask_b32_e64 v14, v14, v91, s[24:25]
	v_bfe_u32 v91, v14, 16, 1
	v_or_b32_e32 v92, 0x10000, v14
	v_cmp_eq_u32_sdwa s[26:27], v14, v3 src0_sel:WORD_0 src1_sel:DWORD
	v_and_b32_e32 v18, 0xffff0000, v18
	v_and_b32_e32 v89, 0x7f800000, v14
	v_add3_u32 v91, v14, v91, s71
	v_cndmask_b32_e64 v14, v92, v14, s[26:27]
	v_and_b32_e32 v92, 0xffff0000, v11
	v_lshlrev_b32_e32 v11, 16, v11
	v_max_f32_e32 v18, v18, v18
	v_max_f32_e32 v11, v11, v11
	v_min_f32_e32 v93, v18, v11
	v_max_f32_e32 v11, v18, v11
	v_and_b32_e32 v15, 0xffff0000, v15
	v_cndmask_b32_e64 v11, v11, v93, s[24:25]
	v_bfe_u32 v93, v11, 16, 1
	v_or_b32_e32 v94, 0x10000, v11
	v_cmp_eq_u32_sdwa s[26:27], v11, v3 src0_sel:WORD_0 src1_sel:DWORD
	v_max_f32_e32 v15, v15, v15
	v_max_f32_e32 v92, v92, v92
	v_and_b32_e32 v18, 0x7f800000, v11
	v_add3_u32 v93, v11, v93, s71
	v_cndmask_b32_e64 v11, v94, v11, s[26:27]
	v_min_f32_e32 v94, v15, v92
	v_max_f32_e32 v15, v15, v92
	v_cndmask_b32_e64 v15, v15, v94, s[24:25]
	v_bfe_u32 v94, v15, 16, 1
	v_or_b32_e32 v95, 0x10000, v15
	v_cmp_eq_u32_sdwa s[26:27], v15, v3 src0_sel:WORD_0 src1_sel:DWORD
	v_and_b32_e32 v92, 0x7f800000, v15
	v_add3_u32 v94, v15, v94, s71
	v_cndmask_b32_e64 v15, v95, v15, s[26:27]
	v_cmp_eq_u32_e64 s[26:27], s70, v39
	v_sub_u32_e32 v35, v35, v100
	v_lshl_add_u64 v[12:13], v[50:51], 0, v[20:21]
	v_cndmask_b32_e64 v8, v76, v8, s[26:27]
	v_cmp_eq_u32_e64 s[26:27], s70, v75
	v_lshrrev_b32_e32 v8, 16, v8
	v_lshl_add_u64 v[22:23], v[22:23], 0, v[100:101]
	v_cndmask_b32_e64 v16, v77, v16, s[26:27]
	v_cmp_eq_u32_e64 s[26:27], s70, v19
	v_and_or_b32 v8, v16, s80, v8
	v_lshl_add_u64 v[24:25], v[24:25], 0, v[100:101]
	v_cndmask_b32_e64 v9, v79, v9, s[26:27]
	v_cmp_eq_u32_e64 s[26:27], s70, v78
	v_lshrrev_b32_e32 v9, 16, v9
	v_lshl_add_u64 v[20:21], v[20:21], 0, v[100:101]
	v_cndmask_b32_e64 v17, v88, v17, s[26:27]
	v_cmp_eq_u32_e64 s[26:27], s70, v74
	v_and_or_b32 v9, v17, s80, v9
	v_sub_u32_e32 v34, v34, v84
	v_cndmask_b32_e64 v10, v90, v10, s[26:27]
	v_cmp_eq_u32_e64 s[26:27], s70, v89
	v_lshrrev_b32_e32 v10, 16, v10
	s_nop 0
	v_cndmask_b32_e64 v14, v91, v14, s[26:27]
	v_cmp_eq_u32_e64 s[26:27], s70, v18
	v_and_or_b32 v10, v14, s80, v10
	s_nop 0
	v_cndmask_b32_e64 v11, v93, v11, s[26:27]
	v_cmp_eq_u32_e64 s[26:27], s70, v92
	v_lshrrev_b32_e32 v11, 16, v11
	s_nop 0
	v_cndmask_b32_e64 v15, v94, v15, s[26:27]
	v_cmp_gt_i32_e64 s[26:27], 16, v35
	v_and_or_b32 v11, v15, s80, v11
	s_or_b64 s[42:43], s[26:27], s[42:43]
	global_store_dwordx4 v[12:13], v[8:11], off
	s_andn2_b64 exec, exec, s[42:43]
	s_cbranch_execz .LBB21_1131
.LBB21_1099:                            ;   Parent Loop BB21_47 Depth=1
                                        ;     Parent Loop BB21_623 Depth=2
                                        ; =>    This Inner Loop Header: Depth=3
	global_load_dwordx4 v[12:15], v[24:25], off nt
	global_load_dwordx4 v[16:19], v[22:23], off nt
	;; [unrolled: 1-line block ×3, first 2 shown]
	s_waitcnt vmcnt(0)
	v_lshlrev_b32_e32 v39, 16, v12
	v_lshlrev_b32_e32 v74, 16, v16
	v_max_f32_e32 v39, v39, v39
	v_max_f32_e32 v74, v74, v74
	v_min_f32_e32 v75, v74, v39
	v_max_f32_e32 v39, v74, v39
	v_cndmask_b32_e64 v74, v39, v75, s[24:25]
	v_and_b32_e32 v39, 0x7f800000, v74
	v_cmp_ne_u32_e64 s[26:27], s70, v39
                                        ; implicit-def: $vgpr39
	s_and_saveexec_b64 s[44:45], s[26:27]
	s_xor_b64 s[26:27], exec, s[44:45]
; %bb.1100:                             ;   in Loop: Header=BB21_1099 Depth=3
	v_bfe_u32 v39, v74, 16, 1
	v_add3_u32 v39, v74, v39, s71
                                        ; implicit-def: $vgpr74
; %bb.1101:                             ;   in Loop: Header=BB21_1099 Depth=3
	s_andn2_saveexec_b64 s[44:45], s[26:27]
; %bb.1102:                             ;   in Loop: Header=BB21_1099 Depth=3
	v_or_b32_e32 v39, 0x10000, v74
	v_cmp_eq_u32_sdwa s[26:27], v74, v3 src0_sel:WORD_0 src1_sel:DWORD
	s_nop 1
	v_cndmask_b32_e64 v39, v39, v74, s[26:27]
; %bb.1103:                             ;   in Loop: Header=BB21_1099 Depth=3
	s_or_b64 exec, exec, s[44:45]
	v_and_b32_e32 v12, 0xffff0000, v12
	v_and_b32_e32 v16, 0xffff0000, v16
	v_max_f32_e32 v12, v12, v12
	v_max_f32_e32 v16, v16, v16
	v_min_f32_e32 v74, v16, v12
	v_max_f32_e32 v12, v16, v12
	v_cndmask_b32_e64 v12, v12, v74, s[24:25]
	v_and_b32_e32 v16, 0x7f800000, v12
	v_cmp_ne_u32_e64 s[26:27], s70, v16
                                        ; implicit-def: $vgpr16
	s_and_saveexec_b64 s[44:45], s[26:27]
	s_xor_b64 s[26:27], exec, s[44:45]
; %bb.1104:                             ;   in Loop: Header=BB21_1099 Depth=3
	v_bfe_u32 v16, v12, 16, 1
	v_add3_u32 v16, v12, v16, s71
                                        ; implicit-def: $vgpr12
; %bb.1105:                             ;   in Loop: Header=BB21_1099 Depth=3
	s_andn2_saveexec_b64 s[44:45], s[26:27]
; %bb.1106:                             ;   in Loop: Header=BB21_1099 Depth=3
	v_or_b32_e32 v16, 0x10000, v12
	v_cmp_eq_u32_sdwa s[26:27], v12, v3 src0_sel:WORD_0 src1_sel:DWORD
	s_nop 1
	v_cndmask_b32_e64 v16, v16, v12, s[26:27]
; %bb.1107:                             ;   in Loop: Header=BB21_1099 Depth=3
	s_or_b64 exec, exec, s[44:45]
	v_lshlrev_b32_e32 v12, 16, v13
	v_lshlrev_b32_e32 v74, 16, v17
	v_max_f32_e32 v12, v12, v12
	v_max_f32_e32 v74, v74, v74
	v_min_f32_e32 v75, v74, v12
	v_max_f32_e32 v12, v74, v12
	v_cndmask_b32_e64 v12, v12, v75, s[24:25]
	v_and_b32_e32 v74, 0x7f800000, v12
	v_cmp_ne_u32_e64 s[26:27], s70, v74
                                        ; implicit-def: $vgpr74
	s_and_saveexec_b64 s[44:45], s[26:27]
	s_xor_b64 s[26:27], exec, s[44:45]
; %bb.1108:                             ;   in Loop: Header=BB21_1099 Depth=3
	v_bfe_u32 v74, v12, 16, 1
	v_add3_u32 v74, v12, v74, s71
                                        ; implicit-def: $vgpr12
; %bb.1109:                             ;   in Loop: Header=BB21_1099 Depth=3
	s_andn2_saveexec_b64 s[44:45], s[26:27]
; %bb.1110:                             ;   in Loop: Header=BB21_1099 Depth=3
	v_or_b32_e32 v74, 0x10000, v12
	v_cmp_eq_u32_sdwa s[26:27], v12, v3 src0_sel:WORD_0 src1_sel:DWORD
	s_nop 1
	v_cndmask_b32_e64 v74, v74, v12, s[26:27]
; %bb.1111:                             ;   in Loop: Header=BB21_1099 Depth=3
	s_or_b64 exec, exec, s[44:45]
	v_and_b32_e32 v12, 0xffff0000, v17
	v_and_b32_e32 v13, 0xffff0000, v13
	v_max_f32_e32 v13, v13, v13
	v_max_f32_e32 v12, v12, v12
	v_min_f32_e32 v17, v12, v13
	v_max_f32_e32 v12, v12, v13
	v_cndmask_b32_e64 v12, v12, v17, s[24:25]
	v_and_b32_e32 v13, 0x7f800000, v12
	v_cmp_ne_u32_e64 s[26:27], s70, v13
                                        ; implicit-def: $vgpr17
	s_and_saveexec_b64 s[44:45], s[26:27]
	s_xor_b64 s[26:27], exec, s[44:45]
; %bb.1112:                             ;   in Loop: Header=BB21_1099 Depth=3
	v_bfe_u32 v13, v12, 16, 1
	v_add3_u32 v17, v12, v13, s71
                                        ; implicit-def: $vgpr12
; %bb.1113:                             ;   in Loop: Header=BB21_1099 Depth=3
	s_andn2_saveexec_b64 s[44:45], s[26:27]
; %bb.1114:                             ;   in Loop: Header=BB21_1099 Depth=3
	v_or_b32_e32 v13, 0x10000, v12
	v_cmp_eq_u32_sdwa s[26:27], v12, v3 src0_sel:WORD_0 src1_sel:DWORD
	s_nop 1
	v_cndmask_b32_e64 v17, v13, v12, s[26:27]
; %bb.1115:                             ;   in Loop: Header=BB21_1099 Depth=3
	s_or_b64 exec, exec, s[44:45]
	v_lshlrev_b32_e32 v12, 16, v14
	v_lshlrev_b32_e32 v13, 16, v18
	v_max_f32_e32 v12, v12, v12
	v_max_f32_e32 v13, v13, v13
	v_min_f32_e32 v75, v13, v12
	v_max_f32_e32 v12, v13, v12
	v_cndmask_b32_e64 v12, v12, v75, s[24:25]
	v_and_b32_e32 v13, 0x7f800000, v12
	v_cmp_ne_u32_e64 s[26:27], s70, v13
                                        ; implicit-def: $vgpr75
	s_and_saveexec_b64 s[44:45], s[26:27]
	s_xor_b64 s[26:27], exec, s[44:45]
; %bb.1116:                             ;   in Loop: Header=BB21_1099 Depth=3
	v_bfe_u32 v13, v12, 16, 1
	v_add3_u32 v75, v12, v13, s71
                                        ; implicit-def: $vgpr12
; %bb.1117:                             ;   in Loop: Header=BB21_1099 Depth=3
	s_andn2_saveexec_b64 s[44:45], s[26:27]
; %bb.1118:                             ;   in Loop: Header=BB21_1099 Depth=3
	v_or_b32_e32 v13, 0x10000, v12
	v_cmp_eq_u32_sdwa s[26:27], v12, v3 src0_sel:WORD_0 src1_sel:DWORD
	s_nop 1
	v_cndmask_b32_e64 v75, v13, v12, s[26:27]
; %bb.1119:                             ;   in Loop: Header=BB21_1099 Depth=3
	s_or_b64 exec, exec, s[44:45]
	v_and_b32_e32 v12, 0xffff0000, v18
	v_and_b32_e32 v13, 0xffff0000, v14
	v_max_f32_e32 v13, v13, v13
	v_max_f32_e32 v12, v12, v12
	v_min_f32_e32 v14, v12, v13
	v_max_f32_e32 v12, v12, v13
	v_cndmask_b32_e64 v12, v12, v14, s[24:25]
	v_and_b32_e32 v13, 0x7f800000, v12
	v_cmp_ne_u32_e64 s[26:27], s70, v13
                                        ; implicit-def: $vgpr14
	s_and_saveexec_b64 s[44:45], s[26:27]
	s_xor_b64 s[26:27], exec, s[44:45]
; %bb.1120:                             ;   in Loop: Header=BB21_1099 Depth=3
	v_bfe_u32 v13, v12, 16, 1
	v_add3_u32 v14, v12, v13, s71
                                        ; implicit-def: $vgpr12
; %bb.1121:                             ;   in Loop: Header=BB21_1099 Depth=3
	s_andn2_saveexec_b64 s[44:45], s[26:27]
; %bb.1122:                             ;   in Loop: Header=BB21_1099 Depth=3
	v_or_b32_e32 v13, 0x10000, v12
	v_cmp_eq_u32_sdwa s[26:27], v12, v3 src0_sel:WORD_0 src1_sel:DWORD
	s_nop 1
	v_cndmask_b32_e64 v14, v13, v12, s[26:27]
; %bb.1123:                             ;   in Loop: Header=BB21_1099 Depth=3
	s_or_b64 exec, exec, s[44:45]
	v_lshlrev_b32_e32 v12, 16, v15
	v_lshlrev_b32_e32 v13, 16, v19
	v_max_f32_e32 v12, v12, v12
	v_max_f32_e32 v13, v13, v13
	v_min_f32_e32 v18, v13, v12
	v_max_f32_e32 v12, v13, v12
	v_cndmask_b32_e64 v12, v12, v18, s[24:25]
	v_and_b32_e32 v13, 0x7f800000, v12
	v_cmp_ne_u32_e64 s[26:27], s70, v13
                                        ; implicit-def: $vgpr18
	s_and_saveexec_b64 s[44:45], s[26:27]
	s_xor_b64 s[26:27], exec, s[44:45]
; %bb.1124:                             ;   in Loop: Header=BB21_1099 Depth=3
	v_bfe_u32 v13, v12, 16, 1
	v_add3_u32 v18, v12, v13, s71
                                        ; implicit-def: $vgpr12
; %bb.1125:                             ;   in Loop: Header=BB21_1099 Depth=3
	s_andn2_saveexec_b64 s[44:45], s[26:27]
; %bb.1126:                             ;   in Loop: Header=BB21_1099 Depth=3
	v_or_b32_e32 v13, 0x10000, v12
	v_cmp_eq_u32_sdwa s[26:27], v12, v3 src0_sel:WORD_0 src1_sel:DWORD
	s_nop 1
	v_cndmask_b32_e64 v18, v13, v12, s[26:27]
; %bb.1127:                             ;   in Loop: Header=BB21_1099 Depth=3
	s_or_b64 exec, exec, s[44:45]
	v_and_b32_e32 v12, 0xffff0000, v19
	v_and_b32_e32 v13, 0xffff0000, v15
	v_max_f32_e32 v13, v13, v13
	v_max_f32_e32 v12, v12, v12
	v_min_f32_e32 v15, v12, v13
	v_max_f32_e32 v12, v12, v13
	v_cndmask_b32_e64 v12, v12, v15, s[24:25]
	v_and_b32_e32 v13, 0x7f800000, v12
	v_cmp_ne_u32_e64 s[26:27], s70, v13
                                        ; implicit-def: $vgpr15
	s_and_saveexec_b64 s[44:45], s[26:27]
	s_xor_b64 s[26:27], exec, s[44:45]
; %bb.1128:                             ;   in Loop: Header=BB21_1099 Depth=3
	v_bfe_u32 v13, v12, 16, 1
	v_add3_u32 v15, v12, v13, s71
                                        ; implicit-def: $vgpr12
; %bb.1129:                             ;   in Loop: Header=BB21_1099 Depth=3
	s_andn2_saveexec_b64 s[44:45], s[26:27]
	s_cbranch_execz .LBB21_1098
; %bb.1130:                             ;   in Loop: Header=BB21_1099 Depth=3
	v_or_b32_e32 v13, 0x10000, v12
	v_cmp_eq_u32_sdwa s[26:27], v12, v3 src0_sel:WORD_0 src1_sel:DWORD
	s_nop 1
	v_cndmask_b32_e64 v15, v13, v12, s[26:27]
	s_branch .LBB21_1098
.LBB21_1131:                            ;   in Loop: Header=BB21_623 Depth=2
	s_or_b64 exec, exec, s[42:43]
.LBB21_1132:                            ;   in Loop: Header=BB21_623 Depth=2
	s_or_b64 exec, exec, s[40:41]
	v_and_b32_e32 v2, 14, v2
	v_sub_u32_e32 v8, v33, v2
	v_cndmask_b32_e32 v8, 0, v8, vcc
	v_cndmask_b32_e32 v2, v33, v2, vcc
	v_cmp_lt_i32_e32 vcc, 0, v34
	v_add3_u32 v16, v32, v26, v8
	s_nop 0
	v_cndmask_b32_e32 v8, 0, v84, vcc
	v_sub_u32_e32 v8, v8, v34
	v_cmp_ne_u32_e32 vcc, 0, v2
	v_lshl_add_u32 v17, v8, 6, v27
	s_and_b64 s[24:25], vcc, exec
.LBB21_1133:                            ;   in Loop: Header=BB21_623 Depth=2
	s_or_b64 exec, exec, s[28:29]
	s_and_saveexec_b64 s[26:27], s[24:25]
	s_cbranch_execz .LBB21_1210
.LBB21_1134:                            ;   in Loop: Header=BB21_623 Depth=2
	v_ashrrev_i32_e32 v8, 31, v17
	v_ashrrev_i32_e32 v9, 31, v2
	v_lshrrev_b32_e32 v8, 26, v8
	v_lshrrev_b32_e32 v9, 22, v9
	v_add_u32_e32 v8, v17, v8
	v_add_u32_e32 v9, v2, v9
	v_ashrrev_i32_e32 v18, 6, v8
	v_ashrrev_i32_e32 v20, 10, v9
	v_sub_u32_e32 v19, v20, v18
	v_cmp_lt_i32_e32 vcc, 0, v19
	s_and_saveexec_b64 s[28:29], vcc
	s_cbranch_execz .LBB21_1202
; %bb.1135:                             ;   in Loop: Header=BB21_623 Depth=2
	v_and_b32_e32 v8, 0x7fffffc0, v8
	s_trap 2
	ds_read_b64 v[10:11], v0
	v_sub_u32_e32 v8, v17, v8
	v_lshlrev_b32_e32 v8, 1, v8
	v_lshlrev_b32_e32 v9, 10, v18
	v_add3_u32 v12, v8, v16, v9
	s_and_b32 s74, s98, 1
	v_ashrrev_i32_e32 v13, 31, v12
	s_cmp_eq_u64 s[74:75], 0
	v_lshl_add_u64 v[8:9], v[12:13], 0, v[72:73]
	s_waitcnt lgkmcnt(0)
	v_lshl_add_u64 v[10:11], v[10:11], 0, v[12:13]
	s_mov_b64 s[40:41], 0
	s_cselect_b64 s[24:25], -1, 0
	v_lshl_add_u64 v[12:13], v[12:13], 0, s[36:37]
	s_branch .LBB21_1137
.LBB21_1136:                            ;   in Loop: Header=BB21_1137 Depth=3
	s_or_b64 exec, exec, s[42:43]
	v_sub_u32_e32 v19, v19, v84
	v_cmp_gt_i32_e32 vcc, 1, v19
	v_lshl_add_u64 v[8:9], v[8:9], 0, v[100:101]
	v_lshl_add_u64 v[10:11], v[10:11], 0, v[100:101]
	s_or_b64 s[40:41], vcc, s[40:41]
	v_lshl_add_u64 v[12:13], v[12:13], 0, v[100:101]
	flat_store_short_d16_hi v[14:15], v22 nt
	s_andn2_b64 exec, exec, s[40:41]
	s_cbranch_execz .LBB21_1201
.LBB21_1137:                            ;   Parent Loop BB21_47 Depth=1
                                        ;     Parent Loop BB21_623 Depth=2
                                        ; =>    This Inner Loop Header: Depth=3
	v_add_co_u32_e32 v14, vcc, 0xfffffc80, v12
	s_nop 1
	v_addc_co_u32_e32 v15, vcc, -1, v13, vcc
	v_add_co_u32_e32 v22, vcc, 0xfffffd00, v12
	flat_load_ushort v14, v[14:15] nt
	s_nop 0
	v_addc_co_u32_e32 v23, vcc, -1, v13, vcc
	flat_load_ushort v27, v[22:23] nt
	v_add_co_u32_e32 v22, vcc, 0xfffffd80, v12
	s_nop 1
	v_addc_co_u32_e32 v23, vcc, -1, v13, vcc
	flat_load_ushort v26, v[22:23] nt
	v_add_co_u32_e32 v22, vcc, 0xfffffe00, v12
	;; [unrolled: 4-line block ×3, first 2 shown]
	s_nop 1
	v_addc_co_u32_e32 v23, vcc, -1, v13, vcc
	flat_load_ushort v24, v[22:23] nt
	flat_load_ushort v76, v[8:9] offset:128 nt
	flat_load_ushort v74, v[8:9] offset:256 nt
	;; [unrolled: 1-line block ×7, first 2 shown]
	flat_load_ushort v75, v[8:9] nt
	flat_load_ushort v90, v[10:11] offset:128 nt
	flat_load_ushort v89, v[10:11] offset:256 nt
	;; [unrolled: 1-line block ×7, first 2 shown]
	flat_load_ushort v91, v[10:11] nt
	v_add_co_u32_e32 v92, vcc, 0xffffff00, v12
	s_waitcnt vmcnt(0) lgkmcnt(0)
	v_lshlrev_b32_e32 v75, 16, v75
	v_addc_co_u32_e32 v93, vcc, -1, v13, vcc
	v_add_co_u32_e32 v22, vcc, s68, v12
	v_max_f32_e32 v75, v75, v75
	s_nop 0
	v_addc_co_u32_e32 v23, vcc, -1, v13, vcc
	flat_load_ushort v22, v[22:23] nt
	s_nop 0
	flat_load_ushort v21, v[12:13] nt
	flat_load_ushort v23, v[92:93] nt
	v_lshlrev_b32_e32 v91, 16, v91
	v_max_f32_e32 v91, v91, v91
	v_min_f32_e32 v92, v75, v91
	v_max_f32_e32 v75, v75, v91
	v_cndmask_b32_e64 v91, v75, v92, s[24:25]
	v_and_b32_e32 v75, 0x7f800000, v91
	v_cmp_ne_u32_e32 vcc, s70, v75
                                        ; implicit-def: $vgpr75
	s_and_saveexec_b64 s[42:43], vcc
	s_xor_b64 s[42:43], exec, s[42:43]
; %bb.1138:                             ;   in Loop: Header=BB21_1137 Depth=3
	v_bfe_u32 v75, v91, 16, 1
	v_add3_u32 v75, v91, v75, s71
                                        ; implicit-def: $vgpr91
; %bb.1139:                             ;   in Loop: Header=BB21_1137 Depth=3
	s_andn2_saveexec_b64 s[42:43], s[42:43]
; %bb.1140:                             ;   in Loop: Header=BB21_1137 Depth=3
	v_or_b32_e32 v75, 0x10000, v91
	v_cmp_eq_u32_sdwa vcc, v91, v3 src0_sel:WORD_0 src1_sel:DWORD
	s_nop 1
	v_cndmask_b32_e32 v75, v75, v91, vcc
; %bb.1141:                             ;   in Loop: Header=BB21_1137 Depth=3
	s_or_b64 exec, exec, s[42:43]
	v_lshlrev_b32_e32 v76, 16, v76
	v_lshlrev_b32_e32 v90, 16, v90
	v_max_f32_e32 v90, v90, v90
	v_max_f32_e32 v76, v76, v76
	v_min_f32_e32 v91, v76, v90
	v_max_f32_e32 v76, v76, v90
	v_cndmask_b32_e64 v90, v76, v91, s[24:25]
	v_and_b32_e32 v76, 0x7f800000, v90
	v_cmp_ne_u32_e32 vcc, s70, v76
                                        ; implicit-def: $vgpr76
	s_and_saveexec_b64 s[42:43], vcc
	s_xor_b64 s[42:43], exec, s[42:43]
; %bb.1142:                             ;   in Loop: Header=BB21_1137 Depth=3
	v_bfe_u32 v76, v90, 16, 1
	v_add3_u32 v76, v90, v76, s71
                                        ; implicit-def: $vgpr90
; %bb.1143:                             ;   in Loop: Header=BB21_1137 Depth=3
	s_andn2_saveexec_b64 s[42:43], s[42:43]
; %bb.1144:                             ;   in Loop: Header=BB21_1137 Depth=3
	v_or_b32_e32 v76, 0x10000, v90
	v_cmp_eq_u32_sdwa vcc, v90, v3 src0_sel:WORD_0 src1_sel:DWORD
	s_nop 1
	v_cndmask_b32_e32 v76, v76, v90, vcc
; %bb.1145:                             ;   in Loop: Header=BB21_1137 Depth=3
	s_or_b64 exec, exec, s[42:43]
	v_lshlrev_b32_e32 v74, 16, v74
	v_lshlrev_b32_e32 v89, 16, v89
	v_max_f32_e32 v89, v89, v89
	v_max_f32_e32 v74, v74, v74
	v_min_f32_e32 v90, v74, v89
	v_max_f32_e32 v74, v74, v89
	v_cndmask_b32_e64 v89, v74, v90, s[24:25]
	v_and_b32_e32 v74, 0x7f800000, v89
	v_cmp_ne_u32_e32 vcc, s70, v74
                                        ; implicit-def: $vgpr74
	s_and_saveexec_b64 s[42:43], vcc
	s_xor_b64 s[42:43], exec, s[42:43]
; %bb.1146:                             ;   in Loop: Header=BB21_1137 Depth=3
	v_bfe_u32 v74, v89, 16, 1
	v_add3_u32 v74, v89, v74, s71
                                        ; implicit-def: $vgpr89
; %bb.1147:                             ;   in Loop: Header=BB21_1137 Depth=3
	s_andn2_saveexec_b64 s[42:43], s[42:43]
; %bb.1148:                             ;   in Loop: Header=BB21_1137 Depth=3
	v_or_b32_e32 v74, 0x10000, v89
	v_cmp_eq_u32_sdwa vcc, v89, v3 src0_sel:WORD_0 src1_sel:DWORD
	s_nop 1
	v_cndmask_b32_e32 v74, v74, v89, vcc
; %bb.1149:                             ;   in Loop: Header=BB21_1137 Depth=3
	s_or_b64 exec, exec, s[42:43]
	v_lshlrev_b32_e32 v39, 16, v39
	v_lshlrev_b32_e32 v88, 16, v88
	v_max_f32_e32 v88, v88, v88
	v_max_f32_e32 v39, v39, v39
	v_min_f32_e32 v89, v39, v88
	v_max_f32_e32 v39, v39, v88
	v_cndmask_b32_e64 v88, v39, v89, s[24:25]
	v_and_b32_e32 v39, 0x7f800000, v88
	v_cmp_ne_u32_e32 vcc, s70, v39
                                        ; implicit-def: $vgpr39
	s_and_saveexec_b64 s[42:43], vcc
	s_xor_b64 s[42:43], exec, s[42:43]
; %bb.1150:                             ;   in Loop: Header=BB21_1137 Depth=3
	v_bfe_u32 v39, v88, 16, 1
	v_add3_u32 v39, v88, v39, s71
                                        ; implicit-def: $vgpr88
; %bb.1151:                             ;   in Loop: Header=BB21_1137 Depth=3
	s_andn2_saveexec_b64 s[42:43], s[42:43]
; %bb.1152:                             ;   in Loop: Header=BB21_1137 Depth=3
	v_or_b32_e32 v39, 0x10000, v88
	v_cmp_eq_u32_sdwa vcc, v88, v3 src0_sel:WORD_0 src1_sel:DWORD
	s_nop 1
	v_cndmask_b32_e32 v39, v39, v88, vcc
; %bb.1153:                             ;   in Loop: Header=BB21_1137 Depth=3
	s_or_b64 exec, exec, s[42:43]
	v_lshlrev_b32_e32 v35, 16, v35
	v_lshlrev_b32_e32 v79, 16, v79
	v_max_f32_e32 v79, v79, v79
	v_max_f32_e32 v35, v35, v35
	v_min_f32_e32 v88, v35, v79
	v_max_f32_e32 v35, v35, v79
	v_cndmask_b32_e64 v79, v35, v88, s[24:25]
	v_and_b32_e32 v35, 0x7f800000, v79
	v_cmp_ne_u32_e32 vcc, s70, v35
                                        ; implicit-def: $vgpr35
	s_and_saveexec_b64 s[42:43], vcc
	s_xor_b64 s[42:43], exec, s[42:43]
; %bb.1154:                             ;   in Loop: Header=BB21_1137 Depth=3
	v_bfe_u32 v35, v79, 16, 1
	v_add3_u32 v35, v79, v35, s71
                                        ; implicit-def: $vgpr79
; %bb.1155:                             ;   in Loop: Header=BB21_1137 Depth=3
	s_andn2_saveexec_b64 s[42:43], s[42:43]
; %bb.1156:                             ;   in Loop: Header=BB21_1137 Depth=3
	v_or_b32_e32 v35, 0x10000, v79
	v_cmp_eq_u32_sdwa vcc, v79, v3 src0_sel:WORD_0 src1_sel:DWORD
	s_nop 1
	v_cndmask_b32_e32 v35, v35, v79, vcc
; %bb.1157:                             ;   in Loop: Header=BB21_1137 Depth=3
	s_or_b64 exec, exec, s[42:43]
	v_lshlrev_b32_e32 v34, 16, v34
	v_lshlrev_b32_e32 v78, 16, v78
	v_max_f32_e32 v78, v78, v78
	v_max_f32_e32 v34, v34, v34
	v_min_f32_e32 v79, v34, v78
	v_max_f32_e32 v34, v34, v78
	v_cndmask_b32_e64 v78, v34, v79, s[24:25]
	v_and_b32_e32 v34, 0x7f800000, v78
	v_cmp_ne_u32_e32 vcc, s70, v34
                                        ; implicit-def: $vgpr34
	s_and_saveexec_b64 s[42:43], vcc
	s_xor_b64 s[42:43], exec, s[42:43]
; %bb.1158:                             ;   in Loop: Header=BB21_1137 Depth=3
	v_bfe_u32 v34, v78, 16, 1
	v_add3_u32 v34, v78, v34, s71
                                        ; implicit-def: $vgpr78
; %bb.1159:                             ;   in Loop: Header=BB21_1137 Depth=3
	s_andn2_saveexec_b64 s[42:43], s[42:43]
; %bb.1160:                             ;   in Loop: Header=BB21_1137 Depth=3
	v_or_b32_e32 v34, 0x10000, v78
	v_cmp_eq_u32_sdwa vcc, v78, v3 src0_sel:WORD_0 src1_sel:DWORD
	s_nop 1
	v_cndmask_b32_e32 v34, v34, v78, vcc
; %bb.1161:                             ;   in Loop: Header=BB21_1137 Depth=3
	s_or_b64 exec, exec, s[42:43]
	v_lshlrev_b32_e32 v33, 16, v33
	v_lshlrev_b32_e32 v77, 16, v77
	v_max_f32_e32 v77, v77, v77
	v_max_f32_e32 v33, v33, v33
	v_min_f32_e32 v78, v33, v77
	v_max_f32_e32 v33, v33, v77
	v_cndmask_b32_e64 v77, v33, v78, s[24:25]
	v_and_b32_e32 v33, 0x7f800000, v77
	v_cmp_ne_u32_e32 vcc, s70, v33
                                        ; implicit-def: $vgpr33
	s_and_saveexec_b64 s[42:43], vcc
	s_xor_b64 s[42:43], exec, s[42:43]
; %bb.1162:                             ;   in Loop: Header=BB21_1137 Depth=3
	v_bfe_u32 v33, v77, 16, 1
	v_add3_u32 v33, v77, v33, s71
                                        ; implicit-def: $vgpr77
; %bb.1163:                             ;   in Loop: Header=BB21_1137 Depth=3
	s_andn2_saveexec_b64 s[42:43], s[42:43]
; %bb.1164:                             ;   in Loop: Header=BB21_1137 Depth=3
	v_or_b32_e32 v33, 0x10000, v77
	v_cmp_eq_u32_sdwa vcc, v77, v3 src0_sel:WORD_0 src1_sel:DWORD
	s_nop 1
	v_cndmask_b32_e32 v33, v33, v77, vcc
; %bb.1165:                             ;   in Loop: Header=BB21_1137 Depth=3
	s_or_b64 exec, exec, s[42:43]
	v_lshlrev_b32_e32 v15, 16, v15
	v_lshlrev_b32_e32 v32, 16, v32
	v_max_f32_e32 v32, v32, v32
	v_max_f32_e32 v15, v15, v15
	v_min_f32_e32 v77, v15, v32
	v_max_f32_e32 v15, v15, v32
	v_cndmask_b32_e64 v15, v15, v77, s[24:25]
	v_and_b32_e32 v32, 0x7f800000, v15
	v_cmp_ne_u32_e32 vcc, s70, v32
                                        ; implicit-def: $vgpr32
	s_and_saveexec_b64 s[42:43], vcc
	s_xor_b64 s[42:43], exec, s[42:43]
; %bb.1166:                             ;   in Loop: Header=BB21_1137 Depth=3
	v_bfe_u32 v32, v15, 16, 1
	v_add3_u32 v32, v15, v32, s71
                                        ; implicit-def: $vgpr15
; %bb.1167:                             ;   in Loop: Header=BB21_1137 Depth=3
	s_andn2_saveexec_b64 s[42:43], s[42:43]
; %bb.1168:                             ;   in Loop: Header=BB21_1137 Depth=3
	v_or_b32_e32 v32, 0x10000, v15
	v_cmp_eq_u32_sdwa vcc, v15, v3 src0_sel:WORD_0 src1_sel:DWORD
	s_nop 1
	v_cndmask_b32_e32 v32, v32, v15, vcc
; %bb.1169:                             ;   in Loop: Header=BB21_1137 Depth=3
	s_or_b64 exec, exec, s[42:43]
	v_and_b32_e32 v15, 0xffff0000, v75
	v_lshlrev_b32_e32 v14, 16, v14
	v_max_f32_e32 v15, v15, v15
	v_max_f32_e32 v14, v14, v14
	v_min_f32_e32 v75, v15, v14
	v_max_f32_e32 v14, v15, v14
	v_cndmask_b32_e64 v14, v14, v75, s[24:25]
	v_and_b32_e32 v15, 0x7f800000, v14
	v_cmp_ne_u32_e32 vcc, s70, v15
                                        ; implicit-def: $vgpr75
	s_and_saveexec_b64 s[42:43], vcc
	s_xor_b64 s[42:43], exec, s[42:43]
; %bb.1170:                             ;   in Loop: Header=BB21_1137 Depth=3
	v_bfe_u32 v15, v14, 16, 1
	v_add3_u32 v75, v14, v15, s71
                                        ; implicit-def: $vgpr14
; %bb.1171:                             ;   in Loop: Header=BB21_1137 Depth=3
	s_andn2_saveexec_b64 s[42:43], s[42:43]
; %bb.1172:                             ;   in Loop: Header=BB21_1137 Depth=3
	v_or_b32_e32 v15, 0x10000, v14
	v_cmp_eq_u32_sdwa vcc, v14, v3 src0_sel:WORD_0 src1_sel:DWORD
	s_nop 1
	v_cndmask_b32_e32 v75, v15, v14, vcc
; %bb.1173:                             ;   in Loop: Header=BB21_1137 Depth=3
	s_or_b64 exec, exec, s[42:43]
	v_lshl_add_u64 v[14:15], v[50:51], 0, v[12:13]
	v_and_b32_e32 v78, 0xffff0000, v76
	v_add_co_u32_e32 v76, vcc, 0xfffffc80, v14
	v_lshlrev_b32_e32 v27, 16, v27
	s_nop 0
	v_addc_co_u32_e32 v77, vcc, -1, v15, vcc
	flat_store_short_d16_hi v[76:77], v75 nt
	v_max_f32_e32 v75, v78, v78
	v_max_f32_e32 v27, v27, v27
	v_min_f32_e32 v76, v75, v27
	v_max_f32_e32 v27, v75, v27
	v_cndmask_b32_e64 v75, v27, v76, s[24:25]
	v_and_b32_e32 v27, 0x7f800000, v75
	v_cmp_ne_u32_e32 vcc, s70, v27
                                        ; implicit-def: $vgpr27
	s_and_saveexec_b64 s[42:43], vcc
	s_xor_b64 s[42:43], exec, s[42:43]
; %bb.1174:                             ;   in Loop: Header=BB21_1137 Depth=3
	v_bfe_u32 v27, v75, 16, 1
	v_add3_u32 v27, v75, v27, s71
                                        ; implicit-def: $vgpr75
; %bb.1175:                             ;   in Loop: Header=BB21_1137 Depth=3
	s_andn2_saveexec_b64 s[42:43], s[42:43]
; %bb.1176:                             ;   in Loop: Header=BB21_1137 Depth=3
	v_or_b32_e32 v27, 0x10000, v75
	v_cmp_eq_u32_sdwa vcc, v75, v3 src0_sel:WORD_0 src1_sel:DWORD
	s_nop 1
	v_cndmask_b32_e32 v27, v27, v75, vcc
; %bb.1177:                             ;   in Loop: Header=BB21_1137 Depth=3
	s_or_b64 exec, exec, s[42:43]
	v_and_b32_e32 v76, 0xffff0000, v74
	v_add_co_u32_e32 v74, vcc, 0xfffffd00, v14
	v_lshlrev_b32_e32 v26, 16, v26
	s_nop 0
	v_addc_co_u32_e32 v75, vcc, -1, v15, vcc
	flat_store_short_d16_hi v[74:75], v27 nt
	v_max_f32_e32 v27, v76, v76
	v_max_f32_e32 v26, v26, v26
	v_min_f32_e32 v74, v27, v26
	v_max_f32_e32 v26, v27, v26
	v_cndmask_b32_e64 v27, v26, v74, s[24:25]
	v_and_b32_e32 v26, 0x7f800000, v27
	v_cmp_ne_u32_e32 vcc, s70, v26
                                        ; implicit-def: $vgpr26
	s_and_saveexec_b64 s[42:43], vcc
	s_xor_b64 s[42:43], exec, s[42:43]
; %bb.1178:                             ;   in Loop: Header=BB21_1137 Depth=3
	v_bfe_u32 v26, v27, 16, 1
	v_add3_u32 v26, v27, v26, s71
                                        ; implicit-def: $vgpr27
; %bb.1179:                             ;   in Loop: Header=BB21_1137 Depth=3
	s_andn2_saveexec_b64 s[42:43], s[42:43]
; %bb.1180:                             ;   in Loop: Header=BB21_1137 Depth=3
	v_or_b32_e32 v26, 0x10000, v27
	v_cmp_eq_u32_sdwa vcc, v27, v3 src0_sel:WORD_0 src1_sel:DWORD
	s_nop 1
	v_cndmask_b32_e32 v26, v26, v27, vcc
; %bb.1181:                             ;   in Loop: Header=BB21_1137 Depth=3
	s_or_b64 exec, exec, s[42:43]
	v_add_co_u32_e32 v74, vcc, 0xfffffd80, v14
	v_and_b32_e32 v27, 0xffff0000, v39
	s_nop 0
	v_addc_co_u32_e32 v75, vcc, -1, v15, vcc
	v_lshlrev_b32_e32 v25, 16, v25
	flat_store_short_d16_hi v[74:75], v26 nt
	v_max_f32_e32 v26, v27, v27
	v_max_f32_e32 v25, v25, v25
	v_min_f32_e32 v27, v26, v25
	v_max_f32_e32 v25, v26, v25
	v_cndmask_b32_e64 v26, v25, v27, s[24:25]
	v_and_b32_e32 v25, 0x7f800000, v26
	v_cmp_ne_u32_e32 vcc, s70, v25
                                        ; implicit-def: $vgpr25
	s_and_saveexec_b64 s[42:43], vcc
	s_xor_b64 s[42:43], exec, s[42:43]
; %bb.1182:                             ;   in Loop: Header=BB21_1137 Depth=3
	v_bfe_u32 v25, v26, 16, 1
	v_add3_u32 v25, v26, v25, s71
                                        ; implicit-def: $vgpr26
; %bb.1183:                             ;   in Loop: Header=BB21_1137 Depth=3
	s_andn2_saveexec_b64 s[42:43], s[42:43]
; %bb.1184:                             ;   in Loop: Header=BB21_1137 Depth=3
	v_or_b32_e32 v25, 0x10000, v26
	v_cmp_eq_u32_sdwa vcc, v26, v3 src0_sel:WORD_0 src1_sel:DWORD
	s_nop 1
	v_cndmask_b32_e32 v25, v25, v26, vcc
; %bb.1185:                             ;   in Loop: Header=BB21_1137 Depth=3
	s_or_b64 exec, exec, s[42:43]
	v_add_co_u32_e32 v26, vcc, 0xfffffe00, v14
	v_and_b32_e32 v35, 0xffff0000, v35
	s_nop 0
	v_addc_co_u32_e32 v27, vcc, -1, v15, vcc
	v_lshlrev_b32_e32 v24, 16, v24
	flat_store_short_d16_hi v[26:27], v25 nt
	v_max_f32_e32 v25, v35, v35
	v_max_f32_e32 v24, v24, v24
	v_min_f32_e32 v26, v25, v24
	v_max_f32_e32 v24, v25, v24
	v_cndmask_b32_e64 v25, v24, v26, s[24:25]
	v_and_b32_e32 v24, 0x7f800000, v25
	v_cmp_ne_u32_e32 vcc, s70, v24
                                        ; implicit-def: $vgpr24
	s_and_saveexec_b64 s[42:43], vcc
	s_xor_b64 s[42:43], exec, s[42:43]
; %bb.1186:                             ;   in Loop: Header=BB21_1137 Depth=3
	v_bfe_u32 v24, v25, 16, 1
	v_add3_u32 v24, v25, v24, s71
                                        ; implicit-def: $vgpr25
; %bb.1187:                             ;   in Loop: Header=BB21_1137 Depth=3
	s_andn2_saveexec_b64 s[42:43], s[42:43]
; %bb.1188:                             ;   in Loop: Header=BB21_1137 Depth=3
	v_or_b32_e32 v24, 0x10000, v25
	v_cmp_eq_u32_sdwa vcc, v25, v3 src0_sel:WORD_0 src1_sel:DWORD
	s_nop 1
	v_cndmask_b32_e32 v24, v24, v25, vcc
; %bb.1189:                             ;   in Loop: Header=BB21_1137 Depth=3
	s_or_b64 exec, exec, s[42:43]
	v_add_co_u32_e32 v26, vcc, 0xfffffe80, v14
	v_and_b32_e32 v25, 0xffff0000, v34
	s_nop 0
	v_addc_co_u32_e32 v27, vcc, -1, v15, vcc
	s_waitcnt vmcnt(0) lgkmcnt(0)
	v_lshlrev_b32_e32 v23, 16, v23
	flat_store_short_d16_hi v[26:27], v24 nt
	v_max_f32_e32 v24, v25, v25
	v_max_f32_e32 v23, v23, v23
	v_min_f32_e32 v25, v24, v23
	v_max_f32_e32 v23, v24, v23
	v_cndmask_b32_e64 v24, v23, v25, s[24:25]
	v_and_b32_e32 v23, 0x7f800000, v24
	v_cmp_ne_u32_e32 vcc, s70, v23
                                        ; implicit-def: $vgpr23
	s_and_saveexec_b64 s[42:43], vcc
	s_xor_b64 s[42:43], exec, s[42:43]
; %bb.1190:                             ;   in Loop: Header=BB21_1137 Depth=3
	v_bfe_u32 v23, v24, 16, 1
	v_add3_u32 v23, v24, v23, s71
                                        ; implicit-def: $vgpr24
; %bb.1191:                             ;   in Loop: Header=BB21_1137 Depth=3
	s_andn2_saveexec_b64 s[42:43], s[42:43]
; %bb.1192:                             ;   in Loop: Header=BB21_1137 Depth=3
	v_or_b32_e32 v23, 0x10000, v24
	v_cmp_eq_u32_sdwa vcc, v24, v3 src0_sel:WORD_0 src1_sel:DWORD
	s_nop 1
	v_cndmask_b32_e32 v23, v23, v24, vcc
; %bb.1193:                             ;   in Loop: Header=BB21_1137 Depth=3
	s_or_b64 exec, exec, s[42:43]
	v_add_co_u32_e32 v24, vcc, 0xffffff00, v14
	v_and_b32_e32 v26, 0xffff0000, v33
	s_nop 0
	v_addc_co_u32_e32 v25, vcc, -1, v15, vcc
	v_lshlrev_b32_e32 v22, 16, v22
	flat_store_short_d16_hi v[24:25], v23 nt
	v_max_f32_e32 v23, v26, v26
	v_max_f32_e32 v22, v22, v22
	v_min_f32_e32 v24, v23, v22
	v_max_f32_e32 v22, v23, v22
	v_cndmask_b32_e64 v23, v22, v24, s[24:25]
	v_and_b32_e32 v22, 0x7f800000, v23
	v_cmp_ne_u32_e32 vcc, s70, v22
                                        ; implicit-def: $vgpr22
	s_and_saveexec_b64 s[42:43], vcc
	s_xor_b64 s[42:43], exec, s[42:43]
; %bb.1194:                             ;   in Loop: Header=BB21_1137 Depth=3
	v_bfe_u32 v22, v23, 16, 1
	v_add3_u32 v22, v23, v22, s71
                                        ; implicit-def: $vgpr23
; %bb.1195:                             ;   in Loop: Header=BB21_1137 Depth=3
	s_andn2_saveexec_b64 s[42:43], s[42:43]
; %bb.1196:                             ;   in Loop: Header=BB21_1137 Depth=3
	v_or_b32_e32 v22, 0x10000, v23
	v_cmp_eq_u32_sdwa vcc, v23, v3 src0_sel:WORD_0 src1_sel:DWORD
	s_nop 1
	v_cndmask_b32_e32 v22, v22, v23, vcc
; %bb.1197:                             ;   in Loop: Header=BB21_1137 Depth=3
	s_or_b64 exec, exec, s[42:43]
	v_add_co_u32_e32 v24, vcc, 0xffffff80, v14
	v_and_b32_e32 v23, 0xffff0000, v32
	s_nop 0
	v_addc_co_u32_e32 v25, vcc, -1, v15, vcc
	v_lshlrev_b32_e32 v21, 16, v21
	flat_store_short_d16_hi v[24:25], v22 nt
	v_max_f32_e32 v22, v23, v23
	v_max_f32_e32 v21, v21, v21
	v_min_f32_e32 v23, v22, v21
	v_max_f32_e32 v21, v22, v21
	v_cndmask_b32_e64 v21, v21, v23, s[24:25]
	v_and_b32_e32 v22, 0x7f800000, v21
	v_cmp_ne_u32_e32 vcc, s70, v22
                                        ; implicit-def: $vgpr22
	s_and_saveexec_b64 s[42:43], vcc
	s_xor_b64 s[42:43], exec, s[42:43]
; %bb.1198:                             ;   in Loop: Header=BB21_1137 Depth=3
	v_bfe_u32 v22, v21, 16, 1
	v_add3_u32 v22, v21, v22, s71
                                        ; implicit-def: $vgpr21
; %bb.1199:                             ;   in Loop: Header=BB21_1137 Depth=3
	s_andn2_saveexec_b64 s[42:43], s[42:43]
	s_cbranch_execz .LBB21_1136
; %bb.1200:                             ;   in Loop: Header=BB21_1137 Depth=3
	v_or_b32_e32 v22, 0x10000, v21
	v_cmp_eq_u32_sdwa vcc, v21, v3 src0_sel:WORD_0 src1_sel:DWORD
	s_nop 1
	v_cndmask_b32_e32 v22, v22, v21, vcc
	s_branch .LBB21_1136
.LBB21_1201:                            ;   in Loop: Header=BB21_623 Depth=2
	s_or_b64 exec, exec, s[40:41]
.LBB21_1202:                            ;   in Loop: Header=BB21_623 Depth=2
	s_or_b64 exec, exec, s[28:29]
	v_lshlrev_b32_e32 v8, 10, v20
	v_cmp_ne_u32_e32 vcc, v2, v8
	s_and_b64 exec, exec, vcc
	s_cbranch_execz .LBB21_1210
; %bb.1203:                             ;   in Loop: Header=BB21_623 Depth=2
	v_lshlrev_b32_e32 v9, 6, v18
	v_sub_u32_e32 v9, v17, v9
	v_lshlrev_b32_e32 v10, 6, v19
	v_sub_u32_e32 v9, v9, v10
	v_ashrrev_i32_e32 v10, 31, v9
	v_lshrrev_b32_e32 v10, 26, v10
	v_add_u32_e32 v10, v9, v10
	v_and_b32_e32 v11, 0x7fffffc0, v10
	v_sub_u32_e32 v9, v9, v11
	v_lshlrev_b32_e32 v10, 1, v10
	v_and_b32_e32 v10, 0xffffff80, v10
	v_lshlrev_b32_e32 v9, 1, v9
	v_add3_u32 v8, v10, v9, v8
	v_sub_u32_e32 v2, v2, v8
	v_cmp_lt_i32_e32 vcc, 1, v2
	s_and_b64 exec, exec, vcc
	s_cbranch_execz .LBB21_1210
; %bb.1204:                             ;   in Loop: Header=BB21_623 Depth=2
	s_trap 2
	ds_read_b64 v[12:13], v0
	v_add_u32_e32 v8, v8, v16
	s_and_b32 s74, s98, 1
	v_ashrrev_i32_e32 v9, 31, v8
	s_cmp_eq_u64 s[74:75], 0
	v_lshl_add_u64 v[10:11], v[8:9], 0, v[72:73]
	s_waitcnt lgkmcnt(0)
	v_lshl_add_u64 v[12:13], v[12:13], 0, v[8:9]
	s_mov_b64 s[28:29], 0
	s_cselect_b64 vcc, -1, 0
	s_branch .LBB21_1206
.LBB21_1205:                            ;   in Loop: Header=BB21_1206 Depth=3
	s_or_b64 exec, exec, s[40:41]
	v_and_b32_e32 v15, 0xffff0000, v16
	v_lshlrev_b32_e32 v14, 16, v14
	v_max_f32_e32 v15, v15, v15
	v_max_f32_e32 v14, v14, v14
	v_min_f32_e32 v16, v15, v14
	v_max_f32_e32 v14, v15, v14
	v_cndmask_b32_e32 v14, v14, v16, vcc
	v_and_b32_e32 v15, 0x7f800000, v14
	v_bfe_u32 v16, v14, 16, 1
	v_or_b32_e32 v17, 0x10000, v14
	v_cmp_eq_u32_sdwa s[24:25], v14, v3 src0_sel:WORD_0 src1_sel:DWORD
	v_add3_u32 v16, v14, v16, s71
	v_sub_u32_e32 v2, v2, v102
	v_cndmask_b32_e64 v14, v17, v14, s[24:25]
	v_cmp_eq_u32_e64 s[24:25], s70, v15
	v_lshl_add_u64 v[18:19], v[50:51], 0, v[8:9]
	v_lshl_add_u64 v[10:11], v[10:11], 0, v[102:103]
	v_cndmask_b32_e64 v14, v16, v14, s[24:25]
	v_cmp_gt_i32_e64 s[24:25], 2, v2
	v_lshl_add_u64 v[12:13], v[12:13], 0, v[102:103]
	s_or_b64 s[28:29], s[24:25], s[28:29]
	v_lshl_add_u64 v[8:9], v[8:9], 0, v[102:103]
	flat_store_short_d16_hi v[18:19], v14 nt
	s_andn2_b64 exec, exec, s[28:29]
	s_cbranch_execz .LBB21_1210
.LBB21_1206:                            ;   Parent Loop BB21_47 Depth=1
                                        ;     Parent Loop BB21_623 Depth=2
                                        ; =>    This Inner Loop Header: Depth=3
	flat_load_ushort v15, v[12:13] nt
	flat_load_ushort v16, v[10:11] nt
	;; [unrolled: 1-line block ×3, first 2 shown]
	s_waitcnt vmcnt(0) lgkmcnt(0)
	v_lshlrev_b32_e32 v15, 16, v15
	v_lshlrev_b32_e32 v16, 16, v16
	v_max_f32_e32 v15, v15, v15
	v_max_f32_e32 v16, v16, v16
	v_min_f32_e32 v17, v16, v15
	v_max_f32_e32 v15, v16, v15
	v_cndmask_b32_e32 v15, v15, v17, vcc
	v_and_b32_e32 v16, 0x7f800000, v15
	v_cmp_ne_u32_e64 s[24:25], s70, v16
                                        ; implicit-def: $vgpr16
	s_and_saveexec_b64 s[40:41], s[24:25]
	s_xor_b64 s[24:25], exec, s[40:41]
; %bb.1207:                             ;   in Loop: Header=BB21_1206 Depth=3
	v_bfe_u32 v16, v15, 16, 1
	v_add3_u32 v16, v15, v16, s71
                                        ; implicit-def: $vgpr15
; %bb.1208:                             ;   in Loop: Header=BB21_1206 Depth=3
	s_andn2_saveexec_b64 s[40:41], s[24:25]
	s_cbranch_execz .LBB21_1205
; %bb.1209:                             ;   in Loop: Header=BB21_1206 Depth=3
	v_or_b32_e32 v16, 0x10000, v15
	v_cmp_eq_u32_sdwa s[24:25], v15, v3 src0_sel:WORD_0 src1_sel:DWORD
	s_nop 1
	v_cndmask_b32_e64 v16, v16, v15, s[24:25]
	s_branch .LBB21_1205
.LBB21_1210:                            ;   in Loop: Header=BB21_623 Depth=2
	s_or_b64 exec, exec, s[26:27]
	v_cmp_lt_i32_e64 s[24:25], 0, v37
	s_and_saveexec_b64 s[26:27], s[4:5]
	s_cbranch_execz .LBB21_699
.LBB21_1211:                            ;   in Loop: Header=BB21_623 Depth=2
	s_and_saveexec_b64 s[28:29], s[76:77]
	s_xor_b64 s[28:29], exec, s[28:29]
	s_cbranch_execz .LBB21_1226
; %bb.1212:                             ;   in Loop: Header=BB21_623 Depth=2
	s_and_saveexec_b64 s[40:41], s[12:13]
	s_cbranch_execz .LBB21_1225
; %bb.1213:                             ;   in Loop: Header=BB21_623 Depth=2
	s_mov_b64 s[44:45], exec
	v_mbcnt_lo_u32_b32 v2, s44, 0
	v_mbcnt_hi_u32_b32 v2, s45, v2
	v_cmp_eq_u32_e32 vcc, 0, v2
	s_waitcnt lgkmcnt(0)
	s_and_saveexec_b64 s[42:43], vcc
	s_cbranch_execz .LBB21_1215
; %bb.1214:                             ;   in Loop: Header=BB21_623 Depth=2
	s_bcnt1_i32_b64 s44, s[44:45]
	v_mov_b32_e32 v2, s44
	ds_add_u64 v0, v[2:3]
	s_trap 2
.LBB21_1215:                            ;   in Loop: Header=BB21_623 Depth=2
	s_or_b64 exec, exec, s[42:43]
	s_trap 2
	ds_read_b64 v[8:9], v0
	s_waitcnt lgkmcnt(0)
	v_lshl_add_u64 v[70:71], v[70:71], 0, v[84:85]
	v_cmp_lt_u64_e32 vcc, v[8:9], v[70:71]
	s_and_saveexec_b64 s[42:43], vcc
	s_cbranch_execz .LBB21_1224
; %bb.1216:                             ;   in Loop: Header=BB21_623 Depth=2
	s_mov_b32 s74, 0
	s_mov_b64 s[44:45], 0
                                        ; implicit-def: $sgpr46_sgpr47
                                        ; implicit-def: $sgpr56_sgpr57
	s_branch .LBB21_1218
.LBB21_1217:                            ;   in Loop: Header=BB21_1218 Depth=3
	s_or_b64 exec, exec, s[60:61]
	s_and_b64 s[58:59], exec, vcc
	s_or_b64 s[44:45], s[58:59], s[44:45]
	s_andn2_b64 s[46:47], s[46:47], exec
	s_and_b64 s[58:59], s[56:57], exec
	s_or_b64 s[46:47], s[46:47], s[58:59]
	s_andn2_b64 exec, exec, s[44:45]
	s_cbranch_execz .LBB21_1222
.LBB21_1218:                            ;   Parent Loop BB21_47 Depth=1
                                        ;     Parent Loop BB21_623 Depth=2
                                        ; =>    This Inner Loop Header: Depth=3
	s_add_i32 s74, s74, 1
	s_cmpk_lg_i32 s74, 0x2710
	s_cselect_b64 s[58:59], -1, 0
	s_and_b64 vcc, exec, s[58:59]
	s_cbranch_vccz .LBB21_1220
; %bb.1219:                             ;   in Loop: Header=BB21_1218 Depth=3
	s_mov_b64 vcc, -1
	s_or_b64 s[56:57], s[56:57], exec
	s_and_saveexec_b64 s[60:61], s[58:59]
	s_cbranch_execz .LBB21_1217
	s_branch .LBB21_1221
.LBB21_1220:                            ;   in Loop: Header=BB21_1218 Depth=3
	s_trap 2
	ds_read_b64 v[8:9], v0
	s_andn2_b64 s[58:59], s[58:59], exec
	s_mov_b32 s74, 0
	s_waitcnt vmcnt(0) lgkmcnt(0)
	flat_load_dword v2, v[8:9] sc0 sc1
	s_waitcnt vmcnt(0) lgkmcnt(0)
	buffer_inv sc0 sc1
	v_cmp_eq_u32_e32 vcc, 0, v2
	s_and_b64 s[60:61], vcc, exec
	s_or_b64 s[58:59], s[58:59], s[60:61]
	s_mov_b64 vcc, -1
	s_or_b64 s[56:57], s[56:57], exec
	s_and_saveexec_b64 s[60:61], s[58:59]
	s_cbranch_execz .LBB21_1217
.LBB21_1221:                            ;   in Loop: Header=BB21_1218 Depth=3
	s_sleep 1
	s_trap 2
	ds_read_b64 v[8:9], v0
	s_waitcnt lgkmcnt(0)
	s_andn2_b64 s[56:57], s[56:57], exec
	v_cmp_ge_u64_e32 vcc, v[8:9], v[70:71]
	s_orn2_b64 vcc, vcc, exec
	s_branch .LBB21_1217
.LBB21_1222:                            ;   in Loop: Header=BB21_623 Depth=2
	s_or_b64 exec, exec, s[44:45]
	s_and_saveexec_b64 s[44:45], s[46:47]
	s_xor_b64 s[44:45], exec, s[44:45]
	s_cbranch_execz .LBB21_1224
; %bb.1223:                             ;   in Loop: Header=BB21_623 Depth=2
	ds_write_b32 v0, v107
	s_trap 2
.LBB21_1224:                            ;   in Loop: Header=BB21_623 Depth=2
	s_or_b64 exec, exec, s[42:43]
	;;#ASMSTART
	s_wakeup
	;;#ASMEND
.LBB21_1225:                            ;   in Loop: Header=BB21_623 Depth=2
	s_or_b64 exec, exec, s[40:41]
.LBB21_1226:                            ;   in Loop: Header=BB21_623 Depth=2
	s_andn2_saveexec_b64 s[28:29], s[28:29]
	s_cbranch_execz .LBB21_1228
; %bb.1227:                             ;   in Loop: Header=BB21_623 Depth=2
	s_waitcnt lgkmcnt(0)
	s_barrier
.LBB21_1228:                            ;   in Loop: Header=BB21_623 Depth=2
	s_or_b64 exec, exec, s[28:29]
	s_or_b64 exec, exec, s[26:27]
                                        ; implicit-def: $vgpr2
	s_and_saveexec_b64 s[26:27], s[20:21]
	s_xor_b64 s[26:27], exec, s[26:27]
	s_cbranch_execnz .LBB21_700
.LBB21_1229:                            ;   in Loop: Header=BB21_623 Depth=2
	s_andn2_saveexec_b64 s[24:25], s[26:27]
	s_cbranch_execz .LBB21_1248
.LBB21_1230:                            ;   in Loop: Header=BB21_623 Depth=2
	s_and_saveexec_b64 s[26:27], s[76:77]
	s_xor_b64 s[26:27], exec, s[26:27]
	s_cbranch_execz .LBB21_1245
; %bb.1231:                             ;   in Loop: Header=BB21_623 Depth=2
	s_and_saveexec_b64 s[28:29], s[12:13]
	s_cbranch_execz .LBB21_1244
; %bb.1232:                             ;   in Loop: Header=BB21_623 Depth=2
	s_mov_b64 s[42:43], exec
	v_mbcnt_lo_u32_b32 v2, s42, 0
	v_mbcnt_hi_u32_b32 v2, s43, v2
	v_cmp_eq_u32_e32 vcc, 0, v2
	;;#ASMSTART
	s_waitcnt lgkmcnt(0) vmcnt(0)
	;;#ASMEND
	s_and_saveexec_b64 s[40:41], vcc
	s_cbranch_execz .LBB21_1234
; %bb.1233:                             ;   in Loop: Header=BB21_623 Depth=2
	s_bcnt1_i32_b64 s42, s[42:43]
	v_mov_b32_e32 v2, s42
	s_waitcnt lgkmcnt(0)
	ds_add_u64 v0, v[2:3]
	s_trap 2
.LBB21_1234:                            ;   in Loop: Header=BB21_623 Depth=2
	s_or_b64 exec, exec, s[40:41]
	s_trap 2
	ds_read_b64 v[8:9], v0
	s_waitcnt lgkmcnt(0)
	v_lshl_add_u64 v[70:71], v[70:71], 0, v[84:85]
	v_cmp_lt_u64_e32 vcc, v[8:9], v[70:71]
	s_and_saveexec_b64 s[40:41], vcc
	s_cbranch_execz .LBB21_1243
; %bb.1235:                             ;   in Loop: Header=BB21_623 Depth=2
	s_mov_b32 s74, 0
	s_mov_b64 s[42:43], 0
                                        ; implicit-def: $sgpr44_sgpr45
                                        ; implicit-def: $sgpr46_sgpr47
	s_branch .LBB21_1237
.LBB21_1236:                            ;   in Loop: Header=BB21_1237 Depth=3
	s_or_b64 exec, exec, s[58:59]
	s_and_b64 s[56:57], exec, s[60:61]
	s_or_b64 s[42:43], s[56:57], s[42:43]
	s_andn2_b64 s[44:45], s[44:45], exec
	s_and_b64 s[56:57], s[46:47], exec
	s_or_b64 s[44:45], s[44:45], s[56:57]
	s_andn2_b64 exec, exec, s[42:43]
	s_cbranch_execz .LBB21_1241
.LBB21_1237:                            ;   Parent Loop BB21_47 Depth=1
                                        ;     Parent Loop BB21_623 Depth=2
                                        ; =>    This Inner Loop Header: Depth=3
	s_add_i32 s74, s74, 1
	s_cmpk_lg_i32 s74, 0x2710
	s_cselect_b64 s[56:57], -1, 0
	s_and_b64 vcc, exec, s[56:57]
	s_cbranch_vccz .LBB21_1239
; %bb.1238:                             ;   in Loop: Header=BB21_1237 Depth=3
	s_mov_b64 s[60:61], -1
	s_or_b64 s[46:47], s[46:47], exec
	s_and_saveexec_b64 s[58:59], s[56:57]
	s_cbranch_execz .LBB21_1236
	s_branch .LBB21_1240
.LBB21_1239:                            ;   in Loop: Header=BB21_1237 Depth=3
	s_trap 2
	ds_read_b64 v[8:9], v0
	s_andn2_b64 s[56:57], s[56:57], exec
	s_mov_b32 s74, 0
	s_waitcnt vmcnt(0) lgkmcnt(0)
	flat_load_dword v2, v[8:9] sc0 sc1
	s_waitcnt vmcnt(0) lgkmcnt(0)
	buffer_inv sc0 sc1
	v_cmp_eq_u32_e32 vcc, 0, v2
	s_and_b64 s[58:59], vcc, exec
	s_or_b64 s[56:57], s[56:57], s[58:59]
	s_mov_b64 s[60:61], -1
	s_or_b64 s[46:47], s[46:47], exec
	s_and_saveexec_b64 s[58:59], s[56:57]
	s_cbranch_execz .LBB21_1236
.LBB21_1240:                            ;   in Loop: Header=BB21_1237 Depth=3
	s_sleep 1
	s_trap 2
	ds_read_b64 v[8:9], v0
	s_waitcnt lgkmcnt(0)
	s_andn2_b64 s[46:47], s[46:47], exec
	v_cmp_ge_u64_e32 vcc, v[8:9], v[70:71]
	s_orn2_b64 s[60:61], vcc, exec
	s_branch .LBB21_1236
.LBB21_1241:                            ;   in Loop: Header=BB21_623 Depth=2
	s_or_b64 exec, exec, s[42:43]
	s_and_saveexec_b64 s[42:43], s[44:45]
	s_xor_b64 s[42:43], exec, s[42:43]
	s_cbranch_execz .LBB21_1243
; %bb.1242:                             ;   in Loop: Header=BB21_623 Depth=2
	ds_write_b32 v0, v107
	s_trap 2
.LBB21_1243:                            ;   in Loop: Header=BB21_623 Depth=2
	s_or_b64 exec, exec, s[40:41]
	;;#ASMSTART
	s_wakeup
	;;#ASMEND
.LBB21_1244:                            ;   in Loop: Header=BB21_623 Depth=2
	s_or_b64 exec, exec, s[28:29]
.LBB21_1245:                            ;   in Loop: Header=BB21_623 Depth=2
	s_andn2_saveexec_b64 s[26:27], s[26:27]
	s_cbranch_execz .LBB21_1247
; %bb.1246:                             ;   in Loop: Header=BB21_623 Depth=2
	;;#ASMSTART
	s_waitcnt lgkmcnt(0) vmcnt(0)
	;;#ASMEND
	s_barrier
.LBB21_1247:                            ;   in Loop: Header=BB21_623 Depth=2
	s_or_b64 exec, exec, s[26:27]
	v_and_b32_e32 v2, 16, v104
.LBB21_1248:                            ;   in Loop: Header=BB21_623 Depth=2
	s_or_b64 exec, exec, s[24:25]
	v_cmp_ne_u32_e32 vcc, 0, v2
	s_xor_b64 s[24:25], s[6:7], -1
	s_and_b64 s[26:27], vcc, s[24:25]
	s_and_saveexec_b64 s[24:25], s[26:27]
	s_cbranch_execz .LBB21_1250
; %bb.1249:                             ;   in Loop: Header=BB21_623 Depth=2
	flat_store_dword v[68:69], v107 sc0 sc1
.LBB21_1250:                            ;   in Loop: Header=BB21_623 Depth=2
	s_or_b64 exec, exec, s[24:25]
	v_and_b32_e32 v2, 48, v104
	v_cmp_ne_u32_e32 vcc, 0, v2
	s_and_saveexec_b64 s[24:25], vcc
	s_cbranch_execz .LBB21_622
; %bb.1251:                             ;   in Loop: Header=BB21_623 Depth=2
	v_lshl_add_u64 v[58:59], v[58:59], 0, 2
	flat_store_dwordx2 v[64:65], v[58:59] sc0 sc1
	s_branch .LBB21_622
.LBB21_1252:                            ;   in Loop: Header=BB21_47 Depth=1
	s_or_b64 exec, exec, s[38:39]
	v_cmp_gt_i32_e32 vcc, 2, v2
	s_and_saveexec_b64 s[26:27], vcc
	s_cbranch_execz .LBB21_1328
.LBB21_1253:                            ;   in Loop: Header=BB21_47 Depth=1
	v_cmp_eq_u32_e64 s[40:41], 0, v2
	s_mov_b64 s[28:29], 0
	s_branch .LBB21_1255
.LBB21_1254:                            ;   in Loop: Header=BB21_1255 Depth=2
	s_or_b64 exec, exec, s[24:25]
	v_add_u32_e32 v38, v36, v38
	s_mov_b64 s[40:41], 0
	s_andn2_b64 exec, exec, s[28:29]
	s_cbranch_execz .LBB21_1329
.LBB21_1255:                            ;   Parent Loop BB21_47 Depth=1
                                        ; =>  This Loop Header: Depth=2
                                        ;       Child Loop BB21_1261 Depth 3
                                        ;       Child Loop BB21_1289 Depth 3
	;; [unrolled: 1-line block ×3, first 2 shown]
	v_sub_u32_e32 v2, v120, v38
	v_min_i32_e32 v36, v36, v2
	v_and_b32_e32 v2, 12, v104
	v_cmp_ne_u32_e32 vcc, 0, v2
	s_and_saveexec_b64 s[42:43], vcc
	s_cbranch_execz .LBB21_1281
; %bb.1256:                             ;   in Loop: Header=BB21_1255 Depth=2
	v_and_b32_e32 v2, 8, v104
	s_waitcnt vmcnt(0) lgkmcnt(0)
	v_lshl_add_u64 v[10:11], v[80:81], 0, v[2:3]
	v_lshl_add_u64 v[8:9], v[58:59], 0, 2
	v_cmp_lt_u64_e32 vcc, v[10:11], v[8:9]
	s_and_saveexec_b64 s[44:45], vcc
	s_cbranch_execz .LBB21_1268
; %bb.1257:                             ;   in Loop: Header=BB21_1255 Depth=2
	v_and_b32_e32 v10, 64, v104
	s_mov_b32 s74, 0
	v_cmp_eq_u32_e32 vcc, 0, v10
	s_mov_b64 s[46:47], 0
                                        ; implicit-def: $sgpr56_sgpr57
                                        ; implicit-def: $sgpr58_sgpr59
                                        ; implicit-def: $sgpr60_sgpr61
	s_branch .LBB21_1261
.LBB21_1258:                            ;   in Loop: Header=BB21_1261 Depth=3
	s_waitcnt vmcnt(0) lgkmcnt(0)
	v_lshl_add_u64 v[12:13], v[80:81], 0, v[2:3]
	v_cmp_ge_u64_e64 s[24:25], v[12:13], v[8:9]
	s_or_b64 s[50:51], s[50:51], exec
	s_orn2_b64 s[48:49], s[24:25], exec
.LBB21_1259:                            ;   in Loop: Header=BB21_1261 Depth=3
	s_or_b64 exec, exec, s[54:55]
	s_andn2_b64 s[24:25], s[60:61], exec
	s_and_b64 s[60:61], s[50:51], exec
	s_or_b64 s[60:61], s[24:25], s[60:61]
	s_andn2_b64 s[24:25], s[58:59], exec
	s_and_b64 s[58:59], s[48:49], exec
	s_or_b64 s[58:59], s[24:25], s[58:59]
.LBB21_1260:                            ;   in Loop: Header=BB21_1261 Depth=3
	s_or_b64 exec, exec, s[38:39]
	s_and_b64 s[24:25], exec, s[58:59]
	s_or_b64 s[46:47], s[24:25], s[46:47]
	s_andn2_b64 s[24:25], s[56:57], exec
	s_and_b64 s[56:57], s[60:61], exec
	s_or_b64 s[56:57], s[24:25], s[56:57]
	s_andn2_b64 exec, exec, s[46:47]
	s_cbranch_execz .LBB21_1265
.LBB21_1261:                            ;   Parent Loop BB21_47 Depth=1
                                        ;     Parent Loop BB21_1255 Depth=2
                                        ; =>    This Inner Loop Header: Depth=3
	s_sleep 1
	s_waitcnt vmcnt(0) lgkmcnt(0)
	flat_load_dwordx2 v[80:81], v[64:65] sc0 sc1
	s_or_b64 s[60:61], s[60:61], exec
	s_or_b64 s[58:59], s[58:59], exec
                                        ; implicit-def: $vgpr10
	s_and_saveexec_b64 s[38:39], vcc
	s_cbranch_execz .LBB21_1260
; %bb.1262:                             ;   in Loop: Header=BB21_1261 Depth=3
	s_cmpk_lt_i32 s74, 0x270f
	s_cselect_b64 s[52:53], -1, 0
	s_cmpk_gt_i32 s74, 0x270e
	s_mov_b64 s[48:49], -1
	s_cbranch_scc0 .LBB21_1264
; %bb.1263:                             ;   in Loop: Header=BB21_1261 Depth=3
	s_trap 2
	ds_read_b64 v[10:11], v0
	s_andn2_b64 s[52:53], s[52:53], exec
	s_mov_b32 s74, 0
	s_mov_b64 s[50:51], 0
	s_waitcnt vmcnt(0) lgkmcnt(0)
	flat_load_dword v10, v[10:11] sc0 sc1
	s_waitcnt vmcnt(0) lgkmcnt(0)
	buffer_inv sc0 sc1
	v_cmp_eq_u32_e64 s[24:25], 0, v10
	s_and_b64 s[24:25], s[24:25], exec
	s_or_b64 s[52:53], s[52:53], s[24:25]
	s_and_saveexec_b64 s[54:55], s[52:53]
	s_cbranch_execz .LBB21_1259
	s_branch .LBB21_1258
.LBB21_1264:                            ;   in Loop: Header=BB21_1261 Depth=3
	s_add_i32 s74, s74, 1
	s_mov_b64 s[50:51], -1
                                        ; implicit-def: $vgpr10
	s_and_saveexec_b64 s[54:55], s[52:53]
	s_cbranch_execz .LBB21_1259
	s_branch .LBB21_1258
.LBB21_1265:                            ;   in Loop: Header=BB21_1255 Depth=2
	s_or_b64 exec, exec, s[46:47]
	s_xor_b64 s[24:25], s[56:57], -1
	s_and_saveexec_b64 s[46:47], s[24:25]
	s_xor_b64 s[24:25], exec, s[46:47]
	s_cbranch_execz .LBB21_1267
; %bb.1266:                             ;   in Loop: Header=BB21_1255 Depth=2
	v_or_b32_e32 v104, 64, v104
	s_waitcnt lgkmcnt(0)
	ds_write_b32 v0, v10
	s_trap 2
.LBB21_1267:                            ;   in Loop: Header=BB21_1255 Depth=2
	s_or_b64 exec, exec, s[24:25]
.LBB21_1268:                            ;   in Loop: Header=BB21_1255 Depth=2
	s_or_b64 exec, exec, s[44:45]
	v_and_b32_e32 v10, 0x108, v104
	v_cmp_ne_u32_e32 vcc, s69, v10
	;;#ASMSTART
	s_wakeup
	;;#ASMEND
                                        ; implicit-def: $vgpr10_vgpr11
	s_and_saveexec_b64 s[24:25], vcc
	s_xor_b64 s[24:25], exec, s[24:25]
; %bb.1269:                             ;   in Loop: Header=BB21_1255 Depth=2
	v_and_b32_e32 v10, 7, v58
	v_mov_b32_e32 v11, v3
                                        ; implicit-def: $vgpr58_vgpr59
; %bb.1270:                             ;   in Loop: Header=BB21_1255 Depth=2
	s_andn2_saveexec_b64 s[24:25], s[24:25]
	s_cbranch_execz .LBB21_1272
; %bb.1271:                             ;   in Loop: Header=BB21_1255 Depth=2
	v_and_b32_e32 v10, 7, v58
	v_ashrrev_i32_e32 v37, 31, v36
	v_mov_b32_e32 v11, v3
	v_mad_u64_u32 v[12:13], s[44:45], v10, 24, v[6:7]
	v_lshlrev_b64 v[14:15], 1, v[36:37]
	flat_store_dwordx2 v[12:13], v[14:15] offset:8
.LBB21_1272:                            ;   in Loop: Header=BB21_1255 Depth=2
	s_or_b64 exec, exec, s[24:25]
	v_and_b32_e32 v12, 0x100, v104
	v_cmp_ne_u32_e32 vcc, 0, v12
	s_mov_b64 s[24:25], -1
                                        ; implicit-def: $vgpr12_vgpr13
	s_and_saveexec_b64 s[44:45], vcc
	s_cbranch_execz .LBB21_1276
; %bb.1273:                             ;   in Loop: Header=BB21_1255 Depth=2
	v_mad_u64_u32 v[14:15], s[24:25], v10, 24, v[6:7]
	v_mov_b32_e32 v12, v15
	v_mad_u64_u32 v[12:13], s[24:25], v11, 24, v[12:13]
	v_mov_b32_e32 v15, v12
	flat_load_dword v12, v[14:15]
	s_waitcnt vmcnt(0) lgkmcnt(0)
	v_cmp_ne_u32_e32 vcc, 1, v12
	v_cmp_eq_u32_e64 s[24:25], 1, v12
                                        ; implicit-def: $vgpr12_vgpr13
	s_and_saveexec_b64 s[46:47], s[24:25]
	s_cbranch_execz .LBB21_1275
; %bb.1274:                             ;   in Loop: Header=BB21_1255 Depth=2
	flat_load_dword v12, v[14:15] offset:4 sc0 sc1
	s_waitcnt vmcnt(0) lgkmcnt(0)
	v_ashrrev_i32_e32 v13, 31, v12
	v_lshrrev_b64 v[12:13], 1, v[12:13]
.LBB21_1275:                            ;   in Loop: Header=BB21_1255 Depth=2
	s_or_b64 exec, exec, s[46:47]
	s_orn2_b64 s[24:25], vcc, exec
.LBB21_1276:                            ;   in Loop: Header=BB21_1255 Depth=2
	s_or_b64 exec, exec, s[44:45]
	s_and_saveexec_b64 s[44:45], s[24:25]
; %bb.1277:                             ;   in Loop: Header=BB21_1255 Depth=2
	v_mul_lo_u32 v11, v11, v30
	v_mul_lo_u32 v14, v10, v83
	v_mad_u64_u32 v[12:13], s[24:25], v10, v30, 0
	v_add3_u32 v13, v13, v14, v11
; %bb.1278:                             ;   in Loop: Header=BB21_1255 Depth=2
	s_or_b64 exec, exec, s[44:45]
	v_cmp_eq_u32_e32 vcc, 0, v2
	v_lshl_add_u64 v[10:11], v[12:13], 1, v[66:67]
	s_nop 0
	v_cndmask_b32_e32 v2, v110, v109, vcc
	v_add_u32_e32 v2, v0, v2
	ds_write_b64 v2, v[10:11] offset:584
	v_and_b32_e32 v2, 0x2000, v104
	v_cmp_ne_u32_e32 vcc, 0, v2
	s_and_saveexec_b64 s[24:25], vcc
	s_cbranch_execz .LBB21_1280
; %bb.1279:                             ;   in Loop: Header=BB21_1255 Depth=2
	ds_read_b64 v[10:11], v0 offset:872
	s_waitcnt lgkmcnt(0)
	v_lshl_add_u64 v[10:11], v[10:11], 0, 1
	ds_write_b64 v0, v[10:11] offset:872
.LBB21_1280:                            ;   in Loop: Header=BB21_1255 Depth=2
	s_or_b64 exec, exec, s[24:25]
	v_mov_b64_e32 v[58:59], v[8:9]
.LBB21_1281:                            ;   in Loop: Header=BB21_1255 Depth=2
	s_or_b64 exec, exec, s[42:43]
	s_xor_b64 s[24:25], s[40:41], -1
	s_and_b64 s[24:25], exec, s[24:25]
	s_or_b64 s[28:29], s[24:25], s[28:29]
	s_and_saveexec_b64 s[24:25], s[4:5]
	s_cbranch_execz .LBB21_1300
; %bb.1282:                             ;   in Loop: Header=BB21_1255 Depth=2
	s_and_saveexec_b64 s[40:41], s[76:77]
	s_xor_b64 s[40:41], exec, s[40:41]
	s_cbranch_execz .LBB21_1297
; %bb.1283:                             ;   in Loop: Header=BB21_1255 Depth=2
	s_and_saveexec_b64 s[42:43], s[12:13]
	s_cbranch_execz .LBB21_1296
; %bb.1284:                             ;   in Loop: Header=BB21_1255 Depth=2
	s_mov_b64 s[46:47], exec
	v_mbcnt_lo_u32_b32 v2, s46, 0
	v_mbcnt_hi_u32_b32 v2, s47, v2
	v_cmp_eq_u32_e32 vcc, 0, v2
	s_waitcnt lgkmcnt(0)
	s_and_saveexec_b64 s[44:45], vcc
	s_cbranch_execz .LBB21_1286
; %bb.1285:                             ;   in Loop: Header=BB21_1255 Depth=2
	s_bcnt1_i32_b64 s46, s[46:47]
	v_mov_b32_e32 v2, s46
	ds_add_u64 v0, v[2:3]
	s_trap 2
.LBB21_1286:                            ;   in Loop: Header=BB21_1255 Depth=2
	s_or_b64 exec, exec, s[44:45]
	s_trap 2
	ds_read_b64 v[8:9], v0
	s_waitcnt lgkmcnt(0)
	v_lshl_add_u64 v[70:71], v[70:71], 0, v[84:85]
	v_cmp_lt_u64_e32 vcc, v[8:9], v[70:71]
	s_and_saveexec_b64 s[44:45], vcc
	s_cbranch_execz .LBB21_1295
; %bb.1287:                             ;   in Loop: Header=BB21_1255 Depth=2
	s_mov_b32 s74, 0
	s_mov_b64 s[46:47], 0
                                        ; implicit-def: $sgpr56_sgpr57
                                        ; implicit-def: $sgpr58_sgpr59
	s_branch .LBB21_1289
.LBB21_1288:                            ;   in Loop: Header=BB21_1289 Depth=3
	s_or_b64 exec, exec, s[38:39]
	s_and_b64 s[60:61], exec, vcc
	s_or_b64 s[46:47], s[60:61], s[46:47]
	s_andn2_b64 s[56:57], s[56:57], exec
	s_and_b64 s[60:61], s[58:59], exec
	s_or_b64 s[56:57], s[56:57], s[60:61]
	s_andn2_b64 exec, exec, s[46:47]
	s_cbranch_execz .LBB21_1293
.LBB21_1289:                            ;   Parent Loop BB21_47 Depth=1
                                        ;     Parent Loop BB21_1255 Depth=2
                                        ; =>    This Inner Loop Header: Depth=3
	s_add_i32 s74, s74, 1
	s_cmpk_lg_i32 s74, 0x2710
	s_cselect_b64 s[60:61], -1, 0
	s_and_b64 vcc, exec, s[60:61]
	s_cbranch_vccz .LBB21_1291
; %bb.1290:                             ;   in Loop: Header=BB21_1289 Depth=3
	s_mov_b64 vcc, -1
	s_or_b64 s[58:59], s[58:59], exec
	s_and_saveexec_b64 s[38:39], s[60:61]
	s_cbranch_execz .LBB21_1288
	s_branch .LBB21_1292
.LBB21_1291:                            ;   in Loop: Header=BB21_1289 Depth=3
	s_trap 2
	ds_read_b64 v[8:9], v0
	s_andn2_b64 s[60:61], s[60:61], exec
	s_mov_b32 s74, 0
	s_waitcnt vmcnt(0) lgkmcnt(0)
	flat_load_dword v2, v[8:9] sc0 sc1
	s_waitcnt vmcnt(0) lgkmcnt(0)
	buffer_inv sc0 sc1
	v_cmp_eq_u32_e32 vcc, 0, v2
	s_and_b64 vcc, vcc, exec
	s_or_b64 s[60:61], s[60:61], vcc
	s_mov_b64 vcc, -1
	s_or_b64 s[58:59], s[58:59], exec
	s_and_saveexec_b64 s[38:39], s[60:61]
	s_cbranch_execz .LBB21_1288
.LBB21_1292:                            ;   in Loop: Header=BB21_1289 Depth=3
	s_sleep 1
	s_trap 2
	ds_read_b64 v[8:9], v0
	s_waitcnt lgkmcnt(0)
	s_andn2_b64 s[58:59], s[58:59], exec
	v_cmp_ge_u64_e32 vcc, v[8:9], v[70:71]
	s_orn2_b64 vcc, vcc, exec
	s_branch .LBB21_1288
.LBB21_1293:                            ;   in Loop: Header=BB21_1255 Depth=2
	s_or_b64 exec, exec, s[46:47]
	s_and_saveexec_b64 s[46:47], s[56:57]
	s_xor_b64 s[46:47], exec, s[46:47]
	s_cbranch_execz .LBB21_1295
; %bb.1294:                             ;   in Loop: Header=BB21_1255 Depth=2
	ds_write_b32 v0, v107
	s_trap 2
.LBB21_1295:                            ;   in Loop: Header=BB21_1255 Depth=2
	s_or_b64 exec, exec, s[44:45]
	;;#ASMSTART
	s_wakeup
	;;#ASMEND
.LBB21_1296:                            ;   in Loop: Header=BB21_1255 Depth=2
	s_or_b64 exec, exec, s[42:43]
.LBB21_1297:                            ;   in Loop: Header=BB21_1255 Depth=2
	s_andn2_saveexec_b64 s[40:41], s[40:41]
	s_cbranch_execz .LBB21_1299
; %bb.1298:                             ;   in Loop: Header=BB21_1255 Depth=2
	s_waitcnt lgkmcnt(0)
	s_barrier
.LBB21_1299:                            ;   in Loop: Header=BB21_1255 Depth=2
	s_or_b64 exec, exec, s[40:41]
.LBB21_1300:                            ;   in Loop: Header=BB21_1255 Depth=2
	s_or_b64 exec, exec, s[24:25]
                                        ; implicit-def: $vgpr2
	s_and_saveexec_b64 s[24:25], s[20:21]
	s_xor_b64 s[24:25], exec, s[24:25]
	s_cbranch_execz .LBB21_1304
; %bb.1301:                             ;   in Loop: Header=BB21_1255 Depth=2
	s_trap 2
	ds_read_b32 v8, v0
	v_cmp_lt_i32_e32 vcc, 0, v36
	v_and_b32_e32 v9, 16, v104
	v_and_b32_e32 v2, 16, v104
	s_waitcnt lgkmcnt(0)
	v_readfirstlane_b32 s40, v8
	s_cmp_eq_u32 s40, 0
	s_cselect_b64 s[40:41], -1, 0
	s_and_b64 s[40:41], vcc, s[40:41]
	v_cmp_ne_u32_e32 vcc, 0, v9
	s_and_b64 s[42:43], vcc, s[40:41]
	s_and_saveexec_b64 s[40:41], s[42:43]
	s_cbranch_execz .LBB21_1303
; %bb.1302:                             ;   in Loop: Header=BB21_1255 Depth=2
	v_mov_b32_e32 v2, 1
	buffer_wbl2 sc1
	s_waitcnt vmcnt(0)
	buffer_inv sc1
.LBB21_1303:                            ;   in Loop: Header=BB21_1255 Depth=2
	s_or_b64 exec, exec, s[40:41]
	s_andn2_saveexec_b64 s[24:25], s[24:25]
	s_cbranch_execz .LBB21_1323
	s_branch .LBB21_1305
.LBB21_1304:                            ;   in Loop: Header=BB21_1255 Depth=2
	s_andn2_saveexec_b64 s[24:25], s[24:25]
	s_cbranch_execz .LBB21_1323
.LBB21_1305:                            ;   in Loop: Header=BB21_1255 Depth=2
	s_and_saveexec_b64 s[40:41], s[76:77]
	s_xor_b64 s[40:41], exec, s[40:41]
	s_cbranch_execz .LBB21_1320
; %bb.1306:                             ;   in Loop: Header=BB21_1255 Depth=2
	s_and_saveexec_b64 s[42:43], s[12:13]
	s_cbranch_execz .LBB21_1319
; %bb.1307:                             ;   in Loop: Header=BB21_1255 Depth=2
	s_mov_b64 s[46:47], exec
	v_mbcnt_lo_u32_b32 v2, s46, 0
	v_mbcnt_hi_u32_b32 v2, s47, v2
	v_cmp_eq_u32_e32 vcc, 0, v2
	;;#ASMSTART
	s_waitcnt lgkmcnt(0) vmcnt(0)
	;;#ASMEND
	s_and_saveexec_b64 s[44:45], vcc
	s_cbranch_execz .LBB21_1309
; %bb.1308:                             ;   in Loop: Header=BB21_1255 Depth=2
	s_bcnt1_i32_b64 s46, s[46:47]
	v_mov_b32_e32 v2, s46
	s_waitcnt lgkmcnt(0)
	ds_add_u64 v0, v[2:3]
	s_trap 2
.LBB21_1309:                            ;   in Loop: Header=BB21_1255 Depth=2
	s_or_b64 exec, exec, s[44:45]
	s_trap 2
	ds_read_b64 v[8:9], v0
	s_waitcnt lgkmcnt(0)
	v_lshl_add_u64 v[70:71], v[70:71], 0, v[84:85]
	v_cmp_lt_u64_e32 vcc, v[8:9], v[70:71]
	s_and_saveexec_b64 s[44:45], vcc
	s_cbranch_execz .LBB21_1318
; %bb.1310:                             ;   in Loop: Header=BB21_1255 Depth=2
	s_mov_b32 s74, 0
	s_mov_b64 s[46:47], 0
                                        ; implicit-def: $sgpr56_sgpr57
                                        ; implicit-def: $sgpr58_sgpr59
	s_branch .LBB21_1312
.LBB21_1311:                            ;   in Loop: Header=BB21_1312 Depth=3
	s_or_b64 exec, exec, s[38:39]
	s_and_b64 s[60:61], exec, vcc
	s_or_b64 s[46:47], s[60:61], s[46:47]
	s_andn2_b64 s[56:57], s[56:57], exec
	s_and_b64 s[60:61], s[58:59], exec
	s_or_b64 s[56:57], s[56:57], s[60:61]
	s_andn2_b64 exec, exec, s[46:47]
	s_cbranch_execz .LBB21_1316
.LBB21_1312:                            ;   Parent Loop BB21_47 Depth=1
                                        ;     Parent Loop BB21_1255 Depth=2
                                        ; =>    This Inner Loop Header: Depth=3
	s_add_i32 s74, s74, 1
	s_cmpk_lg_i32 s74, 0x2710
	s_cselect_b64 s[60:61], -1, 0
	s_and_b64 vcc, exec, s[60:61]
	s_cbranch_vccz .LBB21_1314
; %bb.1313:                             ;   in Loop: Header=BB21_1312 Depth=3
	s_mov_b64 vcc, -1
	s_or_b64 s[58:59], s[58:59], exec
	s_and_saveexec_b64 s[38:39], s[60:61]
	s_cbranch_execz .LBB21_1311
	s_branch .LBB21_1315
.LBB21_1314:                            ;   in Loop: Header=BB21_1312 Depth=3
	s_trap 2
	ds_read_b64 v[8:9], v0
	s_andn2_b64 s[60:61], s[60:61], exec
	s_mov_b32 s74, 0
	s_waitcnt vmcnt(0) lgkmcnt(0)
	flat_load_dword v2, v[8:9] sc0 sc1
	s_waitcnt vmcnt(0) lgkmcnt(0)
	buffer_inv sc0 sc1
	v_cmp_eq_u32_e32 vcc, 0, v2
	s_and_b64 vcc, vcc, exec
	s_or_b64 s[60:61], s[60:61], vcc
	s_mov_b64 vcc, -1
	s_or_b64 s[58:59], s[58:59], exec
	s_and_saveexec_b64 s[38:39], s[60:61]
	s_cbranch_execz .LBB21_1311
.LBB21_1315:                            ;   in Loop: Header=BB21_1312 Depth=3
	s_sleep 1
	s_trap 2
	ds_read_b64 v[8:9], v0
	s_waitcnt lgkmcnt(0)
	s_andn2_b64 s[58:59], s[58:59], exec
	v_cmp_ge_u64_e32 vcc, v[8:9], v[70:71]
	s_orn2_b64 vcc, vcc, exec
	s_branch .LBB21_1311
.LBB21_1316:                            ;   in Loop: Header=BB21_1255 Depth=2
	s_or_b64 exec, exec, s[46:47]
	s_and_saveexec_b64 s[46:47], s[56:57]
	s_xor_b64 s[46:47], exec, s[46:47]
	s_cbranch_execz .LBB21_1318
; %bb.1317:                             ;   in Loop: Header=BB21_1255 Depth=2
	ds_write_b32 v0, v107
	s_trap 2
.LBB21_1318:                            ;   in Loop: Header=BB21_1255 Depth=2
	s_or_b64 exec, exec, s[44:45]
	;;#ASMSTART
	s_wakeup
	;;#ASMEND
.LBB21_1319:                            ;   in Loop: Header=BB21_1255 Depth=2
	s_or_b64 exec, exec, s[42:43]
.LBB21_1320:                            ;   in Loop: Header=BB21_1255 Depth=2
	s_andn2_saveexec_b64 s[40:41], s[40:41]
	s_cbranch_execz .LBB21_1322
; %bb.1321:                             ;   in Loop: Header=BB21_1255 Depth=2
	;;#ASMSTART
	s_waitcnt lgkmcnt(0) vmcnt(0)
	;;#ASMEND
	s_barrier
.LBB21_1322:                            ;   in Loop: Header=BB21_1255 Depth=2
	s_or_b64 exec, exec, s[40:41]
	v_and_b32_e32 v2, 16, v104
.LBB21_1323:                            ;   in Loop: Header=BB21_1255 Depth=2
	s_or_b64 exec, exec, s[24:25]
	v_cmp_ne_u32_e32 vcc, 0, v2
	s_xor_b64 s[24:25], s[6:7], -1
	s_and_b64 s[40:41], vcc, s[24:25]
	s_and_saveexec_b64 s[24:25], s[40:41]
	s_cbranch_execz .LBB21_1325
; %bb.1324:                             ;   in Loop: Header=BB21_1255 Depth=2
	flat_store_dword v[68:69], v107 sc0 sc1
.LBB21_1325:                            ;   in Loop: Header=BB21_1255 Depth=2
	s_or_b64 exec, exec, s[24:25]
	v_and_b32_e32 v2, 48, v104
	v_cmp_ne_u32_e32 vcc, 0, v2
	s_and_saveexec_b64 s[24:25], vcc
	s_cbranch_execz .LBB21_1254
; %bb.1326:                             ;   in Loop: Header=BB21_1255 Depth=2
	v_lshl_add_u64 v[58:59], v[58:59], 0, 2
	flat_store_dwordx2 v[64:65], v[58:59] sc0 sc1
	s_branch .LBB21_1254
.LBB21_1327:                            ;   in Loop: Header=BB21_47 Depth=1
	s_or_b64 exec, exec, s[48:49]
	s_or_b64 exec, exec, s[38:39]
	v_cmp_gt_i32_e32 vcc, 2, v2
	s_and_saveexec_b64 s[26:27], vcc
	s_cbranch_execnz .LBB21_1253
.LBB21_1328:                            ;   in Loop: Header=BB21_47 Depth=1
	s_or_b64 exec, exec, s[26:27]
	s_and_b64 vcc, exec, s[22:23]
	s_cbranch_vccz .LBB21_1330
	s_branch .LBB21_1842
.LBB21_1329:                            ;   in Loop: Header=BB21_47 Depth=1
	s_or_b64 exec, exec, s[28:29]
	s_or_b64 exec, exec, s[26:27]
	s_and_b64 vcc, exec, s[22:23]
	s_cbranch_vccnz .LBB21_1842
.LBB21_1330:                            ;   in Loop: Header=BB21_47 Depth=1
	s_mov_b32 s64, 1
.LBB21_1331:                            ;   Parent Loop BB21_47 Depth=1
                                        ; =>  This Loop Header: Depth=2
                                        ;       Child Loop BB21_1334 Depth 3
                                        ;         Child Loop BB21_1342 Depth 4
                                        ;         Child Loop BB21_1370 Depth 4
	;; [unrolled: 1-line block ×9, first 2 shown]
                                        ;           Child Loop BB21_1488 Depth 5
                                        ;         Child Loop BB21_1496 Depth 4
                                        ;         Child Loop BB21_1532 Depth 4
                                        ;           Child Loop BB21_1533 Depth 5
                                        ;         Child Loop BB21_1729 Depth 4
                                        ;         Child Loop BB21_1748 Depth 4
                                        ;       Child Loop BB21_1766 Depth 3
                                        ;         Child Loop BB21_1772 Depth 4
                                        ;         Child Loop BB21_1800 Depth 4
	;; [unrolled: 1-line block ×3, first 2 shown]
	s_sub_i32 s22, s81, s64
	s_cmp_ge_i32 s22, s66
	s_cselect_b32 s23, s66, 0
	s_sub_i32 s22, s22, s23
	s_ashr_i32 s23, s22, 31
	v_mul_lo_u32 v2, v56, s23
	v_mul_lo_u32 v10, v57, s22
	v_mad_u64_u32 v[8:9], s[22:23], v56, s22, 0
	v_add3_u32 v9, v9, v2, v10
	v_sub_co_u32_e32 v10, vcc, v60, v8
	v_mov_b32_e32 v74, 0
	s_nop 0
	v_subb_co_u32_e32 v11, vcc, v61, v9, vcc
	v_cmp_lt_i64_e32 vcc, v[56:57], v[10:11]
	s_nop 1
	v_cndmask_b32_e32 v2, v10, v56, vcc
	v_max_i32_e32 v92, 0, v2
	v_add_u32_e32 v10, 31, v92
	v_ashrrev_i32_e32 v11, 31, v10
	v_lshrrev_b32_e32 v11, 27, v11
	v_add_u32_e32 v10, v10, v11
	v_ashrrev_i32_e32 v10, 5, v10
	v_lshlrev_b32_e32 v10, 4, v10
	v_cmp_lt_i32_e32 vcc, 0, v2
	v_max_i32_e32 v72, s84, v10
	s_and_b64 s[22:23], s[34:35], vcc
	v_mov_b32_e32 v2, 0
	s_and_saveexec_b64 s[60:61], s[22:23]
	s_cbranch_execz .LBB21_1763
; %bb.1332:                             ;   in Loop: Header=BB21_1331 Depth=2
	v_lshl_add_u64 v[8:9], v[8:9], 0, v[62:63]
	s_mov_b32 s65, 1
	s_mov_b64 s[48:49], -1
	v_mov_b32_e32 v74, 0
	s_mov_b64 s[38:39], 0
	s_waitcnt lgkmcnt(0)
	v_lshlrev_b64 v[76:77], 1, v[8:9]
	s_branch .LBB21_1334
.LBB21_1333:                            ;   in Loop: Header=BB21_1334 Depth=3
	s_or_b64 exec, exec, s[22:23]
	v_add_u32_e32 v74, v72, v74
	v_cmp_ge_i32_e32 vcc, v74, v92
	s_xor_b64 s[22:23], s[48:49], -1
	s_or_b64 s[22:23], s[22:23], vcc
	s_and_b64 s[22:23], exec, s[22:23]
	s_or_b64 s[38:39], s[22:23], s[38:39]
	s_mov_b64 s[48:49], 0
	v_mov_b32_e32 v2, s65
	s_mov_b32 s65, 2
	s_andn2_b64 exec, exec, s[38:39]
	s_cbranch_execz .LBB21_1838
.LBB21_1334:                            ;   Parent Loop BB21_47 Depth=1
                                        ;     Parent Loop BB21_1331 Depth=2
                                        ; =>    This Loop Header: Depth=3
                                        ;         Child Loop BB21_1342 Depth 4
                                        ;         Child Loop BB21_1370 Depth 4
	;; [unrolled: 1-line block ×9, first 2 shown]
                                        ;           Child Loop BB21_1488 Depth 5
                                        ;         Child Loop BB21_1496 Depth 4
                                        ;         Child Loop BB21_1532 Depth 4
                                        ;           Child Loop BB21_1533 Depth 5
                                        ;         Child Loop BB21_1729 Depth 4
                                        ;         Child Loop BB21_1748 Depth 4
	s_and_saveexec_b64 s[22:23], s[0:1]
	s_cbranch_execz .LBB21_1336
; %bb.1335:                             ;   in Loop: Header=BB21_1334 Depth=3
	s_trap 2
	ds_read_b128 v[8:11], v0
	v_ashrrev_i32_e32 v75, 31, v74
	v_lshlrev_b64 v[12:13], 1, v[74:75]
	s_waitcnt lgkmcnt(0)
	v_lshl_add_u64 v[8:9], v[8:9], 0, v[76:77]
	v_lshl_add_u64 v[14:15], v[10:11], 0, v[76:77]
	;; [unrolled: 1-line block ×3, first 2 shown]
	ds_write_b64 v0, v[8:9]
	v_lshl_add_u64 v[8:9], v[14:15], 0, v[12:13]
	v_cmp_ne_u64_e32 vcc, 0, v[10:11]
	s_nop 1
	v_cndmask_b32_e32 v9, 0, v9, vcc
	v_cndmask_b32_e32 v8, 0, v8, vcc
	ds_write_b64 v0, v[8:9]
.LBB21_1336:                            ;   in Loop: Header=BB21_1334 Depth=3
	s_or_b64 exec, exec, s[22:23]
	v_sub_u32_e32 v2, v92, v74
	v_min_i32_e32 v72, v72, v2
	v_and_b32_e32 v2, 12, v104
	v_cmp_ne_u32_e32 vcc, 0, v2
	s_and_saveexec_b64 s[24:25], vcc
	s_cbranch_execz .LBB21_1362
; %bb.1337:                             ;   in Loop: Header=BB21_1334 Depth=3
	v_and_b32_e32 v2, 8, v104
	s_waitcnt vmcnt(0)
	v_lshl_add_u64 v[10:11], v[80:81], 0, v[2:3]
	v_lshl_add_u64 v[8:9], v[58:59], 0, 2
	v_cmp_lt_u64_e32 vcc, v[10:11], v[8:9]
	s_and_saveexec_b64 s[26:27], vcc
	s_cbranch_execz .LBB21_1349
; %bb.1338:                             ;   in Loop: Header=BB21_1334 Depth=3
	v_and_b32_e32 v10, 64, v104
	s_mov_b32 s74, 0
	v_cmp_eq_u32_e32 vcc, 0, v10
	s_mov_b64 s[28:29], 0
                                        ; implicit-def: $sgpr40_sgpr41
                                        ; implicit-def: $sgpr42_sgpr43
                                        ; implicit-def: $sgpr44_sgpr45
	s_branch .LBB21_1342
.LBB21_1339:                            ;   in Loop: Header=BB21_1342 Depth=4
	s_waitcnt vmcnt(0) lgkmcnt(0)
	v_lshl_add_u64 v[12:13], v[80:81], 0, v[2:3]
	v_cmp_ge_u64_e64 s[22:23], v[12:13], v[8:9]
	s_or_b64 s[58:59], s[58:59], exec
	s_orn2_b64 s[56:57], s[22:23], exec
.LBB21_1340:                            ;   in Loop: Header=BB21_1342 Depth=4
	s_or_b64 exec, exec, s[52:53]
	s_andn2_b64 s[22:23], s[44:45], exec
	s_and_b64 s[44:45], s[58:59], exec
	s_or_b64 s[44:45], s[22:23], s[44:45]
	s_andn2_b64 s[22:23], s[42:43], exec
	s_and_b64 s[42:43], s[56:57], exec
	s_or_b64 s[42:43], s[22:23], s[42:43]
.LBB21_1341:                            ;   in Loop: Header=BB21_1342 Depth=4
	s_or_b64 exec, exec, s[46:47]
	s_and_b64 s[22:23], exec, s[42:43]
	s_or_b64 s[28:29], s[22:23], s[28:29]
	s_andn2_b64 s[22:23], s[40:41], exec
	s_and_b64 s[40:41], s[44:45], exec
	s_or_b64 s[40:41], s[22:23], s[40:41]
	s_andn2_b64 exec, exec, s[28:29]
	s_cbranch_execz .LBB21_1346
.LBB21_1342:                            ;   Parent Loop BB21_47 Depth=1
                                        ;     Parent Loop BB21_1331 Depth=2
                                        ;       Parent Loop BB21_1334 Depth=3
                                        ; =>      This Inner Loop Header: Depth=4
	s_sleep 1
	s_waitcnt vmcnt(0) lgkmcnt(0)
	flat_load_dwordx2 v[80:81], v[64:65] sc0 sc1
	s_or_b64 s[44:45], s[44:45], exec
	s_or_b64 s[42:43], s[42:43], exec
                                        ; implicit-def: $vgpr10
	s_and_saveexec_b64 s[46:47], vcc
	s_cbranch_execz .LBB21_1341
; %bb.1343:                             ;   in Loop: Header=BB21_1342 Depth=4
	s_cmpk_lt_i32 s74, 0x270f
	s_cselect_b64 s[50:51], -1, 0
	s_cmpk_gt_i32 s74, 0x270e
	s_mov_b64 s[56:57], -1
	s_cbranch_scc0 .LBB21_1345
; %bb.1344:                             ;   in Loop: Header=BB21_1342 Depth=4
	s_trap 2
	ds_read_b64 v[10:11], v0
	s_andn2_b64 s[50:51], s[50:51], exec
	s_mov_b32 s74, 0
	s_mov_b64 s[58:59], 0
	s_waitcnt vmcnt(0) lgkmcnt(0)
	flat_load_dword v10, v[10:11] sc0 sc1
	s_waitcnt vmcnt(0) lgkmcnt(0)
	buffer_inv sc0 sc1
	v_cmp_eq_u32_e64 s[22:23], 0, v10
	s_and_b64 s[22:23], s[22:23], exec
	s_or_b64 s[50:51], s[50:51], s[22:23]
	s_and_saveexec_b64 s[52:53], s[50:51]
	s_cbranch_execz .LBB21_1340
	s_branch .LBB21_1339
.LBB21_1345:                            ;   in Loop: Header=BB21_1342 Depth=4
	s_add_i32 s74, s74, 1
	s_mov_b64 s[58:59], -1
                                        ; implicit-def: $vgpr10
	s_and_saveexec_b64 s[52:53], s[50:51]
	s_cbranch_execz .LBB21_1340
	s_branch .LBB21_1339
.LBB21_1346:                            ;   in Loop: Header=BB21_1334 Depth=3
	s_or_b64 exec, exec, s[28:29]
	s_xor_b64 s[22:23], s[40:41], -1
	s_and_saveexec_b64 s[28:29], s[22:23]
	s_xor_b64 s[22:23], exec, s[28:29]
	s_cbranch_execz .LBB21_1348
; %bb.1347:                             ;   in Loop: Header=BB21_1334 Depth=3
	v_or_b32_e32 v104, 64, v104
	s_waitcnt lgkmcnt(0)
	ds_write_b32 v0, v10
	s_trap 2
.LBB21_1348:                            ;   in Loop: Header=BB21_1334 Depth=3
	s_or_b64 exec, exec, s[22:23]
.LBB21_1349:                            ;   in Loop: Header=BB21_1334 Depth=3
	s_or_b64 exec, exec, s[26:27]
	v_and_b32_e32 v10, 0x108, v104
	v_cmp_ne_u32_e32 vcc, s69, v10
	;;#ASMSTART
	s_wakeup
	;;#ASMEND
                                        ; implicit-def: $vgpr10_vgpr11
	s_and_saveexec_b64 s[22:23], vcc
	s_xor_b64 s[22:23], exec, s[22:23]
; %bb.1350:                             ;   in Loop: Header=BB21_1334 Depth=3
	v_and_b32_e32 v10, 7, v58
	v_mov_b32_e32 v11, v3
                                        ; implicit-def: $vgpr58_vgpr59
; %bb.1351:                             ;   in Loop: Header=BB21_1334 Depth=3
	s_andn2_saveexec_b64 s[22:23], s[22:23]
	s_cbranch_execz .LBB21_1353
; %bb.1352:                             ;   in Loop: Header=BB21_1334 Depth=3
	v_and_b32_e32 v10, 7, v58
	v_ashrrev_i32_e32 v73, 31, v72
	v_mov_b32_e32 v11, v3
	v_mad_u64_u32 v[12:13], s[26:27], v10, 24, v[6:7]
	v_lshlrev_b64 v[14:15], 1, v[72:73]
	flat_store_dwordx2 v[12:13], v[14:15] offset:8
.LBB21_1353:                            ;   in Loop: Header=BB21_1334 Depth=3
	s_or_b64 exec, exec, s[22:23]
	v_and_b32_e32 v12, 0x100, v104
	v_cmp_ne_u32_e32 vcc, 0, v12
	s_mov_b64 s[22:23], -1
                                        ; implicit-def: $vgpr12_vgpr13
	s_and_saveexec_b64 s[26:27], vcc
	s_cbranch_execz .LBB21_1357
; %bb.1354:                             ;   in Loop: Header=BB21_1334 Depth=3
	v_mad_u64_u32 v[14:15], s[22:23], v10, 24, v[6:7]
	v_mov_b32_e32 v12, v15
	v_mad_u64_u32 v[12:13], s[22:23], v11, 24, v[12:13]
	v_mov_b32_e32 v15, v12
	flat_load_dword v12, v[14:15]
	s_waitcnt vmcnt(0) lgkmcnt(0)
	v_cmp_ne_u32_e32 vcc, 1, v12
	v_cmp_eq_u32_e64 s[22:23], 1, v12
                                        ; implicit-def: $vgpr12_vgpr13
	s_and_saveexec_b64 s[28:29], s[22:23]
	s_cbranch_execz .LBB21_1356
; %bb.1355:                             ;   in Loop: Header=BB21_1334 Depth=3
	flat_load_dword v12, v[14:15] offset:4 sc0 sc1
	s_waitcnt vmcnt(0) lgkmcnt(0)
	v_ashrrev_i32_e32 v13, 31, v12
	v_lshrrev_b64 v[12:13], 1, v[12:13]
.LBB21_1356:                            ;   in Loop: Header=BB21_1334 Depth=3
	s_or_b64 exec, exec, s[28:29]
	s_orn2_b64 s[22:23], vcc, exec
.LBB21_1357:                            ;   in Loop: Header=BB21_1334 Depth=3
	s_or_b64 exec, exec, s[26:27]
	s_and_saveexec_b64 s[26:27], s[22:23]
; %bb.1358:                             ;   in Loop: Header=BB21_1334 Depth=3
	v_mul_lo_u32 v11, v11, v30
	v_mul_lo_u32 v14, v10, v83
	v_mad_u64_u32 v[12:13], s[22:23], v10, v30, 0
	v_add3_u32 v13, v13, v14, v11
; %bb.1359:                             ;   in Loop: Header=BB21_1334 Depth=3
	s_or_b64 exec, exec, s[26:27]
	v_cmp_eq_u32_e32 vcc, 0, v2
	v_lshl_add_u64 v[10:11], v[12:13], 1, v[66:67]
	s_nop 0
	v_cndmask_b32_e32 v2, v110, v111, vcc
	v_add_u32_e32 v2, v0, v2
	ds_write_b64 v2, v[10:11] offset:584
	v_and_b32_e32 v2, 0x2000, v104
	v_cmp_ne_u32_e32 vcc, 0, v2
	s_and_saveexec_b64 s[22:23], vcc
	s_cbranch_execz .LBB21_1361
; %bb.1360:                             ;   in Loop: Header=BB21_1334 Depth=3
	ds_read_b64 v[10:11], v0 offset:872
	s_waitcnt lgkmcnt(0)
	v_lshl_add_u64 v[10:11], v[10:11], 0, 1
	ds_write_b64 v0, v[10:11] offset:872
.LBB21_1361:                            ;   in Loop: Header=BB21_1334 Depth=3
	s_or_b64 exec, exec, s[22:23]
	v_mov_b64_e32 v[58:59], v[8:9]
.LBB21_1362:                            ;   in Loop: Header=BB21_1334 Depth=3
	s_or_b64 exec, exec, s[24:25]
	s_and_saveexec_b64 s[22:23], s[4:5]
	s_cbranch_execz .LBB21_1381
; %bb.1363:                             ;   in Loop: Header=BB21_1334 Depth=3
	s_and_saveexec_b64 s[24:25], s[76:77]
	s_xor_b64 s[24:25], exec, s[24:25]
	s_cbranch_execz .LBB21_1378
; %bb.1364:                             ;   in Loop: Header=BB21_1334 Depth=3
	s_and_saveexec_b64 s[26:27], s[12:13]
	s_cbranch_execz .LBB21_1377
; %bb.1365:                             ;   in Loop: Header=BB21_1334 Depth=3
	s_mov_b64 s[40:41], exec
	v_mbcnt_lo_u32_b32 v2, s40, 0
	v_mbcnt_hi_u32_b32 v2, s41, v2
	v_cmp_eq_u32_e32 vcc, 0, v2
	s_waitcnt lgkmcnt(0)
	s_and_saveexec_b64 s[28:29], vcc
	s_cbranch_execz .LBB21_1367
; %bb.1366:                             ;   in Loop: Header=BB21_1334 Depth=3
	s_bcnt1_i32_b64 s40, s[40:41]
	v_mov_b32_e32 v2, s40
	ds_add_u64 v0, v[2:3]
	s_trap 2
.LBB21_1367:                            ;   in Loop: Header=BB21_1334 Depth=3
	s_or_b64 exec, exec, s[28:29]
	s_trap 2
	ds_read_b64 v[8:9], v0
	s_waitcnt lgkmcnt(0)
	v_lshl_add_u64 v[70:71], v[70:71], 0, v[84:85]
	v_cmp_lt_u64_e32 vcc, v[8:9], v[70:71]
	s_and_saveexec_b64 s[28:29], vcc
	s_cbranch_execz .LBB21_1376
; %bb.1368:                             ;   in Loop: Header=BB21_1334 Depth=3
	s_mov_b32 s74, 0
	s_mov_b64 s[40:41], 0
                                        ; implicit-def: $sgpr42_sgpr43
                                        ; implicit-def: $sgpr44_sgpr45
	s_branch .LBB21_1370
.LBB21_1369:                            ;   in Loop: Header=BB21_1370 Depth=4
	s_or_b64 exec, exec, s[56:57]
	s_and_b64 s[46:47], exec, s[58:59]
	s_or_b64 s[40:41], s[46:47], s[40:41]
	s_andn2_b64 s[42:43], s[42:43], exec
	s_and_b64 s[46:47], s[44:45], exec
	s_or_b64 s[42:43], s[42:43], s[46:47]
	s_andn2_b64 exec, exec, s[40:41]
	s_cbranch_execz .LBB21_1374
.LBB21_1370:                            ;   Parent Loop BB21_47 Depth=1
                                        ;     Parent Loop BB21_1331 Depth=2
                                        ;       Parent Loop BB21_1334 Depth=3
                                        ; =>      This Inner Loop Header: Depth=4
	s_add_i32 s74, s74, 1
	s_cmpk_lg_i32 s74, 0x2710
	s_cselect_b64 s[46:47], -1, 0
	s_and_b64 vcc, exec, s[46:47]
	s_cbranch_vccz .LBB21_1372
; %bb.1371:                             ;   in Loop: Header=BB21_1370 Depth=4
	s_mov_b64 s[58:59], -1
	s_or_b64 s[44:45], s[44:45], exec
	s_and_saveexec_b64 s[56:57], s[46:47]
	s_cbranch_execz .LBB21_1369
	s_branch .LBB21_1373
.LBB21_1372:                            ;   in Loop: Header=BB21_1370 Depth=4
	s_trap 2
	ds_read_b64 v[8:9], v0
	s_andn2_b64 s[46:47], s[46:47], exec
	s_mov_b32 s74, 0
	s_waitcnt vmcnt(0) lgkmcnt(0)
	flat_load_dword v2, v[8:9] sc0 sc1
	s_waitcnt vmcnt(0) lgkmcnt(0)
	buffer_inv sc0 sc1
	v_cmp_eq_u32_e32 vcc, 0, v2
	s_and_b64 s[56:57], vcc, exec
	s_or_b64 s[46:47], s[46:47], s[56:57]
	s_mov_b64 s[58:59], -1
	s_or_b64 s[44:45], s[44:45], exec
	s_and_saveexec_b64 s[56:57], s[46:47]
	s_cbranch_execz .LBB21_1369
.LBB21_1373:                            ;   in Loop: Header=BB21_1370 Depth=4
	s_sleep 1
	s_trap 2
	ds_read_b64 v[8:9], v0
	s_waitcnt lgkmcnt(0)
	s_andn2_b64 s[44:45], s[44:45], exec
	v_cmp_ge_u64_e32 vcc, v[8:9], v[70:71]
	s_orn2_b64 s[58:59], vcc, exec
	s_branch .LBB21_1369
.LBB21_1374:                            ;   in Loop: Header=BB21_1334 Depth=3
	s_or_b64 exec, exec, s[40:41]
	s_and_saveexec_b64 s[40:41], s[42:43]
	s_xor_b64 s[40:41], exec, s[40:41]
	s_cbranch_execz .LBB21_1376
; %bb.1375:                             ;   in Loop: Header=BB21_1334 Depth=3
	ds_write_b32 v0, v107
	s_trap 2
.LBB21_1376:                            ;   in Loop: Header=BB21_1334 Depth=3
	s_or_b64 exec, exec, s[28:29]
	;;#ASMSTART
	s_wakeup
	;;#ASMEND
.LBB21_1377:                            ;   in Loop: Header=BB21_1334 Depth=3
	s_or_b64 exec, exec, s[26:27]
.LBB21_1378:                            ;   in Loop: Header=BB21_1334 Depth=3
	s_andn2_saveexec_b64 s[24:25], s[24:25]
	s_cbranch_execz .LBB21_1380
; %bb.1379:                             ;   in Loop: Header=BB21_1334 Depth=3
	s_waitcnt lgkmcnt(0)
	s_barrier
.LBB21_1380:                            ;   in Loop: Header=BB21_1334 Depth=3
	s_or_b64 exec, exec, s[24:25]
.LBB21_1381:                            ;   in Loop: Header=BB21_1334 Depth=3
	s_or_b64 exec, exec, s[22:23]
	s_trap 2
	ds_read_b32 v8, v0
	v_and_b32_e32 v2, 0x4000, v104
	v_cmp_ne_u32_e32 vcc, 0, v2
	s_xor_b64 s[22:23], s[2:3], -1
	s_and_b64 s[24:25], s[22:23], vcc
	s_and_saveexec_b64 s[22:23], s[24:25]
	s_cbranch_execz .LBB21_1400
; %bb.1382:                             ;   in Loop: Header=BB21_1334 Depth=3
	s_and_saveexec_b64 s[24:25], s[76:77]
	s_xor_b64 s[24:25], exec, s[24:25]
	s_cbranch_execz .LBB21_1397
; %bb.1383:                             ;   in Loop: Header=BB21_1334 Depth=3
	s_and_saveexec_b64 s[26:27], s[12:13]
	s_cbranch_execz .LBB21_1396
; %bb.1384:                             ;   in Loop: Header=BB21_1334 Depth=3
	s_mov_b64 s[40:41], exec
	v_mbcnt_lo_u32_b32 v2, s40, 0
	v_mbcnt_hi_u32_b32 v2, s41, v2
	v_cmp_eq_u32_e32 vcc, 0, v2
	s_waitcnt lgkmcnt(0)
	s_and_saveexec_b64 s[28:29], vcc
	s_cbranch_execz .LBB21_1386
; %bb.1385:                             ;   in Loop: Header=BB21_1334 Depth=3
	s_bcnt1_i32_b64 s40, s[40:41]
	v_mov_b32_e32 v2, s40
	ds_add_u64 v0, v[2:3]
	s_trap 2
.LBB21_1386:                            ;   in Loop: Header=BB21_1334 Depth=3
	s_or_b64 exec, exec, s[28:29]
	s_trap 2
	ds_read_b64 v[10:11], v0
	s_waitcnt lgkmcnt(0)
	v_lshl_add_u64 v[70:71], v[70:71], 0, v[84:85]
	v_cmp_lt_u64_e32 vcc, v[10:11], v[70:71]
	s_and_saveexec_b64 s[28:29], vcc
	s_cbranch_execz .LBB21_1395
; %bb.1387:                             ;   in Loop: Header=BB21_1334 Depth=3
	s_mov_b32 s74, 0
	s_mov_b64 s[40:41], 0
                                        ; implicit-def: $sgpr42_sgpr43
                                        ; implicit-def: $sgpr44_sgpr45
	s_branch .LBB21_1389
.LBB21_1388:                            ;   in Loop: Header=BB21_1389 Depth=4
	s_or_b64 exec, exec, s[56:57]
	s_and_b64 s[46:47], exec, s[58:59]
	s_or_b64 s[40:41], s[46:47], s[40:41]
	s_andn2_b64 s[42:43], s[42:43], exec
	s_and_b64 s[46:47], s[44:45], exec
	s_or_b64 s[42:43], s[42:43], s[46:47]
	s_andn2_b64 exec, exec, s[40:41]
	s_cbranch_execz .LBB21_1393
.LBB21_1389:                            ;   Parent Loop BB21_47 Depth=1
                                        ;     Parent Loop BB21_1331 Depth=2
                                        ;       Parent Loop BB21_1334 Depth=3
                                        ; =>      This Inner Loop Header: Depth=4
	s_add_i32 s74, s74, 1
	s_cmpk_lg_i32 s74, 0x2710
	s_cselect_b64 s[46:47], -1, 0
	s_and_b64 vcc, exec, s[46:47]
	s_cbranch_vccz .LBB21_1391
; %bb.1390:                             ;   in Loop: Header=BB21_1389 Depth=4
	s_mov_b64 s[58:59], -1
	s_or_b64 s[44:45], s[44:45], exec
	s_and_saveexec_b64 s[56:57], s[46:47]
	s_cbranch_execz .LBB21_1388
	s_branch .LBB21_1392
.LBB21_1391:                            ;   in Loop: Header=BB21_1389 Depth=4
	s_trap 2
	ds_read_b64 v[10:11], v0
	s_andn2_b64 s[46:47], s[46:47], exec
	s_mov_b32 s74, 0
	s_waitcnt vmcnt(0) lgkmcnt(0)
	flat_load_dword v2, v[10:11] sc0 sc1
	s_waitcnt vmcnt(0) lgkmcnt(0)
	buffer_inv sc0 sc1
	v_cmp_eq_u32_e32 vcc, 0, v2
	s_and_b64 s[56:57], vcc, exec
	s_or_b64 s[46:47], s[46:47], s[56:57]
	s_mov_b64 s[58:59], -1
	s_or_b64 s[44:45], s[44:45], exec
	s_and_saveexec_b64 s[56:57], s[46:47]
	s_cbranch_execz .LBB21_1388
.LBB21_1392:                            ;   in Loop: Header=BB21_1389 Depth=4
	s_sleep 1
	s_trap 2
	ds_read_b64 v[10:11], v0
	s_waitcnt lgkmcnt(0)
	s_andn2_b64 s[44:45], s[44:45], exec
	v_cmp_ge_u64_e32 vcc, v[10:11], v[70:71]
	s_orn2_b64 s[58:59], vcc, exec
	s_branch .LBB21_1388
.LBB21_1393:                            ;   in Loop: Header=BB21_1334 Depth=3
	s_or_b64 exec, exec, s[40:41]
	s_and_saveexec_b64 s[40:41], s[42:43]
	s_xor_b64 s[40:41], exec, s[40:41]
	s_cbranch_execz .LBB21_1395
; %bb.1394:                             ;   in Loop: Header=BB21_1334 Depth=3
	ds_write_b32 v0, v107
	s_trap 2
.LBB21_1395:                            ;   in Loop: Header=BB21_1334 Depth=3
	s_or_b64 exec, exec, s[28:29]
	;;#ASMSTART
	s_wakeup
	;;#ASMEND
.LBB21_1396:                            ;   in Loop: Header=BB21_1334 Depth=3
	s_or_b64 exec, exec, s[26:27]
.LBB21_1397:                            ;   in Loop: Header=BB21_1334 Depth=3
	s_andn2_saveexec_b64 s[24:25], s[24:25]
	s_cbranch_execz .LBB21_1399
; %bb.1398:                             ;   in Loop: Header=BB21_1334 Depth=3
	s_waitcnt lgkmcnt(0)
	s_barrier
.LBB21_1399:                            ;   in Loop: Header=BB21_1334 Depth=3
	s_or_b64 exec, exec, s[24:25]
.LBB21_1400:                            ;   in Loop: Header=BB21_1334 Depth=3
	s_or_b64 exec, exec, s[22:23]
	s_trap 2
	ds_read_b64 v[78:79], v0
	s_waitcnt lgkmcnt(0)
	v_cmp_eq_u64_e32 vcc, 0, v[78:79]
	s_cbranch_vccnz .LBB21_1409
; %bb.1401:                             ;   in Loop: Header=BB21_1334 Depth=3
	s_trap 2
	ds_read_b64 v[88:89], v0
	s_waitcnt lgkmcnt(0)
	v_cmp_eq_u64_e32 vcc, 0, v[88:89]
	s_cbranch_vccnz .LBB21_1409
; %bb.1402:                             ;   in Loop: Header=BB21_1334 Depth=3
	s_trap 2
	ds_read_b64 v[24:25], v0
	v_cmp_eq_u32_e32 vcc, 0, v8
	s_waitcnt lgkmcnt(0)
	v_readfirstlane_b32 s97, v24
	v_cndmask_b32_e32 v73, 0, v72, vcc
	v_cmp_ne_u64_e32 vcc, 0, v[24:25]
	s_cbranch_vccz .LBB21_1414
; %bb.1403:                             ;   in Loop: Header=BB21_1334 Depth=3
	s_trap 2
	ds_read_b64 v[26:27], v0
	s_mov_b64 s[24:25], -1
	s_and_saveexec_b64 s[22:23], s[16:17]
	s_cbranch_execz .LBB21_1405
; %bb.1404:                             ;   in Loop: Header=BB21_1334 Depth=3
	ds_read_b32 v2, v0 offset:720
	s_waitcnt lgkmcnt(0)
	v_and_b32_e32 v2, 15, v2
	v_cmp_eq_u32_e32 vcc, 0, v2
	s_orn2_b64 s[24:25], vcc, exec
.LBB21_1405:                            ;   in Loop: Header=BB21_1334 Depth=3
	s_or_b64 exec, exec, s[22:23]
	s_and_saveexec_b64 s[22:23], s[18:19]
	s_cbranch_execz .LBB21_1407
; %bb.1406:                             ;   in Loop: Header=BB21_1334 Depth=3
	ds_read_b32 v2, v0 offset:784
	s_waitcnt lgkmcnt(0)
	v_and_b32_e32 v2, 15, v2
	v_cmp_eq_u32_e32 vcc, 0, v2
	s_and_b64 s[26:27], s[24:25], vcc
	s_andn2_b64 s[24:25], s[24:25], exec
	s_and_b64 s[26:27], s[26:27], exec
	s_or_b64 s[24:25], s[24:25], s[26:27]
.LBB21_1407:                            ;   in Loop: Header=BB21_1334 Depth=3
	s_or_b64 exec, exec, s[22:23]
	s_xor_b64 s[24:25], s[24:25], -1
	v_cndmask_b32_e64 v2, 0, 1, s[24:25]
	v_lshlrev_b32_e32 v38, 1, v73
	s_mov_b64 s[22:23], -1
	v_mov_b32_e32 v18, 0
	v_cmp_ne_u32_e32 vcc, 0, v2
	s_cbranch_vccz .LBB21_1416
; %bb.1408:                             ;   in Loop: Header=BB21_1334 Depth=3
	v_mov_b32_e32 v19, v0
	s_and_saveexec_b64 s[40:41], s[22:23]
	s_cbranch_execnz .LBB21_1493
	s_branch .LBB21_1535
.LBB21_1409:                            ;   in Loop: Header=BB21_1334 Depth=3
	s_mov_b64 s[22:23], 0
	s_and_saveexec_b64 s[24:25], s[4:5]
	s_cbranch_execnz .LBB21_1722
.LBB21_1410:                            ;   in Loop: Header=BB21_1334 Depth=3
	s_or_b64 exec, exec, s[24:25]
                                        ; implicit-def: $vgpr2
	s_and_saveexec_b64 s[24:25], s[20:21]
	s_xor_b64 s[24:25], exec, s[24:25]
	s_cbranch_execz .LBB21_1740
.LBB21_1411:                            ;   in Loop: Header=BB21_1334 Depth=3
	v_and_b32_e32 v8, 16, v104
	v_cmp_ne_u32_e32 vcc, 0, v8
	v_and_b32_e32 v2, 16, v104
	s_and_b64 s[26:27], vcc, s[22:23]
	s_and_saveexec_b64 s[22:23], s[26:27]
	s_cbranch_execz .LBB21_1413
; %bb.1412:                             ;   in Loop: Header=BB21_1334 Depth=3
	v_mov_b32_e32 v2, 1
	buffer_wbl2 sc1
	s_waitcnt vmcnt(0) lgkmcnt(0)
	buffer_inv sc1
.LBB21_1413:                            ;   in Loop: Header=BB21_1334 Depth=3
	s_or_b64 exec, exec, s[22:23]
	s_andn2_saveexec_b64 s[22:23], s[24:25]
	s_cbranch_execz .LBB21_1759
	s_branch .LBB21_1741
.LBB21_1414:                            ;   in Loop: Header=BB21_1334 Depth=3
	s_cbranch_execnz .LBB21_1536
.LBB21_1415:                            ;   in Loop: Header=BB21_1334 Depth=3
	v_cmp_lt_i32_e64 s[22:23], 0, v73
	s_and_saveexec_b64 s[24:25], s[4:5]
	s_cbranch_execnz .LBB21_1722
	s_branch .LBB21_1410
.LBB21_1416:                            ;   in Loop: Header=BB21_1334 Depth=3
	v_ashrrev_i32_e32 v2, 31, v38
	v_lshrrev_b32_e32 v2, 21, v2
	v_add_u32_e32 v2, v38, v2
	v_ashrrev_i32_e32 v39, 11, v2
	v_sub_u32_e32 v2, v39, v106
	v_cmp_lt_i32_e32 vcc, 0, v2
	s_and_saveexec_b64 s[24:25], vcc
	s_cbranch_execz .LBB21_1484
; %bb.1417:                             ;   in Loop: Header=BB21_1334 Depth=3
	s_and_b32 s74, s97, 1
	s_cmp_eq_u64 s[74:75], 0
	v_lshl_add_u64 v[32:33], v[88:89], 0, v[112:113]
	v_lshl_add_u64 v[34:35], v[24:25], 0, v[112:113]
	s_mov_b64 s[26:27], 0
	s_cselect_b64 vcc, -1, 0
	v_mov_b64_e32 v[36:37], v[112:113]
	s_branch .LBB21_1419
.LBB21_1418:                            ;   in Loop: Header=BB21_1419 Depth=4
	s_or_b64 exec, exec, s[28:29]
	v_lshrrev_b32_e32 v20, 16, v20
	v_and_or_b32 v16, v16, s80, v20
	v_lshrrev_b32_e32 v20, 16, v22
	v_lshrrev_b32_e32 v21, 16, v21
	v_and_or_b32 v18, v18, s80, v20
	v_lshrrev_b32_e32 v20, 16, v23
	v_sub_u32_e32 v2, v2, v84
	v_and_or_b32 v17, v17, s80, v21
	v_and_or_b32 v19, v19, s80, v20
	v_cmp_gt_i32_e64 s[22:23], 1, v2
	global_store_dwordx4 v[32:33], v[16:19], off offset:1024
	global_store_dwordx4 v[34:35], v[12:15], off
	global_store_dwordx4 v[34:35], v[8:11], off offset:1024
	v_lshl_add_u64 v[32:33], v[32:33], 0, v[114:115]
	v_lshl_add_u64 v[34:35], v[34:35], 0, v[114:115]
	s_or_b64 s[26:27], s[22:23], s[26:27]
	v_lshl_add_u64 v[36:37], v[36:37], 0, v[114:115]
	s_andn2_b64 exec, exec, s[26:27]
	s_cbranch_execz .LBB21_1483
.LBB21_1419:                            ;   Parent Loop BB21_47 Depth=1
                                        ;     Parent Loop BB21_1331 Depth=2
                                        ;       Parent Loop BB21_1334 Depth=3
                                        ; =>      This Inner Loop Header: Depth=4
	s_waitcnt lgkmcnt(0)
	v_lshl_add_u64 v[16:17], v[26:27], 0, v[36:37]
	v_lshl_add_u64 v[8:9], v[78:79], 0, v[36:37]
	global_load_dwordx4 v[12:15], v[8:9], off nt
	global_load_dwordx4 v[20:23], v[16:17], off nt
	s_nop 0
	global_load_dwordx4 v[8:11], v[8:9], off offset:1024 nt
	s_nop 0
	global_load_dwordx4 v[16:19], v[16:17], off offset:1024 nt
	s_waitcnt vmcnt(0)
	v_lshlrev_b32_e32 v48, 16, v12
	v_lshlrev_b32_e32 v49, 16, v20
	v_max_f32_e32 v49, v49, v49
	v_max_f32_e32 v48, v48, v48
	v_min_f32_e32 v50, v48, v49
	v_max_f32_e32 v48, v48, v49
	v_cndmask_b32_e32 v49, v48, v50, vcc
	v_and_b32_e32 v48, 0x7f800000, v49
	v_cmp_ne_u32_e64 s[22:23], s70, v48
                                        ; implicit-def: $vgpr48
	s_and_saveexec_b64 s[28:29], s[22:23]
	s_xor_b64 s[22:23], exec, s[28:29]
; %bb.1420:                             ;   in Loop: Header=BB21_1419 Depth=4
	v_bfe_u32 v48, v49, 16, 1
	v_add3_u32 v48, v49, v48, s71
                                        ; implicit-def: $vgpr49
; %bb.1421:                             ;   in Loop: Header=BB21_1419 Depth=4
	s_andn2_saveexec_b64 s[28:29], s[22:23]
; %bb.1422:                             ;   in Loop: Header=BB21_1419 Depth=4
	v_or_b32_e32 v48, 0x10000, v49
	v_cmp_eq_u32_sdwa s[22:23], v49, v3 src0_sel:WORD_0 src1_sel:DWORD
	s_nop 1
	v_cndmask_b32_e64 v48, v48, v49, s[22:23]
; %bb.1423:                             ;   in Loop: Header=BB21_1419 Depth=4
	s_or_b64 exec, exec, s[28:29]
	v_and_b32_e32 v49, 0xffff0000, v12
	v_and_b32_e32 v20, 0xffff0000, v20
	v_max_f32_e32 v20, v20, v20
	v_max_f32_e32 v49, v49, v49
	v_min_f32_e32 v50, v49, v20
	v_max_f32_e32 v20, v49, v20
	v_cndmask_b32_e32 v49, v20, v50, vcc
	v_and_b32_e32 v20, 0x7f800000, v49
	v_cmp_ne_u32_e64 s[22:23], s70, v20
                                        ; implicit-def: $vgpr20
	s_and_saveexec_b64 s[28:29], s[22:23]
	s_xor_b64 s[22:23], exec, s[28:29]
; %bb.1424:                             ;   in Loop: Header=BB21_1419 Depth=4
	v_bfe_u32 v20, v49, 16, 1
	v_add3_u32 v20, v49, v20, s71
                                        ; implicit-def: $vgpr49
; %bb.1425:                             ;   in Loop: Header=BB21_1419 Depth=4
	s_andn2_saveexec_b64 s[28:29], s[22:23]
; %bb.1426:                             ;   in Loop: Header=BB21_1419 Depth=4
	v_or_b32_e32 v20, 0x10000, v49
	v_cmp_eq_u32_sdwa s[22:23], v49, v3 src0_sel:WORD_0 src1_sel:DWORD
	s_nop 1
	v_cndmask_b32_e64 v20, v20, v49, s[22:23]
; %bb.1427:                             ;   in Loop: Header=BB21_1419 Depth=4
	s_or_b64 exec, exec, s[28:29]
	v_lshlrev_b32_e32 v49, 16, v13
	v_lshlrev_b32_e32 v50, 16, v21
	v_max_f32_e32 v50, v50, v50
	v_max_f32_e32 v49, v49, v49
	v_min_f32_e32 v51, v49, v50
	v_max_f32_e32 v49, v49, v50
	v_cndmask_b32_e32 v50, v49, v51, vcc
	v_and_b32_e32 v49, 0x7f800000, v50
	v_cmp_ne_u32_e64 s[22:23], s70, v49
                                        ; implicit-def: $vgpr49
	s_and_saveexec_b64 s[28:29], s[22:23]
	s_xor_b64 s[22:23], exec, s[28:29]
; %bb.1428:                             ;   in Loop: Header=BB21_1419 Depth=4
	v_bfe_u32 v49, v50, 16, 1
	v_add3_u32 v49, v50, v49, s71
                                        ; implicit-def: $vgpr50
; %bb.1429:                             ;   in Loop: Header=BB21_1419 Depth=4
	s_andn2_saveexec_b64 s[28:29], s[22:23]
; %bb.1430:                             ;   in Loop: Header=BB21_1419 Depth=4
	v_or_b32_e32 v49, 0x10000, v50
	v_cmp_eq_u32_sdwa s[22:23], v50, v3 src0_sel:WORD_0 src1_sel:DWORD
	s_nop 1
	v_cndmask_b32_e64 v49, v49, v50, s[22:23]
; %bb.1431:                             ;   in Loop: Header=BB21_1419 Depth=4
	s_or_b64 exec, exec, s[28:29]
	v_and_b32_e32 v50, 0xffff0000, v13
	v_and_b32_e32 v21, 0xffff0000, v21
	v_max_f32_e32 v21, v21, v21
	v_max_f32_e32 v50, v50, v50
	v_min_f32_e32 v51, v50, v21
	v_max_f32_e32 v21, v50, v21
	v_cndmask_b32_e32 v50, v21, v51, vcc
	v_and_b32_e32 v21, 0x7f800000, v50
	v_cmp_ne_u32_e64 s[22:23], s70, v21
                                        ; implicit-def: $vgpr21
	s_and_saveexec_b64 s[28:29], s[22:23]
	s_xor_b64 s[22:23], exec, s[28:29]
; %bb.1432:                             ;   in Loop: Header=BB21_1419 Depth=4
	v_bfe_u32 v21, v50, 16, 1
	v_add3_u32 v21, v50, v21, s71
                                        ; implicit-def: $vgpr50
; %bb.1433:                             ;   in Loop: Header=BB21_1419 Depth=4
	s_andn2_saveexec_b64 s[28:29], s[22:23]
; %bb.1434:                             ;   in Loop: Header=BB21_1419 Depth=4
	v_or_b32_e32 v21, 0x10000, v50
	v_cmp_eq_u32_sdwa s[22:23], v50, v3 src0_sel:WORD_0 src1_sel:DWORD
	s_nop 1
	v_cndmask_b32_e64 v21, v21, v50, s[22:23]
; %bb.1435:                             ;   in Loop: Header=BB21_1419 Depth=4
	s_or_b64 exec, exec, s[28:29]
	v_lshlrev_b32_e32 v50, 16, v14
	v_lshlrev_b32_e32 v51, 16, v22
	v_max_f32_e32 v51, v51, v51
	v_max_f32_e32 v50, v50, v50
	v_min_f32_e32 v82, v50, v51
	v_max_f32_e32 v50, v50, v51
	v_cndmask_b32_e32 v51, v50, v82, vcc
	v_and_b32_e32 v50, 0x7f800000, v51
	v_cmp_ne_u32_e64 s[22:23], s70, v50
                                        ; implicit-def: $vgpr50
	s_and_saveexec_b64 s[28:29], s[22:23]
	s_xor_b64 s[22:23], exec, s[28:29]
; %bb.1436:                             ;   in Loop: Header=BB21_1419 Depth=4
	v_bfe_u32 v50, v51, 16, 1
	v_add3_u32 v50, v51, v50, s71
                                        ; implicit-def: $vgpr51
; %bb.1437:                             ;   in Loop: Header=BB21_1419 Depth=4
	s_andn2_saveexec_b64 s[28:29], s[22:23]
; %bb.1438:                             ;   in Loop: Header=BB21_1419 Depth=4
	v_or_b32_e32 v50, 0x10000, v51
	v_cmp_eq_u32_sdwa s[22:23], v51, v3 src0_sel:WORD_0 src1_sel:DWORD
	s_nop 1
	v_cndmask_b32_e64 v50, v50, v51, s[22:23]
; %bb.1439:                             ;   in Loop: Header=BB21_1419 Depth=4
	s_or_b64 exec, exec, s[28:29]
	v_and_b32_e32 v51, 0xffff0000, v14
	v_and_b32_e32 v22, 0xffff0000, v22
	v_max_f32_e32 v22, v22, v22
	v_max_f32_e32 v51, v51, v51
	v_min_f32_e32 v82, v51, v22
	v_max_f32_e32 v22, v51, v22
	v_cndmask_b32_e32 v51, v22, v82, vcc
	v_and_b32_e32 v22, 0x7f800000, v51
	v_cmp_ne_u32_e64 s[22:23], s70, v22
                                        ; implicit-def: $vgpr22
	s_and_saveexec_b64 s[28:29], s[22:23]
	s_xor_b64 s[22:23], exec, s[28:29]
; %bb.1440:                             ;   in Loop: Header=BB21_1419 Depth=4
	v_bfe_u32 v22, v51, 16, 1
	v_add3_u32 v22, v51, v22, s71
                                        ; implicit-def: $vgpr51
; %bb.1441:                             ;   in Loop: Header=BB21_1419 Depth=4
	s_andn2_saveexec_b64 s[28:29], s[22:23]
; %bb.1442:                             ;   in Loop: Header=BB21_1419 Depth=4
	v_or_b32_e32 v22, 0x10000, v51
	v_cmp_eq_u32_sdwa s[22:23], v51, v3 src0_sel:WORD_0 src1_sel:DWORD
	s_nop 1
	v_cndmask_b32_e64 v22, v22, v51, s[22:23]
; %bb.1443:                             ;   in Loop: Header=BB21_1419 Depth=4
	s_or_b64 exec, exec, s[28:29]
	v_lshlrev_b32_e32 v51, 16, v15
	v_lshlrev_b32_e32 v82, 16, v23
	v_max_f32_e32 v82, v82, v82
	v_max_f32_e32 v51, v51, v51
	v_min_f32_e32 v75, v51, v82
	v_max_f32_e32 v51, v51, v82
	v_cndmask_b32_e32 v75, v51, v75, vcc
	v_and_b32_e32 v51, 0x7f800000, v75
	v_cmp_ne_u32_e64 s[22:23], s70, v51
                                        ; implicit-def: $vgpr51
	s_and_saveexec_b64 s[28:29], s[22:23]
	s_xor_b64 s[22:23], exec, s[28:29]
; %bb.1444:                             ;   in Loop: Header=BB21_1419 Depth=4
	v_bfe_u32 v51, v75, 16, 1
	v_add3_u32 v51, v75, v51, s71
                                        ; implicit-def: $vgpr75
; %bb.1445:                             ;   in Loop: Header=BB21_1419 Depth=4
	s_andn2_saveexec_b64 s[28:29], s[22:23]
; %bb.1446:                             ;   in Loop: Header=BB21_1419 Depth=4
	v_or_b32_e32 v51, 0x10000, v75
	v_cmp_eq_u32_sdwa s[22:23], v75, v3 src0_sel:WORD_0 src1_sel:DWORD
	s_nop 1
	v_cndmask_b32_e64 v51, v51, v75, s[22:23]
; %bb.1447:                             ;   in Loop: Header=BB21_1419 Depth=4
	s_or_b64 exec, exec, s[28:29]
	v_and_b32_e32 v82, 0xffff0000, v15
	v_and_b32_e32 v23, 0xffff0000, v23
	v_max_f32_e32 v23, v23, v23
	v_max_f32_e32 v82, v82, v82
	v_min_f32_e32 v75, v82, v23
	v_max_f32_e32 v23, v82, v23
	v_cndmask_b32_e32 v75, v23, v75, vcc
	v_and_b32_e32 v23, 0x7f800000, v75
	v_cmp_ne_u32_e64 s[22:23], s70, v23
                                        ; implicit-def: $vgpr23
	s_and_saveexec_b64 s[28:29], s[22:23]
	s_xor_b64 s[22:23], exec, s[28:29]
; %bb.1448:                             ;   in Loop: Header=BB21_1419 Depth=4
	v_bfe_u32 v23, v75, 16, 1
	v_add3_u32 v23, v75, v23, s71
                                        ; implicit-def: $vgpr75
; %bb.1449:                             ;   in Loop: Header=BB21_1419 Depth=4
	s_andn2_saveexec_b64 s[28:29], s[22:23]
; %bb.1450:                             ;   in Loop: Header=BB21_1419 Depth=4
	v_or_b32_e32 v23, 0x10000, v75
	v_cmp_eq_u32_sdwa s[22:23], v75, v3 src0_sel:WORD_0 src1_sel:DWORD
	s_nop 1
	v_cndmask_b32_e64 v23, v23, v75, s[22:23]
; %bb.1451:                             ;   in Loop: Header=BB21_1419 Depth=4
	s_or_b64 exec, exec, s[28:29]
	v_lshrrev_b32_e32 v48, 16, v48
	v_and_or_b32 v20, v20, s80, v48
	v_lshrrev_b32_e32 v48, 16, v50
	v_lshrrev_b32_e32 v49, 16, v49
	v_and_or_b32 v22, v22, s80, v48
	v_lshrrev_b32_e32 v48, 16, v51
	v_and_or_b32 v21, v21, s80, v49
	v_and_or_b32 v23, v23, s80, v48
	global_store_dwordx4 v[32:33], v[20:23], off
	s_nop 1
	v_lshlrev_b32_e32 v20, 16, v8
	v_lshlrev_b32_e32 v21, 16, v16
	v_max_f32_e32 v21, v21, v21
	v_max_f32_e32 v20, v20, v20
	v_min_f32_e32 v22, v20, v21
	v_max_f32_e32 v20, v20, v21
	v_cndmask_b32_e32 v21, v20, v22, vcc
	v_and_b32_e32 v20, 0x7f800000, v21
	v_cmp_ne_u32_e64 s[22:23], s70, v20
                                        ; implicit-def: $vgpr20
	s_and_saveexec_b64 s[28:29], s[22:23]
	s_xor_b64 s[22:23], exec, s[28:29]
; %bb.1452:                             ;   in Loop: Header=BB21_1419 Depth=4
	v_bfe_u32 v20, v21, 16, 1
	v_add3_u32 v20, v21, v20, s71
                                        ; implicit-def: $vgpr21
; %bb.1453:                             ;   in Loop: Header=BB21_1419 Depth=4
	s_andn2_saveexec_b64 s[28:29], s[22:23]
; %bb.1454:                             ;   in Loop: Header=BB21_1419 Depth=4
	v_or_b32_e32 v20, 0x10000, v21
	v_cmp_eq_u32_sdwa s[22:23], v21, v3 src0_sel:WORD_0 src1_sel:DWORD
	s_nop 1
	v_cndmask_b32_e64 v20, v20, v21, s[22:23]
; %bb.1455:                             ;   in Loop: Header=BB21_1419 Depth=4
	s_or_b64 exec, exec, s[28:29]
	v_and_b32_e32 v21, 0xffff0000, v8
	v_and_b32_e32 v16, 0xffff0000, v16
	v_max_f32_e32 v16, v16, v16
	v_max_f32_e32 v21, v21, v21
	v_min_f32_e32 v22, v21, v16
	v_max_f32_e32 v16, v21, v16
	v_cndmask_b32_e32 v21, v16, v22, vcc
	v_and_b32_e32 v16, 0x7f800000, v21
	v_cmp_ne_u32_e64 s[22:23], s70, v16
                                        ; implicit-def: $vgpr16
	s_and_saveexec_b64 s[28:29], s[22:23]
	s_xor_b64 s[22:23], exec, s[28:29]
; %bb.1456:                             ;   in Loop: Header=BB21_1419 Depth=4
	v_bfe_u32 v16, v21, 16, 1
	v_add3_u32 v16, v21, v16, s71
                                        ; implicit-def: $vgpr21
; %bb.1457:                             ;   in Loop: Header=BB21_1419 Depth=4
	s_andn2_saveexec_b64 s[28:29], s[22:23]
; %bb.1458:                             ;   in Loop: Header=BB21_1419 Depth=4
	v_or_b32_e32 v16, 0x10000, v21
	v_cmp_eq_u32_sdwa s[22:23], v21, v3 src0_sel:WORD_0 src1_sel:DWORD
	s_nop 1
	v_cndmask_b32_e64 v16, v16, v21, s[22:23]
; %bb.1459:                             ;   in Loop: Header=BB21_1419 Depth=4
	s_or_b64 exec, exec, s[28:29]
	v_lshlrev_b32_e32 v21, 16, v9
	v_lshlrev_b32_e32 v22, 16, v17
	v_max_f32_e32 v22, v22, v22
	v_max_f32_e32 v21, v21, v21
	v_min_f32_e32 v23, v21, v22
	v_max_f32_e32 v21, v21, v22
	v_cndmask_b32_e32 v22, v21, v23, vcc
	v_and_b32_e32 v21, 0x7f800000, v22
	v_cmp_ne_u32_e64 s[22:23], s70, v21
                                        ; implicit-def: $vgpr21
	s_and_saveexec_b64 s[28:29], s[22:23]
	s_xor_b64 s[22:23], exec, s[28:29]
; %bb.1460:                             ;   in Loop: Header=BB21_1419 Depth=4
	v_bfe_u32 v21, v22, 16, 1
	v_add3_u32 v21, v22, v21, s71
                                        ; implicit-def: $vgpr22
; %bb.1461:                             ;   in Loop: Header=BB21_1419 Depth=4
	s_andn2_saveexec_b64 s[28:29], s[22:23]
; %bb.1462:                             ;   in Loop: Header=BB21_1419 Depth=4
	v_or_b32_e32 v21, 0x10000, v22
	v_cmp_eq_u32_sdwa s[22:23], v22, v3 src0_sel:WORD_0 src1_sel:DWORD
	s_nop 1
	v_cndmask_b32_e64 v21, v21, v22, s[22:23]
; %bb.1463:                             ;   in Loop: Header=BB21_1419 Depth=4
	s_or_b64 exec, exec, s[28:29]
	v_and_b32_e32 v22, 0xffff0000, v9
	v_and_b32_e32 v17, 0xffff0000, v17
	v_max_f32_e32 v17, v17, v17
	v_max_f32_e32 v22, v22, v22
	v_min_f32_e32 v23, v22, v17
	v_max_f32_e32 v17, v22, v17
	v_cndmask_b32_e32 v22, v17, v23, vcc
	v_and_b32_e32 v17, 0x7f800000, v22
	v_cmp_ne_u32_e64 s[22:23], s70, v17
                                        ; implicit-def: $vgpr17
	s_and_saveexec_b64 s[28:29], s[22:23]
	s_xor_b64 s[22:23], exec, s[28:29]
; %bb.1464:                             ;   in Loop: Header=BB21_1419 Depth=4
	v_bfe_u32 v17, v22, 16, 1
	v_add3_u32 v17, v22, v17, s71
                                        ; implicit-def: $vgpr22
; %bb.1465:                             ;   in Loop: Header=BB21_1419 Depth=4
	s_andn2_saveexec_b64 s[28:29], s[22:23]
; %bb.1466:                             ;   in Loop: Header=BB21_1419 Depth=4
	v_or_b32_e32 v17, 0x10000, v22
	v_cmp_eq_u32_sdwa s[22:23], v22, v3 src0_sel:WORD_0 src1_sel:DWORD
	s_nop 1
	v_cndmask_b32_e64 v17, v17, v22, s[22:23]
; %bb.1467:                             ;   in Loop: Header=BB21_1419 Depth=4
	s_or_b64 exec, exec, s[28:29]
	v_lshlrev_b32_e32 v22, 16, v10
	v_lshlrev_b32_e32 v23, 16, v18
	v_max_f32_e32 v23, v23, v23
	v_max_f32_e32 v22, v22, v22
	v_min_f32_e32 v48, v22, v23
	v_max_f32_e32 v22, v22, v23
	v_cndmask_b32_e32 v23, v22, v48, vcc
	v_and_b32_e32 v22, 0x7f800000, v23
	v_cmp_ne_u32_e64 s[22:23], s70, v22
                                        ; implicit-def: $vgpr22
	s_and_saveexec_b64 s[28:29], s[22:23]
	s_xor_b64 s[22:23], exec, s[28:29]
; %bb.1468:                             ;   in Loop: Header=BB21_1419 Depth=4
	v_bfe_u32 v22, v23, 16, 1
	v_add3_u32 v22, v23, v22, s71
                                        ; implicit-def: $vgpr23
; %bb.1469:                             ;   in Loop: Header=BB21_1419 Depth=4
	s_andn2_saveexec_b64 s[28:29], s[22:23]
; %bb.1470:                             ;   in Loop: Header=BB21_1419 Depth=4
	v_or_b32_e32 v22, 0x10000, v23
	v_cmp_eq_u32_sdwa s[22:23], v23, v3 src0_sel:WORD_0 src1_sel:DWORD
	s_nop 1
	v_cndmask_b32_e64 v22, v22, v23, s[22:23]
; %bb.1471:                             ;   in Loop: Header=BB21_1419 Depth=4
	s_or_b64 exec, exec, s[28:29]
	v_and_b32_e32 v23, 0xffff0000, v10
	v_and_b32_e32 v18, 0xffff0000, v18
	v_max_f32_e32 v18, v18, v18
	v_max_f32_e32 v23, v23, v23
	v_min_f32_e32 v48, v23, v18
	v_max_f32_e32 v18, v23, v18
	v_cndmask_b32_e32 v23, v18, v48, vcc
	v_and_b32_e32 v18, 0x7f800000, v23
	v_cmp_ne_u32_e64 s[22:23], s70, v18
                                        ; implicit-def: $vgpr18
	s_and_saveexec_b64 s[28:29], s[22:23]
	s_xor_b64 s[22:23], exec, s[28:29]
; %bb.1472:                             ;   in Loop: Header=BB21_1419 Depth=4
	v_bfe_u32 v18, v23, 16, 1
	v_add3_u32 v18, v23, v18, s71
                                        ; implicit-def: $vgpr23
; %bb.1473:                             ;   in Loop: Header=BB21_1419 Depth=4
	s_andn2_saveexec_b64 s[28:29], s[22:23]
; %bb.1474:                             ;   in Loop: Header=BB21_1419 Depth=4
	v_or_b32_e32 v18, 0x10000, v23
	v_cmp_eq_u32_sdwa s[22:23], v23, v3 src0_sel:WORD_0 src1_sel:DWORD
	s_nop 1
	v_cndmask_b32_e64 v18, v18, v23, s[22:23]
; %bb.1475:                             ;   in Loop: Header=BB21_1419 Depth=4
	s_or_b64 exec, exec, s[28:29]
	v_lshlrev_b32_e32 v23, 16, v11
	v_lshlrev_b32_e32 v48, 16, v19
	v_max_f32_e32 v48, v48, v48
	v_max_f32_e32 v23, v23, v23
	v_min_f32_e32 v49, v23, v48
	v_max_f32_e32 v23, v23, v48
	v_cndmask_b32_e32 v48, v23, v49, vcc
	v_and_b32_e32 v23, 0x7f800000, v48
	v_cmp_ne_u32_e64 s[22:23], s70, v23
                                        ; implicit-def: $vgpr23
	s_and_saveexec_b64 s[28:29], s[22:23]
	s_xor_b64 s[22:23], exec, s[28:29]
; %bb.1476:                             ;   in Loop: Header=BB21_1419 Depth=4
	v_bfe_u32 v23, v48, 16, 1
	v_add3_u32 v23, v48, v23, s71
                                        ; implicit-def: $vgpr48
; %bb.1477:                             ;   in Loop: Header=BB21_1419 Depth=4
	s_andn2_saveexec_b64 s[28:29], s[22:23]
; %bb.1478:                             ;   in Loop: Header=BB21_1419 Depth=4
	v_or_b32_e32 v23, 0x10000, v48
	v_cmp_eq_u32_sdwa s[22:23], v48, v3 src0_sel:WORD_0 src1_sel:DWORD
	s_nop 1
	v_cndmask_b32_e64 v23, v23, v48, s[22:23]
; %bb.1479:                             ;   in Loop: Header=BB21_1419 Depth=4
	s_or_b64 exec, exec, s[28:29]
	v_and_b32_e32 v48, 0xffff0000, v11
	v_and_b32_e32 v19, 0xffff0000, v19
	v_max_f32_e32 v19, v19, v19
	v_max_f32_e32 v48, v48, v48
	v_min_f32_e32 v49, v48, v19
	v_max_f32_e32 v19, v48, v19
	v_cndmask_b32_e32 v48, v19, v49, vcc
	v_and_b32_e32 v19, 0x7f800000, v48
	v_cmp_ne_u32_e64 s[22:23], s70, v19
                                        ; implicit-def: $vgpr19
	s_and_saveexec_b64 s[28:29], s[22:23]
	s_xor_b64 s[22:23], exec, s[28:29]
; %bb.1480:                             ;   in Loop: Header=BB21_1419 Depth=4
	v_bfe_u32 v19, v48, 16, 1
	v_add3_u32 v19, v48, v19, s71
                                        ; implicit-def: $vgpr48
; %bb.1481:                             ;   in Loop: Header=BB21_1419 Depth=4
	s_andn2_saveexec_b64 s[28:29], s[22:23]
	s_cbranch_execz .LBB21_1418
; %bb.1482:                             ;   in Loop: Header=BB21_1419 Depth=4
	v_or_b32_e32 v19, 0x10000, v48
	v_cmp_eq_u32_sdwa s[22:23], v48, v3 src0_sel:WORD_0 src1_sel:DWORD
	s_nop 1
	v_cndmask_b32_e64 v19, v19, v48, s[22:23]
	s_branch .LBB21_1418
.LBB21_1483:                            ;   in Loop: Header=BB21_1334 Depth=3
	s_or_b64 exec, exec, s[26:27]
.LBB21_1484:                            ;   in Loop: Header=BB21_1334 Depth=3
	s_or_b64 exec, exec, s[24:25]
	v_lshlrev_b32_e32 v32, 11, v39
	v_cmp_ne_u32_e32 vcc, v38, v32
	s_mov_b64 s[22:23], 0
	v_mov_b32_e32 v18, 0
                                        ; implicit-def: $vgpr19
	s_and_saveexec_b64 s[50:51], vcc
	s_cbranch_execz .LBB21_1492
; %bb.1485:                             ;   in Loop: Header=BB21_1334 Depth=3
	v_lshlrev_b32_e32 v2, 6, v2
	v_sub_u32_e32 v2, v105, v2
	v_ashrrev_i32_e32 v9, 31, v2
	v_lshrrev_b32_e32 v9, 26, v9
	v_add_u32_e32 v9, v2, v9
	v_sub_u32_e32 v8, v38, v32
	v_ashrrev_i32_e32 v10, 6, v9
	v_and_b32_e32 v9, 0xffffffc0, v9
	v_sub_u32_e32 v33, v2, v9
	v_ashrrev_i32_e32 v9, 31, v8
	v_lshrrev_b32_e32 v9, 22, v9
	v_add_u32_e32 v9, v8, v9
	v_and_b32_e32 v34, 0xfffffc00, v9
	v_lshlrev_b32_e32 v2, 4, v33
	v_sub_u32_e32 v35, v8, v34
	v_lshl_add_u32 v2, v10, 10, v2
	v_ashrrev_i32_e32 v11, 10, v9
	v_cmp_lt_i32_e64 s[22:23], 15, v35
	v_sub_u32_e32 v37, v8, v2
	s_nop 0
	v_addc_co_u32_e64 v8, vcc, 0, v11, s[22:23]
	v_sub_u32_e32 v36, v8, v10
	v_cmp_lt_i32_e32 vcc, 15, v37
	s_and_saveexec_b64 s[52:53], vcc
	s_cbranch_execz .LBB21_1491
; %bb.1486:                             ;   in Loop: Header=BB21_1334 Depth=3
	v_add_u32_e32 v8, v2, v32
	s_and_b32 s74, s97, 1
	v_ashrrev_i32_e32 v9, 31, v8
	s_cmp_eq_u64 s[74:75], 0
	v_lshl_add_u64 v[16:17], v[8:9], 0, v[78:79]
	s_waitcnt lgkmcnt(0)
	v_lshl_add_u64 v[18:19], v[8:9], 0, v[26:27]
	v_lshl_add_u64 v[20:21], v[8:9], 0, v[88:89]
	;; [unrolled: 1-line block ×3, first 2 shown]
	s_mov_b64 s[54:55], 0
	s_cselect_b64 s[24:25], -1, 0
.LBB21_1487:                            ;   Parent Loop BB21_47 Depth=1
                                        ;     Parent Loop BB21_1331 Depth=2
                                        ;       Parent Loop BB21_1334 Depth=3
                                        ; =>      This Loop Header: Depth=4
                                        ;           Child Loop BB21_1488 Depth 5
	global_load_dwordx4 v[8:11], v[16:17], off nt
	global_load_dwordx4 v[12:15], v[18:19], off nt
	s_waitcnt vmcnt(0)
	v_lshlrev_b32_e32 v2, 16, v8
	v_and_b32_e32 v48, 0xffff0000, v12
	v_lshlrev_b32_e32 v12, 16, v12
	v_max_f32_e32 v12, v12, v12
	v_max_f32_e32 v2, v2, v2
	v_min_f32_e32 v49, v2, v12
	v_max_f32_e32 v2, v2, v12
	v_cndmask_b32_e64 v12, v2, v49, s[24:25]
	v_and_b32_e32 v39, 0xffff0000, v8
	v_and_b32_e32 v2, 0x7f800000, v12
	v_cmp_eq_u32_e32 vcc, s70, v2
	v_bfe_u32 v2, v12, 16, 1
	v_cmp_eq_u32_sdwa s[26:27], v12, v3 src0_sel:WORD_0 src1_sel:DWORD
	v_or_b32_e32 v49, 0x10000, v12
	v_max_f32_e32 v48, v48, v48
	v_max_f32_e32 v39, v39, v39
	v_add3_u32 v2, v12, v2, s71
	v_cndmask_b32_e64 v12, v49, v12, s[26:27]
	v_min_f32_e32 v49, v39, v48
	v_max_f32_e32 v39, v39, v48
	v_cndmask_b32_e64 v48, v39, v49, s[24:25]
	v_and_b32_e32 v39, 0x7f800000, v48
	v_cmp_eq_u32_e64 s[26:27], s70, v39
	v_bfe_u32 v39, v48, 16, 1
	v_cmp_eq_u32_sdwa s[28:29], v48, v3 src0_sel:WORD_0 src1_sel:DWORD
	v_or_b32_e32 v49, 0x10000, v48
	v_add3_u32 v39, v48, v39, s71
	v_cndmask_b32_e64 v48, v49, v48, s[28:29]
	v_and_b32_e32 v51, 0xffff0000, v13
	v_lshlrev_b32_e32 v49, 16, v9
	v_lshlrev_b32_e32 v13, 16, v13
	v_max_f32_e32 v13, v13, v13
	v_max_f32_e32 v49, v49, v49
	v_min_f32_e32 v82, v49, v13
	v_max_f32_e32 v13, v49, v13
	v_cndmask_b32_e64 v49, v13, v82, s[24:25]
	v_and_b32_e32 v50, 0xffff0000, v9
	v_and_b32_e32 v13, 0x7f800000, v49
	v_cmp_eq_u32_e64 s[28:29], s70, v13
	v_bfe_u32 v13, v49, 16, 1
	v_cmp_eq_u32_sdwa s[40:41], v49, v3 src0_sel:WORD_0 src1_sel:DWORD
	v_or_b32_e32 v82, 0x10000, v49
	v_max_f32_e32 v51, v51, v51
	v_max_f32_e32 v50, v50, v50
	v_add3_u32 v13, v49, v13, s71
	v_cndmask_b32_e64 v49, v82, v49, s[40:41]
	v_min_f32_e32 v82, v50, v51
	v_max_f32_e32 v50, v50, v51
	v_and_b32_e32 v90, 0xffff0000, v14
	v_lshlrev_b32_e32 v75, 16, v10
	v_lshlrev_b32_e32 v14, 16, v14
	v_cndmask_b32_e64 v51, v50, v82, s[24:25]
	v_max_f32_e32 v14, v14, v14
	v_max_f32_e32 v75, v75, v75
	v_and_b32_e32 v50, 0x7f800000, v51
	v_min_f32_e32 v91, v75, v14
	v_max_f32_e32 v14, v75, v14
	v_cmp_eq_u32_e64 s[40:41], s70, v50
	v_bfe_u32 v50, v51, 16, 1
	v_cmp_eq_u32_sdwa s[42:43], v51, v3 src0_sel:WORD_0 src1_sel:DWORD
	v_or_b32_e32 v82, 0x10000, v51
	v_cndmask_b32_e64 v75, v14, v91, s[24:25]
	v_add3_u32 v50, v51, v50, s71
	v_cndmask_b32_e64 v51, v82, v51, s[42:43]
	v_and_b32_e32 v82, 0xffff0000, v10
	v_and_b32_e32 v14, 0x7f800000, v75
	v_cmp_eq_u32_e64 s[42:43], s70, v14
	v_bfe_u32 v14, v75, 16, 1
	v_cmp_eq_u32_sdwa s[44:45], v75, v3 src0_sel:WORD_0 src1_sel:DWORD
	v_or_b32_e32 v91, 0x10000, v75
	v_max_f32_e32 v90, v90, v90
	v_max_f32_e32 v82, v82, v82
	v_add3_u32 v14, v75, v14, s71
	v_cndmask_b32_e64 v75, v91, v75, s[44:45]
	v_min_f32_e32 v91, v82, v90
	v_max_f32_e32 v82, v82, v90
	v_and_b32_e32 v93, 0xffff0000, v15
	v_lshlrev_b32_e32 v94, 16, v11
	v_lshlrev_b32_e32 v15, 16, v15
	v_cndmask_b32_e64 v82, v82, v91, s[24:25]
	v_max_f32_e32 v15, v15, v15
	v_max_f32_e32 v94, v94, v94
	v_and_b32_e32 v90, 0x7f800000, v82
	v_min_f32_e32 v95, v94, v15
	v_max_f32_e32 v15, v94, v15
	v_cmp_eq_u32_e64 s[44:45], s70, v90
	v_bfe_u32 v90, v82, 16, 1
	v_cmp_eq_u32_sdwa s[46:47], v82, v3 src0_sel:WORD_0 src1_sel:DWORD
	v_or_b32_e32 v91, 0x10000, v82
	v_cndmask_b32_e64 v15, v15, v95, s[24:25]
	v_add3_u32 v90, v82, v90, s71
	v_cndmask_b32_e64 v91, v91, v82, s[46:47]
	v_and_b32_e32 v82, 0xffff0000, v11
	v_and_b32_e32 v94, 0x7f800000, v15
	v_cmp_eq_u32_e64 s[46:47], s70, v94
	v_bfe_u32 v94, v15, 16, 1
	v_cmp_eq_u32_sdwa s[56:57], v15, v3 src0_sel:WORD_0 src1_sel:DWORD
	v_or_b32_e32 v95, 0x10000, v15
	v_max_f32_e32 v93, v93, v93
	v_max_f32_e32 v82, v82, v82
	v_add3_u32 v94, v15, v94, s71
	v_cndmask_b32_e64 v15, v95, v15, s[56:57]
	v_min_f32_e32 v95, v82, v93
	v_max_f32_e32 v82, v82, v93
	v_cndmask_b32_e64 v82, v82, v95, s[24:25]
	v_and_b32_e32 v93, 0x7f800000, v82
	v_cmp_eq_u32_e64 s[56:57], s70, v93
	v_bfe_u32 v93, v82, 16, 1
	v_cmp_eq_u32_sdwa s[58:59], v82, v3 src0_sel:WORD_0 src1_sel:DWORD
	v_or_b32_e32 v95, 0x10000, v82
	v_cndmask_b32_e32 v2, v2, v12, vcc
	v_add3_u32 v93, v82, v93, s71
	v_cndmask_b32_e64 v82, v95, v82, s[58:59]
	v_cndmask_b32_e64 v12, v39, v48, s[26:27]
	v_cndmask_b32_e64 v13, v13, v49, s[28:29]
	v_cndmask_b32_e64 v14, v14, v75, s[42:43]
	v_cndmask_b32_e64 v15, v94, v15, s[46:47]
	v_lshrrev_b32_e32 v2, 16, v2
	v_cndmask_b32_e64 v39, v50, v51, s[40:41]
	v_cndmask_b32_e64 v48, v90, v91, s[44:45]
	;; [unrolled: 1-line block ×3, first 2 shown]
	v_lshrrev_b32_e32 v13, 16, v13
	v_and_or_b32 v2, v12, s80, v2
	v_lshrrev_b32_e32 v12, 16, v14
	v_lshrrev_b32_e32 v14, 16, v15
	v_and_or_b32 v13, v39, s80, v13
	v_and_or_b32 v12, v48, s80, v12
	;; [unrolled: 1-line block ×3, first 2 shown]
	s_mov_b64 s[40:41], -1
	s_mov_b64 s[42:43], 0
.LBB21_1488:                            ;   Parent Loop BB21_47 Depth=1
                                        ;     Parent Loop BB21_1331 Depth=2
                                        ;       Parent Loop BB21_1334 Depth=3
                                        ;         Parent Loop BB21_1487 Depth=4
                                        ; =>        This Inner Loop Header: Depth=5
	v_cndmask_b32_e64 v14, 0, 1, s[40:41]
	s_cmp_eq_u32 s42, 1
	v_cmp_ne_u32_e32 vcc, 1, v14
	s_cselect_b64 s[26:27], -1, 0
	v_cndmask_b32_e64 v49, v9, v13, s[40:41]
	v_cndmask_b32_e64 v48, v8, v2, s[40:41]
	v_cndmask_b32_e64 v51, v11, v15, s[40:41]
	v_cndmask_b32_e64 v50, v10, v12, s[40:41]
	v_cndmask_b32_e32 v91, v21, v23, vcc
	v_cndmask_b32_e64 v95, v21, v23, s[26:27]
	s_cmp_eq_u32 s42, 0
	v_cndmask_b32_e32 v90, v20, v22, vcc
	v_cndmask_b32_e64 v94, v20, v22, s[26:27]
	global_store_dwordx4 v[90:91], v[48:51], off
	s_cselect_b64 vcc, -1, 0
	s_and_b64 s[28:29], exec, s[40:41]
	v_lshl_add_u64 v[48:49], v[94:95], 0, s[88:89]
	s_mov_b64 s[42:43], 1
	s_mov_b64 s[40:41], 0
	v_cndmask_b32_e64 v23, v23, v49, s[26:27]
	v_cndmask_b32_e64 v22, v22, v48, s[26:27]
	v_cndmask_b32_e32 v21, v21, v49, vcc
	v_cndmask_b32_e32 v20, v20, v48, vcc
	s_mov_b64 vcc, s[28:29]
	s_cbranch_vccnz .LBB21_1488
; %bb.1489:                             ;   in Loop: Header=BB21_1487 Depth=4
	v_sub_u32_e32 v37, v37, v100
	v_cmp_gt_i32_e32 vcc, 16, v37
	v_lshl_add_u64 v[20:21], v[20:21], 0, v[40:41]
	v_lshl_add_u64 v[22:23], v[22:23], 0, v[40:41]
	;; [unrolled: 1-line block ×4, first 2 shown]
	s_or_b64 s[54:55], vcc, s[54:55]
	v_sub_u32_e32 v36, v36, v84
	s_andn2_b64 exec, exec, s[54:55]
	s_cbranch_execnz .LBB21_1487
; %bb.1490:                             ;   in Loop: Header=BB21_1334 Depth=3
	s_or_b64 exec, exec, s[54:55]
.LBB21_1491:                            ;   in Loop: Header=BB21_1334 Depth=3
	s_or_b64 exec, exec, s[52:53]
	v_and_b32_e32 v2, 14, v38
	v_cmp_lt_i32_e32 vcc, 0, v36
	v_sub_u32_e32 v8, v35, v2
	v_cndmask_b32_e64 v38, v35, v2, s[22:23]
	v_cndmask_b32_e32 v2, 0, v84, vcc
	v_cndmask_b32_e64 v8, 0, v8, s[22:23]
	v_sub_u32_e32 v2, v2, v36
	v_cmp_ne_u32_e32 vcc, 0, v38
	v_add3_u32 v18, v34, v32, v8
	v_lshl_add_u32 v19, v2, 6, v33
	s_and_b64 s[22:23], vcc, exec
.LBB21_1492:                            ;   in Loop: Header=BB21_1334 Depth=3
	s_or_b64 exec, exec, s[50:51]
	s_and_saveexec_b64 s[40:41], s[22:23]
	s_cbranch_execz .LBB21_1535
.LBB21_1493:                            ;   in Loop: Header=BB21_1334 Depth=3
	v_ashrrev_i32_e32 v2, 31, v19
	v_ashrrev_i32_e32 v9, 31, v38
	v_lshrrev_b32_e32 v2, 26, v2
	v_lshrrev_b32_e32 v9, 22, v9
	v_add_u32_e32 v8, v19, v2
	v_add_u32_e32 v9, v38, v9
	v_ashrrev_i32_e32 v2, 6, v8
	v_ashrrev_i32_e32 v21, 10, v9
	v_sub_u32_e32 v20, v21, v2
	v_cmp_lt_i32_e32 vcc, 0, v20
	s_and_saveexec_b64 s[24:25], vcc
	s_cbranch_execz .LBB21_1529
; %bb.1494:                             ;   in Loop: Header=BB21_1334 Depth=3
	v_and_b32_e32 v8, 0x7fffffc0, v8
	v_sub_u32_e32 v8, v19, v8
	v_lshlrev_b32_e32 v8, 1, v8
	v_lshlrev_b32_e32 v9, 10, v2
	v_add3_u32 v8, v8, v18, v9
	s_and_b32 s74, s97, 1
	v_ashrrev_i32_e32 v9, 31, v8
	s_cmp_eq_u64 s[74:75], 0
	v_lshl_add_u64 v[10:11], v[8:9], 0, v[88:89]
	v_lshl_add_u64 v[12:13], v[8:9], 0, v[24:25]
	s_mov_b64 s[26:27], 0
	s_cselect_b64 vcc, -1, 0
	v_mov_b64_e32 v[14:15], v[78:79]
	s_waitcnt lgkmcnt(0)
	v_mov_b64_e32 v[16:17], v[26:27]
	s_branch .LBB21_1496
.LBB21_1495:                            ;   in Loop: Header=BB21_1496 Depth=4
	s_or_b64 exec, exec, s[28:29]
	v_sub_u32_e32 v20, v20, v84
	v_cmp_gt_i32_e64 s[22:23], 1, v20
	flat_store_short_d16_hi v[10:11], v48 offset:896 nt
	flat_store_short v[12:13], v22 nt
	flat_store_short v[12:13], v23 offset:128 nt
	flat_store_short v[12:13], v32 offset:256 nt
	;; [unrolled: 1-line block ×7, first 2 shown]
	v_lshl_add_u64 v[10:11], v[10:11], 0, v[100:101]
	v_lshl_add_u64 v[12:13], v[12:13], 0, v[100:101]
	;; [unrolled: 1-line block ×3, first 2 shown]
	s_or_b64 s[26:27], s[22:23], s[26:27]
	v_lshl_add_u64 v[14:15], v[14:15], 0, v[100:101]
	s_andn2_b64 exec, exec, s[26:27]
	s_cbranch_execz .LBB21_1528
.LBB21_1496:                            ;   Parent Loop BB21_47 Depth=1
                                        ;     Parent Loop BB21_1331 Depth=2
                                        ;       Parent Loop BB21_1334 Depth=3
                                        ; =>      This Inner Loop Header: Depth=4
	v_lshl_add_u64 v[32:33], v[8:9], 0, v[16:17]
	v_lshl_add_u64 v[94:95], v[8:9], 0, v[14:15]
	flat_load_ushort v22, v[94:95] nt
	flat_load_ushort v75, v[32:33] offset:256 nt
	flat_load_ushort v51, v[32:33] offset:384 nt
	;; [unrolled: 1-line block ×6, first 2 shown]
	flat_load_ushort v82, v[32:33] nt
	flat_load_ushort v90, v[32:33] offset:128 nt
	flat_load_ushort v23, v[94:95] offset:128 nt
	s_nop 0
	flat_load_ushort v32, v[94:95] offset:256 nt
	flat_load_ushort v33, v[94:95] offset:384 nt
	;; [unrolled: 1-line block ×6, first 2 shown]
	s_waitcnt vmcnt(0) lgkmcnt(0)
	v_lshlrev_b32_e32 v91, 16, v22
	v_max_f32_e32 v91, v91, v91
	v_lshlrev_b32_e32 v82, 16, v82
	v_max_f32_e32 v82, v82, v82
	v_min_f32_e32 v93, v91, v82
	v_max_f32_e32 v82, v91, v82
	v_cndmask_b32_e32 v91, v82, v93, vcc
	v_and_b32_e32 v82, 0x7f800000, v91
	v_cmp_ne_u32_e64 s[22:23], s70, v82
                                        ; implicit-def: $vgpr93
	s_and_saveexec_b64 s[28:29], s[22:23]
	s_xor_b64 s[22:23], exec, s[28:29]
; %bb.1497:                             ;   in Loop: Header=BB21_1496 Depth=4
	v_bfe_u32 v82, v91, 16, 1
	v_add3_u32 v93, v91, v82, s71
                                        ; implicit-def: $vgpr91
; %bb.1498:                             ;   in Loop: Header=BB21_1496 Depth=4
	s_andn2_saveexec_b64 s[28:29], s[22:23]
; %bb.1499:                             ;   in Loop: Header=BB21_1496 Depth=4
	v_or_b32_e32 v82, 0x10000, v91
	v_cmp_eq_u32_sdwa s[22:23], v91, v3 src0_sel:WORD_0 src1_sel:DWORD
	s_nop 1
	v_cndmask_b32_e64 v93, v82, v91, s[22:23]
; %bb.1500:                             ;   in Loop: Header=BB21_1496 Depth=4
	s_or_b64 exec, exec, s[28:29]
	v_lshlrev_b32_e32 v82, 16, v23
	v_lshlrev_b32_e32 v90, 16, v90
	v_max_f32_e32 v90, v90, v90
	v_max_f32_e32 v82, v82, v82
	v_min_f32_e32 v91, v82, v90
	v_max_f32_e32 v82, v82, v90
	v_cndmask_b32_e32 v90, v82, v91, vcc
	v_and_b32_e32 v82, 0x7f800000, v90
	v_cmp_ne_u32_e64 s[22:23], s70, v82
	flat_store_short_d16_hi v[10:11], v93 nt
                                        ; implicit-def: $vgpr91
	s_and_saveexec_b64 s[28:29], s[22:23]
	s_xor_b64 s[22:23], exec, s[28:29]
; %bb.1501:                             ;   in Loop: Header=BB21_1496 Depth=4
	v_bfe_u32 v82, v90, 16, 1
	v_add3_u32 v91, v90, v82, s71
                                        ; implicit-def: $vgpr90
; %bb.1502:                             ;   in Loop: Header=BB21_1496 Depth=4
	s_andn2_saveexec_b64 s[28:29], s[22:23]
; %bb.1503:                             ;   in Loop: Header=BB21_1496 Depth=4
	v_or_b32_e32 v82, 0x10000, v90
	v_cmp_eq_u32_sdwa s[22:23], v90, v3 src0_sel:WORD_0 src1_sel:DWORD
	s_nop 1
	v_cndmask_b32_e64 v91, v82, v90, s[22:23]
; %bb.1504:                             ;   in Loop: Header=BB21_1496 Depth=4
	s_or_b64 exec, exec, s[28:29]
	v_lshlrev_b32_e32 v82, 16, v32
	v_lshlrev_b32_e32 v75, 16, v75
	v_max_f32_e32 v75, v75, v75
	v_max_f32_e32 v82, v82, v82
	v_min_f32_e32 v90, v82, v75
	v_max_f32_e32 v82, v82, v75
	v_cndmask_b32_e32 v75, v82, v90, vcc
	v_and_b32_e32 v82, 0x7f800000, v75
	v_cmp_ne_u32_e64 s[22:23], s70, v82
	flat_store_short_d16_hi v[10:11], v91 offset:128 nt
                                        ; implicit-def: $vgpr90
	s_and_saveexec_b64 s[28:29], s[22:23]
	s_xor_b64 s[22:23], exec, s[28:29]
; %bb.1505:                             ;   in Loop: Header=BB21_1496 Depth=4
	v_bfe_u32 v82, v75, 16, 1
	v_add3_u32 v90, v75, v82, s71
                                        ; implicit-def: $vgpr75
; %bb.1506:                             ;   in Loop: Header=BB21_1496 Depth=4
	s_andn2_saveexec_b64 s[28:29], s[22:23]
; %bb.1507:                             ;   in Loop: Header=BB21_1496 Depth=4
	v_or_b32_e32 v82, 0x10000, v75
	v_cmp_eq_u32_sdwa s[22:23], v75, v3 src0_sel:WORD_0 src1_sel:DWORD
	s_nop 1
	v_cndmask_b32_e64 v90, v82, v75, s[22:23]
; %bb.1508:                             ;   in Loop: Header=BB21_1496 Depth=4
	s_or_b64 exec, exec, s[28:29]
	v_lshlrev_b32_e32 v82, 16, v33
	v_lshlrev_b32_e32 v51, 16, v51
	v_max_f32_e32 v51, v51, v51
	v_max_f32_e32 v82, v82, v82
	v_min_f32_e32 v75, v82, v51
	v_max_f32_e32 v51, v82, v51
	v_cndmask_b32_e32 v51, v51, v75, vcc
	v_and_b32_e32 v82, 0x7f800000, v51
	v_cmp_ne_u32_e64 s[22:23], s70, v82
	flat_store_short_d16_hi v[10:11], v90 offset:256 nt
                                        ; implicit-def: $vgpr75
	s_and_saveexec_b64 s[28:29], s[22:23]
	s_xor_b64 s[22:23], exec, s[28:29]
; %bb.1509:                             ;   in Loop: Header=BB21_1496 Depth=4
	v_bfe_u32 v82, v51, 16, 1
	v_add3_u32 v75, v51, v82, s71
                                        ; implicit-def: $vgpr51
; %bb.1510:                             ;   in Loop: Header=BB21_1496 Depth=4
	s_andn2_saveexec_b64 s[28:29], s[22:23]
; %bb.1511:                             ;   in Loop: Header=BB21_1496 Depth=4
	v_or_b32_e32 v82, 0x10000, v51
	v_cmp_eq_u32_sdwa s[22:23], v51, v3 src0_sel:WORD_0 src1_sel:DWORD
	s_nop 1
	v_cndmask_b32_e64 v75, v82, v51, s[22:23]
; %bb.1512:                             ;   in Loop: Header=BB21_1496 Depth=4
	s_or_b64 exec, exec, s[28:29]
	v_lshlrev_b32_e32 v51, 16, v34
	v_lshlrev_b32_e32 v50, 16, v50
	v_max_f32_e32 v50, v50, v50
	v_max_f32_e32 v51, v51, v51
	v_min_f32_e32 v82, v51, v50
	v_max_f32_e32 v50, v51, v50
	v_cndmask_b32_e32 v50, v50, v82, vcc
	v_and_b32_e32 v51, 0x7f800000, v50
	v_cmp_ne_u32_e64 s[22:23], s70, v51
	flat_store_short_d16_hi v[10:11], v75 offset:384 nt
                                        ; implicit-def: $vgpr51
	s_and_saveexec_b64 s[28:29], s[22:23]
	s_xor_b64 s[22:23], exec, s[28:29]
; %bb.1513:                             ;   in Loop: Header=BB21_1496 Depth=4
	v_bfe_u32 v51, v50, 16, 1
	v_add3_u32 v51, v50, v51, s71
                                        ; implicit-def: $vgpr50
; %bb.1514:                             ;   in Loop: Header=BB21_1496 Depth=4
	s_andn2_saveexec_b64 s[28:29], s[22:23]
; %bb.1515:                             ;   in Loop: Header=BB21_1496 Depth=4
	v_or_b32_e32 v51, 0x10000, v50
	v_cmp_eq_u32_sdwa s[22:23], v50, v3 src0_sel:WORD_0 src1_sel:DWORD
	s_nop 1
	v_cndmask_b32_e64 v51, v51, v50, s[22:23]
; %bb.1516:                             ;   in Loop: Header=BB21_1496 Depth=4
	s_or_b64 exec, exec, s[28:29]
	v_lshlrev_b32_e32 v50, 16, v35
	v_lshlrev_b32_e32 v49, 16, v49
	v_max_f32_e32 v49, v49, v49
	v_max_f32_e32 v50, v50, v50
	flat_store_short_d16_hi v[10:11], v51 offset:512 nt
	v_min_f32_e32 v51, v50, v49
	v_max_f32_e32 v49, v50, v49
	v_cndmask_b32_e32 v49, v49, v51, vcc
	v_and_b32_e32 v50, 0x7f800000, v49
	v_cmp_ne_u32_e64 s[22:23], s70, v50
                                        ; implicit-def: $vgpr50
	s_and_saveexec_b64 s[28:29], s[22:23]
	s_xor_b64 s[22:23], exec, s[28:29]
; %bb.1517:                             ;   in Loop: Header=BB21_1496 Depth=4
	v_bfe_u32 v50, v49, 16, 1
	v_add3_u32 v50, v49, v50, s71
                                        ; implicit-def: $vgpr49
; %bb.1518:                             ;   in Loop: Header=BB21_1496 Depth=4
	s_andn2_saveexec_b64 s[28:29], s[22:23]
; %bb.1519:                             ;   in Loop: Header=BB21_1496 Depth=4
	v_or_b32_e32 v50, 0x10000, v49
	v_cmp_eq_u32_sdwa s[22:23], v49, v3 src0_sel:WORD_0 src1_sel:DWORD
	s_nop 1
	v_cndmask_b32_e64 v50, v50, v49, s[22:23]
; %bb.1520:                             ;   in Loop: Header=BB21_1496 Depth=4
	s_or_b64 exec, exec, s[28:29]
	v_lshlrev_b32_e32 v49, 16, v36
	v_lshlrev_b32_e32 v48, 16, v48
	v_max_f32_e32 v48, v48, v48
	v_max_f32_e32 v49, v49, v49
	flat_store_short_d16_hi v[10:11], v50 offset:640 nt
	v_min_f32_e32 v50, v49, v48
	v_max_f32_e32 v48, v49, v48
	v_cndmask_b32_e32 v48, v48, v50, vcc
	v_and_b32_e32 v49, 0x7f800000, v48
	v_cmp_ne_u32_e64 s[22:23], s70, v49
                                        ; implicit-def: $vgpr49
	s_and_saveexec_b64 s[28:29], s[22:23]
	s_xor_b64 s[22:23], exec, s[28:29]
; %bb.1521:                             ;   in Loop: Header=BB21_1496 Depth=4
	v_bfe_u32 v49, v48, 16, 1
	v_add3_u32 v49, v48, v49, s71
                                        ; implicit-def: $vgpr48
; %bb.1522:                             ;   in Loop: Header=BB21_1496 Depth=4
	s_andn2_saveexec_b64 s[28:29], s[22:23]
; %bb.1523:                             ;   in Loop: Header=BB21_1496 Depth=4
	v_or_b32_e32 v49, 0x10000, v48
	v_cmp_eq_u32_sdwa s[22:23], v48, v3 src0_sel:WORD_0 src1_sel:DWORD
	s_nop 1
	v_cndmask_b32_e64 v49, v49, v48, s[22:23]
; %bb.1524:                             ;   in Loop: Header=BB21_1496 Depth=4
	s_or_b64 exec, exec, s[28:29]
	v_lshlrev_b32_e32 v48, 16, v37
	v_lshlrev_b32_e32 v39, 16, v39
	v_max_f32_e32 v39, v39, v39
	v_max_f32_e32 v48, v48, v48
	flat_store_short_d16_hi v[10:11], v49 offset:768 nt
	v_min_f32_e32 v49, v48, v39
	v_max_f32_e32 v39, v48, v39
	v_cndmask_b32_e32 v39, v39, v49, vcc
	v_and_b32_e32 v48, 0x7f800000, v39
	v_cmp_ne_u32_e64 s[22:23], s70, v48
                                        ; implicit-def: $vgpr48
	s_and_saveexec_b64 s[28:29], s[22:23]
	s_xor_b64 s[22:23], exec, s[28:29]
; %bb.1525:                             ;   in Loop: Header=BB21_1496 Depth=4
	v_bfe_u32 v48, v39, 16, 1
	v_add3_u32 v48, v39, v48, s71
                                        ; implicit-def: $vgpr39
; %bb.1526:                             ;   in Loop: Header=BB21_1496 Depth=4
	s_andn2_saveexec_b64 s[28:29], s[22:23]
	s_cbranch_execz .LBB21_1495
; %bb.1527:                             ;   in Loop: Header=BB21_1496 Depth=4
	v_or_b32_e32 v48, 0x10000, v39
	v_cmp_eq_u32_sdwa s[22:23], v39, v3 src0_sel:WORD_0 src1_sel:DWORD
	s_nop 1
	v_cndmask_b32_e64 v48, v48, v39, s[22:23]
	s_branch .LBB21_1495
.LBB21_1528:                            ;   in Loop: Header=BB21_1334 Depth=3
	s_or_b64 exec, exec, s[26:27]
.LBB21_1529:                            ;   in Loop: Header=BB21_1334 Depth=3
	s_or_b64 exec, exec, s[24:25]
	v_lshlrev_b32_e32 v8, 10, v21
	v_cmp_ne_u32_e32 vcc, v38, v8
	s_and_b64 exec, exec, vcc
	s_cbranch_execz .LBB21_1535
; %bb.1530:                             ;   in Loop: Header=BB21_1334 Depth=3
	v_lshlrev_b32_e32 v2, 6, v2
	v_sub_u32_e32 v2, v19, v2
	v_lshlrev_b32_e32 v9, 6, v20
	v_sub_u32_e32 v2, v2, v9
	v_ashrrev_i32_e32 v9, 31, v2
	v_lshrrev_b32_e32 v9, 26, v9
	v_add_u32_e32 v9, v2, v9
	v_and_b32_e32 v10, 0x7fffffc0, v9
	v_sub_u32_e32 v2, v2, v10
	v_lshlrev_b32_e32 v9, 1, v9
	v_and_b32_e32 v9, 0xffffff80, v9
	v_lshlrev_b32_e32 v2, 1, v2
	v_add3_u32 v8, v9, v2, v8
	v_sub_u32_e32 v2, v38, v8
	v_cmp_lt_i32_e32 vcc, 1, v2
	s_and_b64 exec, exec, vcc
	s_cbranch_execz .LBB21_1535
; %bb.1531:                             ;   in Loop: Header=BB21_1334 Depth=3
	v_add_u32_e32 v14, v8, v18
	s_and_b32 s74, s97, 1
	v_ashrrev_i32_e32 v15, 31, v14
	s_cmp_eq_u64 s[74:75], 0
	v_lshl_add_u64 v[8:9], v[14:15], 0, v[78:79]
	s_waitcnt lgkmcnt(0)
	v_lshl_add_u64 v[10:11], v[14:15], 0, v[26:27]
	v_lshl_add_u64 v[12:13], v[14:15], 0, v[88:89]
	;; [unrolled: 1-line block ×3, first 2 shown]
	s_mov_b64 s[42:43], 0
	s_cselect_b64 s[22:23], -1, 0
.LBB21_1532:                            ;   Parent Loop BB21_47 Depth=1
                                        ;     Parent Loop BB21_1331 Depth=2
                                        ;       Parent Loop BB21_1334 Depth=3
                                        ; =>      This Loop Header: Depth=4
                                        ;           Child Loop BB21_1533 Depth 5
	flat_load_ushort v16, v[8:9] nt
	flat_load_ushort v17, v[10:11] nt
	s_mov_b64 s[24:25], -1
	s_mov_b64 s[44:45], 0
	s_waitcnt vmcnt(0) lgkmcnt(0)
	v_lshlrev_b32_e32 v18, 16, v16
	v_lshlrev_b32_e32 v17, 16, v17
	v_max_f32_e32 v17, v17, v17
	v_max_f32_e32 v18, v18, v18
	v_min_f32_e32 v19, v18, v17
	v_max_f32_e32 v17, v18, v17
	v_cndmask_b32_e64 v17, v17, v19, s[22:23]
	v_and_b32_e32 v18, 0x7f800000, v17
	v_bfe_u32 v19, v17, 16, 1
	v_or_b32_e32 v20, 0x10000, v17
	v_cmp_eq_u32_sdwa vcc, v17, v3 src0_sel:WORD_0 src1_sel:DWORD
	v_add3_u32 v19, v17, v19, s71
	s_nop 0
	v_cndmask_b32_e32 v17, v20, v17, vcc
	v_cmp_eq_u32_e32 vcc, s70, v18
	s_nop 1
	v_cndmask_b32_e32 v17, v19, v17, vcc
.LBB21_1533:                            ;   Parent Loop BB21_47 Depth=1
                                        ;     Parent Loop BB21_1331 Depth=2
                                        ;       Parent Loop BB21_1334 Depth=3
                                        ;         Parent Loop BB21_1532 Depth=4
                                        ; =>        This Inner Loop Header: Depth=5
	s_mov_b64 vcc, s[24:25]
	v_cndmask_b32_e64 v18, 0, 1, s[24:25]
	s_cmp_eq_u32 s44, 1
	v_cndmask_b32_sdwa v22, v16, v17, vcc dst_sel:DWORD dst_unused:UNUSED_PAD src0_sel:DWORD src1_sel:WORD_1
	v_cmp_ne_u32_e32 vcc, 1, v18
	s_cselect_b64 s[26:27], -1, 0
	v_cndmask_b32_e64 v21, v13, v15, s[26:27]
	v_cndmask_b32_e32 v19, v13, v15, vcc
	s_cmp_eq_u32 s44, 0
	v_cndmask_b32_e32 v18, v12, v14, vcc
	v_cndmask_b32_e64 v20, v12, v14, s[26:27]
	flat_store_short v[18:19], v22 nt
	v_lshl_add_u64 v[18:19], v[20:21], 0, s[90:91]
	s_cselect_b64 vcc, -1, 0
	s_and_b64 s[28:29], exec, s[24:25]
	s_mov_b64 s[44:45], 1
	s_mov_b64 s[24:25], 0
	v_cndmask_b32_e64 v15, v15, v19, s[26:27]
	v_cndmask_b32_e64 v14, v14, v18, s[26:27]
	v_cndmask_b32_e32 v13, v13, v19, vcc
	v_cndmask_b32_e32 v12, v12, v18, vcc
	s_mov_b64 vcc, s[28:29]
	s_cbranch_vccnz .LBB21_1533
; %bb.1534:                             ;   in Loop: Header=BB21_1532 Depth=4
	v_sub_u32_e32 v2, v2, v102
	v_cmp_gt_i32_e32 vcc, 2, v2
	v_lshl_add_u64 v[12:13], v[12:13], 0, v[42:43]
	v_lshl_add_u64 v[14:15], v[14:15], 0, v[42:43]
	;; [unrolled: 1-line block ×3, first 2 shown]
	s_or_b64 s[42:43], vcc, s[42:43]
	v_lshl_add_u64 v[10:11], v[10:11], 0, v[46:47]
	s_andn2_b64 exec, exec, s[42:43]
	s_cbranch_execnz .LBB21_1532
.LBB21_1535:                            ;   in Loop: Header=BB21_1334 Depth=3
	s_or_b64 exec, exec, s[40:41]
	s_branch .LBB21_1415
.LBB21_1536:                            ;   in Loop: Header=BB21_1334 Depth=3
	s_mov_b64 s[24:25], -1
	s_and_saveexec_b64 s[22:23], s[16:17]
	s_cbranch_execz .LBB21_1538
; %bb.1537:                             ;   in Loop: Header=BB21_1334 Depth=3
	ds_read_b32 v2, v0 offset:720
	s_waitcnt lgkmcnt(0)
	v_and_b32_e32 v2, 15, v2
	v_cmp_eq_u32_e32 vcc, 0, v2
	s_orn2_b64 s[24:25], vcc, exec
.LBB21_1538:                            ;   in Loop: Header=BB21_1334 Depth=3
	s_or_b64 exec, exec, s[22:23]
	s_and_saveexec_b64 s[22:23], s[14:15]
	s_cbranch_execz .LBB21_1540
; %bb.1539:                             ;   in Loop: Header=BB21_1334 Depth=3
	ds_read_b32 v2, v0 offset:784
	s_waitcnt lgkmcnt(0)
	v_and_b32_e32 v2, 15, v2
	v_cmp_eq_u32_e32 vcc, 0, v2
	s_and_b64 s[26:27], s[24:25], vcc
	s_andn2_b64 s[24:25], s[24:25], exec
	s_and_b64 s[26:27], s[26:27], exec
	s_or_b64 s[24:25], s[24:25], s[26:27]
.LBB21_1540:                            ;   in Loop: Header=BB21_1334 Depth=3
	s_or_b64 exec, exec, s[22:23]
	s_xor_b64 s[24:25], s[24:25], -1
	v_cndmask_b32_e64 v8, 0, 1, s[24:25]
	v_lshlrev_b32_e32 v2, 1, v73
	s_mov_b64 s[22:23], -1
	v_mov_b32_e32 v12, 0
	v_cmp_ne_u32_e32 vcc, 0, v8
	s_cbranch_vccz .LBB21_1542
; %bb.1541:                             ;   in Loop: Header=BB21_1334 Depth=3
	v_mov_b32_e32 v13, v0
	s_and_saveexec_b64 s[28:29], s[22:23]
	s_cbranch_execnz .LBB21_1681
	s_branch .LBB21_1721
.LBB21_1542:                            ;   in Loop: Header=BB21_1334 Depth=3
	v_ashrrev_i32_e32 v8, 31, v2
	v_lshrrev_b32_e32 v8, 20, v8
	v_add_u32_e32 v8, v2, v8
	v_ashrrev_i32_e32 v93, 12, v8
	v_sub_u32_e32 v75, v93, v106
	v_cmp_lt_i32_e32 vcc, 0, v75
	s_and_saveexec_b64 s[24:25], vcc
	s_cbranch_execz .LBB21_1674
; %bb.1543:                             ;   in Loop: Header=BB21_1334 Depth=3
	s_and_b32 s74, s97, 1
	s_cmp_eq_u64 s[74:75], 0
	s_mov_b64 s[26:27], 0
	s_cselect_b64 vcc, -1, 0
	v_mov_b64_e32 v[90:91], v[118:119]
	s_branch .LBB21_1545
.LBB21_1544:                            ;   in Loop: Header=BB21_1545 Depth=4
	s_or_b64 exec, exec, s[28:29]
	v_lshrrev_b32_e32 v12, 16, v12
	v_and_or_b32 v9, v9, s80, v12
	v_lshrrev_b32_e32 v12, 16, v16
	v_and_or_b32 v8, v8, s80, v12
	v_lshrrev_b32_e32 v12, 16, v13
	v_sub_u32_e32 v75, v75, v84
	v_and_or_b32 v10, v10, s80, v12
	v_lshrrev_b32_e32 v12, 16, v14
	v_cmp_gt_i32_e64 s[22:23], 1, v75
	v_and_or_b32 v11, v11, s80, v12
	s_or_b64 s[26:27], s[22:23], s[26:27]
	v_lshl_add_u64 v[90:91], v[90:91], 0, v[98:99]
	global_store_dwordx4 v[36:37], v[8:11], off
	s_andn2_b64 exec, exec, s[26:27]
	s_cbranch_execz .LBB21_1673
.LBB21_1545:                            ;   Parent Loop BB21_47 Depth=1
                                        ;     Parent Loop BB21_1331 Depth=2
                                        ;       Parent Loop BB21_1334 Depth=3
                                        ; =>      This Inner Loop Header: Depth=4
	v_lshl_add_u64 v[12:13], v[78:79], 0, v[90:91]
	global_load_dwordx4 v[36:39], v[90:91], off offset:-3072 nt
	global_load_dwordx4 v[48:51], v[12:13], off offset:-3072 nt
	s_waitcnt lgkmcnt(0)
	global_load_dwordx4 v[24:27], v[90:91], off offset:-2048 nt
	global_load_dwordx4 v[16:19], v[90:91], off offset:-1024 nt
	global_load_dwordx4 v[8:11], v[90:91], off nt
	global_load_dwordx4 v[32:35], v[12:13], off offset:-2048 nt
	global_load_dwordx4 v[20:23], v[12:13], off offset:-1024 nt
	s_nop 0
	global_load_dwordx4 v[12:15], v[12:13], off nt
	s_waitcnt vmcnt(0)
	v_lshlrev_b32_e32 v82, 16, v36
	v_lshlrev_b32_e32 v94, 16, v48
	v_max_f32_e32 v82, v82, v82
	v_max_f32_e32 v94, v94, v94
	v_min_f32_e32 v95, v94, v82
	v_max_f32_e32 v82, v94, v82
	v_cndmask_b32_e32 v95, v82, v95, vcc
	v_and_b32_e32 v82, 0x7f800000, v95
	v_cmp_ne_u32_e64 s[22:23], s70, v82
                                        ; implicit-def: $vgpr94
	s_and_saveexec_b64 s[28:29], s[22:23]
	s_xor_b64 s[22:23], exec, s[28:29]
; %bb.1546:                             ;   in Loop: Header=BB21_1545 Depth=4
	v_bfe_u32 v82, v95, 16, 1
	v_add3_u32 v94, v95, v82, s71
                                        ; implicit-def: $vgpr95
; %bb.1547:                             ;   in Loop: Header=BB21_1545 Depth=4
	s_andn2_saveexec_b64 s[28:29], s[22:23]
; %bb.1548:                             ;   in Loop: Header=BB21_1545 Depth=4
	v_or_b32_e32 v82, 0x10000, v95
	v_cmp_eq_u32_sdwa s[22:23], v95, v3 src0_sel:WORD_0 src1_sel:DWORD
	s_nop 1
	v_cndmask_b32_e64 v94, v82, v95, s[22:23]
; %bb.1549:                             ;   in Loop: Header=BB21_1545 Depth=4
	s_or_b64 exec, exec, s[28:29]
	v_and_b32_e32 v48, 0xffff0000, v48
	v_and_b32_e32 v36, 0xffff0000, v36
	v_max_f32_e32 v36, v36, v36
	v_max_f32_e32 v48, v48, v48
	v_min_f32_e32 v82, v48, v36
	v_max_f32_e32 v36, v48, v36
	v_cndmask_b32_e32 v36, v36, v82, vcc
	v_and_b32_e32 v48, 0x7f800000, v36
	v_cmp_ne_u32_e64 s[22:23], s70, v48
                                        ; implicit-def: $vgpr48
	s_and_saveexec_b64 s[28:29], s[22:23]
	s_xor_b64 s[22:23], exec, s[28:29]
; %bb.1550:                             ;   in Loop: Header=BB21_1545 Depth=4
	v_bfe_u32 v48, v36, 16, 1
	v_add3_u32 v48, v36, v48, s71
                                        ; implicit-def: $vgpr36
; %bb.1551:                             ;   in Loop: Header=BB21_1545 Depth=4
	s_andn2_saveexec_b64 s[28:29], s[22:23]
; %bb.1552:                             ;   in Loop: Header=BB21_1545 Depth=4
	v_or_b32_e32 v48, 0x10000, v36
	v_cmp_eq_u32_sdwa s[22:23], v36, v3 src0_sel:WORD_0 src1_sel:DWORD
	s_nop 1
	v_cndmask_b32_e64 v48, v48, v36, s[22:23]
; %bb.1553:                             ;   in Loop: Header=BB21_1545 Depth=4
	s_or_b64 exec, exec, s[28:29]
	v_lshlrev_b32_e32 v36, 16, v49
	v_lshlrev_b32_e32 v82, 16, v37
	v_max_f32_e32 v82, v82, v82
	v_max_f32_e32 v36, v36, v36
	v_min_f32_e32 v95, v36, v82
	v_max_f32_e32 v36, v36, v82
	v_cndmask_b32_e32 v36, v36, v95, vcc
	v_and_b32_e32 v82, 0x7f800000, v36
	v_cmp_ne_u32_e64 s[22:23], s70, v82
                                        ; implicit-def: $vgpr95
	s_and_saveexec_b64 s[28:29], s[22:23]
	s_xor_b64 s[22:23], exec, s[28:29]
; %bb.1554:                             ;   in Loop: Header=BB21_1545 Depth=4
	v_bfe_u32 v82, v36, 16, 1
	v_add3_u32 v95, v36, v82, s71
                                        ; implicit-def: $vgpr36
; %bb.1555:                             ;   in Loop: Header=BB21_1545 Depth=4
	s_andn2_saveexec_b64 s[28:29], s[22:23]
; %bb.1556:                             ;   in Loop: Header=BB21_1545 Depth=4
	v_or_b32_e32 v82, 0x10000, v36
	v_cmp_eq_u32_sdwa s[22:23], v36, v3 src0_sel:WORD_0 src1_sel:DWORD
	s_nop 1
	v_cndmask_b32_e64 v95, v82, v36, s[22:23]
; %bb.1557:                             ;   in Loop: Header=BB21_1545 Depth=4
	s_or_b64 exec, exec, s[28:29]
	v_and_b32_e32 v36, 0xffff0000, v49
	v_and_b32_e32 v37, 0xffff0000, v37
	v_max_f32_e32 v37, v37, v37
	v_max_f32_e32 v36, v36, v36
	v_min_f32_e32 v49, v36, v37
	v_max_f32_e32 v36, v36, v37
	v_cndmask_b32_e32 v36, v36, v49, vcc
	v_and_b32_e32 v37, 0x7f800000, v36
	v_cmp_ne_u32_e64 s[22:23], s70, v37
                                        ; implicit-def: $vgpr49
	s_and_saveexec_b64 s[28:29], s[22:23]
	s_xor_b64 s[22:23], exec, s[28:29]
; %bb.1558:                             ;   in Loop: Header=BB21_1545 Depth=4
	v_bfe_u32 v37, v36, 16, 1
	v_add3_u32 v49, v36, v37, s71
                                        ; implicit-def: $vgpr36
; %bb.1559:                             ;   in Loop: Header=BB21_1545 Depth=4
	s_andn2_saveexec_b64 s[28:29], s[22:23]
; %bb.1560:                             ;   in Loop: Header=BB21_1545 Depth=4
	v_or_b32_e32 v37, 0x10000, v36
	v_cmp_eq_u32_sdwa s[22:23], v36, v3 src0_sel:WORD_0 src1_sel:DWORD
	s_nop 1
	v_cndmask_b32_e64 v49, v37, v36, s[22:23]
; %bb.1561:                             ;   in Loop: Header=BB21_1545 Depth=4
	s_or_b64 exec, exec, s[28:29]
	v_lshlrev_b32_e32 v36, 16, v50
	v_lshlrev_b32_e32 v37, 16, v38
	v_max_f32_e32 v37, v37, v37
	v_max_f32_e32 v36, v36, v36
	v_min_f32_e32 v82, v36, v37
	v_max_f32_e32 v36, v36, v37
	v_cndmask_b32_e32 v36, v36, v82, vcc
	v_and_b32_e32 v37, 0x7f800000, v36
	v_cmp_ne_u32_e64 s[22:23], s70, v37
                                        ; implicit-def: $vgpr120
	s_and_saveexec_b64 s[28:29], s[22:23]
	s_xor_b64 s[22:23], exec, s[28:29]
; %bb.1562:                             ;   in Loop: Header=BB21_1545 Depth=4
	v_bfe_u32 v37, v36, 16, 1
	v_add3_u32 v120, v36, v37, s71
                                        ; implicit-def: $vgpr36
; %bb.1563:                             ;   in Loop: Header=BB21_1545 Depth=4
	s_andn2_saveexec_b64 s[28:29], s[22:23]
; %bb.1564:                             ;   in Loop: Header=BB21_1545 Depth=4
	v_or_b32_e32 v37, 0x10000, v36
	v_cmp_eq_u32_sdwa s[22:23], v36, v3 src0_sel:WORD_0 src1_sel:DWORD
	s_nop 1
	v_cndmask_b32_e64 v120, v37, v36, s[22:23]
; %bb.1565:                             ;   in Loop: Header=BB21_1545 Depth=4
	s_or_b64 exec, exec, s[28:29]
	v_and_b32_e32 v36, 0xffff0000, v50
	v_and_b32_e32 v37, 0xffff0000, v38
	v_max_f32_e32 v37, v37, v37
	v_max_f32_e32 v36, v36, v36
	v_min_f32_e32 v38, v36, v37
	v_max_f32_e32 v36, v36, v37
	v_cndmask_b32_e32 v36, v36, v38, vcc
	v_and_b32_e32 v37, 0x7f800000, v36
	v_cmp_ne_u32_e64 s[22:23], s70, v37
                                        ; implicit-def: $vgpr38
	s_and_saveexec_b64 s[28:29], s[22:23]
	s_xor_b64 s[22:23], exec, s[28:29]
; %bb.1566:                             ;   in Loop: Header=BB21_1545 Depth=4
	v_bfe_u32 v37, v36, 16, 1
	v_add3_u32 v38, v36, v37, s71
                                        ; implicit-def: $vgpr36
; %bb.1567:                             ;   in Loop: Header=BB21_1545 Depth=4
	s_andn2_saveexec_b64 s[28:29], s[22:23]
; %bb.1568:                             ;   in Loop: Header=BB21_1545 Depth=4
	v_or_b32_e32 v37, 0x10000, v36
	v_cmp_eq_u32_sdwa s[22:23], v36, v3 src0_sel:WORD_0 src1_sel:DWORD
	s_nop 1
	v_cndmask_b32_e64 v38, v37, v36, s[22:23]
; %bb.1569:                             ;   in Loop: Header=BB21_1545 Depth=4
	s_or_b64 exec, exec, s[28:29]
	v_lshlrev_b32_e32 v36, 16, v51
	v_lshlrev_b32_e32 v37, 16, v39
	v_max_f32_e32 v37, v37, v37
	v_max_f32_e32 v36, v36, v36
	v_min_f32_e32 v50, v36, v37
	v_max_f32_e32 v36, v36, v37
	v_cndmask_b32_e32 v36, v36, v50, vcc
	v_and_b32_e32 v37, 0x7f800000, v36
	v_cmp_ne_u32_e64 s[22:23], s70, v37
                                        ; implicit-def: $vgpr50
	s_and_saveexec_b64 s[28:29], s[22:23]
	s_xor_b64 s[22:23], exec, s[28:29]
; %bb.1570:                             ;   in Loop: Header=BB21_1545 Depth=4
	v_bfe_u32 v37, v36, 16, 1
	v_add3_u32 v50, v36, v37, s71
                                        ; implicit-def: $vgpr36
; %bb.1571:                             ;   in Loop: Header=BB21_1545 Depth=4
	s_andn2_saveexec_b64 s[28:29], s[22:23]
; %bb.1572:                             ;   in Loop: Header=BB21_1545 Depth=4
	v_or_b32_e32 v37, 0x10000, v36
	v_cmp_eq_u32_sdwa s[22:23], v36, v3 src0_sel:WORD_0 src1_sel:DWORD
	s_nop 1
	v_cndmask_b32_e64 v50, v37, v36, s[22:23]
; %bb.1573:                             ;   in Loop: Header=BB21_1545 Depth=4
	s_or_b64 exec, exec, s[28:29]
	v_and_b32_e32 v36, 0xffff0000, v51
	v_and_b32_e32 v37, 0xffff0000, v39
	v_max_f32_e32 v37, v37, v37
	v_max_f32_e32 v36, v36, v36
	v_min_f32_e32 v39, v36, v37
	v_max_f32_e32 v36, v36, v37
	v_cndmask_b32_e32 v36, v36, v39, vcc
	v_and_b32_e32 v37, 0x7f800000, v36
	v_cmp_ne_u32_e64 s[22:23], s70, v37
                                        ; implicit-def: $vgpr39
	s_and_saveexec_b64 s[28:29], s[22:23]
	s_xor_b64 s[22:23], exec, s[28:29]
; %bb.1574:                             ;   in Loop: Header=BB21_1545 Depth=4
	v_bfe_u32 v37, v36, 16, 1
	v_add3_u32 v39, v36, v37, s71
                                        ; implicit-def: $vgpr36
; %bb.1575:                             ;   in Loop: Header=BB21_1545 Depth=4
	s_andn2_saveexec_b64 s[28:29], s[22:23]
; %bb.1576:                             ;   in Loop: Header=BB21_1545 Depth=4
	v_or_b32_e32 v37, 0x10000, v36
	v_cmp_eq_u32_sdwa s[22:23], v36, v3 src0_sel:WORD_0 src1_sel:DWORD
	s_nop 1
	v_cndmask_b32_e64 v39, v37, v36, s[22:23]
; %bb.1577:                             ;   in Loop: Header=BB21_1545 Depth=4
	s_or_b64 exec, exec, s[28:29]
	v_lshrrev_b32_e32 v51, 16, v95
	v_and_or_b32 v123, v49, s80, v51
	v_lshrrev_b32_e32 v49, 16, v94
	v_and_or_b32 v122, v48, s80, v49
	;; [unrolled: 2-line block ×4, first 2 shown]
	v_lshlrev_b32_e32 v38, 16, v32
	v_lshlrev_b32_e32 v39, 16, v24
	v_max_f32_e32 v39, v39, v39
	v_max_f32_e32 v38, v38, v38
	v_min_f32_e32 v48, v38, v39
	v_max_f32_e32 v38, v38, v39
	v_cndmask_b32_e32 v39, v38, v48, vcc
	v_and_b32_e32 v38, 0x7f800000, v39
	v_lshl_add_u64 v[36:37], v[88:89], 0, v[90:91]
	v_cmp_ne_u32_e64 s[22:23], s70, v38
	global_store_dwordx4 v[36:37], v[122:125], off offset:-3072
                                        ; implicit-def: $vgpr38
	s_and_saveexec_b64 s[28:29], s[22:23]
	s_xor_b64 s[22:23], exec, s[28:29]
; %bb.1578:                             ;   in Loop: Header=BB21_1545 Depth=4
	v_bfe_u32 v38, v39, 16, 1
	v_add3_u32 v38, v39, v38, s71
                                        ; implicit-def: $vgpr39
; %bb.1579:                             ;   in Loop: Header=BB21_1545 Depth=4
	s_andn2_saveexec_b64 s[28:29], s[22:23]
; %bb.1580:                             ;   in Loop: Header=BB21_1545 Depth=4
	v_or_b32_e32 v38, 0x10000, v39
	v_cmp_eq_u32_sdwa s[22:23], v39, v3 src0_sel:WORD_0 src1_sel:DWORD
	s_nop 1
	v_cndmask_b32_e64 v38, v38, v39, s[22:23]
; %bb.1581:                             ;   in Loop: Header=BB21_1545 Depth=4
	s_or_b64 exec, exec, s[28:29]
	v_and_b32_e32 v32, 0xffff0000, v32
	v_and_b32_e32 v24, 0xffff0000, v24
	v_max_f32_e32 v24, v24, v24
	v_max_f32_e32 v32, v32, v32
	v_min_f32_e32 v39, v32, v24
	v_max_f32_e32 v24, v32, v24
	v_cndmask_b32_e32 v32, v24, v39, vcc
	v_and_b32_e32 v24, 0x7f800000, v32
	v_cmp_ne_u32_e64 s[22:23], s70, v24
                                        ; implicit-def: $vgpr24
	s_and_saveexec_b64 s[28:29], s[22:23]
	s_xor_b64 s[22:23], exec, s[28:29]
; %bb.1582:                             ;   in Loop: Header=BB21_1545 Depth=4
	v_bfe_u32 v24, v32, 16, 1
	v_add3_u32 v24, v32, v24, s71
                                        ; implicit-def: $vgpr32
; %bb.1583:                             ;   in Loop: Header=BB21_1545 Depth=4
	s_andn2_saveexec_b64 s[28:29], s[22:23]
; %bb.1584:                             ;   in Loop: Header=BB21_1545 Depth=4
	v_or_b32_e32 v24, 0x10000, v32
	v_cmp_eq_u32_sdwa s[22:23], v32, v3 src0_sel:WORD_0 src1_sel:DWORD
	s_nop 1
	v_cndmask_b32_e64 v24, v24, v32, s[22:23]
; %bb.1585:                             ;   in Loop: Header=BB21_1545 Depth=4
	s_or_b64 exec, exec, s[28:29]
	v_lshlrev_b32_e32 v32, 16, v33
	v_lshlrev_b32_e32 v39, 16, v25
	v_max_f32_e32 v39, v39, v39
	v_max_f32_e32 v32, v32, v32
	v_min_f32_e32 v48, v32, v39
	v_max_f32_e32 v32, v32, v39
	v_cndmask_b32_e32 v39, v32, v48, vcc
	v_and_b32_e32 v32, 0x7f800000, v39
	v_cmp_ne_u32_e64 s[22:23], s70, v32
                                        ; implicit-def: $vgpr32
	s_and_saveexec_b64 s[28:29], s[22:23]
	s_xor_b64 s[22:23], exec, s[28:29]
; %bb.1586:                             ;   in Loop: Header=BB21_1545 Depth=4
	v_bfe_u32 v32, v39, 16, 1
	v_add3_u32 v32, v39, v32, s71
                                        ; implicit-def: $vgpr39
; %bb.1587:                             ;   in Loop: Header=BB21_1545 Depth=4
	s_andn2_saveexec_b64 s[28:29], s[22:23]
; %bb.1588:                             ;   in Loop: Header=BB21_1545 Depth=4
	v_or_b32_e32 v32, 0x10000, v39
	v_cmp_eq_u32_sdwa s[22:23], v39, v3 src0_sel:WORD_0 src1_sel:DWORD
	s_nop 1
	v_cndmask_b32_e64 v32, v32, v39, s[22:23]
; %bb.1589:                             ;   in Loop: Header=BB21_1545 Depth=4
	s_or_b64 exec, exec, s[28:29]
	v_and_b32_e32 v33, 0xffff0000, v33
	v_and_b32_e32 v25, 0xffff0000, v25
	v_max_f32_e32 v25, v25, v25
	v_max_f32_e32 v33, v33, v33
	v_min_f32_e32 v39, v33, v25
	v_max_f32_e32 v25, v33, v25
	v_cndmask_b32_e32 v33, v25, v39, vcc
	v_and_b32_e32 v25, 0x7f800000, v33
	v_cmp_ne_u32_e64 s[22:23], s70, v25
                                        ; implicit-def: $vgpr25
	s_and_saveexec_b64 s[28:29], s[22:23]
	s_xor_b64 s[22:23], exec, s[28:29]
; %bb.1590:                             ;   in Loop: Header=BB21_1545 Depth=4
	v_bfe_u32 v25, v33, 16, 1
	v_add3_u32 v25, v33, v25, s71
                                        ; implicit-def: $vgpr33
; %bb.1591:                             ;   in Loop: Header=BB21_1545 Depth=4
	s_andn2_saveexec_b64 s[28:29], s[22:23]
; %bb.1592:                             ;   in Loop: Header=BB21_1545 Depth=4
	v_or_b32_e32 v25, 0x10000, v33
	v_cmp_eq_u32_sdwa s[22:23], v33, v3 src0_sel:WORD_0 src1_sel:DWORD
	s_nop 1
	v_cndmask_b32_e64 v25, v25, v33, s[22:23]
; %bb.1593:                             ;   in Loop: Header=BB21_1545 Depth=4
	s_or_b64 exec, exec, s[28:29]
	v_lshlrev_b32_e32 v33, 16, v34
	v_lshlrev_b32_e32 v39, 16, v26
	v_max_f32_e32 v39, v39, v39
	v_max_f32_e32 v33, v33, v33
	v_min_f32_e32 v48, v33, v39
	v_max_f32_e32 v33, v33, v39
	v_cndmask_b32_e32 v39, v33, v48, vcc
	v_and_b32_e32 v33, 0x7f800000, v39
	v_cmp_ne_u32_e64 s[22:23], s70, v33
                                        ; implicit-def: $vgpr33
	s_and_saveexec_b64 s[28:29], s[22:23]
	s_xor_b64 s[22:23], exec, s[28:29]
; %bb.1594:                             ;   in Loop: Header=BB21_1545 Depth=4
	v_bfe_u32 v33, v39, 16, 1
	v_add3_u32 v33, v39, v33, s71
                                        ; implicit-def: $vgpr39
; %bb.1595:                             ;   in Loop: Header=BB21_1545 Depth=4
	s_andn2_saveexec_b64 s[28:29], s[22:23]
; %bb.1596:                             ;   in Loop: Header=BB21_1545 Depth=4
	v_or_b32_e32 v33, 0x10000, v39
	v_cmp_eq_u32_sdwa s[22:23], v39, v3 src0_sel:WORD_0 src1_sel:DWORD
	s_nop 1
	v_cndmask_b32_e64 v33, v33, v39, s[22:23]
; %bb.1597:                             ;   in Loop: Header=BB21_1545 Depth=4
	s_or_b64 exec, exec, s[28:29]
	v_and_b32_e32 v34, 0xffff0000, v34
	v_and_b32_e32 v26, 0xffff0000, v26
	v_max_f32_e32 v26, v26, v26
	v_max_f32_e32 v34, v34, v34
	v_min_f32_e32 v39, v34, v26
	v_max_f32_e32 v26, v34, v26
	v_cndmask_b32_e32 v34, v26, v39, vcc
	v_and_b32_e32 v26, 0x7f800000, v34
	v_cmp_ne_u32_e64 s[22:23], s70, v26
                                        ; implicit-def: $vgpr26
	s_and_saveexec_b64 s[28:29], s[22:23]
	s_xor_b64 s[22:23], exec, s[28:29]
; %bb.1598:                             ;   in Loop: Header=BB21_1545 Depth=4
	v_bfe_u32 v26, v34, 16, 1
	v_add3_u32 v26, v34, v26, s71
                                        ; implicit-def: $vgpr34
; %bb.1599:                             ;   in Loop: Header=BB21_1545 Depth=4
	s_andn2_saveexec_b64 s[28:29], s[22:23]
; %bb.1600:                             ;   in Loop: Header=BB21_1545 Depth=4
	v_or_b32_e32 v26, 0x10000, v34
	v_cmp_eq_u32_sdwa s[22:23], v34, v3 src0_sel:WORD_0 src1_sel:DWORD
	s_nop 1
	v_cndmask_b32_e64 v26, v26, v34, s[22:23]
; %bb.1601:                             ;   in Loop: Header=BB21_1545 Depth=4
	s_or_b64 exec, exec, s[28:29]
	v_lshlrev_b32_e32 v34, 16, v35
	v_lshlrev_b32_e32 v39, 16, v27
	v_max_f32_e32 v39, v39, v39
	v_max_f32_e32 v34, v34, v34
	v_min_f32_e32 v48, v34, v39
	v_max_f32_e32 v34, v34, v39
	v_cndmask_b32_e32 v39, v34, v48, vcc
	v_and_b32_e32 v34, 0x7f800000, v39
	v_cmp_ne_u32_e64 s[22:23], s70, v34
                                        ; implicit-def: $vgpr34
	s_and_saveexec_b64 s[28:29], s[22:23]
	s_xor_b64 s[22:23], exec, s[28:29]
; %bb.1602:                             ;   in Loop: Header=BB21_1545 Depth=4
	v_bfe_u32 v34, v39, 16, 1
	v_add3_u32 v34, v39, v34, s71
                                        ; implicit-def: $vgpr39
; %bb.1603:                             ;   in Loop: Header=BB21_1545 Depth=4
	s_andn2_saveexec_b64 s[28:29], s[22:23]
; %bb.1604:                             ;   in Loop: Header=BB21_1545 Depth=4
	v_or_b32_e32 v34, 0x10000, v39
	v_cmp_eq_u32_sdwa s[22:23], v39, v3 src0_sel:WORD_0 src1_sel:DWORD
	s_nop 1
	v_cndmask_b32_e64 v34, v34, v39, s[22:23]
; %bb.1605:                             ;   in Loop: Header=BB21_1545 Depth=4
	s_or_b64 exec, exec, s[28:29]
	v_and_b32_e32 v35, 0xffff0000, v35
	v_and_b32_e32 v27, 0xffff0000, v27
	v_max_f32_e32 v27, v27, v27
	v_max_f32_e32 v35, v35, v35
	v_min_f32_e32 v39, v35, v27
	v_max_f32_e32 v27, v35, v27
	v_cndmask_b32_e32 v35, v27, v39, vcc
	v_and_b32_e32 v27, 0x7f800000, v35
	v_cmp_ne_u32_e64 s[22:23], s70, v27
                                        ; implicit-def: $vgpr27
	s_and_saveexec_b64 s[28:29], s[22:23]
	s_xor_b64 s[22:23], exec, s[28:29]
; %bb.1606:                             ;   in Loop: Header=BB21_1545 Depth=4
	v_bfe_u32 v27, v35, 16, 1
	v_add3_u32 v27, v35, v27, s71
                                        ; implicit-def: $vgpr35
; %bb.1607:                             ;   in Loop: Header=BB21_1545 Depth=4
	s_andn2_saveexec_b64 s[28:29], s[22:23]
; %bb.1608:                             ;   in Loop: Header=BB21_1545 Depth=4
	v_or_b32_e32 v27, 0x10000, v35
	v_cmp_eq_u32_sdwa s[22:23], v35, v3 src0_sel:WORD_0 src1_sel:DWORD
	s_nop 1
	v_cndmask_b32_e64 v27, v27, v35, s[22:23]
; %bb.1609:                             ;   in Loop: Header=BB21_1545 Depth=4
	s_or_b64 exec, exec, s[28:29]
	v_lshrrev_b32_e32 v32, 16, v32
	v_and_or_b32 v25, v25, s80, v32
	v_lshrrev_b32_e32 v32, 16, v38
	v_and_or_b32 v24, v24, s80, v32
	;; [unrolled: 2-line block ×4, first 2 shown]
	global_store_dwordx4 v[36:37], v[24:27], off offset:-2048
	s_nop 1
	v_lshlrev_b32_e32 v24, 16, v20
	v_lshlrev_b32_e32 v25, 16, v16
	v_max_f32_e32 v25, v25, v25
	v_max_f32_e32 v24, v24, v24
	v_min_f32_e32 v26, v24, v25
	v_max_f32_e32 v24, v24, v25
	v_cndmask_b32_e32 v25, v24, v26, vcc
	v_and_b32_e32 v24, 0x7f800000, v25
	v_cmp_ne_u32_e64 s[22:23], s70, v24
                                        ; implicit-def: $vgpr24
	s_and_saveexec_b64 s[28:29], s[22:23]
	s_xor_b64 s[22:23], exec, s[28:29]
; %bb.1610:                             ;   in Loop: Header=BB21_1545 Depth=4
	v_bfe_u32 v24, v25, 16, 1
	v_add3_u32 v24, v25, v24, s71
                                        ; implicit-def: $vgpr25
; %bb.1611:                             ;   in Loop: Header=BB21_1545 Depth=4
	s_andn2_saveexec_b64 s[28:29], s[22:23]
; %bb.1612:                             ;   in Loop: Header=BB21_1545 Depth=4
	v_or_b32_e32 v24, 0x10000, v25
	v_cmp_eq_u32_sdwa s[22:23], v25, v3 src0_sel:WORD_0 src1_sel:DWORD
	s_nop 1
	v_cndmask_b32_e64 v24, v24, v25, s[22:23]
; %bb.1613:                             ;   in Loop: Header=BB21_1545 Depth=4
	s_or_b64 exec, exec, s[28:29]
	v_and_b32_e32 v20, 0xffff0000, v20
	v_and_b32_e32 v16, 0xffff0000, v16
	v_max_f32_e32 v16, v16, v16
	v_max_f32_e32 v20, v20, v20
	v_min_f32_e32 v25, v20, v16
	v_max_f32_e32 v16, v20, v16
	v_cndmask_b32_e32 v20, v16, v25, vcc
	v_and_b32_e32 v16, 0x7f800000, v20
	v_cmp_ne_u32_e64 s[22:23], s70, v16
                                        ; implicit-def: $vgpr16
	s_and_saveexec_b64 s[28:29], s[22:23]
	s_xor_b64 s[22:23], exec, s[28:29]
; %bb.1614:                             ;   in Loop: Header=BB21_1545 Depth=4
	v_bfe_u32 v16, v20, 16, 1
	v_add3_u32 v16, v20, v16, s71
                                        ; implicit-def: $vgpr20
; %bb.1615:                             ;   in Loop: Header=BB21_1545 Depth=4
	s_andn2_saveexec_b64 s[28:29], s[22:23]
; %bb.1616:                             ;   in Loop: Header=BB21_1545 Depth=4
	v_or_b32_e32 v16, 0x10000, v20
	v_cmp_eq_u32_sdwa s[22:23], v20, v3 src0_sel:WORD_0 src1_sel:DWORD
	s_nop 1
	v_cndmask_b32_e64 v16, v16, v20, s[22:23]
; %bb.1617:                             ;   in Loop: Header=BB21_1545 Depth=4
	s_or_b64 exec, exec, s[28:29]
	v_lshlrev_b32_e32 v20, 16, v21
	v_lshlrev_b32_e32 v25, 16, v17
	v_max_f32_e32 v25, v25, v25
	v_max_f32_e32 v20, v20, v20
	v_min_f32_e32 v26, v20, v25
	v_max_f32_e32 v20, v20, v25
	v_cndmask_b32_e32 v25, v20, v26, vcc
	v_and_b32_e32 v20, 0x7f800000, v25
	v_cmp_ne_u32_e64 s[22:23], s70, v20
                                        ; implicit-def: $vgpr20
	s_and_saveexec_b64 s[28:29], s[22:23]
	s_xor_b64 s[22:23], exec, s[28:29]
; %bb.1618:                             ;   in Loop: Header=BB21_1545 Depth=4
	v_bfe_u32 v20, v25, 16, 1
	v_add3_u32 v20, v25, v20, s71
                                        ; implicit-def: $vgpr25
; %bb.1619:                             ;   in Loop: Header=BB21_1545 Depth=4
	s_andn2_saveexec_b64 s[28:29], s[22:23]
; %bb.1620:                             ;   in Loop: Header=BB21_1545 Depth=4
	v_or_b32_e32 v20, 0x10000, v25
	v_cmp_eq_u32_sdwa s[22:23], v25, v3 src0_sel:WORD_0 src1_sel:DWORD
	s_nop 1
	v_cndmask_b32_e64 v20, v20, v25, s[22:23]
; %bb.1621:                             ;   in Loop: Header=BB21_1545 Depth=4
	s_or_b64 exec, exec, s[28:29]
	v_and_b32_e32 v21, 0xffff0000, v21
	v_and_b32_e32 v17, 0xffff0000, v17
	v_max_f32_e32 v17, v17, v17
	v_max_f32_e32 v21, v21, v21
	v_min_f32_e32 v25, v21, v17
	v_max_f32_e32 v17, v21, v17
	v_cndmask_b32_e32 v21, v17, v25, vcc
	v_and_b32_e32 v17, 0x7f800000, v21
	v_cmp_ne_u32_e64 s[22:23], s70, v17
                                        ; implicit-def: $vgpr17
	s_and_saveexec_b64 s[28:29], s[22:23]
	s_xor_b64 s[22:23], exec, s[28:29]
; %bb.1622:                             ;   in Loop: Header=BB21_1545 Depth=4
	v_bfe_u32 v17, v21, 16, 1
	v_add3_u32 v17, v21, v17, s71
                                        ; implicit-def: $vgpr21
; %bb.1623:                             ;   in Loop: Header=BB21_1545 Depth=4
	s_andn2_saveexec_b64 s[28:29], s[22:23]
; %bb.1624:                             ;   in Loop: Header=BB21_1545 Depth=4
	v_or_b32_e32 v17, 0x10000, v21
	v_cmp_eq_u32_sdwa s[22:23], v21, v3 src0_sel:WORD_0 src1_sel:DWORD
	s_nop 1
	v_cndmask_b32_e64 v17, v17, v21, s[22:23]
; %bb.1625:                             ;   in Loop: Header=BB21_1545 Depth=4
	s_or_b64 exec, exec, s[28:29]
	v_lshlrev_b32_e32 v21, 16, v22
	v_lshlrev_b32_e32 v25, 16, v18
	v_max_f32_e32 v25, v25, v25
	v_max_f32_e32 v21, v21, v21
	v_min_f32_e32 v26, v21, v25
	v_max_f32_e32 v21, v21, v25
	v_cndmask_b32_e32 v25, v21, v26, vcc
	v_and_b32_e32 v21, 0x7f800000, v25
	v_cmp_ne_u32_e64 s[22:23], s70, v21
                                        ; implicit-def: $vgpr21
	s_and_saveexec_b64 s[28:29], s[22:23]
	s_xor_b64 s[22:23], exec, s[28:29]
; %bb.1626:                             ;   in Loop: Header=BB21_1545 Depth=4
	v_bfe_u32 v21, v25, 16, 1
	v_add3_u32 v21, v25, v21, s71
                                        ; implicit-def: $vgpr25
; %bb.1627:                             ;   in Loop: Header=BB21_1545 Depth=4
	s_andn2_saveexec_b64 s[28:29], s[22:23]
; %bb.1628:                             ;   in Loop: Header=BB21_1545 Depth=4
	v_or_b32_e32 v21, 0x10000, v25
	v_cmp_eq_u32_sdwa s[22:23], v25, v3 src0_sel:WORD_0 src1_sel:DWORD
	s_nop 1
	v_cndmask_b32_e64 v21, v21, v25, s[22:23]
; %bb.1629:                             ;   in Loop: Header=BB21_1545 Depth=4
	s_or_b64 exec, exec, s[28:29]
	v_and_b32_e32 v22, 0xffff0000, v22
	v_and_b32_e32 v18, 0xffff0000, v18
	v_max_f32_e32 v18, v18, v18
	v_max_f32_e32 v22, v22, v22
	v_min_f32_e32 v25, v22, v18
	v_max_f32_e32 v18, v22, v18
	v_cndmask_b32_e32 v22, v18, v25, vcc
	v_and_b32_e32 v18, 0x7f800000, v22
	v_cmp_ne_u32_e64 s[22:23], s70, v18
                                        ; implicit-def: $vgpr18
	s_and_saveexec_b64 s[28:29], s[22:23]
	s_xor_b64 s[22:23], exec, s[28:29]
; %bb.1630:                             ;   in Loop: Header=BB21_1545 Depth=4
	v_bfe_u32 v18, v22, 16, 1
	v_add3_u32 v18, v22, v18, s71
                                        ; implicit-def: $vgpr22
; %bb.1631:                             ;   in Loop: Header=BB21_1545 Depth=4
	s_andn2_saveexec_b64 s[28:29], s[22:23]
; %bb.1632:                             ;   in Loop: Header=BB21_1545 Depth=4
	v_or_b32_e32 v18, 0x10000, v22
	v_cmp_eq_u32_sdwa s[22:23], v22, v3 src0_sel:WORD_0 src1_sel:DWORD
	s_nop 1
	v_cndmask_b32_e64 v18, v18, v22, s[22:23]
; %bb.1633:                             ;   in Loop: Header=BB21_1545 Depth=4
	s_or_b64 exec, exec, s[28:29]
	v_lshlrev_b32_e32 v22, 16, v23
	v_lshlrev_b32_e32 v25, 16, v19
	v_max_f32_e32 v25, v25, v25
	v_max_f32_e32 v22, v22, v22
	v_min_f32_e32 v26, v22, v25
	v_max_f32_e32 v22, v22, v25
	v_cndmask_b32_e32 v25, v22, v26, vcc
	v_and_b32_e32 v22, 0x7f800000, v25
	v_cmp_ne_u32_e64 s[22:23], s70, v22
                                        ; implicit-def: $vgpr22
	s_and_saveexec_b64 s[28:29], s[22:23]
	s_xor_b64 s[22:23], exec, s[28:29]
; %bb.1634:                             ;   in Loop: Header=BB21_1545 Depth=4
	v_bfe_u32 v22, v25, 16, 1
	v_add3_u32 v22, v25, v22, s71
                                        ; implicit-def: $vgpr25
; %bb.1635:                             ;   in Loop: Header=BB21_1545 Depth=4
	s_andn2_saveexec_b64 s[28:29], s[22:23]
; %bb.1636:                             ;   in Loop: Header=BB21_1545 Depth=4
	v_or_b32_e32 v22, 0x10000, v25
	v_cmp_eq_u32_sdwa s[22:23], v25, v3 src0_sel:WORD_0 src1_sel:DWORD
	s_nop 1
	v_cndmask_b32_e64 v22, v22, v25, s[22:23]
; %bb.1637:                             ;   in Loop: Header=BB21_1545 Depth=4
	s_or_b64 exec, exec, s[28:29]
	v_and_b32_e32 v23, 0xffff0000, v23
	v_and_b32_e32 v19, 0xffff0000, v19
	v_max_f32_e32 v19, v19, v19
	v_max_f32_e32 v23, v23, v23
	v_min_f32_e32 v25, v23, v19
	v_max_f32_e32 v19, v23, v19
	v_cndmask_b32_e32 v23, v19, v25, vcc
	v_and_b32_e32 v19, 0x7f800000, v23
	v_cmp_ne_u32_e64 s[22:23], s70, v19
                                        ; implicit-def: $vgpr19
	s_and_saveexec_b64 s[28:29], s[22:23]
	s_xor_b64 s[22:23], exec, s[28:29]
; %bb.1638:                             ;   in Loop: Header=BB21_1545 Depth=4
	v_bfe_u32 v19, v23, 16, 1
	v_add3_u32 v19, v23, v19, s71
                                        ; implicit-def: $vgpr23
; %bb.1639:                             ;   in Loop: Header=BB21_1545 Depth=4
	s_andn2_saveexec_b64 s[28:29], s[22:23]
; %bb.1640:                             ;   in Loop: Header=BB21_1545 Depth=4
	v_or_b32_e32 v19, 0x10000, v23
	v_cmp_eq_u32_sdwa s[22:23], v23, v3 src0_sel:WORD_0 src1_sel:DWORD
	s_nop 1
	v_cndmask_b32_e64 v19, v19, v23, s[22:23]
; %bb.1641:                             ;   in Loop: Header=BB21_1545 Depth=4
	s_or_b64 exec, exec, s[28:29]
	v_lshrrev_b32_e32 v20, 16, v20
	v_and_or_b32 v17, v17, s80, v20
	v_lshrrev_b32_e32 v20, 16, v24
	v_and_or_b32 v16, v16, s80, v20
	v_lshrrev_b32_e32 v20, 16, v21
	v_and_or_b32 v18, v18, s80, v20
	v_lshrrev_b32_e32 v20, 16, v22
	v_and_or_b32 v19, v19, s80, v20
	global_store_dwordx4 v[36:37], v[16:19], off offset:-1024
	s_nop 1
	v_lshlrev_b32_e32 v16, 16, v12
	v_lshlrev_b32_e32 v17, 16, v8
	v_max_f32_e32 v17, v17, v17
	v_max_f32_e32 v16, v16, v16
	v_min_f32_e32 v18, v16, v17
	v_max_f32_e32 v16, v16, v17
	v_cndmask_b32_e32 v17, v16, v18, vcc
	v_and_b32_e32 v16, 0x7f800000, v17
	v_cmp_ne_u32_e64 s[22:23], s70, v16
                                        ; implicit-def: $vgpr16
	s_and_saveexec_b64 s[28:29], s[22:23]
	s_xor_b64 s[22:23], exec, s[28:29]
; %bb.1642:                             ;   in Loop: Header=BB21_1545 Depth=4
	v_bfe_u32 v16, v17, 16, 1
	v_add3_u32 v16, v17, v16, s71
                                        ; implicit-def: $vgpr17
; %bb.1643:                             ;   in Loop: Header=BB21_1545 Depth=4
	s_andn2_saveexec_b64 s[28:29], s[22:23]
; %bb.1644:                             ;   in Loop: Header=BB21_1545 Depth=4
	v_or_b32_e32 v16, 0x10000, v17
	v_cmp_eq_u32_sdwa s[22:23], v17, v3 src0_sel:WORD_0 src1_sel:DWORD
	s_nop 1
	v_cndmask_b32_e64 v16, v16, v17, s[22:23]
; %bb.1645:                             ;   in Loop: Header=BB21_1545 Depth=4
	s_or_b64 exec, exec, s[28:29]
	v_and_b32_e32 v12, 0xffff0000, v12
	v_and_b32_e32 v8, 0xffff0000, v8
	v_max_f32_e32 v8, v8, v8
	v_max_f32_e32 v12, v12, v12
	v_min_f32_e32 v17, v12, v8
	v_max_f32_e32 v8, v12, v8
	v_cndmask_b32_e32 v12, v8, v17, vcc
	v_and_b32_e32 v8, 0x7f800000, v12
	v_cmp_ne_u32_e64 s[22:23], s70, v8
                                        ; implicit-def: $vgpr8
	s_and_saveexec_b64 s[28:29], s[22:23]
	s_xor_b64 s[22:23], exec, s[28:29]
; %bb.1646:                             ;   in Loop: Header=BB21_1545 Depth=4
	v_bfe_u32 v8, v12, 16, 1
	v_add3_u32 v8, v12, v8, s71
                                        ; implicit-def: $vgpr12
; %bb.1647:                             ;   in Loop: Header=BB21_1545 Depth=4
	s_andn2_saveexec_b64 s[28:29], s[22:23]
; %bb.1648:                             ;   in Loop: Header=BB21_1545 Depth=4
	v_or_b32_e32 v8, 0x10000, v12
	v_cmp_eq_u32_sdwa s[22:23], v12, v3 src0_sel:WORD_0 src1_sel:DWORD
	s_nop 1
	v_cndmask_b32_e64 v8, v8, v12, s[22:23]
; %bb.1649:                             ;   in Loop: Header=BB21_1545 Depth=4
	s_or_b64 exec, exec, s[28:29]
	v_lshlrev_b32_e32 v12, 16, v13
	v_lshlrev_b32_e32 v17, 16, v9
	v_max_f32_e32 v17, v17, v17
	v_max_f32_e32 v12, v12, v12
	v_min_f32_e32 v18, v12, v17
	v_max_f32_e32 v12, v12, v17
	v_cndmask_b32_e32 v17, v12, v18, vcc
	v_and_b32_e32 v12, 0x7f800000, v17
	v_cmp_ne_u32_e64 s[22:23], s70, v12
                                        ; implicit-def: $vgpr12
	s_and_saveexec_b64 s[28:29], s[22:23]
	s_xor_b64 s[22:23], exec, s[28:29]
; %bb.1650:                             ;   in Loop: Header=BB21_1545 Depth=4
	v_bfe_u32 v12, v17, 16, 1
	v_add3_u32 v12, v17, v12, s71
                                        ; implicit-def: $vgpr17
; %bb.1651:                             ;   in Loop: Header=BB21_1545 Depth=4
	s_andn2_saveexec_b64 s[28:29], s[22:23]
; %bb.1652:                             ;   in Loop: Header=BB21_1545 Depth=4
	v_or_b32_e32 v12, 0x10000, v17
	v_cmp_eq_u32_sdwa s[22:23], v17, v3 src0_sel:WORD_0 src1_sel:DWORD
	s_nop 1
	v_cndmask_b32_e64 v12, v12, v17, s[22:23]
; %bb.1653:                             ;   in Loop: Header=BB21_1545 Depth=4
	s_or_b64 exec, exec, s[28:29]
	v_and_b32_e32 v13, 0xffff0000, v13
	v_and_b32_e32 v9, 0xffff0000, v9
	v_max_f32_e32 v9, v9, v9
	v_max_f32_e32 v13, v13, v13
	v_min_f32_e32 v17, v13, v9
	v_max_f32_e32 v9, v13, v9
	v_cndmask_b32_e32 v13, v9, v17, vcc
	v_and_b32_e32 v9, 0x7f800000, v13
	v_cmp_ne_u32_e64 s[22:23], s70, v9
                                        ; implicit-def: $vgpr9
	s_and_saveexec_b64 s[28:29], s[22:23]
	s_xor_b64 s[22:23], exec, s[28:29]
; %bb.1654:                             ;   in Loop: Header=BB21_1545 Depth=4
	v_bfe_u32 v9, v13, 16, 1
	v_add3_u32 v9, v13, v9, s71
                                        ; implicit-def: $vgpr13
; %bb.1655:                             ;   in Loop: Header=BB21_1545 Depth=4
	s_andn2_saveexec_b64 s[28:29], s[22:23]
; %bb.1656:                             ;   in Loop: Header=BB21_1545 Depth=4
	v_or_b32_e32 v9, 0x10000, v13
	v_cmp_eq_u32_sdwa s[22:23], v13, v3 src0_sel:WORD_0 src1_sel:DWORD
	s_nop 1
	v_cndmask_b32_e64 v9, v9, v13, s[22:23]
; %bb.1657:                             ;   in Loop: Header=BB21_1545 Depth=4
	s_or_b64 exec, exec, s[28:29]
	v_lshlrev_b32_e32 v13, 16, v14
	v_lshlrev_b32_e32 v17, 16, v10
	v_max_f32_e32 v17, v17, v17
	v_max_f32_e32 v13, v13, v13
	v_min_f32_e32 v18, v13, v17
	v_max_f32_e32 v13, v13, v17
	v_cndmask_b32_e32 v17, v13, v18, vcc
	v_and_b32_e32 v13, 0x7f800000, v17
	v_cmp_ne_u32_e64 s[22:23], s70, v13
                                        ; implicit-def: $vgpr13
	s_and_saveexec_b64 s[28:29], s[22:23]
	s_xor_b64 s[22:23], exec, s[28:29]
; %bb.1658:                             ;   in Loop: Header=BB21_1545 Depth=4
	v_bfe_u32 v13, v17, 16, 1
	v_add3_u32 v13, v17, v13, s71
                                        ; implicit-def: $vgpr17
; %bb.1659:                             ;   in Loop: Header=BB21_1545 Depth=4
	s_andn2_saveexec_b64 s[28:29], s[22:23]
; %bb.1660:                             ;   in Loop: Header=BB21_1545 Depth=4
	v_or_b32_e32 v13, 0x10000, v17
	v_cmp_eq_u32_sdwa s[22:23], v17, v3 src0_sel:WORD_0 src1_sel:DWORD
	s_nop 1
	v_cndmask_b32_e64 v13, v13, v17, s[22:23]
; %bb.1661:                             ;   in Loop: Header=BB21_1545 Depth=4
	s_or_b64 exec, exec, s[28:29]
	v_and_b32_e32 v14, 0xffff0000, v14
	v_and_b32_e32 v10, 0xffff0000, v10
	v_max_f32_e32 v10, v10, v10
	v_max_f32_e32 v14, v14, v14
	v_min_f32_e32 v17, v14, v10
	v_max_f32_e32 v10, v14, v10
	v_cndmask_b32_e32 v14, v10, v17, vcc
	v_and_b32_e32 v10, 0x7f800000, v14
	v_cmp_ne_u32_e64 s[22:23], s70, v10
                                        ; implicit-def: $vgpr10
	s_and_saveexec_b64 s[28:29], s[22:23]
	s_xor_b64 s[22:23], exec, s[28:29]
; %bb.1662:                             ;   in Loop: Header=BB21_1545 Depth=4
	v_bfe_u32 v10, v14, 16, 1
	v_add3_u32 v10, v14, v10, s71
                                        ; implicit-def: $vgpr14
; %bb.1663:                             ;   in Loop: Header=BB21_1545 Depth=4
	s_andn2_saveexec_b64 s[28:29], s[22:23]
; %bb.1664:                             ;   in Loop: Header=BB21_1545 Depth=4
	v_or_b32_e32 v10, 0x10000, v14
	v_cmp_eq_u32_sdwa s[22:23], v14, v3 src0_sel:WORD_0 src1_sel:DWORD
	s_nop 1
	v_cndmask_b32_e64 v10, v10, v14, s[22:23]
; %bb.1665:                             ;   in Loop: Header=BB21_1545 Depth=4
	s_or_b64 exec, exec, s[28:29]
	v_lshlrev_b32_e32 v14, 16, v15
	v_lshlrev_b32_e32 v17, 16, v11
	v_max_f32_e32 v17, v17, v17
	v_max_f32_e32 v14, v14, v14
	v_min_f32_e32 v18, v14, v17
	v_max_f32_e32 v14, v14, v17
	v_cndmask_b32_e32 v17, v14, v18, vcc
	v_and_b32_e32 v14, 0x7f800000, v17
	v_cmp_ne_u32_e64 s[22:23], s70, v14
                                        ; implicit-def: $vgpr14
	s_and_saveexec_b64 s[28:29], s[22:23]
	s_xor_b64 s[22:23], exec, s[28:29]
; %bb.1666:                             ;   in Loop: Header=BB21_1545 Depth=4
	v_bfe_u32 v14, v17, 16, 1
	v_add3_u32 v14, v17, v14, s71
                                        ; implicit-def: $vgpr17
; %bb.1667:                             ;   in Loop: Header=BB21_1545 Depth=4
	s_andn2_saveexec_b64 s[28:29], s[22:23]
; %bb.1668:                             ;   in Loop: Header=BB21_1545 Depth=4
	v_or_b32_e32 v14, 0x10000, v17
	v_cmp_eq_u32_sdwa s[22:23], v17, v3 src0_sel:WORD_0 src1_sel:DWORD
	s_nop 1
	v_cndmask_b32_e64 v14, v14, v17, s[22:23]
; %bb.1669:                             ;   in Loop: Header=BB21_1545 Depth=4
	s_or_b64 exec, exec, s[28:29]
	v_and_b32_e32 v15, 0xffff0000, v15
	v_and_b32_e32 v11, 0xffff0000, v11
	v_max_f32_e32 v11, v11, v11
	v_max_f32_e32 v15, v15, v15
	v_min_f32_e32 v17, v15, v11
	v_max_f32_e32 v11, v15, v11
	v_cndmask_b32_e32 v15, v11, v17, vcc
	v_and_b32_e32 v11, 0x7f800000, v15
	v_cmp_ne_u32_e64 s[22:23], s70, v11
                                        ; implicit-def: $vgpr11
	s_and_saveexec_b64 s[28:29], s[22:23]
	s_xor_b64 s[22:23], exec, s[28:29]
; %bb.1670:                             ;   in Loop: Header=BB21_1545 Depth=4
	v_bfe_u32 v11, v15, 16, 1
	v_add3_u32 v11, v15, v11, s71
                                        ; implicit-def: $vgpr15
; %bb.1671:                             ;   in Loop: Header=BB21_1545 Depth=4
	s_andn2_saveexec_b64 s[28:29], s[22:23]
	s_cbranch_execz .LBB21_1544
; %bb.1672:                             ;   in Loop: Header=BB21_1545 Depth=4
	v_or_b32_e32 v11, 0x10000, v15
	v_cmp_eq_u32_sdwa s[22:23], v15, v3 src0_sel:WORD_0 src1_sel:DWORD
	s_nop 1
	v_cndmask_b32_e64 v11, v11, v15, s[22:23]
	s_branch .LBB21_1544
.LBB21_1673:                            ;   in Loop: Header=BB21_1334 Depth=3
	s_or_b64 exec, exec, s[26:27]
.LBB21_1674:                            ;   in Loop: Header=BB21_1334 Depth=3
	s_or_b64 exec, exec, s[24:25]
	v_lshlrev_b32_e32 v18, 12, v93
	v_cmp_ne_u32_e32 vcc, v2, v18
	s_mov_b64 s[22:23], 0
	v_mov_b32_e32 v12, 0
                                        ; implicit-def: $vgpr13
	s_and_saveexec_b64 s[58:59], vcc
	s_cbranch_execz .LBB21_1680
; %bb.1675:                             ;   in Loop: Header=BB21_1334 Depth=3
	v_lshlrev_b32_e32 v8, 6, v75
	v_sub_u32_e32 v8, v105, v8
	v_ashrrev_i32_e32 v10, 31, v8
	v_lshrrev_b32_e32 v10, 26, v10
	v_add_u32_e32 v10, v8, v10
	v_sub_u32_e32 v9, v2, v18
	v_ashrrev_i32_e32 v11, 6, v10
	v_and_b32_e32 v10, 0xffffffc0, v10
	v_sub_u32_e32 v19, v8, v10
	v_ashrrev_i32_e32 v10, 31, v9
	v_lshrrev_b32_e32 v10, 22, v10
	v_add_u32_e32 v10, v9, v10
	v_and_b32_e32 v20, 0xfffffc00, v10
	v_lshlrev_b32_e32 v8, 4, v19
	v_sub_u32_e32 v21, v9, v20
	v_lshl_add_u32 v8, v11, 10, v8
	v_ashrrev_i32_e32 v12, 10, v10
	v_cmp_lt_i32_e32 vcc, 15, v21
	v_sub_u32_e32 v23, v9, v8
	s_nop 0
	v_addc_co_u32_e64 v9, s[22:23], 0, v12, vcc
	v_sub_u32_e32 v22, v9, v11
	v_cmp_lt_i32_e64 s[22:23], 15, v23
	s_and_saveexec_b64 s[50:51], s[22:23]
	s_cbranch_execz .LBB21_1679
; %bb.1676:                             ;   in Loop: Header=BB21_1334 Depth=3
	s_and_b32 s74, s97, 1
	v_add_u32_e32 v12, v8, v18
	s_cmp_eq_u64 s[74:75], 0
	v_ashrrev_i32_e32 v13, 31, v12
	s_mov_b64 s[52:53], 0
	s_cselect_b64 s[22:23], -1, 0
.LBB21_1677:                            ;   Parent Loop BB21_47 Depth=1
                                        ;     Parent Loop BB21_1331 Depth=2
                                        ;       Parent Loop BB21_1334 Depth=3
                                        ; =>      This Inner Loop Header: Depth=4
	v_lshl_add_u64 v[16:17], v[78:79], 0, v[12:13]
	global_load_dwordx4 v[8:11], v[12:13], off nt
	s_waitcnt lgkmcnt(0)
	global_load_dwordx4 v[24:27], v[16:17], off nt
	v_sub_u32_e32 v23, v23, v100
	v_cmp_gt_i32_e64 s[24:25], 16, v23
	s_or_b64 s[52:53], s[24:25], s[52:53]
	v_lshl_add_u64 v[14:15], v[88:89], 0, v[12:13]
	v_lshl_add_u64 v[12:13], v[12:13], 0, v[100:101]
	v_sub_u32_e32 v22, v22, v84
	s_waitcnt vmcnt(0)
	v_and_b32_e32 v16, 0xffff0000, v8
	v_lshlrev_b32_e32 v8, 16, v8
	v_and_b32_e32 v17, 0xffff0000, v9
	v_lshlrev_b32_e32 v9, 16, v9
	;; [unrolled: 2-line block ×8, first 2 shown]
	v_max_f32_e32 v8, v8, v8
	v_max_f32_e32 v16, v16, v16
	;; [unrolled: 1-line block ×16, first 2 shown]
	v_min_f32_e32 v38, v24, v8
	v_max_f32_e32 v8, v24, v8
	v_min_f32_e32 v24, v34, v16
	v_max_f32_e32 v16, v34, v16
	;; [unrolled: 2-line block ×8, first 2 shown]
	v_cndmask_b32_e64 v8, v8, v38, s[22:23]
	v_cndmask_b32_e64 v16, v16, v24, s[22:23]
	;; [unrolled: 1-line block ×8, first 2 shown]
	v_and_b32_e32 v26, 0x7f800000, v8
	v_bfe_u32 v27, v8, 16, 1
	v_or_b32_e32 v32, 0x10000, v8
	v_cmp_eq_u32_sdwa s[24:25], v8, v3 src0_sel:WORD_0 src1_sel:DWORD
	v_and_b32_e32 v33, 0x7f800000, v16
	v_bfe_u32 v34, v16, 16, 1
	v_or_b32_e32 v35, 0x10000, v16
	v_cmp_eq_u32_sdwa s[26:27], v16, v3 src0_sel:WORD_0 src1_sel:DWORD
	;; [unrolled: 4-line block ×3, first 2 shown]
	v_bfe_u32 v48, v17, 16, 1
	v_or_b32_e32 v49, 0x10000, v17
	v_cmp_eq_u32_sdwa s[40:41], v17, v3 src0_sel:WORD_0 src1_sel:DWORD
	v_and_b32_e32 v50, 0x7f800000, v10
	v_bfe_u32 v51, v10, 16, 1
	v_or_b32_e32 v82, 0x10000, v10
	v_cmp_eq_u32_sdwa s[42:43], v10, v3 src0_sel:WORD_0 src1_sel:DWORD
	v_bfe_u32 v90, v24, 16, 1
	v_or_b32_e32 v91, 0x10000, v24
	v_cmp_eq_u32_sdwa s[44:45], v24, v3 src0_sel:WORD_0 src1_sel:DWORD
	v_and_b32_e32 v93, 0x7f800000, v11
	v_bfe_u32 v94, v11, 16, 1
	v_or_b32_e32 v95, 0x10000, v11
	v_cmp_eq_u32_sdwa s[46:47], v11, v3 src0_sel:WORD_0 src1_sel:DWORD
	v_bfe_u32 v121, v25, 16, 1
	v_or_b32_e32 v122, 0x10000, v25
	v_cmp_eq_u32_sdwa s[56:57], v25, v3 src0_sel:WORD_0 src1_sel:DWORD
	v_and_b32_e32 v39, 0x7f800000, v17
	v_and_b32_e32 v75, 0x7f800000, v24
	;; [unrolled: 1-line block ×3, first 2 shown]
	v_add3_u32 v27, v8, v27, s71
	v_cndmask_b32_e64 v8, v32, v8, s[24:25]
	v_add3_u32 v32, v16, v34, s71
	v_cndmask_b32_e64 v16, v35, v16, s[26:27]
	v_cmp_eq_u32_e64 s[24:25], s70, v33
	v_add3_u32 v33, v9, v37, s71
	v_cndmask_b32_e64 v9, v38, v9, s[28:29]
	v_cmp_eq_u32_e64 s[26:27], s70, v36
	v_add3_u32 v34, v17, v48, s71
	v_cndmask_b32_e64 v17, v49, v17, s[40:41]
	v_add3_u32 v35, v10, v51, s71
	v_cndmask_b32_e64 v10, v82, v10, s[42:43]
	v_cmp_eq_u32_e64 s[40:41], s70, v50
	v_add3_u32 v36, v24, v90, s71
	v_cndmask_b32_e64 v24, v91, v24, s[44:45]
	;; [unrolled: 5-line block ×3, first 2 shown]
	v_cmp_eq_u32_e64 s[56:57], s70, v26
	v_cmp_eq_u32_e64 s[28:29], s70, v39
	;; [unrolled: 1-line block ×4, first 2 shown]
	v_cndmask_b32_e64 v8, v27, v8, s[56:57]
	v_cndmask_b32_e64 v9, v33, v9, s[26:27]
	;; [unrolled: 1-line block ×8, first 2 shown]
	v_lshrrev_b32_e32 v9, 16, v9
	v_lshrrev_b32_e32 v8, 16, v8
	;; [unrolled: 1-line block ×4, first 2 shown]
	v_and_or_b32 v9, v17, s80, v9
	v_and_or_b32 v8, v16, s80, v8
	;; [unrolled: 1-line block ×4, first 2 shown]
	global_store_dwordx4 v[14:15], v[8:11], off
	s_andn2_b64 exec, exec, s[52:53]
	s_cbranch_execnz .LBB21_1677
; %bb.1678:                             ;   in Loop: Header=BB21_1334 Depth=3
	s_or_b64 exec, exec, s[52:53]
.LBB21_1679:                            ;   in Loop: Header=BB21_1334 Depth=3
	s_or_b64 exec, exec, s[50:51]
	v_and_b32_e32 v2, 14, v2
	v_sub_u32_e32 v8, v21, v2
	v_cndmask_b32_e32 v8, 0, v8, vcc
	v_cndmask_b32_e32 v2, v21, v2, vcc
	v_cmp_lt_i32_e32 vcc, 0, v22
	v_add3_u32 v12, v20, v18, v8
	s_nop 0
	v_cndmask_b32_e32 v8, 0, v84, vcc
	v_sub_u32_e32 v8, v8, v22
	v_cmp_ne_u32_e32 vcc, 0, v2
	v_lshl_add_u32 v13, v8, 6, v19
	s_and_b64 s[22:23], vcc, exec
.LBB21_1680:                            ;   in Loop: Header=BB21_1334 Depth=3
	s_or_b64 exec, exec, s[58:59]
	s_and_saveexec_b64 s[28:29], s[22:23]
	s_cbranch_execz .LBB21_1721
.LBB21_1681:                            ;   in Loop: Header=BB21_1334 Depth=3
	v_ashrrev_i32_e32 v8, 31, v13
	v_ashrrev_i32_e32 v9, 31, v2
	v_lshrrev_b32_e32 v8, 26, v8
	v_lshrrev_b32_e32 v9, 22, v9
	v_add_u32_e32 v8, v13, v8
	v_add_u32_e32 v9, v2, v9
	v_ashrrev_i32_e32 v14, 6, v8
	v_ashrrev_i32_e32 v16, 10, v9
	v_sub_u32_e32 v15, v16, v14
	v_cmp_lt_i32_e32 vcc, 0, v15
	s_and_saveexec_b64 s[40:41], vcc
	s_cbranch_execz .LBB21_1717
; %bb.1682:                             ;   in Loop: Header=BB21_1334 Depth=3
	v_and_b32_e32 v8, 0x7fffffc0, v8
	v_sub_u32_e32 v8, v13, v8
	v_lshlrev_b32_e32 v8, 1, v8
	v_lshlrev_b32_e32 v9, 10, v14
	v_add3_u32 v8, v8, v12, v9
	s_and_b32 s74, s97, 1
	v_ashrrev_i32_e32 v9, 31, v8
	s_cmp_eq_u64 s[74:75], 0
	s_mov_b64 s[42:43], 0
	s_cselect_b64 s[22:23], -1, 0
	v_lshl_add_u64 v[8:9], v[8:9], 0, s[36:37]
	s_branch .LBB21_1684
.LBB21_1683:                            ;   in Loop: Header=BB21_1684 Depth=4
	s_or_b64 exec, exec, s[24:25]
	v_sub_u32_e32 v15, v15, v84
	v_cmp_gt_i32_e32 vcc, 1, v15
	s_or_b64 s[42:43], vcc, s[42:43]
	v_lshl_add_u64 v[8:9], v[8:9], 0, v[100:101]
	flat_store_short_d16_hi v[10:11], v18 nt
	s_andn2_b64 exec, exec, s[42:43]
	s_cbranch_execz .LBB21_1716
.LBB21_1684:                            ;   Parent Loop BB21_47 Depth=1
                                        ;     Parent Loop BB21_1331 Depth=2
                                        ;       Parent Loop BB21_1334 Depth=3
                                        ; =>      This Inner Loop Header: Depth=4
	v_lshl_add_u64 v[10:11], v[78:79], 0, v[8:9]
	v_add_co_u32_e32 v18, vcc, 0xfffffd00, v10
	s_nop 1
	v_addc_co_u32_e32 v19, vcc, -1, v11, vcc
	flat_load_ushort v33, v[18:19] nt
	v_add_co_u32_e32 v18, vcc, 0xfffffd00, v8
	s_nop 1
	v_addc_co_u32_e32 v19, vcc, -1, v9, vcc
	flat_load_ushort v34, v[18:19] nt
	v_add_co_u32_e32 v18, vcc, 0xfffffd80, v10
	s_nop 1
	v_addc_co_u32_e32 v19, vcc, -1, v11, vcc
	s_waitcnt lgkmcnt(0)
	flat_load_ushort v27, v[18:19] nt
	v_add_co_u32_e32 v18, vcc, 0xfffffd80, v8
	s_nop 1
	v_addc_co_u32_e32 v19, vcc, -1, v9, vcc
	flat_load_ushort v32, v[18:19] nt
	v_add_co_u32_e32 v18, vcc, 0xfffffe00, v10
	s_nop 1
	v_addc_co_u32_e32 v19, vcc, -1, v11, vcc
	;; [unrolled: 4-line block ×6, first 2 shown]
	v_add_co_u32_e32 v36, vcc, 0xffffff00, v8
	s_mov_b64 s[24:25], vcc
	v_add_co_u32_e32 v38, vcc, s96, v10
	flat_load_ushort v21, v[18:19] nt
	s_nop 0
	v_addc_co_u32_e32 v39, vcc, -1, v11, vcc
	v_add_co_u32_e32 v48, vcc, s68, v8
	s_mov_b64 s[26:27], vcc
	flat_load_ushort v19, v[38:39] offset:768 nt
	flat_load_ushort v35, v[38:39] nt
	v_add_co_u32_e32 v38, vcc, 0xfffffc80, v8
	s_nop 1
	v_addc_co_u32_e32 v39, vcc, -1, v9, vcc
	flat_load_ushort v38, v[38:39] nt
	v_addc_co_u32_e64 v37, vcc, -1, v9, s[24:25]
	flat_load_ushort v23, v[36:37] nt
	v_addc_co_u32_e64 v49, vcc, -1, v9, s[26:27]
	flat_load_ushort v17, v[10:11] nt
	flat_load_ushort v18, v[8:9] nt
	;; [unrolled: 1-line block ×3, first 2 shown]
	s_waitcnt vmcnt(0) lgkmcnt(0)
	v_lshlrev_b32_e32 v10, 16, v35
	v_max_f32_e32 v10, v10, v10
	v_lshlrev_b32_e32 v11, 16, v38
	v_max_f32_e32 v11, v11, v11
	v_min_f32_e32 v35, v10, v11
	v_max_f32_e32 v10, v10, v11
	v_cndmask_b32_e64 v10, v10, v35, s[22:23]
	v_and_b32_e32 v11, 0x7f800000, v10
	v_cmp_ne_u32_e32 vcc, s70, v11
                                        ; implicit-def: $vgpr35
	s_and_saveexec_b64 s[24:25], vcc
	s_xor_b64 s[24:25], exec, s[24:25]
; %bb.1685:                             ;   in Loop: Header=BB21_1684 Depth=4
	v_bfe_u32 v11, v10, 16, 1
	v_add3_u32 v35, v10, v11, s71
                                        ; implicit-def: $vgpr10
; %bb.1686:                             ;   in Loop: Header=BB21_1684 Depth=4
	s_andn2_saveexec_b64 s[24:25], s[24:25]
; %bb.1687:                             ;   in Loop: Header=BB21_1684 Depth=4
	v_or_b32_e32 v11, 0x10000, v10
	v_cmp_eq_u32_sdwa vcc, v10, v3 src0_sel:WORD_0 src1_sel:DWORD
	s_nop 1
	v_cndmask_b32_e32 v35, v11, v10, vcc
; %bb.1688:                             ;   in Loop: Header=BB21_1684 Depth=4
	s_or_b64 exec, exec, s[24:25]
	v_lshl_add_u64 v[10:11], v[88:89], 0, v[8:9]
	v_add_co_u32_e32 v36, vcc, 0xfffffc80, v10
	v_lshlrev_b32_e32 v33, 16, v33
	v_lshlrev_b32_e32 v34, 16, v34
	v_addc_co_u32_e32 v37, vcc, -1, v11, vcc
	v_max_f32_e32 v34, v34, v34
	v_max_f32_e32 v33, v33, v33
	flat_store_short_d16_hi v[36:37], v35 nt
	v_min_f32_e32 v35, v33, v34
	v_max_f32_e32 v33, v33, v34
	v_cndmask_b32_e64 v34, v33, v35, s[22:23]
	v_and_b32_e32 v33, 0x7f800000, v34
	v_cmp_ne_u32_e32 vcc, s70, v33
                                        ; implicit-def: $vgpr33
	s_and_saveexec_b64 s[24:25], vcc
	s_xor_b64 s[24:25], exec, s[24:25]
; %bb.1689:                             ;   in Loop: Header=BB21_1684 Depth=4
	v_bfe_u32 v33, v34, 16, 1
	v_add3_u32 v33, v34, v33, s71
                                        ; implicit-def: $vgpr34
; %bb.1690:                             ;   in Loop: Header=BB21_1684 Depth=4
	s_andn2_saveexec_b64 s[24:25], s[24:25]
; %bb.1691:                             ;   in Loop: Header=BB21_1684 Depth=4
	v_or_b32_e32 v33, 0x10000, v34
	v_cmp_eq_u32_sdwa vcc, v34, v3 src0_sel:WORD_0 src1_sel:DWORD
	s_nop 1
	v_cndmask_b32_e32 v33, v33, v34, vcc
; %bb.1692:                             ;   in Loop: Header=BB21_1684 Depth=4
	s_or_b64 exec, exec, s[24:25]
	v_add_co_u32_e32 v34, vcc, 0xfffffd00, v10
	v_lshlrev_b32_e32 v27, 16, v27
	v_lshlrev_b32_e32 v32, 16, v32
	v_addc_co_u32_e32 v35, vcc, -1, v11, vcc
	v_max_f32_e32 v32, v32, v32
	v_max_f32_e32 v27, v27, v27
	flat_store_short_d16_hi v[34:35], v33 nt
	v_min_f32_e32 v33, v27, v32
	v_max_f32_e32 v27, v27, v32
	v_cndmask_b32_e64 v32, v27, v33, s[22:23]
	v_and_b32_e32 v27, 0x7f800000, v32
	v_cmp_ne_u32_e32 vcc, s70, v27
                                        ; implicit-def: $vgpr27
	s_and_saveexec_b64 s[24:25], vcc
	s_xor_b64 s[24:25], exec, s[24:25]
; %bb.1693:                             ;   in Loop: Header=BB21_1684 Depth=4
	v_bfe_u32 v27, v32, 16, 1
	v_add3_u32 v27, v32, v27, s71
                                        ; implicit-def: $vgpr32
; %bb.1694:                             ;   in Loop: Header=BB21_1684 Depth=4
	s_andn2_saveexec_b64 s[24:25], s[24:25]
; %bb.1695:                             ;   in Loop: Header=BB21_1684 Depth=4
	v_or_b32_e32 v27, 0x10000, v32
	v_cmp_eq_u32_sdwa vcc, v32, v3 src0_sel:WORD_0 src1_sel:DWORD
	s_nop 1
	v_cndmask_b32_e32 v27, v27, v32, vcc
; %bb.1696:                             ;   in Loop: Header=BB21_1684 Depth=4
	s_or_b64 exec, exec, s[24:25]
	v_add_co_u32_e32 v32, vcc, 0xfffffd80, v10
	v_lshlrev_b32_e32 v25, 16, v25
	v_lshlrev_b32_e32 v26, 16, v26
	v_addc_co_u32_e32 v33, vcc, -1, v11, vcc
	v_max_f32_e32 v26, v26, v26
	v_max_f32_e32 v25, v25, v25
	flat_store_short_d16_hi v[32:33], v27 nt
	v_min_f32_e32 v27, v25, v26
	v_max_f32_e32 v25, v25, v26
	v_cndmask_b32_e64 v26, v25, v27, s[22:23]
	v_and_b32_e32 v25, 0x7f800000, v26
	v_cmp_ne_u32_e32 vcc, s70, v25
                                        ; implicit-def: $vgpr25
	s_and_saveexec_b64 s[24:25], vcc
	s_xor_b64 s[24:25], exec, s[24:25]
; %bb.1697:                             ;   in Loop: Header=BB21_1684 Depth=4
	v_bfe_u32 v25, v26, 16, 1
	v_add3_u32 v25, v26, v25, s71
                                        ; implicit-def: $vgpr26
; %bb.1698:                             ;   in Loop: Header=BB21_1684 Depth=4
	s_andn2_saveexec_b64 s[24:25], s[24:25]
; %bb.1699:                             ;   in Loop: Header=BB21_1684 Depth=4
	v_or_b32_e32 v25, 0x10000, v26
	v_cmp_eq_u32_sdwa vcc, v26, v3 src0_sel:WORD_0 src1_sel:DWORD
	s_nop 1
	v_cndmask_b32_e32 v25, v25, v26, vcc
; %bb.1700:                             ;   in Loop: Header=BB21_1684 Depth=4
	s_or_b64 exec, exec, s[24:25]
	v_add_co_u32_e32 v26, vcc, 0xfffffe00, v10
	v_lshlrev_b32_e32 v22, 16, v22
	v_lshlrev_b32_e32 v24, 16, v24
	v_addc_co_u32_e32 v27, vcc, -1, v11, vcc
	v_max_f32_e32 v24, v24, v24
	v_max_f32_e32 v22, v22, v22
	flat_store_short_d16_hi v[26:27], v25 nt
	v_min_f32_e32 v25, v22, v24
	v_max_f32_e32 v22, v22, v24
	v_cndmask_b32_e64 v24, v22, v25, s[22:23]
	v_and_b32_e32 v22, 0x7f800000, v24
	v_cmp_ne_u32_e32 vcc, s70, v22
                                        ; implicit-def: $vgpr22
	s_and_saveexec_b64 s[24:25], vcc
	s_xor_b64 s[24:25], exec, s[24:25]
; %bb.1701:                             ;   in Loop: Header=BB21_1684 Depth=4
	v_bfe_u32 v22, v24, 16, 1
	v_add3_u32 v22, v24, v22, s71
                                        ; implicit-def: $vgpr24
; %bb.1702:                             ;   in Loop: Header=BB21_1684 Depth=4
	s_andn2_saveexec_b64 s[24:25], s[24:25]
; %bb.1703:                             ;   in Loop: Header=BB21_1684 Depth=4
	v_or_b32_e32 v22, 0x10000, v24
	v_cmp_eq_u32_sdwa vcc, v24, v3 src0_sel:WORD_0 src1_sel:DWORD
	s_nop 1
	v_cndmask_b32_e32 v22, v22, v24, vcc
; %bb.1704:                             ;   in Loop: Header=BB21_1684 Depth=4
	s_or_b64 exec, exec, s[24:25]
	v_add_co_u32_e32 v24, vcc, 0xfffffe80, v10
	v_lshlrev_b32_e32 v21, 16, v21
	s_nop 0
	v_addc_co_u32_e32 v25, vcc, -1, v11, vcc
	flat_store_short_d16_hi v[24:25], v22 nt
	v_lshlrev_b32_e32 v22, 16, v23
	v_max_f32_e32 v22, v22, v22
	v_max_f32_e32 v21, v21, v21
	v_min_f32_e32 v23, v21, v22
	v_max_f32_e32 v21, v21, v22
	v_cndmask_b32_e64 v22, v21, v23, s[22:23]
	v_and_b32_e32 v21, 0x7f800000, v22
	v_cmp_ne_u32_e32 vcc, s70, v21
                                        ; implicit-def: $vgpr21
	s_and_saveexec_b64 s[24:25], vcc
	s_xor_b64 s[24:25], exec, s[24:25]
; %bb.1705:                             ;   in Loop: Header=BB21_1684 Depth=4
	v_bfe_u32 v21, v22, 16, 1
	v_add3_u32 v21, v22, v21, s71
                                        ; implicit-def: $vgpr22
; %bb.1706:                             ;   in Loop: Header=BB21_1684 Depth=4
	s_andn2_saveexec_b64 s[24:25], s[24:25]
; %bb.1707:                             ;   in Loop: Header=BB21_1684 Depth=4
	v_or_b32_e32 v21, 0x10000, v22
	v_cmp_eq_u32_sdwa vcc, v22, v3 src0_sel:WORD_0 src1_sel:DWORD
	s_nop 1
	v_cndmask_b32_e32 v21, v21, v22, vcc
; %bb.1708:                             ;   in Loop: Header=BB21_1684 Depth=4
	s_or_b64 exec, exec, s[24:25]
	v_add_co_u32_e32 v22, vcc, 0xffffff00, v10
	v_lshlrev_b32_e32 v19, 16, v19
	v_lshlrev_b32_e32 v20, 16, v20
	v_addc_co_u32_e32 v23, vcc, -1, v11, vcc
	v_max_f32_e32 v20, v20, v20
	v_max_f32_e32 v19, v19, v19
	flat_store_short_d16_hi v[22:23], v21 nt
	v_min_f32_e32 v21, v19, v20
	v_max_f32_e32 v19, v19, v20
	v_cndmask_b32_e64 v20, v19, v21, s[22:23]
	v_and_b32_e32 v19, 0x7f800000, v20
	v_cmp_ne_u32_e32 vcc, s70, v19
                                        ; implicit-def: $vgpr19
	s_and_saveexec_b64 s[24:25], vcc
	s_xor_b64 s[24:25], exec, s[24:25]
; %bb.1709:                             ;   in Loop: Header=BB21_1684 Depth=4
	v_bfe_u32 v19, v20, 16, 1
	v_add3_u32 v19, v20, v19, s71
                                        ; implicit-def: $vgpr20
; %bb.1710:                             ;   in Loop: Header=BB21_1684 Depth=4
	s_andn2_saveexec_b64 s[24:25], s[24:25]
; %bb.1711:                             ;   in Loop: Header=BB21_1684 Depth=4
	v_or_b32_e32 v19, 0x10000, v20
	v_cmp_eq_u32_sdwa vcc, v20, v3 src0_sel:WORD_0 src1_sel:DWORD
	s_nop 1
	v_cndmask_b32_e32 v19, v19, v20, vcc
; %bb.1712:                             ;   in Loop: Header=BB21_1684 Depth=4
	s_or_b64 exec, exec, s[24:25]
	v_add_co_u32_e32 v20, vcc, 0xffffff80, v10
	v_lshlrev_b32_e32 v17, 16, v17
	v_lshlrev_b32_e32 v18, 16, v18
	v_addc_co_u32_e32 v21, vcc, -1, v11, vcc
	v_max_f32_e32 v18, v18, v18
	v_max_f32_e32 v17, v17, v17
	flat_store_short_d16_hi v[20:21], v19 nt
	v_min_f32_e32 v19, v17, v18
	v_max_f32_e32 v17, v17, v18
	v_cndmask_b32_e64 v17, v17, v19, s[22:23]
	v_and_b32_e32 v18, 0x7f800000, v17
	v_cmp_ne_u32_e32 vcc, s70, v18
                                        ; implicit-def: $vgpr18
	s_and_saveexec_b64 s[24:25], vcc
	s_xor_b64 s[24:25], exec, s[24:25]
; %bb.1713:                             ;   in Loop: Header=BB21_1684 Depth=4
	v_bfe_u32 v18, v17, 16, 1
	v_add3_u32 v18, v17, v18, s71
                                        ; implicit-def: $vgpr17
; %bb.1714:                             ;   in Loop: Header=BB21_1684 Depth=4
	s_andn2_saveexec_b64 s[24:25], s[24:25]
	s_cbranch_execz .LBB21_1683
; %bb.1715:                             ;   in Loop: Header=BB21_1684 Depth=4
	v_or_b32_e32 v18, 0x10000, v17
	v_cmp_eq_u32_sdwa vcc, v17, v3 src0_sel:WORD_0 src1_sel:DWORD
	s_nop 1
	v_cndmask_b32_e32 v18, v18, v17, vcc
	s_branch .LBB21_1683
.LBB21_1716:                            ;   in Loop: Header=BB21_1334 Depth=3
	s_or_b64 exec, exec, s[42:43]
.LBB21_1717:                            ;   in Loop: Header=BB21_1334 Depth=3
	s_or_b64 exec, exec, s[40:41]
	v_lshlrev_b32_e32 v8, 10, v16
	v_cmp_ne_u32_e32 vcc, v2, v8
	s_and_b64 exec, exec, vcc
	s_cbranch_execz .LBB21_1721
; %bb.1718:                             ;   in Loop: Header=BB21_1334 Depth=3
	v_lshlrev_b32_e32 v9, 6, v14
	v_sub_u32_e32 v9, v13, v9
	v_lshlrev_b32_e32 v10, 6, v15
	v_sub_u32_e32 v9, v9, v10
	v_ashrrev_i32_e32 v10, 31, v9
	v_lshrrev_b32_e32 v10, 26, v10
	v_add_u32_e32 v10, v9, v10
	v_and_b32_e32 v11, 0x7fffffc0, v10
	v_sub_u32_e32 v9, v9, v11
	v_lshlrev_b32_e32 v10, 1, v10
	v_and_b32_e32 v10, 0xffffff80, v10
	v_lshlrev_b32_e32 v9, 1, v9
	v_add3_u32 v8, v10, v9, v8
	v_sub_u32_e32 v2, v2, v8
	v_cmp_lt_i32_e32 vcc, 1, v2
	s_and_b64 exec, exec, vcc
	s_cbranch_execz .LBB21_1721
; %bb.1719:                             ;   in Loop: Header=BB21_1334 Depth=3
	s_and_b32 s74, s97, 1
	v_add_u32_e32 v8, v8, v12
	s_cmp_eq_u64 s[74:75], 0
	v_ashrrev_i32_e32 v9, 31, v8
	s_mov_b64 s[24:25], 0
	s_cselect_b64 vcc, -1, 0
.LBB21_1720:                            ;   Parent Loop BB21_47 Depth=1
                                        ;     Parent Loop BB21_1331 Depth=2
                                        ;       Parent Loop BB21_1334 Depth=3
                                        ; =>      This Inner Loop Header: Depth=4
	v_lshl_add_u64 v[10:11], v[78:79], 0, v[8:9]
	flat_load_ushort v12, v[8:9] nt
	flat_load_ushort v13, v[10:11] nt
	v_sub_u32_e32 v2, v2, v102
	v_cmp_gt_i32_e64 s[22:23], 2, v2
	s_or_b64 s[24:25], s[22:23], s[24:25]
	v_lshl_add_u64 v[10:11], v[88:89], 0, v[8:9]
	v_lshl_add_u64 v[8:9], v[8:9], 0, v[102:103]
	s_waitcnt vmcnt(0) lgkmcnt(0)
	v_lshlrev_b32_e32 v12, 16, v12
	v_lshlrev_b32_e32 v13, 16, v13
	v_max_f32_e32 v12, v12, v12
	v_max_f32_e32 v13, v13, v13
	v_min_f32_e32 v14, v13, v12
	v_max_f32_e32 v12, v13, v12
	v_cndmask_b32_e32 v12, v12, v14, vcc
	v_and_b32_e32 v13, 0x7f800000, v12
	v_bfe_u32 v14, v12, 16, 1
	v_or_b32_e32 v15, 0x10000, v12
	v_cmp_eq_u32_sdwa s[22:23], v12, v3 src0_sel:WORD_0 src1_sel:DWORD
	v_add3_u32 v14, v12, v14, s71
	s_nop 0
	v_cndmask_b32_e64 v12, v15, v12, s[22:23]
	v_cmp_eq_u32_e64 s[22:23], s70, v13
	s_nop 1
	v_cndmask_b32_e64 v12, v14, v12, s[22:23]
	flat_store_short_d16_hi v[10:11], v12 nt
	s_andn2_b64 exec, exec, s[24:25]
	s_cbranch_execnz .LBB21_1720
.LBB21_1721:                            ;   in Loop: Header=BB21_1334 Depth=3
	s_or_b64 exec, exec, s[28:29]
	v_cmp_lt_i32_e64 s[22:23], 0, v73
	s_and_saveexec_b64 s[24:25], s[4:5]
	s_cbranch_execz .LBB21_1410
.LBB21_1722:                            ;   in Loop: Header=BB21_1334 Depth=3
	s_and_saveexec_b64 s[26:27], s[76:77]
	s_xor_b64 s[26:27], exec, s[26:27]
	s_cbranch_execz .LBB21_1737
; %bb.1723:                             ;   in Loop: Header=BB21_1334 Depth=3
	s_and_saveexec_b64 s[28:29], s[12:13]
	s_cbranch_execz .LBB21_1736
; %bb.1724:                             ;   in Loop: Header=BB21_1334 Depth=3
	s_mov_b64 s[42:43], exec
	v_mbcnt_lo_u32_b32 v2, s42, 0
	v_mbcnt_hi_u32_b32 v2, s43, v2
	v_cmp_eq_u32_e32 vcc, 0, v2
	s_waitcnt lgkmcnt(0)
	s_and_saveexec_b64 s[40:41], vcc
	s_cbranch_execz .LBB21_1726
; %bb.1725:                             ;   in Loop: Header=BB21_1334 Depth=3
	s_bcnt1_i32_b64 s42, s[42:43]
	v_mov_b32_e32 v2, s42
	ds_add_u64 v0, v[2:3]
	s_trap 2
.LBB21_1726:                            ;   in Loop: Header=BB21_1334 Depth=3
	s_or_b64 exec, exec, s[40:41]
	s_trap 2
	ds_read_b64 v[8:9], v0
	s_waitcnt lgkmcnt(0)
	v_lshl_add_u64 v[70:71], v[70:71], 0, v[84:85]
	v_cmp_lt_u64_e32 vcc, v[8:9], v[70:71]
	s_and_saveexec_b64 s[40:41], vcc
	s_cbranch_execz .LBB21_1735
; %bb.1727:                             ;   in Loop: Header=BB21_1334 Depth=3
	s_mov_b32 s74, 0
	s_mov_b64 s[42:43], 0
                                        ; implicit-def: $sgpr44_sgpr45
                                        ; implicit-def: $sgpr46_sgpr47
	s_branch .LBB21_1729
.LBB21_1728:                            ;   in Loop: Header=BB21_1729 Depth=4
	s_or_b64 exec, exec, s[58:59]
	s_and_b64 s[56:57], exec, vcc
	s_or_b64 s[42:43], s[56:57], s[42:43]
	s_andn2_b64 s[44:45], s[44:45], exec
	s_and_b64 s[56:57], s[46:47], exec
	s_or_b64 s[44:45], s[44:45], s[56:57]
	s_andn2_b64 exec, exec, s[42:43]
	s_cbranch_execz .LBB21_1733
.LBB21_1729:                            ;   Parent Loop BB21_47 Depth=1
                                        ;     Parent Loop BB21_1331 Depth=2
                                        ;       Parent Loop BB21_1334 Depth=3
                                        ; =>      This Inner Loop Header: Depth=4
	s_add_i32 s74, s74, 1
	s_cmpk_lg_i32 s74, 0x2710
	s_cselect_b64 s[56:57], -1, 0
	s_and_b64 vcc, exec, s[56:57]
	s_cbranch_vccz .LBB21_1731
; %bb.1730:                             ;   in Loop: Header=BB21_1729 Depth=4
	s_mov_b64 vcc, -1
	s_or_b64 s[46:47], s[46:47], exec
	s_and_saveexec_b64 s[58:59], s[56:57]
	s_cbranch_execz .LBB21_1728
	s_branch .LBB21_1732
.LBB21_1731:                            ;   in Loop: Header=BB21_1729 Depth=4
	s_trap 2
	ds_read_b64 v[8:9], v0
	s_andn2_b64 s[56:57], s[56:57], exec
	s_mov_b32 s74, 0
	s_waitcnt vmcnt(0) lgkmcnt(0)
	flat_load_dword v2, v[8:9] sc0 sc1
	s_waitcnt vmcnt(0) lgkmcnt(0)
	buffer_inv sc0 sc1
	v_cmp_eq_u32_e32 vcc, 0, v2
	s_and_b64 s[58:59], vcc, exec
	s_or_b64 s[56:57], s[56:57], s[58:59]
	s_mov_b64 vcc, -1
	s_or_b64 s[46:47], s[46:47], exec
	s_and_saveexec_b64 s[58:59], s[56:57]
	s_cbranch_execz .LBB21_1728
.LBB21_1732:                            ;   in Loop: Header=BB21_1729 Depth=4
	s_sleep 1
	s_trap 2
	ds_read_b64 v[8:9], v0
	s_waitcnt lgkmcnt(0)
	s_andn2_b64 s[46:47], s[46:47], exec
	v_cmp_ge_u64_e32 vcc, v[8:9], v[70:71]
	s_orn2_b64 vcc, vcc, exec
	s_branch .LBB21_1728
.LBB21_1733:                            ;   in Loop: Header=BB21_1334 Depth=3
	s_or_b64 exec, exec, s[42:43]
	s_and_saveexec_b64 s[42:43], s[44:45]
	s_xor_b64 s[42:43], exec, s[42:43]
	s_cbranch_execz .LBB21_1735
; %bb.1734:                             ;   in Loop: Header=BB21_1334 Depth=3
	ds_write_b32 v0, v107
	s_trap 2
.LBB21_1735:                            ;   in Loop: Header=BB21_1334 Depth=3
	s_or_b64 exec, exec, s[40:41]
	;;#ASMSTART
	s_wakeup
	;;#ASMEND
.LBB21_1736:                            ;   in Loop: Header=BB21_1334 Depth=3
	s_or_b64 exec, exec, s[28:29]
.LBB21_1737:                            ;   in Loop: Header=BB21_1334 Depth=3
	s_andn2_saveexec_b64 s[26:27], s[26:27]
	s_cbranch_execz .LBB21_1739
; %bb.1738:                             ;   in Loop: Header=BB21_1334 Depth=3
	s_waitcnt lgkmcnt(0)
	s_barrier
.LBB21_1739:                            ;   in Loop: Header=BB21_1334 Depth=3
	s_or_b64 exec, exec, s[26:27]
	s_or_b64 exec, exec, s[24:25]
                                        ; implicit-def: $vgpr2
	s_and_saveexec_b64 s[24:25], s[20:21]
	s_xor_b64 s[24:25], exec, s[24:25]
	s_cbranch_execnz .LBB21_1411
.LBB21_1740:                            ;   in Loop: Header=BB21_1334 Depth=3
	s_andn2_saveexec_b64 s[22:23], s[24:25]
	s_cbranch_execz .LBB21_1759
.LBB21_1741:                            ;   in Loop: Header=BB21_1334 Depth=3
	s_and_saveexec_b64 s[24:25], s[76:77]
	s_xor_b64 s[24:25], exec, s[24:25]
	s_cbranch_execz .LBB21_1756
; %bb.1742:                             ;   in Loop: Header=BB21_1334 Depth=3
	s_and_saveexec_b64 s[26:27], s[12:13]
	s_cbranch_execz .LBB21_1755
; %bb.1743:                             ;   in Loop: Header=BB21_1334 Depth=3
	s_mov_b64 s[40:41], exec
	v_mbcnt_lo_u32_b32 v2, s40, 0
	v_mbcnt_hi_u32_b32 v2, s41, v2
	v_cmp_eq_u32_e32 vcc, 0, v2
	;;#ASMSTART
	s_waitcnt lgkmcnt(0) vmcnt(0)
	;;#ASMEND
	s_and_saveexec_b64 s[28:29], vcc
	s_cbranch_execz .LBB21_1745
; %bb.1744:                             ;   in Loop: Header=BB21_1334 Depth=3
	s_bcnt1_i32_b64 s40, s[40:41]
	v_mov_b32_e32 v2, s40
	s_waitcnt lgkmcnt(0)
	ds_add_u64 v0, v[2:3]
	s_trap 2
.LBB21_1745:                            ;   in Loop: Header=BB21_1334 Depth=3
	s_or_b64 exec, exec, s[28:29]
	s_trap 2
	ds_read_b64 v[8:9], v0
	s_waitcnt lgkmcnt(0)
	v_lshl_add_u64 v[70:71], v[70:71], 0, v[84:85]
	v_cmp_lt_u64_e32 vcc, v[8:9], v[70:71]
	s_and_saveexec_b64 s[28:29], vcc
	s_cbranch_execz .LBB21_1754
; %bb.1746:                             ;   in Loop: Header=BB21_1334 Depth=3
	s_mov_b32 s74, 0
	s_mov_b64 s[40:41], 0
                                        ; implicit-def: $sgpr42_sgpr43
                                        ; implicit-def: $sgpr44_sgpr45
	s_branch .LBB21_1748
.LBB21_1747:                            ;   in Loop: Header=BB21_1748 Depth=4
	s_or_b64 exec, exec, s[56:57]
	s_and_b64 s[46:47], exec, s[58:59]
	s_or_b64 s[40:41], s[46:47], s[40:41]
	s_andn2_b64 s[42:43], s[42:43], exec
	s_and_b64 s[46:47], s[44:45], exec
	s_or_b64 s[42:43], s[42:43], s[46:47]
	s_andn2_b64 exec, exec, s[40:41]
	s_cbranch_execz .LBB21_1752
.LBB21_1748:                            ;   Parent Loop BB21_47 Depth=1
                                        ;     Parent Loop BB21_1331 Depth=2
                                        ;       Parent Loop BB21_1334 Depth=3
                                        ; =>      This Inner Loop Header: Depth=4
	s_add_i32 s74, s74, 1
	s_cmpk_lg_i32 s74, 0x2710
	s_cselect_b64 s[46:47], -1, 0
	s_and_b64 vcc, exec, s[46:47]
	s_cbranch_vccz .LBB21_1750
; %bb.1749:                             ;   in Loop: Header=BB21_1748 Depth=4
	s_mov_b64 s[58:59], -1
	s_or_b64 s[44:45], s[44:45], exec
	s_and_saveexec_b64 s[56:57], s[46:47]
	s_cbranch_execz .LBB21_1747
	s_branch .LBB21_1751
.LBB21_1750:                            ;   in Loop: Header=BB21_1748 Depth=4
	s_trap 2
	ds_read_b64 v[8:9], v0
	s_andn2_b64 s[46:47], s[46:47], exec
	s_mov_b32 s74, 0
	s_waitcnt vmcnt(0) lgkmcnt(0)
	flat_load_dword v2, v[8:9] sc0 sc1
	s_waitcnt vmcnt(0) lgkmcnt(0)
	buffer_inv sc0 sc1
	v_cmp_eq_u32_e32 vcc, 0, v2
	s_and_b64 s[56:57], vcc, exec
	s_or_b64 s[46:47], s[46:47], s[56:57]
	s_mov_b64 s[58:59], -1
	s_or_b64 s[44:45], s[44:45], exec
	s_and_saveexec_b64 s[56:57], s[46:47]
	s_cbranch_execz .LBB21_1747
.LBB21_1751:                            ;   in Loop: Header=BB21_1748 Depth=4
	s_sleep 1
	s_trap 2
	ds_read_b64 v[8:9], v0
	s_waitcnt lgkmcnt(0)
	s_andn2_b64 s[44:45], s[44:45], exec
	v_cmp_ge_u64_e32 vcc, v[8:9], v[70:71]
	s_orn2_b64 s[58:59], vcc, exec
	s_branch .LBB21_1747
.LBB21_1752:                            ;   in Loop: Header=BB21_1334 Depth=3
	s_or_b64 exec, exec, s[40:41]
	s_and_saveexec_b64 s[40:41], s[42:43]
	s_xor_b64 s[40:41], exec, s[40:41]
	s_cbranch_execz .LBB21_1754
; %bb.1753:                             ;   in Loop: Header=BB21_1334 Depth=3
	ds_write_b32 v0, v107
	s_trap 2
.LBB21_1754:                            ;   in Loop: Header=BB21_1334 Depth=3
	s_or_b64 exec, exec, s[28:29]
	;;#ASMSTART
	s_wakeup
	;;#ASMEND
.LBB21_1755:                            ;   in Loop: Header=BB21_1334 Depth=3
	s_or_b64 exec, exec, s[26:27]
.LBB21_1756:                            ;   in Loop: Header=BB21_1334 Depth=3
	s_andn2_saveexec_b64 s[24:25], s[24:25]
	s_cbranch_execz .LBB21_1758
; %bb.1757:                             ;   in Loop: Header=BB21_1334 Depth=3
	;;#ASMSTART
	s_waitcnt lgkmcnt(0) vmcnt(0)
	;;#ASMEND
	s_barrier
.LBB21_1758:                            ;   in Loop: Header=BB21_1334 Depth=3
	s_or_b64 exec, exec, s[24:25]
	v_and_b32_e32 v2, 16, v104
.LBB21_1759:                            ;   in Loop: Header=BB21_1334 Depth=3
	s_or_b64 exec, exec, s[22:23]
	v_cmp_ne_u32_e32 vcc, 0, v2
	s_xor_b64 s[22:23], s[6:7], -1
	s_and_b64 s[24:25], vcc, s[22:23]
	s_and_saveexec_b64 s[22:23], s[24:25]
	s_cbranch_execz .LBB21_1761
; %bb.1760:                             ;   in Loop: Header=BB21_1334 Depth=3
	flat_store_dword v[68:69], v107 sc0 sc1
.LBB21_1761:                            ;   in Loop: Header=BB21_1334 Depth=3
	s_or_b64 exec, exec, s[22:23]
	v_and_b32_e32 v2, 48, v104
	v_cmp_ne_u32_e32 vcc, 0, v2
	s_and_saveexec_b64 s[22:23], vcc
	s_cbranch_execz .LBB21_1333
; %bb.1762:                             ;   in Loop: Header=BB21_1334 Depth=3
	v_lshl_add_u64 v[58:59], v[58:59], 0, 2
	flat_store_dwordx2 v[64:65], v[58:59] sc0 sc1
	s_branch .LBB21_1333
.LBB21_1763:                            ;   in Loop: Header=BB21_1331 Depth=2
	s_or_b64 exec, exec, s[60:61]
	v_cmp_gt_i32_e32 vcc, 2, v2
	s_and_saveexec_b64 s[24:25], vcc
	s_cbranch_execz .LBB21_1839
.LBB21_1764:                            ;   in Loop: Header=BB21_1331 Depth=2
	v_cmp_eq_u32_e64 s[28:29], 0, v2
	s_mov_b64 s[26:27], 0
	s_branch .LBB21_1766
.LBB21_1765:                            ;   in Loop: Header=BB21_1766 Depth=3
	s_or_b64 exec, exec, s[22:23]
	v_add_u32_e32 v74, v72, v74
	s_mov_b64 s[28:29], 0
	s_andn2_b64 exec, exec, s[26:27]
	s_cbranch_execz .LBB21_1840
.LBB21_1766:                            ;   Parent Loop BB21_47 Depth=1
                                        ;     Parent Loop BB21_1331 Depth=2
                                        ; =>    This Loop Header: Depth=3
                                        ;         Child Loop BB21_1772 Depth 4
                                        ;         Child Loop BB21_1800 Depth 4
	;; [unrolled: 1-line block ×3, first 2 shown]
	v_sub_u32_e32 v2, v92, v74
	v_min_i32_e32 v72, v72, v2
	v_and_b32_e32 v2, 12, v104
	v_cmp_ne_u32_e32 vcc, 0, v2
	s_and_saveexec_b64 s[40:41], vcc
	s_cbranch_execz .LBB21_1792
; %bb.1767:                             ;   in Loop: Header=BB21_1766 Depth=3
	v_and_b32_e32 v2, 8, v104
	s_waitcnt vmcnt(0) lgkmcnt(0)
	v_lshl_add_u64 v[10:11], v[80:81], 0, v[2:3]
	v_lshl_add_u64 v[8:9], v[58:59], 0, 2
	v_cmp_lt_u64_e32 vcc, v[10:11], v[8:9]
	s_and_saveexec_b64 s[42:43], vcc
	s_cbranch_execz .LBB21_1779
; %bb.1768:                             ;   in Loop: Header=BB21_1766 Depth=3
	v_and_b32_e32 v10, 64, v104
	s_mov_b32 s74, 0
	v_cmp_eq_u32_e32 vcc, 0, v10
	s_mov_b64 s[44:45], 0
                                        ; implicit-def: $sgpr46_sgpr47
                                        ; implicit-def: $sgpr56_sgpr57
                                        ; implicit-def: $sgpr58_sgpr59
	s_branch .LBB21_1772
.LBB21_1769:                            ;   in Loop: Header=BB21_1772 Depth=4
	s_waitcnt vmcnt(0) lgkmcnt(0)
	v_lshl_add_u64 v[12:13], v[80:81], 0, v[2:3]
	v_cmp_ge_u64_e64 s[22:23], v[12:13], v[8:9]
	s_or_b64 s[48:49], s[48:49], exec
	s_orn2_b64 s[38:39], s[22:23], exec
.LBB21_1770:                            ;   in Loop: Header=BB21_1772 Depth=4
	s_or_b64 exec, exec, s[52:53]
	s_andn2_b64 s[22:23], s[58:59], exec
	s_and_b64 s[58:59], s[48:49], exec
	s_or_b64 s[58:59], s[22:23], s[58:59]
	s_andn2_b64 s[22:23], s[56:57], exec
	s_and_b64 s[56:57], s[38:39], exec
	s_or_b64 s[56:57], s[22:23], s[56:57]
.LBB21_1771:                            ;   in Loop: Header=BB21_1772 Depth=4
	s_or_b64 exec, exec, s[60:61]
	s_and_b64 s[22:23], exec, s[56:57]
	s_or_b64 s[44:45], s[22:23], s[44:45]
	s_andn2_b64 s[22:23], s[46:47], exec
	s_and_b64 s[46:47], s[58:59], exec
	s_or_b64 s[46:47], s[22:23], s[46:47]
	s_andn2_b64 exec, exec, s[44:45]
	s_cbranch_execz .LBB21_1776
.LBB21_1772:                            ;   Parent Loop BB21_47 Depth=1
                                        ;     Parent Loop BB21_1331 Depth=2
                                        ;       Parent Loop BB21_1766 Depth=3
                                        ; =>      This Inner Loop Header: Depth=4
	s_sleep 1
	s_waitcnt vmcnt(0) lgkmcnt(0)
	flat_load_dwordx2 v[80:81], v[64:65] sc0 sc1
	s_or_b64 s[58:59], s[58:59], exec
	s_or_b64 s[56:57], s[56:57], exec
                                        ; implicit-def: $vgpr10
	s_and_saveexec_b64 s[60:61], vcc
	s_cbranch_execz .LBB21_1771
; %bb.1773:                             ;   in Loop: Header=BB21_1772 Depth=4
	s_cmpk_lt_i32 s74, 0x270f
	s_cselect_b64 s[50:51], -1, 0
	s_cmpk_gt_i32 s74, 0x270e
	s_mov_b64 s[38:39], -1
	s_cbranch_scc0 .LBB21_1775
; %bb.1774:                             ;   in Loop: Header=BB21_1772 Depth=4
	s_trap 2
	ds_read_b64 v[10:11], v0
	s_andn2_b64 s[50:51], s[50:51], exec
	s_mov_b32 s74, 0
	s_mov_b64 s[48:49], 0
	s_waitcnt vmcnt(0) lgkmcnt(0)
	flat_load_dword v10, v[10:11] sc0 sc1
	s_waitcnt vmcnt(0) lgkmcnt(0)
	buffer_inv sc0 sc1
	v_cmp_eq_u32_e64 s[22:23], 0, v10
	s_and_b64 s[22:23], s[22:23], exec
	s_or_b64 s[50:51], s[50:51], s[22:23]
	s_and_saveexec_b64 s[52:53], s[50:51]
	s_cbranch_execz .LBB21_1770
	s_branch .LBB21_1769
.LBB21_1775:                            ;   in Loop: Header=BB21_1772 Depth=4
	s_add_i32 s74, s74, 1
	s_mov_b64 s[48:49], -1
                                        ; implicit-def: $vgpr10
	s_and_saveexec_b64 s[52:53], s[50:51]
	s_cbranch_execz .LBB21_1770
	s_branch .LBB21_1769
.LBB21_1776:                            ;   in Loop: Header=BB21_1766 Depth=3
	s_or_b64 exec, exec, s[44:45]
	s_xor_b64 s[22:23], s[46:47], -1
	s_and_saveexec_b64 s[44:45], s[22:23]
	s_xor_b64 s[22:23], exec, s[44:45]
	s_cbranch_execz .LBB21_1778
; %bb.1777:                             ;   in Loop: Header=BB21_1766 Depth=3
	v_or_b32_e32 v104, 64, v104
	s_waitcnt lgkmcnt(0)
	ds_write_b32 v0, v10
	s_trap 2
.LBB21_1778:                            ;   in Loop: Header=BB21_1766 Depth=3
	s_or_b64 exec, exec, s[22:23]
.LBB21_1779:                            ;   in Loop: Header=BB21_1766 Depth=3
	s_or_b64 exec, exec, s[42:43]
	v_and_b32_e32 v10, 0x108, v104
	v_cmp_ne_u32_e32 vcc, s69, v10
	;;#ASMSTART
	s_wakeup
	;;#ASMEND
                                        ; implicit-def: $vgpr10_vgpr11
	s_and_saveexec_b64 s[22:23], vcc
	s_xor_b64 s[22:23], exec, s[22:23]
; %bb.1780:                             ;   in Loop: Header=BB21_1766 Depth=3
	v_and_b32_e32 v10, 7, v58
	v_mov_b32_e32 v11, v3
                                        ; implicit-def: $vgpr58_vgpr59
; %bb.1781:                             ;   in Loop: Header=BB21_1766 Depth=3
	s_andn2_saveexec_b64 s[22:23], s[22:23]
	s_cbranch_execz .LBB21_1783
; %bb.1782:                             ;   in Loop: Header=BB21_1766 Depth=3
	v_and_b32_e32 v10, 7, v58
	v_ashrrev_i32_e32 v73, 31, v72
	v_mov_b32_e32 v11, v3
	v_mad_u64_u32 v[12:13], s[42:43], v10, 24, v[6:7]
	v_lshlrev_b64 v[14:15], 1, v[72:73]
	flat_store_dwordx2 v[12:13], v[14:15] offset:8
.LBB21_1783:                            ;   in Loop: Header=BB21_1766 Depth=3
	s_or_b64 exec, exec, s[22:23]
	v_and_b32_e32 v12, 0x100, v104
	v_cmp_ne_u32_e32 vcc, 0, v12
	s_mov_b64 s[22:23], -1
                                        ; implicit-def: $vgpr12_vgpr13
	s_and_saveexec_b64 s[42:43], vcc
	s_cbranch_execz .LBB21_1787
; %bb.1784:                             ;   in Loop: Header=BB21_1766 Depth=3
	v_mad_u64_u32 v[14:15], s[22:23], v10, 24, v[6:7]
	v_mov_b32_e32 v12, v15
	v_mad_u64_u32 v[12:13], s[22:23], v11, 24, v[12:13]
	v_mov_b32_e32 v15, v12
	flat_load_dword v12, v[14:15]
	s_waitcnt vmcnt(0) lgkmcnt(0)
	v_cmp_ne_u32_e32 vcc, 1, v12
	v_cmp_eq_u32_e64 s[22:23], 1, v12
                                        ; implicit-def: $vgpr12_vgpr13
	s_and_saveexec_b64 s[44:45], s[22:23]
	s_cbranch_execz .LBB21_1786
; %bb.1785:                             ;   in Loop: Header=BB21_1766 Depth=3
	flat_load_dword v12, v[14:15] offset:4 sc0 sc1
	s_waitcnt vmcnt(0) lgkmcnt(0)
	v_ashrrev_i32_e32 v13, 31, v12
	v_lshrrev_b64 v[12:13], 1, v[12:13]
.LBB21_1786:                            ;   in Loop: Header=BB21_1766 Depth=3
	s_or_b64 exec, exec, s[44:45]
	s_orn2_b64 s[22:23], vcc, exec
.LBB21_1787:                            ;   in Loop: Header=BB21_1766 Depth=3
	s_or_b64 exec, exec, s[42:43]
	s_and_saveexec_b64 s[42:43], s[22:23]
; %bb.1788:                             ;   in Loop: Header=BB21_1766 Depth=3
	v_mul_lo_u32 v11, v11, v30
	v_mul_lo_u32 v14, v10, v83
	v_mad_u64_u32 v[12:13], s[22:23], v10, v30, 0
	v_add3_u32 v13, v13, v14, v11
; %bb.1789:                             ;   in Loop: Header=BB21_1766 Depth=3
	s_or_b64 exec, exec, s[42:43]
	v_cmp_eq_u32_e32 vcc, 0, v2
	v_lshl_add_u64 v[10:11], v[12:13], 1, v[66:67]
	s_nop 0
	v_cndmask_b32_e32 v2, v110, v111, vcc
	v_add_u32_e32 v2, v0, v2
	ds_write_b64 v2, v[10:11] offset:584
	v_and_b32_e32 v2, 0x2000, v104
	v_cmp_ne_u32_e32 vcc, 0, v2
	s_and_saveexec_b64 s[22:23], vcc
	s_cbranch_execz .LBB21_1791
; %bb.1790:                             ;   in Loop: Header=BB21_1766 Depth=3
	ds_read_b64 v[10:11], v0 offset:872
	s_waitcnt lgkmcnt(0)
	v_lshl_add_u64 v[10:11], v[10:11], 0, 1
	ds_write_b64 v0, v[10:11] offset:872
.LBB21_1791:                            ;   in Loop: Header=BB21_1766 Depth=3
	s_or_b64 exec, exec, s[22:23]
	v_mov_b64_e32 v[58:59], v[8:9]
.LBB21_1792:                            ;   in Loop: Header=BB21_1766 Depth=3
	s_or_b64 exec, exec, s[40:41]
	s_xor_b64 s[22:23], s[28:29], -1
	s_and_b64 s[22:23], exec, s[22:23]
	s_or_b64 s[26:27], s[22:23], s[26:27]
	s_and_saveexec_b64 s[22:23], s[4:5]
	s_cbranch_execz .LBB21_1811
; %bb.1793:                             ;   in Loop: Header=BB21_1766 Depth=3
	s_and_saveexec_b64 s[28:29], s[76:77]
	s_xor_b64 s[28:29], exec, s[28:29]
	s_cbranch_execz .LBB21_1808
; %bb.1794:                             ;   in Loop: Header=BB21_1766 Depth=3
	s_and_saveexec_b64 s[40:41], s[12:13]
	s_cbranch_execz .LBB21_1807
; %bb.1795:                             ;   in Loop: Header=BB21_1766 Depth=3
	s_mov_b64 s[44:45], exec
	v_mbcnt_lo_u32_b32 v2, s44, 0
	v_mbcnt_hi_u32_b32 v2, s45, v2
	v_cmp_eq_u32_e32 vcc, 0, v2
	s_waitcnt lgkmcnt(0)
	s_and_saveexec_b64 s[42:43], vcc
	s_cbranch_execz .LBB21_1797
; %bb.1796:                             ;   in Loop: Header=BB21_1766 Depth=3
	s_bcnt1_i32_b64 s44, s[44:45]
	v_mov_b32_e32 v2, s44
	ds_add_u64 v0, v[2:3]
	s_trap 2
.LBB21_1797:                            ;   in Loop: Header=BB21_1766 Depth=3
	s_or_b64 exec, exec, s[42:43]
	s_trap 2
	ds_read_b64 v[8:9], v0
	s_waitcnt lgkmcnt(0)
	v_lshl_add_u64 v[70:71], v[70:71], 0, v[84:85]
	v_cmp_lt_u64_e32 vcc, v[8:9], v[70:71]
	s_and_saveexec_b64 s[42:43], vcc
	s_cbranch_execz .LBB21_1806
; %bb.1798:                             ;   in Loop: Header=BB21_1766 Depth=3
	s_mov_b32 s74, 0
	s_mov_b64 s[44:45], 0
                                        ; implicit-def: $sgpr46_sgpr47
                                        ; implicit-def: $sgpr56_sgpr57
	s_branch .LBB21_1800
.LBB21_1799:                            ;   in Loop: Header=BB21_1800 Depth=4
	s_or_b64 exec, exec, s[60:61]
	s_and_b64 s[58:59], exec, vcc
	s_or_b64 s[44:45], s[58:59], s[44:45]
	s_andn2_b64 s[46:47], s[46:47], exec
	s_and_b64 s[58:59], s[56:57], exec
	s_or_b64 s[46:47], s[46:47], s[58:59]
	s_andn2_b64 exec, exec, s[44:45]
	s_cbranch_execz .LBB21_1804
.LBB21_1800:                            ;   Parent Loop BB21_47 Depth=1
                                        ;     Parent Loop BB21_1331 Depth=2
                                        ;       Parent Loop BB21_1766 Depth=3
                                        ; =>      This Inner Loop Header: Depth=4
	s_add_i32 s74, s74, 1
	s_cmpk_lg_i32 s74, 0x2710
	s_cselect_b64 s[58:59], -1, 0
	s_and_b64 vcc, exec, s[58:59]
	s_cbranch_vccz .LBB21_1802
; %bb.1801:                             ;   in Loop: Header=BB21_1800 Depth=4
	s_mov_b64 vcc, -1
	s_or_b64 s[56:57], s[56:57], exec
	s_and_saveexec_b64 s[60:61], s[58:59]
	s_cbranch_execz .LBB21_1799
	s_branch .LBB21_1803
.LBB21_1802:                            ;   in Loop: Header=BB21_1800 Depth=4
	s_trap 2
	ds_read_b64 v[8:9], v0
	s_andn2_b64 s[58:59], s[58:59], exec
	s_mov_b32 s74, 0
	s_waitcnt vmcnt(0) lgkmcnt(0)
	flat_load_dword v2, v[8:9] sc0 sc1
	s_waitcnt vmcnt(0) lgkmcnt(0)
	buffer_inv sc0 sc1
	v_cmp_eq_u32_e32 vcc, 0, v2
	s_and_b64 s[60:61], vcc, exec
	s_or_b64 s[58:59], s[58:59], s[60:61]
	s_mov_b64 vcc, -1
	s_or_b64 s[56:57], s[56:57], exec
	s_and_saveexec_b64 s[60:61], s[58:59]
	s_cbranch_execz .LBB21_1799
.LBB21_1803:                            ;   in Loop: Header=BB21_1800 Depth=4
	s_sleep 1
	s_trap 2
	ds_read_b64 v[8:9], v0
	s_waitcnt lgkmcnt(0)
	s_andn2_b64 s[56:57], s[56:57], exec
	v_cmp_ge_u64_e32 vcc, v[8:9], v[70:71]
	s_orn2_b64 vcc, vcc, exec
	s_branch .LBB21_1799
.LBB21_1804:                            ;   in Loop: Header=BB21_1766 Depth=3
	s_or_b64 exec, exec, s[44:45]
	s_and_saveexec_b64 s[44:45], s[46:47]
	s_xor_b64 s[44:45], exec, s[44:45]
	s_cbranch_execz .LBB21_1806
; %bb.1805:                             ;   in Loop: Header=BB21_1766 Depth=3
	ds_write_b32 v0, v107
	s_trap 2
.LBB21_1806:                            ;   in Loop: Header=BB21_1766 Depth=3
	s_or_b64 exec, exec, s[42:43]
	;;#ASMSTART
	s_wakeup
	;;#ASMEND
.LBB21_1807:                            ;   in Loop: Header=BB21_1766 Depth=3
	s_or_b64 exec, exec, s[40:41]
.LBB21_1808:                            ;   in Loop: Header=BB21_1766 Depth=3
	s_andn2_saveexec_b64 s[28:29], s[28:29]
	s_cbranch_execz .LBB21_1810
; %bb.1809:                             ;   in Loop: Header=BB21_1766 Depth=3
	s_waitcnt lgkmcnt(0)
	s_barrier
.LBB21_1810:                            ;   in Loop: Header=BB21_1766 Depth=3
	s_or_b64 exec, exec, s[28:29]
.LBB21_1811:                            ;   in Loop: Header=BB21_1766 Depth=3
	s_or_b64 exec, exec, s[22:23]
                                        ; implicit-def: $vgpr2
	s_and_saveexec_b64 s[22:23], s[20:21]
	s_xor_b64 s[22:23], exec, s[22:23]
	s_cbranch_execz .LBB21_1815
; %bb.1812:                             ;   in Loop: Header=BB21_1766 Depth=3
	s_trap 2
	ds_read_b32 v8, v0
	v_cmp_lt_i32_e32 vcc, 0, v72
	v_and_b32_e32 v9, 16, v104
	v_and_b32_e32 v2, 16, v104
	s_waitcnt lgkmcnt(0)
	v_readfirstlane_b32 s28, v8
	s_cmp_eq_u32 s28, 0
	s_cselect_b64 s[28:29], -1, 0
	s_and_b64 s[28:29], vcc, s[28:29]
	v_cmp_ne_u32_e32 vcc, 0, v9
	s_and_b64 s[40:41], vcc, s[28:29]
	s_and_saveexec_b64 s[28:29], s[40:41]
	s_cbranch_execz .LBB21_1814
; %bb.1813:                             ;   in Loop: Header=BB21_1766 Depth=3
	v_mov_b32_e32 v2, 1
	buffer_wbl2 sc1
	s_waitcnt vmcnt(0)
	buffer_inv sc1
.LBB21_1814:                            ;   in Loop: Header=BB21_1766 Depth=3
	s_or_b64 exec, exec, s[28:29]
	s_andn2_saveexec_b64 s[22:23], s[22:23]
	s_cbranch_execz .LBB21_1834
	s_branch .LBB21_1816
.LBB21_1815:                            ;   in Loop: Header=BB21_1766 Depth=3
	s_andn2_saveexec_b64 s[22:23], s[22:23]
	s_cbranch_execz .LBB21_1834
.LBB21_1816:                            ;   in Loop: Header=BB21_1766 Depth=3
	s_and_saveexec_b64 s[28:29], s[76:77]
	s_xor_b64 s[28:29], exec, s[28:29]
	s_cbranch_execz .LBB21_1831
; %bb.1817:                             ;   in Loop: Header=BB21_1766 Depth=3
	s_and_saveexec_b64 s[40:41], s[12:13]
	s_cbranch_execz .LBB21_1830
; %bb.1818:                             ;   in Loop: Header=BB21_1766 Depth=3
	s_mov_b64 s[44:45], exec
	v_mbcnt_lo_u32_b32 v2, s44, 0
	v_mbcnt_hi_u32_b32 v2, s45, v2
	v_cmp_eq_u32_e32 vcc, 0, v2
	;;#ASMSTART
	s_waitcnt lgkmcnt(0) vmcnt(0)
	;;#ASMEND
	s_and_saveexec_b64 s[42:43], vcc
	s_cbranch_execz .LBB21_1820
; %bb.1819:                             ;   in Loop: Header=BB21_1766 Depth=3
	s_bcnt1_i32_b64 s44, s[44:45]
	v_mov_b32_e32 v2, s44
	s_waitcnt lgkmcnt(0)
	ds_add_u64 v0, v[2:3]
	s_trap 2
.LBB21_1820:                            ;   in Loop: Header=BB21_1766 Depth=3
	s_or_b64 exec, exec, s[42:43]
	s_trap 2
	ds_read_b64 v[8:9], v0
	s_waitcnt lgkmcnt(0)
	v_lshl_add_u64 v[70:71], v[70:71], 0, v[84:85]
	v_cmp_lt_u64_e32 vcc, v[8:9], v[70:71]
	s_and_saveexec_b64 s[42:43], vcc
	s_cbranch_execz .LBB21_1829
; %bb.1821:                             ;   in Loop: Header=BB21_1766 Depth=3
	s_mov_b32 s74, 0
	s_mov_b64 s[44:45], 0
                                        ; implicit-def: $sgpr46_sgpr47
                                        ; implicit-def: $sgpr56_sgpr57
	s_branch .LBB21_1823
.LBB21_1822:                            ;   in Loop: Header=BB21_1823 Depth=4
	s_or_b64 exec, exec, s[60:61]
	s_and_b64 s[58:59], exec, vcc
	s_or_b64 s[44:45], s[58:59], s[44:45]
	s_andn2_b64 s[46:47], s[46:47], exec
	s_and_b64 s[58:59], s[56:57], exec
	s_or_b64 s[46:47], s[46:47], s[58:59]
	s_andn2_b64 exec, exec, s[44:45]
	s_cbranch_execz .LBB21_1827
.LBB21_1823:                            ;   Parent Loop BB21_47 Depth=1
                                        ;     Parent Loop BB21_1331 Depth=2
                                        ;       Parent Loop BB21_1766 Depth=3
                                        ; =>      This Inner Loop Header: Depth=4
	s_add_i32 s74, s74, 1
	s_cmpk_lg_i32 s74, 0x2710
	s_cselect_b64 s[58:59], -1, 0
	s_and_b64 vcc, exec, s[58:59]
	s_cbranch_vccz .LBB21_1825
; %bb.1824:                             ;   in Loop: Header=BB21_1823 Depth=4
	s_mov_b64 vcc, -1
	s_or_b64 s[56:57], s[56:57], exec
	s_and_saveexec_b64 s[60:61], s[58:59]
	s_cbranch_execz .LBB21_1822
	s_branch .LBB21_1826
.LBB21_1825:                            ;   in Loop: Header=BB21_1823 Depth=4
	s_trap 2
	ds_read_b64 v[8:9], v0
	s_andn2_b64 s[58:59], s[58:59], exec
	s_mov_b32 s74, 0
	s_waitcnt vmcnt(0) lgkmcnt(0)
	flat_load_dword v2, v[8:9] sc0 sc1
	s_waitcnt vmcnt(0) lgkmcnt(0)
	buffer_inv sc0 sc1
	v_cmp_eq_u32_e32 vcc, 0, v2
	s_and_b64 s[60:61], vcc, exec
	s_or_b64 s[58:59], s[58:59], s[60:61]
	s_mov_b64 vcc, -1
	s_or_b64 s[56:57], s[56:57], exec
	s_and_saveexec_b64 s[60:61], s[58:59]
	s_cbranch_execz .LBB21_1822
.LBB21_1826:                            ;   in Loop: Header=BB21_1823 Depth=4
	s_sleep 1
	s_trap 2
	ds_read_b64 v[8:9], v0
	s_waitcnt lgkmcnt(0)
	s_andn2_b64 s[56:57], s[56:57], exec
	v_cmp_ge_u64_e32 vcc, v[8:9], v[70:71]
	s_orn2_b64 vcc, vcc, exec
	s_branch .LBB21_1822
.LBB21_1827:                            ;   in Loop: Header=BB21_1766 Depth=3
	s_or_b64 exec, exec, s[44:45]
	s_and_saveexec_b64 s[44:45], s[46:47]
	s_xor_b64 s[44:45], exec, s[44:45]
	s_cbranch_execz .LBB21_1829
; %bb.1828:                             ;   in Loop: Header=BB21_1766 Depth=3
	ds_write_b32 v0, v107
	s_trap 2
.LBB21_1829:                            ;   in Loop: Header=BB21_1766 Depth=3
	s_or_b64 exec, exec, s[42:43]
	;;#ASMSTART
	s_wakeup
	;;#ASMEND
.LBB21_1830:                            ;   in Loop: Header=BB21_1766 Depth=3
	s_or_b64 exec, exec, s[40:41]
.LBB21_1831:                            ;   in Loop: Header=BB21_1766 Depth=3
	s_andn2_saveexec_b64 s[28:29], s[28:29]
	s_cbranch_execz .LBB21_1833
; %bb.1832:                             ;   in Loop: Header=BB21_1766 Depth=3
	;;#ASMSTART
	s_waitcnt lgkmcnt(0) vmcnt(0)
	;;#ASMEND
	s_barrier
.LBB21_1833:                            ;   in Loop: Header=BB21_1766 Depth=3
	s_or_b64 exec, exec, s[28:29]
	v_and_b32_e32 v2, 16, v104
.LBB21_1834:                            ;   in Loop: Header=BB21_1766 Depth=3
	s_or_b64 exec, exec, s[22:23]
	v_cmp_ne_u32_e32 vcc, 0, v2
	s_xor_b64 s[22:23], s[6:7], -1
	s_and_b64 s[28:29], vcc, s[22:23]
	s_and_saveexec_b64 s[22:23], s[28:29]
	s_cbranch_execz .LBB21_1836
; %bb.1835:                             ;   in Loop: Header=BB21_1766 Depth=3
	flat_store_dword v[68:69], v107 sc0 sc1
.LBB21_1836:                            ;   in Loop: Header=BB21_1766 Depth=3
	s_or_b64 exec, exec, s[22:23]
	v_and_b32_e32 v2, 48, v104
	v_cmp_ne_u32_e32 vcc, 0, v2
	s_and_saveexec_b64 s[22:23], vcc
	s_cbranch_execz .LBB21_1765
; %bb.1837:                             ;   in Loop: Header=BB21_1766 Depth=3
	v_lshl_add_u64 v[58:59], v[58:59], 0, 2
	flat_store_dwordx2 v[64:65], v[58:59] sc0 sc1
	s_branch .LBB21_1765
.LBB21_1838:                            ;   in Loop: Header=BB21_1331 Depth=2
	s_or_b64 exec, exec, s[38:39]
	s_or_b64 exec, exec, s[60:61]
	v_cmp_gt_i32_e32 vcc, 2, v2
	s_and_saveexec_b64 s[24:25], vcc
	s_cbranch_execnz .LBB21_1764
.LBB21_1839:                            ;   in Loop: Header=BB21_1331 Depth=2
	s_or_b64 exec, exec, s[24:25]
	s_add_i32 s22, s64, 1
	s_cmp_eq_u32 s64, s85
	s_cbranch_scc0 .LBB21_1841
	s_branch .LBB21_1842
.LBB21_1840:                            ;   in Loop: Header=BB21_1331 Depth=2
	s_or_b64 exec, exec, s[26:27]
	s_or_b64 exec, exec, s[24:25]
	s_add_i32 s22, s64, 1
	s_cmp_eq_u32 s64, s85
	s_cbranch_scc1 .LBB21_1842
.LBB21_1841:                            ;   in Loop: Header=BB21_1331 Depth=2
	s_mov_b32 s64, s22
	s_branch .LBB21_1331
.LBB21_1842:                            ;   in Loop: Header=BB21_47 Depth=1
	v_mul_lo_u32 v2, v57, s86
	v_mul_lo_u32 v10, v56, s87
	v_mad_u64_u32 v[8:9], s[22:23], v56, s86, 0
	v_add3_u32 v9, v9, v10, v2
	v_sub_co_u32_e32 v10, vcc, v60, v8
	v_mov_b32_e32 v2, 0
	s_nop 0
	v_subb_co_u32_e32 v11, vcc, v61, v9, vcc
	v_cmp_lt_i64_e32 vcc, v[56:57], v[10:11]
	v_mov_b32_e32 v60, 0
	s_nop 0
	v_cndmask_b32_e32 v10, v10, v56, vcc
	v_max_i32_e32 v92, 0, v10
	v_add_u32_e32 v11, 31, v92
	v_ashrrev_i32_e32 v12, 31, v11
	v_lshrrev_b32_e32 v12, 27, v12
	v_add_u32_e32 v11, v11, v12
	v_ashrrev_i32_e32 v11, 5, v11
	v_lshlrev_b32_e32 v11, 4, v11
	v_cmp_lt_i32_e32 vcc, 0, v10
	v_max_i32_e32 v93, s84, v11
	s_and_b64 s[22:23], s[34:35], vcc
	s_and_saveexec_b64 s[58:59], s[22:23]
	s_cbranch_execz .LBB21_2140
; %bb.1843:                             ;   in Loop: Header=BB21_47 Depth=1
	v_lshl_add_u64 v[8:9], v[8:9], 0, v[62:63]
	s_mov_b32 s54, 1
	s_mov_b64 s[38:39], -1
	v_mov_b32_e32 v60, 0
	s_mov_b64 s[60:61], 0
	v_lshlrev_b64 v[62:63], 1, v[8:9]
	s_branch .LBB21_1845
.LBB21_1844:                            ;   in Loop: Header=BB21_1845 Depth=2
	s_or_b64 exec, exec, s[22:23]
	v_add_u32_e32 v60, v93, v60
	v_cmp_ge_i32_e32 vcc, v60, v92
	s_xor_b64 s[22:23], s[38:39], -1
	s_or_b64 s[22:23], s[22:23], vcc
	s_and_b64 s[22:23], exec, s[22:23]
	s_or_b64 s[60:61], s[22:23], s[60:61]
	s_mov_b64 s[38:39], 0
	v_mov_b32_e32 v2, s54
	s_mov_b32 s54, 2
	s_andn2_b64 exec, exec, s[60:61]
	s_cbranch_execz .LBB21_2139
.LBB21_1845:                            ;   Parent Loop BB21_47 Depth=1
                                        ; =>  This Loop Header: Depth=2
                                        ;       Child Loop BB21_1853 Depth 3
                                        ;       Child Loop BB21_1877 Depth 3
	;; [unrolled: 1-line block ×9, first 2 shown]
	s_and_saveexec_b64 s[22:23], s[0:1]
	s_cbranch_execz .LBB21_1847
; %bb.1846:                             ;   in Loop: Header=BB21_1845 Depth=2
	s_trap 2
	ds_read_b128 v[8:11], v0
	v_ashrrev_i32_e32 v61, 31, v60
	v_lshlrev_b64 v[12:13], 1, v[60:61]
	s_waitcnt lgkmcnt(0)
	v_lshl_add_u64 v[8:9], v[8:9], 0, v[62:63]
	v_lshl_add_u64 v[14:15], v[10:11], 0, v[62:63]
	v_lshl_add_u64 v[8:9], v[8:9], 0, v[12:13]
	ds_write_b64 v0, v[8:9]
	v_lshl_add_u64 v[8:9], v[14:15], 0, v[12:13]
	v_cmp_ne_u64_e32 vcc, 0, v[10:11]
	s_nop 1
	v_cndmask_b32_e32 v9, 0, v9, vcc
	v_cndmask_b32_e32 v8, 0, v8, vcc
	ds_write_b64 v0, v[8:9]
.LBB21_1847:                            ;   in Loop: Header=BB21_1845 Depth=2
	s_or_b64 exec, exec, s[22:23]
	v_and_b32_e32 v2, 4, v104
	v_cmp_ne_u32_e32 vcc, 0, v2
	s_and_saveexec_b64 s[24:25], vcc
	s_cbranch_execz .LBB21_1869
; %bb.1848:                             ;   in Loop: Header=BB21_1845 Depth=2
	v_lshl_add_u64 v[8:9], v[58:59], 0, 2
	s_waitcnt vmcnt(0) lgkmcnt(0)
	v_cmp_lt_u64_e32 vcc, v[80:81], v[8:9]
	s_and_saveexec_b64 s[26:27], vcc
	s_cbranch_execz .LBB21_1860
; %bb.1849:                             ;   in Loop: Header=BB21_1845 Depth=2
	v_and_b32_e32 v2, 64, v104
	s_mov_b32 s74, 0
	v_cmp_eq_u32_e32 vcc, 0, v2
	s_mov_b64 s[28:29], 0
                                        ; implicit-def: $sgpr40_sgpr41
                                        ; implicit-def: $sgpr42_sgpr43
                                        ; implicit-def: $sgpr44_sgpr45
	s_branch .LBB21_1853
.LBB21_1850:                            ;   in Loop: Header=BB21_1853 Depth=3
	s_waitcnt vmcnt(0) lgkmcnt(0)
	v_cmp_ge_u64_e64 s[22:23], v[80:81], v[8:9]
	s_or_b64 s[48:49], s[48:49], exec
	s_orn2_b64 s[56:57], s[22:23], exec
.LBB21_1851:                            ;   in Loop: Header=BB21_1853 Depth=3
	s_or_b64 exec, exec, s[52:53]
	s_andn2_b64 s[22:23], s[44:45], exec
	s_and_b64 s[44:45], s[48:49], exec
	s_or_b64 s[44:45], s[22:23], s[44:45]
	s_andn2_b64 s[22:23], s[42:43], exec
	s_and_b64 s[42:43], s[56:57], exec
	s_or_b64 s[42:43], s[22:23], s[42:43]
.LBB21_1852:                            ;   in Loop: Header=BB21_1853 Depth=3
	s_or_b64 exec, exec, s[46:47]
	s_and_b64 s[22:23], exec, s[42:43]
	s_or_b64 s[28:29], s[22:23], s[28:29]
	s_andn2_b64 s[22:23], s[40:41], exec
	s_and_b64 s[40:41], s[44:45], exec
	s_or_b64 s[40:41], s[22:23], s[40:41]
	s_andn2_b64 exec, exec, s[28:29]
	s_cbranch_execz .LBB21_1857
.LBB21_1853:                            ;   Parent Loop BB21_47 Depth=1
                                        ;     Parent Loop BB21_1845 Depth=2
                                        ; =>    This Inner Loop Header: Depth=3
	s_sleep 1
	s_waitcnt vmcnt(0) lgkmcnt(0)
	flat_load_dwordx2 v[80:81], v[64:65] sc0 sc1
	s_or_b64 s[44:45], s[44:45], exec
	s_or_b64 s[42:43], s[42:43], exec
                                        ; implicit-def: $vgpr2
	s_and_saveexec_b64 s[46:47], vcc
	s_cbranch_execz .LBB21_1852
; %bb.1854:                             ;   in Loop: Header=BB21_1853 Depth=3
	s_cmpk_lt_i32 s74, 0x270f
	s_cselect_b64 s[50:51], -1, 0
	s_cmpk_gt_i32 s74, 0x270e
	s_mov_b64 s[56:57], -1
	s_cbranch_scc0 .LBB21_1856
; %bb.1855:                             ;   in Loop: Header=BB21_1853 Depth=3
	s_trap 2
	ds_read_b64 v[10:11], v0
	s_andn2_b64 s[50:51], s[50:51], exec
	s_mov_b32 s74, 0
	s_mov_b64 s[48:49], 0
	s_waitcnt vmcnt(0) lgkmcnt(0)
	flat_load_dword v2, v[10:11] sc0 sc1
	s_waitcnt vmcnt(0) lgkmcnt(0)
	buffer_inv sc0 sc1
	v_cmp_eq_u32_e64 s[22:23], 0, v2
	s_and_b64 s[22:23], s[22:23], exec
	s_or_b64 s[50:51], s[50:51], s[22:23]
	s_and_saveexec_b64 s[52:53], s[50:51]
	s_cbranch_execz .LBB21_1851
	s_branch .LBB21_1850
.LBB21_1856:                            ;   in Loop: Header=BB21_1853 Depth=3
	s_add_i32 s74, s74, 1
	s_mov_b64 s[48:49], -1
                                        ; implicit-def: $vgpr2
	s_and_saveexec_b64 s[52:53], s[50:51]
	s_cbranch_execz .LBB21_1851
	s_branch .LBB21_1850
.LBB21_1857:                            ;   in Loop: Header=BB21_1845 Depth=2
	s_or_b64 exec, exec, s[28:29]
	s_xor_b64 s[22:23], s[40:41], -1
	s_and_saveexec_b64 s[28:29], s[22:23]
	s_xor_b64 s[22:23], exec, s[28:29]
	s_cbranch_execz .LBB21_1859
; %bb.1858:                             ;   in Loop: Header=BB21_1845 Depth=2
	v_or_b32_e32 v104, 64, v104
	s_waitcnt lgkmcnt(0)
	ds_write_b32 v0, v2
	s_trap 2
.LBB21_1859:                            ;   in Loop: Header=BB21_1845 Depth=2
	s_or_b64 exec, exec, s[22:23]
.LBB21_1860:                            ;   in Loop: Header=BB21_1845 Depth=2
	s_or_b64 exec, exec, s[26:27]
	v_and_b32_e32 v2, 0x100, v104
	v_cmp_ne_u32_e32 vcc, 0, v2
	v_and_b32_e32 v2, 7, v58
	s_mov_b64 s[22:23], -1
	;;#ASMSTART
	s_wakeup
	;;#ASMEND
                                        ; implicit-def: $vgpr10_vgpr11
	s_and_saveexec_b64 s[26:27], vcc
	s_cbranch_execz .LBB21_1864
; %bb.1861:                             ;   in Loop: Header=BB21_1845 Depth=2
	v_mad_u64_u32 v[12:13], s[22:23], v2, 24, v[6:7]
	flat_load_dword v10, v[12:13]
	s_waitcnt vmcnt(0) lgkmcnt(0)
	v_cmp_ne_u32_e32 vcc, 1, v10
	v_cmp_eq_u32_e64 s[22:23], 1, v10
                                        ; implicit-def: $vgpr10_vgpr11
	s_and_saveexec_b64 s[28:29], s[22:23]
	s_cbranch_execz .LBB21_1863
; %bb.1862:                             ;   in Loop: Header=BB21_1845 Depth=2
	flat_load_dword v10, v[12:13] offset:4 sc0 sc1
	s_waitcnt vmcnt(0) lgkmcnt(0)
	v_ashrrev_i32_e32 v11, 31, v10
	v_lshrrev_b64 v[10:11], 1, v[10:11]
.LBB21_1863:                            ;   in Loop: Header=BB21_1845 Depth=2
	s_or_b64 exec, exec, s[28:29]
	s_orn2_b64 s[22:23], vcc, exec
.LBB21_1864:                            ;   in Loop: Header=BB21_1845 Depth=2
	s_or_b64 exec, exec, s[26:27]
	s_and_saveexec_b64 s[26:27], s[22:23]
; %bb.1865:                             ;   in Loop: Header=BB21_1845 Depth=2
	v_mad_i64_i32 v[10:11], s[22:23], v2, v30, 0
; %bb.1866:                             ;   in Loop: Header=BB21_1845 Depth=2
	s_or_b64 exec, exec, s[26:27]
	v_and_b32_e32 v2, 0x2000, v104
	v_lshl_add_u64 v[10:11], v[10:11], 1, v[66:67]
	v_cmp_ne_u32_e32 vcc, 0, v2
	ds_write_b64 v0, v[10:11] offset:720
	s_and_saveexec_b64 s[22:23], vcc
	s_cbranch_execz .LBB21_1868
; %bb.1867:                             ;   in Loop: Header=BB21_1845 Depth=2
	ds_read_b64 v[10:11], v0 offset:872
	s_waitcnt lgkmcnt(0)
	v_lshl_add_u64 v[10:11], v[10:11], 0, 1
	ds_write_b64 v0, v[10:11] offset:872
.LBB21_1868:                            ;   in Loop: Header=BB21_1845 Depth=2
	s_or_b64 exec, exec, s[22:23]
	v_mov_b64_e32 v[58:59], v[8:9]
.LBB21_1869:                            ;   in Loop: Header=BB21_1845 Depth=2
	s_or_b64 exec, exec, s[24:25]
	s_and_saveexec_b64 s[22:23], s[4:5]
	s_cbranch_execz .LBB21_1888
; %bb.1870:                             ;   in Loop: Header=BB21_1845 Depth=2
	s_and_saveexec_b64 s[24:25], s[76:77]
	s_xor_b64 s[24:25], exec, s[24:25]
	s_cbranch_execz .LBB21_1885
; %bb.1871:                             ;   in Loop: Header=BB21_1845 Depth=2
	s_and_saveexec_b64 s[26:27], s[12:13]
	s_cbranch_execz .LBB21_1884
; %bb.1872:                             ;   in Loop: Header=BB21_1845 Depth=2
	s_mov_b64 s[40:41], exec
	v_mbcnt_lo_u32_b32 v2, s40, 0
	v_mbcnt_hi_u32_b32 v2, s41, v2
	v_cmp_eq_u32_e32 vcc, 0, v2
	s_waitcnt lgkmcnt(0)
	s_and_saveexec_b64 s[28:29], vcc
	s_cbranch_execz .LBB21_1874
; %bb.1873:                             ;   in Loop: Header=BB21_1845 Depth=2
	s_bcnt1_i32_b64 s40, s[40:41]
	v_mov_b32_e32 v2, s40
	ds_add_u64 v0, v[2:3]
	s_trap 2
.LBB21_1874:                            ;   in Loop: Header=BB21_1845 Depth=2
	s_or_b64 exec, exec, s[28:29]
	s_trap 2
	ds_read_b64 v[8:9], v0
	s_waitcnt lgkmcnt(0)
	v_lshl_add_u64 v[70:71], v[70:71], 0, v[84:85]
	v_cmp_lt_u64_e32 vcc, v[8:9], v[70:71]
	s_and_saveexec_b64 s[28:29], vcc
	s_cbranch_execz .LBB21_1883
; %bb.1875:                             ;   in Loop: Header=BB21_1845 Depth=2
	s_mov_b32 s74, 0
	s_mov_b64 s[40:41], 0
                                        ; implicit-def: $sgpr42_sgpr43
                                        ; implicit-def: $sgpr44_sgpr45
	s_branch .LBB21_1877
.LBB21_1876:                            ;   in Loop: Header=BB21_1877 Depth=3
	s_or_b64 exec, exec, s[56:57]
	s_and_b64 s[46:47], exec, vcc
	s_or_b64 s[40:41], s[46:47], s[40:41]
	s_andn2_b64 s[42:43], s[42:43], exec
	s_and_b64 s[46:47], s[44:45], exec
	s_or_b64 s[42:43], s[42:43], s[46:47]
	s_andn2_b64 exec, exec, s[40:41]
	s_cbranch_execz .LBB21_1881
.LBB21_1877:                            ;   Parent Loop BB21_47 Depth=1
                                        ;     Parent Loop BB21_1845 Depth=2
                                        ; =>    This Inner Loop Header: Depth=3
	s_add_i32 s74, s74, 1
	s_cmpk_lg_i32 s74, 0x2710
	s_cselect_b64 s[46:47], -1, 0
	s_and_b64 vcc, exec, s[46:47]
	s_cbranch_vccz .LBB21_1879
; %bb.1878:                             ;   in Loop: Header=BB21_1877 Depth=3
	s_mov_b64 vcc, -1
	s_or_b64 s[44:45], s[44:45], exec
	s_and_saveexec_b64 s[56:57], s[46:47]
	s_cbranch_execz .LBB21_1876
	s_branch .LBB21_1880
.LBB21_1879:                            ;   in Loop: Header=BB21_1877 Depth=3
	s_trap 2
	ds_read_b64 v[8:9], v0
	s_andn2_b64 s[46:47], s[46:47], exec
	s_mov_b32 s74, 0
	s_waitcnt vmcnt(0) lgkmcnt(0)
	flat_load_dword v2, v[8:9] sc0 sc1
	s_waitcnt vmcnt(0) lgkmcnt(0)
	buffer_inv sc0 sc1
	v_cmp_eq_u32_e32 vcc, 0, v2
	s_and_b64 s[56:57], vcc, exec
	s_or_b64 s[46:47], s[46:47], s[56:57]
	s_mov_b64 vcc, -1
	s_or_b64 s[44:45], s[44:45], exec
	s_and_saveexec_b64 s[56:57], s[46:47]
	s_cbranch_execz .LBB21_1876
.LBB21_1880:                            ;   in Loop: Header=BB21_1877 Depth=3
	s_sleep 1
	s_trap 2
	ds_read_b64 v[8:9], v0
	s_waitcnt lgkmcnt(0)
	s_andn2_b64 s[44:45], s[44:45], exec
	v_cmp_ge_u64_e32 vcc, v[8:9], v[70:71]
	s_orn2_b64 vcc, vcc, exec
	s_branch .LBB21_1876
.LBB21_1881:                            ;   in Loop: Header=BB21_1845 Depth=2
	s_or_b64 exec, exec, s[40:41]
	s_and_saveexec_b64 s[40:41], s[42:43]
	s_xor_b64 s[40:41], exec, s[40:41]
	s_cbranch_execz .LBB21_1883
; %bb.1882:                             ;   in Loop: Header=BB21_1845 Depth=2
	ds_write_b32 v0, v107
	s_trap 2
.LBB21_1883:                            ;   in Loop: Header=BB21_1845 Depth=2
	s_or_b64 exec, exec, s[28:29]
	;;#ASMSTART
	s_wakeup
	;;#ASMEND
.LBB21_1884:                            ;   in Loop: Header=BB21_1845 Depth=2
	s_or_b64 exec, exec, s[26:27]
.LBB21_1885:                            ;   in Loop: Header=BB21_1845 Depth=2
	s_andn2_saveexec_b64 s[24:25], s[24:25]
	s_cbranch_execz .LBB21_1887
; %bb.1886:                             ;   in Loop: Header=BB21_1845 Depth=2
	s_waitcnt lgkmcnt(0)
	s_barrier
.LBB21_1887:                            ;   in Loop: Header=BB21_1845 Depth=2
	s_or_b64 exec, exec, s[24:25]
.LBB21_1888:                            ;   in Loop: Header=BB21_1845 Depth=2
	s_or_b64 exec, exec, s[22:23]
	s_trap 2
	ds_read_b32 v8, v0
	v_and_b32_e32 v2, 0x4000, v104
	v_cmp_ne_u32_e32 vcc, 0, v2
	s_xor_b64 s[22:23], s[2:3], -1
	s_and_b64 s[24:25], s[22:23], vcc
	s_and_saveexec_b64 s[22:23], s[24:25]
	s_cbranch_execz .LBB21_1907
; %bb.1889:                             ;   in Loop: Header=BB21_1845 Depth=2
	s_and_saveexec_b64 s[24:25], s[76:77]
	s_xor_b64 s[24:25], exec, s[24:25]
	s_cbranch_execz .LBB21_1904
; %bb.1890:                             ;   in Loop: Header=BB21_1845 Depth=2
	s_and_saveexec_b64 s[26:27], s[12:13]
	s_cbranch_execz .LBB21_1903
; %bb.1891:                             ;   in Loop: Header=BB21_1845 Depth=2
	s_mov_b64 s[40:41], exec
	v_mbcnt_lo_u32_b32 v2, s40, 0
	v_mbcnt_hi_u32_b32 v2, s41, v2
	v_cmp_eq_u32_e32 vcc, 0, v2
	s_waitcnt lgkmcnt(0)
	s_and_saveexec_b64 s[28:29], vcc
	s_cbranch_execz .LBB21_1893
; %bb.1892:                             ;   in Loop: Header=BB21_1845 Depth=2
	s_bcnt1_i32_b64 s40, s[40:41]
	v_mov_b32_e32 v2, s40
	ds_add_u64 v0, v[2:3]
	s_trap 2
.LBB21_1893:                            ;   in Loop: Header=BB21_1845 Depth=2
	s_or_b64 exec, exec, s[28:29]
	s_trap 2
	ds_read_b64 v[10:11], v0
	s_waitcnt lgkmcnt(0)
	v_lshl_add_u64 v[70:71], v[70:71], 0, v[84:85]
	v_cmp_lt_u64_e32 vcc, v[10:11], v[70:71]
	s_and_saveexec_b64 s[28:29], vcc
	s_cbranch_execz .LBB21_1902
; %bb.1894:                             ;   in Loop: Header=BB21_1845 Depth=2
	s_mov_b32 s74, 0
	s_mov_b64 s[40:41], 0
                                        ; implicit-def: $sgpr42_sgpr43
                                        ; implicit-def: $sgpr44_sgpr45
	s_branch .LBB21_1896
.LBB21_1895:                            ;   in Loop: Header=BB21_1896 Depth=3
	s_or_b64 exec, exec, s[56:57]
	s_and_b64 s[46:47], exec, vcc
	s_or_b64 s[40:41], s[46:47], s[40:41]
	s_andn2_b64 s[42:43], s[42:43], exec
	s_and_b64 s[46:47], s[44:45], exec
	s_or_b64 s[42:43], s[42:43], s[46:47]
	s_andn2_b64 exec, exec, s[40:41]
	s_cbranch_execz .LBB21_1900
.LBB21_1896:                            ;   Parent Loop BB21_47 Depth=1
                                        ;     Parent Loop BB21_1845 Depth=2
                                        ; =>    This Inner Loop Header: Depth=3
	s_add_i32 s74, s74, 1
	s_cmpk_lg_i32 s74, 0x2710
	s_cselect_b64 s[46:47], -1, 0
	s_and_b64 vcc, exec, s[46:47]
	s_cbranch_vccz .LBB21_1898
; %bb.1897:                             ;   in Loop: Header=BB21_1896 Depth=3
	s_mov_b64 vcc, -1
	s_or_b64 s[44:45], s[44:45], exec
	s_and_saveexec_b64 s[56:57], s[46:47]
	s_cbranch_execz .LBB21_1895
	s_branch .LBB21_1899
.LBB21_1898:                            ;   in Loop: Header=BB21_1896 Depth=3
	s_trap 2
	ds_read_b64 v[10:11], v0
	s_andn2_b64 s[46:47], s[46:47], exec
	s_mov_b32 s74, 0
	s_waitcnt vmcnt(0) lgkmcnt(0)
	flat_load_dword v2, v[10:11] sc0 sc1
	s_waitcnt vmcnt(0) lgkmcnt(0)
	buffer_inv sc0 sc1
	v_cmp_eq_u32_e32 vcc, 0, v2
	s_and_b64 s[56:57], vcc, exec
	s_or_b64 s[46:47], s[46:47], s[56:57]
	s_mov_b64 vcc, -1
	s_or_b64 s[44:45], s[44:45], exec
	s_and_saveexec_b64 s[56:57], s[46:47]
	s_cbranch_execz .LBB21_1895
.LBB21_1899:                            ;   in Loop: Header=BB21_1896 Depth=3
	s_sleep 1
	s_trap 2
	ds_read_b64 v[10:11], v0
	s_waitcnt lgkmcnt(0)
	s_andn2_b64 s[44:45], s[44:45], exec
	v_cmp_ge_u64_e32 vcc, v[10:11], v[70:71]
	s_orn2_b64 vcc, vcc, exec
	s_branch .LBB21_1895
.LBB21_1900:                            ;   in Loop: Header=BB21_1845 Depth=2
	s_or_b64 exec, exec, s[40:41]
	s_and_saveexec_b64 s[40:41], s[42:43]
	s_xor_b64 s[40:41], exec, s[40:41]
	s_cbranch_execz .LBB21_1902
; %bb.1901:                             ;   in Loop: Header=BB21_1845 Depth=2
	ds_write_b32 v0, v107
	s_trap 2
.LBB21_1902:                            ;   in Loop: Header=BB21_1845 Depth=2
	s_or_b64 exec, exec, s[28:29]
	;;#ASMSTART
	s_wakeup
	;;#ASMEND
.LBB21_1903:                            ;   in Loop: Header=BB21_1845 Depth=2
	s_or_b64 exec, exec, s[26:27]
.LBB21_1904:                            ;   in Loop: Header=BB21_1845 Depth=2
	s_andn2_saveexec_b64 s[24:25], s[24:25]
	s_cbranch_execz .LBB21_1906
; %bb.1905:                             ;   in Loop: Header=BB21_1845 Depth=2
	s_waitcnt lgkmcnt(0)
	s_barrier
.LBB21_1906:                            ;   in Loop: Header=BB21_1845 Depth=2
	s_or_b64 exec, exec, s[24:25]
.LBB21_1907:                            ;   in Loop: Header=BB21_1845 Depth=2
	s_or_b64 exec, exec, s[22:23]
	s_trap 2
	ds_read_b64 v[72:73], v0
	v_sub_u32_e32 v2, v92, v60
	v_min_i32_e32 v93, v93, v2
	s_waitcnt lgkmcnt(0)
	v_cmp_eq_u64_e32 vcc, 0, v[72:73]
	s_cbranch_vccnz .LBB21_1915
; %bb.1908:                             ;   in Loop: Header=BB21_1845 Depth=2
	s_trap 2
	ds_read_b64 v[74:75], v0
	s_waitcnt lgkmcnt(0)
	v_cmp_eq_u64_e32 vcc, 0, v[74:75]
	s_cbranch_vccnz .LBB21_1915
; %bb.1909:                             ;   in Loop: Header=BB21_1845 Depth=2
	s_trap 2
	ds_read_b64 v[76:77], v0
	s_mov_b64 s[24:25], -1
	s_waitcnt lgkmcnt(0)
	v_readfirstlane_b32 s55, v76
	s_and_saveexec_b64 s[22:23], s[16:17]
	s_cbranch_execz .LBB21_1911
; %bb.1910:                             ;   in Loop: Header=BB21_1845 Depth=2
	ds_read_b32 v2, v0 offset:720
	s_waitcnt lgkmcnt(0)
	v_and_b32_e32 v2, 15, v2
	v_cmp_eq_u32_e32 vcc, 0, v2
	s_orn2_b64 s[24:25], vcc, exec
.LBB21_1911:                            ;   in Loop: Header=BB21_1845 Depth=2
	s_or_b64 exec, exec, s[22:23]
	s_and_saveexec_b64 s[22:23], s[14:15]
	s_cbranch_execz .LBB21_1913
; %bb.1912:                             ;   in Loop: Header=BB21_1845 Depth=2
	ds_read_b32 v2, v0 offset:784
	s_waitcnt lgkmcnt(0)
	v_and_b32_e32 v2, 15, v2
	v_cmp_eq_u32_e32 vcc, 0, v2
	s_and_b64 s[26:27], s[24:25], vcc
	s_andn2_b64 s[24:25], s[24:25], exec
	s_and_b64 s[26:27], s[26:27], exec
	s_or_b64 s[24:25], s[24:25], s[26:27]
.LBB21_1913:                            ;   in Loop: Header=BB21_1845 Depth=2
	s_or_b64 exec, exec, s[22:23]
	v_cmp_eq_u32_e32 vcc, 0, v8
	s_xor_b64 s[24:25], s[24:25], -1
	v_cndmask_b32_e64 v8, 0, 1, s[24:25]
	v_cndmask_b32_e32 v2, 0, v93, vcc
	v_lshlrev_b32_e32 v61, 1, v2
	s_mov_b64 s[22:23], -1
	v_cmp_ne_u32_e32 vcc, 0, v8
	v_mov_b32_e32 v18, 0
	s_cbranch_vccz .LBB21_1920
; %bb.1914:                             ;   in Loop: Header=BB21_1845 Depth=2
	v_mov_b32_e32 v19, v0
	s_and_saveexec_b64 s[24:25], s[22:23]
	s_cbranch_execnz .LBB21_2059
	s_branch .LBB21_2099
.LBB21_1915:                            ;   in Loop: Header=BB21_1845 Depth=2
	s_mov_b64 s[22:23], 0
	s_and_saveexec_b64 s[24:25], s[4:5]
	s_cbranch_execnz .LBB21_2100
.LBB21_1916:                            ;   in Loop: Header=BB21_1845 Depth=2
	s_or_b64 exec, exec, s[24:25]
	s_and_saveexec_b64 s[24:25], s[20:21]
	s_xor_b64 s[24:25], exec, s[24:25]
	s_cbranch_execz .LBB21_2118
.LBB21_1917:                            ;   in Loop: Header=BB21_1845 Depth=2
	v_and_b32_e32 v2, 16, v104
	v_cmp_ne_u32_e32 vcc, 0, v2
	s_and_b64 s[26:27], vcc, s[22:23]
	s_and_saveexec_b64 s[22:23], s[26:27]
	s_cbranch_execz .LBB21_1919
; %bb.1918:                             ;   in Loop: Header=BB21_1845 Depth=2
	buffer_wbl2 sc1
	s_waitcnt vmcnt(0) lgkmcnt(0)
	buffer_inv sc1
.LBB21_1919:                            ;   in Loop: Header=BB21_1845 Depth=2
	s_or_b64 exec, exec, s[22:23]
	s_andn2_saveexec_b64 s[22:23], s[24:25]
	s_cbranch_execz .LBB21_2137
	s_branch .LBB21_2119
.LBB21_1920:                            ;   in Loop: Header=BB21_1845 Depth=2
	v_ashrrev_i32_e32 v8, 31, v61
	v_lshrrev_b32_e32 v8, 20, v8
	v_add_u32_e32 v8, v61, v8
	v_ashrrev_i32_e32 v95, 12, v8
	v_sub_u32_e32 v94, v95, v106
	v_cmp_lt_i32_e32 vcc, 0, v94
	s_and_saveexec_b64 s[24:25], vcc
	s_cbranch_execz .LBB21_2052
; %bb.1921:                             ;   in Loop: Header=BB21_1845 Depth=2
	s_and_b32 s74, s55, 1
	s_cmp_eq_u64 s[74:75], 0
	s_mov_b64 s[26:27], 0
	s_cselect_b64 vcc, -1, 0
	v_mov_b64_e32 v[78:79], v[74:75]
	v_mov_b64_e32 v[88:89], v[72:73]
	;; [unrolled: 1-line block ×3, first 2 shown]
	s_branch .LBB21_1923
.LBB21_1922:                            ;   in Loop: Header=BB21_1923 Depth=3
	s_or_b64 exec, exec, s[28:29]
	v_lshrrev_b32_e32 v12, 16, v12
	v_and_or_b32 v9, v9, s80, v12
	v_lshrrev_b32_e32 v12, 16, v16
	v_and_or_b32 v8, v8, s80, v12
	v_lshrrev_b32_e32 v12, 16, v13
	v_sub_u32_e32 v94, v94, v84
	v_and_or_b32 v10, v10, s80, v12
	v_lshrrev_b32_e32 v12, 16, v14
	v_cmp_gt_i32_e64 s[22:23], 1, v94
	v_and_or_b32 v11, v11, s80, v12
	v_lshl_add_u64 v[90:91], v[90:91], 0, v[98:99]
	v_lshl_add_u64 v[88:89], v[88:89], 0, v[98:99]
	s_or_b64 s[26:27], s[22:23], s[26:27]
	v_lshl_add_u64 v[78:79], v[78:79], 0, v[98:99]
	global_store_dwordx4 v[36:37], v[8:11], off offset:3072
	s_andn2_b64 exec, exec, s[26:27]
	s_cbranch_execz .LBB21_2051
.LBB21_1923:                            ;   Parent Loop BB21_47 Depth=1
                                        ;     Parent Loop BB21_1845 Depth=2
                                        ; =>    This Inner Loop Header: Depth=3
	v_lshl_add_u64 v[12:13], v[116:117], 0, v[90:91]
	v_lshl_add_u64 v[8:9], v[116:117], 0, v[88:89]
	global_load_dwordx4 v[36:39], v[8:9], off nt
	global_load_dwordx4 v[48:51], v[12:13], off nt
	global_load_dwordx4 v[24:27], v[8:9], off offset:1024 nt
	global_load_dwordx4 v[32:35], v[12:13], off offset:1024 nt
	;; [unrolled: 1-line block ×3, first 2 shown]
	s_nop 0
	global_load_dwordx4 v[8:11], v[8:9], off offset:3072 nt
	s_nop 0
	global_load_dwordx4 v[20:23], v[12:13], off offset:2048 nt
	;; [unrolled: 2-line block ×3, first 2 shown]
	s_waitcnt vmcnt(0)
	v_lshlrev_b32_e32 v82, 16, v36
	v_lshlrev_b32_e32 v120, 16, v48
	v_max_f32_e32 v120, v120, v120
	v_max_f32_e32 v82, v82, v82
	v_min_f32_e32 v121, v82, v120
	v_max_f32_e32 v82, v82, v120
	v_cndmask_b32_e32 v121, v82, v121, vcc
	v_and_b32_e32 v82, 0x7f800000, v121
	v_cmp_ne_u32_e64 s[22:23], s70, v82
                                        ; implicit-def: $vgpr120
	s_and_saveexec_b64 s[28:29], s[22:23]
	s_xor_b64 s[22:23], exec, s[28:29]
; %bb.1924:                             ;   in Loop: Header=BB21_1923 Depth=3
	v_bfe_u32 v82, v121, 16, 1
	v_add3_u32 v120, v121, v82, s71
                                        ; implicit-def: $vgpr121
; %bb.1925:                             ;   in Loop: Header=BB21_1923 Depth=3
	s_andn2_saveexec_b64 s[28:29], s[22:23]
; %bb.1926:                             ;   in Loop: Header=BB21_1923 Depth=3
	v_or_b32_e32 v82, 0x10000, v121
	v_cmp_eq_u32_sdwa s[22:23], v121, v3 src0_sel:WORD_0 src1_sel:DWORD
	s_nop 1
	v_cndmask_b32_e64 v120, v82, v121, s[22:23]
; %bb.1927:                             ;   in Loop: Header=BB21_1923 Depth=3
	s_or_b64 exec, exec, s[28:29]
	v_and_b32_e32 v36, 0xffff0000, v36
	v_and_b32_e32 v48, 0xffff0000, v48
	v_max_f32_e32 v48, v48, v48
	v_max_f32_e32 v36, v36, v36
	v_min_f32_e32 v82, v36, v48
	v_max_f32_e32 v36, v36, v48
	v_cndmask_b32_e32 v36, v36, v82, vcc
	v_and_b32_e32 v48, 0x7f800000, v36
	v_cmp_ne_u32_e64 s[22:23], s70, v48
                                        ; implicit-def: $vgpr48
	s_and_saveexec_b64 s[28:29], s[22:23]
	s_xor_b64 s[22:23], exec, s[28:29]
; %bb.1928:                             ;   in Loop: Header=BB21_1923 Depth=3
	v_bfe_u32 v48, v36, 16, 1
	v_add3_u32 v48, v36, v48, s71
                                        ; implicit-def: $vgpr36
; %bb.1929:                             ;   in Loop: Header=BB21_1923 Depth=3
	s_andn2_saveexec_b64 s[28:29], s[22:23]
; %bb.1930:                             ;   in Loop: Header=BB21_1923 Depth=3
	v_or_b32_e32 v48, 0x10000, v36
	v_cmp_eq_u32_sdwa s[22:23], v36, v3 src0_sel:WORD_0 src1_sel:DWORD
	s_nop 1
	v_cndmask_b32_e64 v48, v48, v36, s[22:23]
; %bb.1931:                             ;   in Loop: Header=BB21_1923 Depth=3
	s_or_b64 exec, exec, s[28:29]
	v_lshlrev_b32_e32 v36, 16, v37
	v_lshlrev_b32_e32 v82, 16, v49
	v_max_f32_e32 v82, v82, v82
	v_max_f32_e32 v36, v36, v36
	v_min_f32_e32 v121, v36, v82
	v_max_f32_e32 v36, v36, v82
	v_cndmask_b32_e32 v36, v36, v121, vcc
	v_and_b32_e32 v82, 0x7f800000, v36
	v_cmp_ne_u32_e64 s[22:23], s70, v82
                                        ; implicit-def: $vgpr121
	s_and_saveexec_b64 s[28:29], s[22:23]
	s_xor_b64 s[22:23], exec, s[28:29]
; %bb.1932:                             ;   in Loop: Header=BB21_1923 Depth=3
	v_bfe_u32 v82, v36, 16, 1
	v_add3_u32 v121, v36, v82, s71
                                        ; implicit-def: $vgpr36
; %bb.1933:                             ;   in Loop: Header=BB21_1923 Depth=3
	s_andn2_saveexec_b64 s[28:29], s[22:23]
; %bb.1934:                             ;   in Loop: Header=BB21_1923 Depth=3
	v_or_b32_e32 v82, 0x10000, v36
	v_cmp_eq_u32_sdwa s[22:23], v36, v3 src0_sel:WORD_0 src1_sel:DWORD
	s_nop 1
	v_cndmask_b32_e64 v121, v82, v36, s[22:23]
; %bb.1935:                             ;   in Loop: Header=BB21_1923 Depth=3
	s_or_b64 exec, exec, s[28:29]
	v_and_b32_e32 v36, 0xffff0000, v37
	v_and_b32_e32 v37, 0xffff0000, v49
	v_max_f32_e32 v37, v37, v37
	v_max_f32_e32 v36, v36, v36
	v_min_f32_e32 v49, v36, v37
	v_max_f32_e32 v36, v36, v37
	v_cndmask_b32_e32 v36, v36, v49, vcc
	v_and_b32_e32 v37, 0x7f800000, v36
	v_cmp_ne_u32_e64 s[22:23], s70, v37
                                        ; implicit-def: $vgpr49
	s_and_saveexec_b64 s[28:29], s[22:23]
	s_xor_b64 s[22:23], exec, s[28:29]
; %bb.1936:                             ;   in Loop: Header=BB21_1923 Depth=3
	v_bfe_u32 v37, v36, 16, 1
	v_add3_u32 v49, v36, v37, s71
                                        ; implicit-def: $vgpr36
; %bb.1937:                             ;   in Loop: Header=BB21_1923 Depth=3
	s_andn2_saveexec_b64 s[28:29], s[22:23]
; %bb.1938:                             ;   in Loop: Header=BB21_1923 Depth=3
	v_or_b32_e32 v37, 0x10000, v36
	v_cmp_eq_u32_sdwa s[22:23], v36, v3 src0_sel:WORD_0 src1_sel:DWORD
	s_nop 1
	v_cndmask_b32_e64 v49, v37, v36, s[22:23]
; %bb.1939:                             ;   in Loop: Header=BB21_1923 Depth=3
	s_or_b64 exec, exec, s[28:29]
	v_lshlrev_b32_e32 v36, 16, v38
	v_lshlrev_b32_e32 v37, 16, v50
	v_max_f32_e32 v37, v37, v37
	v_max_f32_e32 v36, v36, v36
	v_min_f32_e32 v82, v36, v37
	v_max_f32_e32 v36, v36, v37
	v_cndmask_b32_e32 v36, v36, v82, vcc
	v_and_b32_e32 v37, 0x7f800000, v36
	v_cmp_ne_u32_e64 s[22:23], s70, v37
                                        ; implicit-def: $vgpr122
	s_and_saveexec_b64 s[28:29], s[22:23]
	s_xor_b64 s[22:23], exec, s[28:29]
; %bb.1940:                             ;   in Loop: Header=BB21_1923 Depth=3
	v_bfe_u32 v37, v36, 16, 1
	v_add3_u32 v122, v36, v37, s71
                                        ; implicit-def: $vgpr36
; %bb.1941:                             ;   in Loop: Header=BB21_1923 Depth=3
	s_andn2_saveexec_b64 s[28:29], s[22:23]
; %bb.1942:                             ;   in Loop: Header=BB21_1923 Depth=3
	v_or_b32_e32 v37, 0x10000, v36
	v_cmp_eq_u32_sdwa s[22:23], v36, v3 src0_sel:WORD_0 src1_sel:DWORD
	s_nop 1
	v_cndmask_b32_e64 v122, v37, v36, s[22:23]
; %bb.1943:                             ;   in Loop: Header=BB21_1923 Depth=3
	s_or_b64 exec, exec, s[28:29]
	v_and_b32_e32 v36, 0xffff0000, v38
	v_and_b32_e32 v37, 0xffff0000, v50
	v_max_f32_e32 v37, v37, v37
	v_max_f32_e32 v36, v36, v36
	v_min_f32_e32 v38, v36, v37
	v_max_f32_e32 v36, v36, v37
	v_cndmask_b32_e32 v36, v36, v38, vcc
	v_and_b32_e32 v37, 0x7f800000, v36
	v_cmp_ne_u32_e64 s[22:23], s70, v37
                                        ; implicit-def: $vgpr38
	s_and_saveexec_b64 s[28:29], s[22:23]
	s_xor_b64 s[22:23], exec, s[28:29]
; %bb.1944:                             ;   in Loop: Header=BB21_1923 Depth=3
	v_bfe_u32 v37, v36, 16, 1
	v_add3_u32 v38, v36, v37, s71
                                        ; implicit-def: $vgpr36
; %bb.1945:                             ;   in Loop: Header=BB21_1923 Depth=3
	s_andn2_saveexec_b64 s[28:29], s[22:23]
; %bb.1946:                             ;   in Loop: Header=BB21_1923 Depth=3
	v_or_b32_e32 v37, 0x10000, v36
	v_cmp_eq_u32_sdwa s[22:23], v36, v3 src0_sel:WORD_0 src1_sel:DWORD
	s_nop 1
	v_cndmask_b32_e64 v38, v37, v36, s[22:23]
; %bb.1947:                             ;   in Loop: Header=BB21_1923 Depth=3
	s_or_b64 exec, exec, s[28:29]
	v_lshlrev_b32_e32 v36, 16, v39
	v_lshlrev_b32_e32 v37, 16, v51
	v_max_f32_e32 v37, v37, v37
	v_max_f32_e32 v36, v36, v36
	v_min_f32_e32 v50, v36, v37
	v_max_f32_e32 v36, v36, v37
	v_cndmask_b32_e32 v36, v36, v50, vcc
	v_and_b32_e32 v37, 0x7f800000, v36
	v_cmp_ne_u32_e64 s[22:23], s70, v37
                                        ; implicit-def: $vgpr50
	s_and_saveexec_b64 s[28:29], s[22:23]
	s_xor_b64 s[22:23], exec, s[28:29]
; %bb.1948:                             ;   in Loop: Header=BB21_1923 Depth=3
	v_bfe_u32 v37, v36, 16, 1
	v_add3_u32 v50, v36, v37, s71
                                        ; implicit-def: $vgpr36
; %bb.1949:                             ;   in Loop: Header=BB21_1923 Depth=3
	s_andn2_saveexec_b64 s[28:29], s[22:23]
; %bb.1950:                             ;   in Loop: Header=BB21_1923 Depth=3
	v_or_b32_e32 v37, 0x10000, v36
	v_cmp_eq_u32_sdwa s[22:23], v36, v3 src0_sel:WORD_0 src1_sel:DWORD
	s_nop 1
	v_cndmask_b32_e64 v50, v37, v36, s[22:23]
; %bb.1951:                             ;   in Loop: Header=BB21_1923 Depth=3
	s_or_b64 exec, exec, s[28:29]
	v_and_b32_e32 v36, 0xffff0000, v39
	v_and_b32_e32 v37, 0xffff0000, v51
	v_max_f32_e32 v37, v37, v37
	v_max_f32_e32 v36, v36, v36
	v_min_f32_e32 v39, v36, v37
	v_max_f32_e32 v36, v36, v37
	v_cndmask_b32_e32 v36, v36, v39, vcc
	v_and_b32_e32 v37, 0x7f800000, v36
	v_cmp_ne_u32_e64 s[22:23], s70, v37
                                        ; implicit-def: $vgpr39
	s_and_saveexec_b64 s[28:29], s[22:23]
	s_xor_b64 s[22:23], exec, s[28:29]
; %bb.1952:                             ;   in Loop: Header=BB21_1923 Depth=3
	v_bfe_u32 v37, v36, 16, 1
	v_add3_u32 v39, v36, v37, s71
                                        ; implicit-def: $vgpr36
; %bb.1953:                             ;   in Loop: Header=BB21_1923 Depth=3
	s_andn2_saveexec_b64 s[28:29], s[22:23]
; %bb.1954:                             ;   in Loop: Header=BB21_1923 Depth=3
	v_or_b32_e32 v37, 0x10000, v36
	v_cmp_eq_u32_sdwa s[22:23], v36, v3 src0_sel:WORD_0 src1_sel:DWORD
	s_nop 1
	v_cndmask_b32_e64 v39, v37, v36, s[22:23]
; %bb.1955:                             ;   in Loop: Header=BB21_1923 Depth=3
	s_or_b64 exec, exec, s[28:29]
	v_lshrrev_b32_e32 v51, 16, v121
	v_and_or_b32 v121, v49, s80, v51
	v_lshrrev_b32_e32 v49, 16, v120
	v_and_or_b32 v120, v48, s80, v49
	;; [unrolled: 2-line block ×4, first 2 shown]
	v_lshlrev_b32_e32 v38, 16, v24
	v_lshlrev_b32_e32 v39, 16, v32
	v_max_f32_e32 v39, v39, v39
	v_max_f32_e32 v38, v38, v38
	v_min_f32_e32 v48, v38, v39
	v_max_f32_e32 v38, v38, v39
	v_cndmask_b32_e32 v39, v38, v48, vcc
	v_and_b32_e32 v38, 0x7f800000, v39
	v_lshl_add_u64 v[36:37], v[116:117], 0, v[78:79]
	v_cmp_ne_u32_e64 s[22:23], s70, v38
	global_store_dwordx4 v[36:37], v[120:123], off
                                        ; implicit-def: $vgpr38
	s_and_saveexec_b64 s[28:29], s[22:23]
	s_xor_b64 s[22:23], exec, s[28:29]
; %bb.1956:                             ;   in Loop: Header=BB21_1923 Depth=3
	v_bfe_u32 v38, v39, 16, 1
	v_add3_u32 v38, v39, v38, s71
                                        ; implicit-def: $vgpr39
; %bb.1957:                             ;   in Loop: Header=BB21_1923 Depth=3
	s_andn2_saveexec_b64 s[28:29], s[22:23]
; %bb.1958:                             ;   in Loop: Header=BB21_1923 Depth=3
	v_or_b32_e32 v38, 0x10000, v39
	v_cmp_eq_u32_sdwa s[22:23], v39, v3 src0_sel:WORD_0 src1_sel:DWORD
	s_nop 1
	v_cndmask_b32_e64 v38, v38, v39, s[22:23]
; %bb.1959:                             ;   in Loop: Header=BB21_1923 Depth=3
	s_or_b64 exec, exec, s[28:29]
	v_and_b32_e32 v24, 0xffff0000, v24
	v_and_b32_e32 v32, 0xffff0000, v32
	v_max_f32_e32 v32, v32, v32
	v_max_f32_e32 v24, v24, v24
	v_min_f32_e32 v39, v24, v32
	v_max_f32_e32 v24, v24, v32
	v_cndmask_b32_e32 v32, v24, v39, vcc
	v_and_b32_e32 v24, 0x7f800000, v32
	v_cmp_ne_u32_e64 s[22:23], s70, v24
                                        ; implicit-def: $vgpr24
	s_and_saveexec_b64 s[28:29], s[22:23]
	s_xor_b64 s[22:23], exec, s[28:29]
; %bb.1960:                             ;   in Loop: Header=BB21_1923 Depth=3
	v_bfe_u32 v24, v32, 16, 1
	v_add3_u32 v24, v32, v24, s71
                                        ; implicit-def: $vgpr32
; %bb.1961:                             ;   in Loop: Header=BB21_1923 Depth=3
	s_andn2_saveexec_b64 s[28:29], s[22:23]
; %bb.1962:                             ;   in Loop: Header=BB21_1923 Depth=3
	v_or_b32_e32 v24, 0x10000, v32
	v_cmp_eq_u32_sdwa s[22:23], v32, v3 src0_sel:WORD_0 src1_sel:DWORD
	s_nop 1
	v_cndmask_b32_e64 v24, v24, v32, s[22:23]
; %bb.1963:                             ;   in Loop: Header=BB21_1923 Depth=3
	s_or_b64 exec, exec, s[28:29]
	v_lshlrev_b32_e32 v32, 16, v25
	v_lshlrev_b32_e32 v39, 16, v33
	v_max_f32_e32 v39, v39, v39
	v_max_f32_e32 v32, v32, v32
	v_min_f32_e32 v48, v32, v39
	v_max_f32_e32 v32, v32, v39
	v_cndmask_b32_e32 v39, v32, v48, vcc
	v_and_b32_e32 v32, 0x7f800000, v39
	v_cmp_ne_u32_e64 s[22:23], s70, v32
                                        ; implicit-def: $vgpr32
	s_and_saveexec_b64 s[28:29], s[22:23]
	s_xor_b64 s[22:23], exec, s[28:29]
; %bb.1964:                             ;   in Loop: Header=BB21_1923 Depth=3
	v_bfe_u32 v32, v39, 16, 1
	v_add3_u32 v32, v39, v32, s71
                                        ; implicit-def: $vgpr39
; %bb.1965:                             ;   in Loop: Header=BB21_1923 Depth=3
	s_andn2_saveexec_b64 s[28:29], s[22:23]
; %bb.1966:                             ;   in Loop: Header=BB21_1923 Depth=3
	v_or_b32_e32 v32, 0x10000, v39
	v_cmp_eq_u32_sdwa s[22:23], v39, v3 src0_sel:WORD_0 src1_sel:DWORD
	s_nop 1
	v_cndmask_b32_e64 v32, v32, v39, s[22:23]
; %bb.1967:                             ;   in Loop: Header=BB21_1923 Depth=3
	s_or_b64 exec, exec, s[28:29]
	v_and_b32_e32 v25, 0xffff0000, v25
	v_and_b32_e32 v33, 0xffff0000, v33
	v_max_f32_e32 v33, v33, v33
	v_max_f32_e32 v25, v25, v25
	v_min_f32_e32 v39, v25, v33
	v_max_f32_e32 v25, v25, v33
	v_cndmask_b32_e32 v33, v25, v39, vcc
	v_and_b32_e32 v25, 0x7f800000, v33
	v_cmp_ne_u32_e64 s[22:23], s70, v25
                                        ; implicit-def: $vgpr25
	s_and_saveexec_b64 s[28:29], s[22:23]
	s_xor_b64 s[22:23], exec, s[28:29]
; %bb.1968:                             ;   in Loop: Header=BB21_1923 Depth=3
	v_bfe_u32 v25, v33, 16, 1
	v_add3_u32 v25, v33, v25, s71
                                        ; implicit-def: $vgpr33
; %bb.1969:                             ;   in Loop: Header=BB21_1923 Depth=3
	s_andn2_saveexec_b64 s[28:29], s[22:23]
; %bb.1970:                             ;   in Loop: Header=BB21_1923 Depth=3
	v_or_b32_e32 v25, 0x10000, v33
	v_cmp_eq_u32_sdwa s[22:23], v33, v3 src0_sel:WORD_0 src1_sel:DWORD
	s_nop 1
	v_cndmask_b32_e64 v25, v25, v33, s[22:23]
; %bb.1971:                             ;   in Loop: Header=BB21_1923 Depth=3
	s_or_b64 exec, exec, s[28:29]
	v_lshlrev_b32_e32 v33, 16, v26
	v_lshlrev_b32_e32 v39, 16, v34
	v_max_f32_e32 v39, v39, v39
	v_max_f32_e32 v33, v33, v33
	v_min_f32_e32 v48, v33, v39
	v_max_f32_e32 v33, v33, v39
	v_cndmask_b32_e32 v39, v33, v48, vcc
	v_and_b32_e32 v33, 0x7f800000, v39
	v_cmp_ne_u32_e64 s[22:23], s70, v33
                                        ; implicit-def: $vgpr33
	s_and_saveexec_b64 s[28:29], s[22:23]
	s_xor_b64 s[22:23], exec, s[28:29]
; %bb.1972:                             ;   in Loop: Header=BB21_1923 Depth=3
	v_bfe_u32 v33, v39, 16, 1
	v_add3_u32 v33, v39, v33, s71
                                        ; implicit-def: $vgpr39
; %bb.1973:                             ;   in Loop: Header=BB21_1923 Depth=3
	s_andn2_saveexec_b64 s[28:29], s[22:23]
; %bb.1974:                             ;   in Loop: Header=BB21_1923 Depth=3
	v_or_b32_e32 v33, 0x10000, v39
	v_cmp_eq_u32_sdwa s[22:23], v39, v3 src0_sel:WORD_0 src1_sel:DWORD
	s_nop 1
	v_cndmask_b32_e64 v33, v33, v39, s[22:23]
; %bb.1975:                             ;   in Loop: Header=BB21_1923 Depth=3
	s_or_b64 exec, exec, s[28:29]
	v_and_b32_e32 v26, 0xffff0000, v26
	v_and_b32_e32 v34, 0xffff0000, v34
	v_max_f32_e32 v34, v34, v34
	v_max_f32_e32 v26, v26, v26
	v_min_f32_e32 v39, v26, v34
	v_max_f32_e32 v26, v26, v34
	v_cndmask_b32_e32 v34, v26, v39, vcc
	v_and_b32_e32 v26, 0x7f800000, v34
	v_cmp_ne_u32_e64 s[22:23], s70, v26
                                        ; implicit-def: $vgpr26
	s_and_saveexec_b64 s[28:29], s[22:23]
	s_xor_b64 s[22:23], exec, s[28:29]
; %bb.1976:                             ;   in Loop: Header=BB21_1923 Depth=3
	v_bfe_u32 v26, v34, 16, 1
	v_add3_u32 v26, v34, v26, s71
                                        ; implicit-def: $vgpr34
; %bb.1977:                             ;   in Loop: Header=BB21_1923 Depth=3
	s_andn2_saveexec_b64 s[28:29], s[22:23]
; %bb.1978:                             ;   in Loop: Header=BB21_1923 Depth=3
	v_or_b32_e32 v26, 0x10000, v34
	v_cmp_eq_u32_sdwa s[22:23], v34, v3 src0_sel:WORD_0 src1_sel:DWORD
	s_nop 1
	v_cndmask_b32_e64 v26, v26, v34, s[22:23]
; %bb.1979:                             ;   in Loop: Header=BB21_1923 Depth=3
	s_or_b64 exec, exec, s[28:29]
	v_lshlrev_b32_e32 v34, 16, v27
	v_lshlrev_b32_e32 v39, 16, v35
	v_max_f32_e32 v39, v39, v39
	v_max_f32_e32 v34, v34, v34
	v_min_f32_e32 v48, v34, v39
	v_max_f32_e32 v34, v34, v39
	v_cndmask_b32_e32 v39, v34, v48, vcc
	v_and_b32_e32 v34, 0x7f800000, v39
	v_cmp_ne_u32_e64 s[22:23], s70, v34
                                        ; implicit-def: $vgpr34
	s_and_saveexec_b64 s[28:29], s[22:23]
	s_xor_b64 s[22:23], exec, s[28:29]
; %bb.1980:                             ;   in Loop: Header=BB21_1923 Depth=3
	v_bfe_u32 v34, v39, 16, 1
	v_add3_u32 v34, v39, v34, s71
                                        ; implicit-def: $vgpr39
; %bb.1981:                             ;   in Loop: Header=BB21_1923 Depth=3
	s_andn2_saveexec_b64 s[28:29], s[22:23]
; %bb.1982:                             ;   in Loop: Header=BB21_1923 Depth=3
	v_or_b32_e32 v34, 0x10000, v39
	v_cmp_eq_u32_sdwa s[22:23], v39, v3 src0_sel:WORD_0 src1_sel:DWORD
	s_nop 1
	v_cndmask_b32_e64 v34, v34, v39, s[22:23]
; %bb.1983:                             ;   in Loop: Header=BB21_1923 Depth=3
	s_or_b64 exec, exec, s[28:29]
	v_and_b32_e32 v27, 0xffff0000, v27
	v_and_b32_e32 v35, 0xffff0000, v35
	v_max_f32_e32 v35, v35, v35
	v_max_f32_e32 v27, v27, v27
	v_min_f32_e32 v39, v27, v35
	v_max_f32_e32 v27, v27, v35
	v_cndmask_b32_e32 v35, v27, v39, vcc
	v_and_b32_e32 v27, 0x7f800000, v35
	v_cmp_ne_u32_e64 s[22:23], s70, v27
                                        ; implicit-def: $vgpr27
	s_and_saveexec_b64 s[28:29], s[22:23]
	s_xor_b64 s[22:23], exec, s[28:29]
; %bb.1984:                             ;   in Loop: Header=BB21_1923 Depth=3
	v_bfe_u32 v27, v35, 16, 1
	v_add3_u32 v27, v35, v27, s71
                                        ; implicit-def: $vgpr35
; %bb.1985:                             ;   in Loop: Header=BB21_1923 Depth=3
	s_andn2_saveexec_b64 s[28:29], s[22:23]
; %bb.1986:                             ;   in Loop: Header=BB21_1923 Depth=3
	v_or_b32_e32 v27, 0x10000, v35
	v_cmp_eq_u32_sdwa s[22:23], v35, v3 src0_sel:WORD_0 src1_sel:DWORD
	s_nop 1
	v_cndmask_b32_e64 v27, v27, v35, s[22:23]
; %bb.1987:                             ;   in Loop: Header=BB21_1923 Depth=3
	s_or_b64 exec, exec, s[28:29]
	v_lshrrev_b32_e32 v32, 16, v32
	v_and_or_b32 v25, v25, s80, v32
	v_lshrrev_b32_e32 v32, 16, v38
	v_and_or_b32 v24, v24, s80, v32
	;; [unrolled: 2-line block ×4, first 2 shown]
	global_store_dwordx4 v[36:37], v[24:27], off offset:1024
	s_nop 1
	v_lshlrev_b32_e32 v24, 16, v16
	v_lshlrev_b32_e32 v25, 16, v20
	v_max_f32_e32 v25, v25, v25
	v_max_f32_e32 v24, v24, v24
	v_min_f32_e32 v26, v24, v25
	v_max_f32_e32 v24, v24, v25
	v_cndmask_b32_e32 v25, v24, v26, vcc
	v_and_b32_e32 v24, 0x7f800000, v25
	v_cmp_ne_u32_e64 s[22:23], s70, v24
                                        ; implicit-def: $vgpr24
	s_and_saveexec_b64 s[28:29], s[22:23]
	s_xor_b64 s[22:23], exec, s[28:29]
; %bb.1988:                             ;   in Loop: Header=BB21_1923 Depth=3
	v_bfe_u32 v24, v25, 16, 1
	v_add3_u32 v24, v25, v24, s71
                                        ; implicit-def: $vgpr25
; %bb.1989:                             ;   in Loop: Header=BB21_1923 Depth=3
	s_andn2_saveexec_b64 s[28:29], s[22:23]
; %bb.1990:                             ;   in Loop: Header=BB21_1923 Depth=3
	v_or_b32_e32 v24, 0x10000, v25
	v_cmp_eq_u32_sdwa s[22:23], v25, v3 src0_sel:WORD_0 src1_sel:DWORD
	s_nop 1
	v_cndmask_b32_e64 v24, v24, v25, s[22:23]
; %bb.1991:                             ;   in Loop: Header=BB21_1923 Depth=3
	s_or_b64 exec, exec, s[28:29]
	v_and_b32_e32 v16, 0xffff0000, v16
	v_and_b32_e32 v20, 0xffff0000, v20
	v_max_f32_e32 v20, v20, v20
	v_max_f32_e32 v16, v16, v16
	v_min_f32_e32 v25, v16, v20
	v_max_f32_e32 v16, v16, v20
	v_cndmask_b32_e32 v20, v16, v25, vcc
	v_and_b32_e32 v16, 0x7f800000, v20
	v_cmp_ne_u32_e64 s[22:23], s70, v16
                                        ; implicit-def: $vgpr16
	s_and_saveexec_b64 s[28:29], s[22:23]
	s_xor_b64 s[22:23], exec, s[28:29]
; %bb.1992:                             ;   in Loop: Header=BB21_1923 Depth=3
	v_bfe_u32 v16, v20, 16, 1
	v_add3_u32 v16, v20, v16, s71
                                        ; implicit-def: $vgpr20
; %bb.1993:                             ;   in Loop: Header=BB21_1923 Depth=3
	s_andn2_saveexec_b64 s[28:29], s[22:23]
; %bb.1994:                             ;   in Loop: Header=BB21_1923 Depth=3
	v_or_b32_e32 v16, 0x10000, v20
	v_cmp_eq_u32_sdwa s[22:23], v20, v3 src0_sel:WORD_0 src1_sel:DWORD
	s_nop 1
	v_cndmask_b32_e64 v16, v16, v20, s[22:23]
; %bb.1995:                             ;   in Loop: Header=BB21_1923 Depth=3
	s_or_b64 exec, exec, s[28:29]
	v_lshlrev_b32_e32 v20, 16, v17
	v_lshlrev_b32_e32 v25, 16, v21
	v_max_f32_e32 v25, v25, v25
	v_max_f32_e32 v20, v20, v20
	v_min_f32_e32 v26, v20, v25
	v_max_f32_e32 v20, v20, v25
	v_cndmask_b32_e32 v25, v20, v26, vcc
	v_and_b32_e32 v20, 0x7f800000, v25
	v_cmp_ne_u32_e64 s[22:23], s70, v20
                                        ; implicit-def: $vgpr20
	s_and_saveexec_b64 s[28:29], s[22:23]
	s_xor_b64 s[22:23], exec, s[28:29]
; %bb.1996:                             ;   in Loop: Header=BB21_1923 Depth=3
	v_bfe_u32 v20, v25, 16, 1
	v_add3_u32 v20, v25, v20, s71
                                        ; implicit-def: $vgpr25
; %bb.1997:                             ;   in Loop: Header=BB21_1923 Depth=3
	s_andn2_saveexec_b64 s[28:29], s[22:23]
; %bb.1998:                             ;   in Loop: Header=BB21_1923 Depth=3
	v_or_b32_e32 v20, 0x10000, v25
	v_cmp_eq_u32_sdwa s[22:23], v25, v3 src0_sel:WORD_0 src1_sel:DWORD
	s_nop 1
	v_cndmask_b32_e64 v20, v20, v25, s[22:23]
; %bb.1999:                             ;   in Loop: Header=BB21_1923 Depth=3
	s_or_b64 exec, exec, s[28:29]
	v_and_b32_e32 v17, 0xffff0000, v17
	v_and_b32_e32 v21, 0xffff0000, v21
	v_max_f32_e32 v21, v21, v21
	v_max_f32_e32 v17, v17, v17
	v_min_f32_e32 v25, v17, v21
	v_max_f32_e32 v17, v17, v21
	v_cndmask_b32_e32 v21, v17, v25, vcc
	v_and_b32_e32 v17, 0x7f800000, v21
	v_cmp_ne_u32_e64 s[22:23], s70, v17
                                        ; implicit-def: $vgpr17
	s_and_saveexec_b64 s[28:29], s[22:23]
	s_xor_b64 s[22:23], exec, s[28:29]
; %bb.2000:                             ;   in Loop: Header=BB21_1923 Depth=3
	v_bfe_u32 v17, v21, 16, 1
	v_add3_u32 v17, v21, v17, s71
                                        ; implicit-def: $vgpr21
; %bb.2001:                             ;   in Loop: Header=BB21_1923 Depth=3
	s_andn2_saveexec_b64 s[28:29], s[22:23]
; %bb.2002:                             ;   in Loop: Header=BB21_1923 Depth=3
	v_or_b32_e32 v17, 0x10000, v21
	v_cmp_eq_u32_sdwa s[22:23], v21, v3 src0_sel:WORD_0 src1_sel:DWORD
	s_nop 1
	v_cndmask_b32_e64 v17, v17, v21, s[22:23]
; %bb.2003:                             ;   in Loop: Header=BB21_1923 Depth=3
	s_or_b64 exec, exec, s[28:29]
	v_lshlrev_b32_e32 v21, 16, v18
	v_lshlrev_b32_e32 v25, 16, v22
	v_max_f32_e32 v25, v25, v25
	v_max_f32_e32 v21, v21, v21
	v_min_f32_e32 v26, v21, v25
	v_max_f32_e32 v21, v21, v25
	v_cndmask_b32_e32 v25, v21, v26, vcc
	v_and_b32_e32 v21, 0x7f800000, v25
	v_cmp_ne_u32_e64 s[22:23], s70, v21
                                        ; implicit-def: $vgpr21
	s_and_saveexec_b64 s[28:29], s[22:23]
	s_xor_b64 s[22:23], exec, s[28:29]
; %bb.2004:                             ;   in Loop: Header=BB21_1923 Depth=3
	v_bfe_u32 v21, v25, 16, 1
	v_add3_u32 v21, v25, v21, s71
                                        ; implicit-def: $vgpr25
; %bb.2005:                             ;   in Loop: Header=BB21_1923 Depth=3
	s_andn2_saveexec_b64 s[28:29], s[22:23]
; %bb.2006:                             ;   in Loop: Header=BB21_1923 Depth=3
	v_or_b32_e32 v21, 0x10000, v25
	v_cmp_eq_u32_sdwa s[22:23], v25, v3 src0_sel:WORD_0 src1_sel:DWORD
	s_nop 1
	v_cndmask_b32_e64 v21, v21, v25, s[22:23]
; %bb.2007:                             ;   in Loop: Header=BB21_1923 Depth=3
	s_or_b64 exec, exec, s[28:29]
	v_and_b32_e32 v18, 0xffff0000, v18
	v_and_b32_e32 v22, 0xffff0000, v22
	v_max_f32_e32 v22, v22, v22
	v_max_f32_e32 v18, v18, v18
	v_min_f32_e32 v25, v18, v22
	v_max_f32_e32 v18, v18, v22
	v_cndmask_b32_e32 v22, v18, v25, vcc
	v_and_b32_e32 v18, 0x7f800000, v22
	v_cmp_ne_u32_e64 s[22:23], s70, v18
                                        ; implicit-def: $vgpr18
	s_and_saveexec_b64 s[28:29], s[22:23]
	s_xor_b64 s[22:23], exec, s[28:29]
; %bb.2008:                             ;   in Loop: Header=BB21_1923 Depth=3
	v_bfe_u32 v18, v22, 16, 1
	v_add3_u32 v18, v22, v18, s71
                                        ; implicit-def: $vgpr22
; %bb.2009:                             ;   in Loop: Header=BB21_1923 Depth=3
	s_andn2_saveexec_b64 s[28:29], s[22:23]
; %bb.2010:                             ;   in Loop: Header=BB21_1923 Depth=3
	v_or_b32_e32 v18, 0x10000, v22
	v_cmp_eq_u32_sdwa s[22:23], v22, v3 src0_sel:WORD_0 src1_sel:DWORD
	s_nop 1
	v_cndmask_b32_e64 v18, v18, v22, s[22:23]
; %bb.2011:                             ;   in Loop: Header=BB21_1923 Depth=3
	s_or_b64 exec, exec, s[28:29]
	v_lshlrev_b32_e32 v22, 16, v19
	v_lshlrev_b32_e32 v25, 16, v23
	v_max_f32_e32 v25, v25, v25
	v_max_f32_e32 v22, v22, v22
	v_min_f32_e32 v26, v22, v25
	v_max_f32_e32 v22, v22, v25
	v_cndmask_b32_e32 v25, v22, v26, vcc
	v_and_b32_e32 v22, 0x7f800000, v25
	v_cmp_ne_u32_e64 s[22:23], s70, v22
                                        ; implicit-def: $vgpr22
	s_and_saveexec_b64 s[28:29], s[22:23]
	s_xor_b64 s[22:23], exec, s[28:29]
; %bb.2012:                             ;   in Loop: Header=BB21_1923 Depth=3
	v_bfe_u32 v22, v25, 16, 1
	v_add3_u32 v22, v25, v22, s71
                                        ; implicit-def: $vgpr25
; %bb.2013:                             ;   in Loop: Header=BB21_1923 Depth=3
	s_andn2_saveexec_b64 s[28:29], s[22:23]
; %bb.2014:                             ;   in Loop: Header=BB21_1923 Depth=3
	v_or_b32_e32 v22, 0x10000, v25
	v_cmp_eq_u32_sdwa s[22:23], v25, v3 src0_sel:WORD_0 src1_sel:DWORD
	s_nop 1
	v_cndmask_b32_e64 v22, v22, v25, s[22:23]
; %bb.2015:                             ;   in Loop: Header=BB21_1923 Depth=3
	s_or_b64 exec, exec, s[28:29]
	v_and_b32_e32 v19, 0xffff0000, v19
	v_and_b32_e32 v23, 0xffff0000, v23
	v_max_f32_e32 v23, v23, v23
	v_max_f32_e32 v19, v19, v19
	v_min_f32_e32 v25, v19, v23
	v_max_f32_e32 v19, v19, v23
	v_cndmask_b32_e32 v23, v19, v25, vcc
	v_and_b32_e32 v19, 0x7f800000, v23
	v_cmp_ne_u32_e64 s[22:23], s70, v19
                                        ; implicit-def: $vgpr19
	s_and_saveexec_b64 s[28:29], s[22:23]
	s_xor_b64 s[22:23], exec, s[28:29]
; %bb.2016:                             ;   in Loop: Header=BB21_1923 Depth=3
	v_bfe_u32 v19, v23, 16, 1
	v_add3_u32 v19, v23, v19, s71
                                        ; implicit-def: $vgpr23
; %bb.2017:                             ;   in Loop: Header=BB21_1923 Depth=3
	s_andn2_saveexec_b64 s[28:29], s[22:23]
; %bb.2018:                             ;   in Loop: Header=BB21_1923 Depth=3
	v_or_b32_e32 v19, 0x10000, v23
	v_cmp_eq_u32_sdwa s[22:23], v23, v3 src0_sel:WORD_0 src1_sel:DWORD
	s_nop 1
	v_cndmask_b32_e64 v19, v19, v23, s[22:23]
; %bb.2019:                             ;   in Loop: Header=BB21_1923 Depth=3
	s_or_b64 exec, exec, s[28:29]
	v_lshrrev_b32_e32 v20, 16, v20
	v_and_or_b32 v17, v17, s80, v20
	v_lshrrev_b32_e32 v20, 16, v24
	v_and_or_b32 v16, v16, s80, v20
	;; [unrolled: 2-line block ×4, first 2 shown]
	global_store_dwordx4 v[36:37], v[16:19], off offset:2048
	s_nop 1
	v_lshlrev_b32_e32 v16, 16, v8
	v_lshlrev_b32_e32 v17, 16, v12
	v_max_f32_e32 v17, v17, v17
	v_max_f32_e32 v16, v16, v16
	v_min_f32_e32 v18, v16, v17
	v_max_f32_e32 v16, v16, v17
	v_cndmask_b32_e32 v17, v16, v18, vcc
	v_and_b32_e32 v16, 0x7f800000, v17
	v_cmp_ne_u32_e64 s[22:23], s70, v16
                                        ; implicit-def: $vgpr16
	s_and_saveexec_b64 s[28:29], s[22:23]
	s_xor_b64 s[22:23], exec, s[28:29]
; %bb.2020:                             ;   in Loop: Header=BB21_1923 Depth=3
	v_bfe_u32 v16, v17, 16, 1
	v_add3_u32 v16, v17, v16, s71
                                        ; implicit-def: $vgpr17
; %bb.2021:                             ;   in Loop: Header=BB21_1923 Depth=3
	s_andn2_saveexec_b64 s[28:29], s[22:23]
; %bb.2022:                             ;   in Loop: Header=BB21_1923 Depth=3
	v_or_b32_e32 v16, 0x10000, v17
	v_cmp_eq_u32_sdwa s[22:23], v17, v3 src0_sel:WORD_0 src1_sel:DWORD
	s_nop 1
	v_cndmask_b32_e64 v16, v16, v17, s[22:23]
; %bb.2023:                             ;   in Loop: Header=BB21_1923 Depth=3
	s_or_b64 exec, exec, s[28:29]
	v_and_b32_e32 v8, 0xffff0000, v8
	v_and_b32_e32 v12, 0xffff0000, v12
	v_max_f32_e32 v12, v12, v12
	v_max_f32_e32 v8, v8, v8
	v_min_f32_e32 v17, v8, v12
	v_max_f32_e32 v8, v8, v12
	v_cndmask_b32_e32 v12, v8, v17, vcc
	v_and_b32_e32 v8, 0x7f800000, v12
	v_cmp_ne_u32_e64 s[22:23], s70, v8
                                        ; implicit-def: $vgpr8
	s_and_saveexec_b64 s[28:29], s[22:23]
	s_xor_b64 s[22:23], exec, s[28:29]
; %bb.2024:                             ;   in Loop: Header=BB21_1923 Depth=3
	v_bfe_u32 v8, v12, 16, 1
	v_add3_u32 v8, v12, v8, s71
                                        ; implicit-def: $vgpr12
; %bb.2025:                             ;   in Loop: Header=BB21_1923 Depth=3
	s_andn2_saveexec_b64 s[28:29], s[22:23]
; %bb.2026:                             ;   in Loop: Header=BB21_1923 Depth=3
	v_or_b32_e32 v8, 0x10000, v12
	v_cmp_eq_u32_sdwa s[22:23], v12, v3 src0_sel:WORD_0 src1_sel:DWORD
	s_nop 1
	v_cndmask_b32_e64 v8, v8, v12, s[22:23]
; %bb.2027:                             ;   in Loop: Header=BB21_1923 Depth=3
	s_or_b64 exec, exec, s[28:29]
	v_lshlrev_b32_e32 v12, 16, v9
	v_lshlrev_b32_e32 v17, 16, v13
	v_max_f32_e32 v17, v17, v17
	v_max_f32_e32 v12, v12, v12
	v_min_f32_e32 v18, v12, v17
	v_max_f32_e32 v12, v12, v17
	v_cndmask_b32_e32 v17, v12, v18, vcc
	v_and_b32_e32 v12, 0x7f800000, v17
	v_cmp_ne_u32_e64 s[22:23], s70, v12
                                        ; implicit-def: $vgpr12
	s_and_saveexec_b64 s[28:29], s[22:23]
	s_xor_b64 s[22:23], exec, s[28:29]
; %bb.2028:                             ;   in Loop: Header=BB21_1923 Depth=3
	v_bfe_u32 v12, v17, 16, 1
	v_add3_u32 v12, v17, v12, s71
                                        ; implicit-def: $vgpr17
; %bb.2029:                             ;   in Loop: Header=BB21_1923 Depth=3
	s_andn2_saveexec_b64 s[28:29], s[22:23]
; %bb.2030:                             ;   in Loop: Header=BB21_1923 Depth=3
	v_or_b32_e32 v12, 0x10000, v17
	v_cmp_eq_u32_sdwa s[22:23], v17, v3 src0_sel:WORD_0 src1_sel:DWORD
	s_nop 1
	v_cndmask_b32_e64 v12, v12, v17, s[22:23]
; %bb.2031:                             ;   in Loop: Header=BB21_1923 Depth=3
	s_or_b64 exec, exec, s[28:29]
	v_and_b32_e32 v9, 0xffff0000, v9
	v_and_b32_e32 v13, 0xffff0000, v13
	v_max_f32_e32 v13, v13, v13
	v_max_f32_e32 v9, v9, v9
	v_min_f32_e32 v17, v9, v13
	v_max_f32_e32 v9, v9, v13
	v_cndmask_b32_e32 v13, v9, v17, vcc
	v_and_b32_e32 v9, 0x7f800000, v13
	v_cmp_ne_u32_e64 s[22:23], s70, v9
                                        ; implicit-def: $vgpr9
	s_and_saveexec_b64 s[28:29], s[22:23]
	s_xor_b64 s[22:23], exec, s[28:29]
; %bb.2032:                             ;   in Loop: Header=BB21_1923 Depth=3
	v_bfe_u32 v9, v13, 16, 1
	v_add3_u32 v9, v13, v9, s71
                                        ; implicit-def: $vgpr13
; %bb.2033:                             ;   in Loop: Header=BB21_1923 Depth=3
	s_andn2_saveexec_b64 s[28:29], s[22:23]
; %bb.2034:                             ;   in Loop: Header=BB21_1923 Depth=3
	v_or_b32_e32 v9, 0x10000, v13
	v_cmp_eq_u32_sdwa s[22:23], v13, v3 src0_sel:WORD_0 src1_sel:DWORD
	s_nop 1
	v_cndmask_b32_e64 v9, v9, v13, s[22:23]
; %bb.2035:                             ;   in Loop: Header=BB21_1923 Depth=3
	s_or_b64 exec, exec, s[28:29]
	v_lshlrev_b32_e32 v13, 16, v10
	v_lshlrev_b32_e32 v17, 16, v14
	v_max_f32_e32 v17, v17, v17
	v_max_f32_e32 v13, v13, v13
	v_min_f32_e32 v18, v13, v17
	v_max_f32_e32 v13, v13, v17
	v_cndmask_b32_e32 v17, v13, v18, vcc
	v_and_b32_e32 v13, 0x7f800000, v17
	v_cmp_ne_u32_e64 s[22:23], s70, v13
                                        ; implicit-def: $vgpr13
	s_and_saveexec_b64 s[28:29], s[22:23]
	s_xor_b64 s[22:23], exec, s[28:29]
; %bb.2036:                             ;   in Loop: Header=BB21_1923 Depth=3
	v_bfe_u32 v13, v17, 16, 1
	v_add3_u32 v13, v17, v13, s71
                                        ; implicit-def: $vgpr17
; %bb.2037:                             ;   in Loop: Header=BB21_1923 Depth=3
	s_andn2_saveexec_b64 s[28:29], s[22:23]
; %bb.2038:                             ;   in Loop: Header=BB21_1923 Depth=3
	v_or_b32_e32 v13, 0x10000, v17
	v_cmp_eq_u32_sdwa s[22:23], v17, v3 src0_sel:WORD_0 src1_sel:DWORD
	s_nop 1
	v_cndmask_b32_e64 v13, v13, v17, s[22:23]
; %bb.2039:                             ;   in Loop: Header=BB21_1923 Depth=3
	s_or_b64 exec, exec, s[28:29]
	v_and_b32_e32 v10, 0xffff0000, v10
	v_and_b32_e32 v14, 0xffff0000, v14
	v_max_f32_e32 v14, v14, v14
	v_max_f32_e32 v10, v10, v10
	v_min_f32_e32 v17, v10, v14
	v_max_f32_e32 v10, v10, v14
	v_cndmask_b32_e32 v14, v10, v17, vcc
	v_and_b32_e32 v10, 0x7f800000, v14
	v_cmp_ne_u32_e64 s[22:23], s70, v10
                                        ; implicit-def: $vgpr10
	s_and_saveexec_b64 s[28:29], s[22:23]
	s_xor_b64 s[22:23], exec, s[28:29]
; %bb.2040:                             ;   in Loop: Header=BB21_1923 Depth=3
	v_bfe_u32 v10, v14, 16, 1
	v_add3_u32 v10, v14, v10, s71
                                        ; implicit-def: $vgpr14
; %bb.2041:                             ;   in Loop: Header=BB21_1923 Depth=3
	s_andn2_saveexec_b64 s[28:29], s[22:23]
; %bb.2042:                             ;   in Loop: Header=BB21_1923 Depth=3
	v_or_b32_e32 v10, 0x10000, v14
	v_cmp_eq_u32_sdwa s[22:23], v14, v3 src0_sel:WORD_0 src1_sel:DWORD
	s_nop 1
	v_cndmask_b32_e64 v10, v10, v14, s[22:23]
; %bb.2043:                             ;   in Loop: Header=BB21_1923 Depth=3
	s_or_b64 exec, exec, s[28:29]
	v_lshlrev_b32_e32 v14, 16, v11
	v_lshlrev_b32_e32 v17, 16, v15
	v_max_f32_e32 v17, v17, v17
	v_max_f32_e32 v14, v14, v14
	v_min_f32_e32 v18, v14, v17
	v_max_f32_e32 v14, v14, v17
	v_cndmask_b32_e32 v17, v14, v18, vcc
	v_and_b32_e32 v14, 0x7f800000, v17
	v_cmp_ne_u32_e64 s[22:23], s70, v14
                                        ; implicit-def: $vgpr14
	s_and_saveexec_b64 s[28:29], s[22:23]
	s_xor_b64 s[22:23], exec, s[28:29]
; %bb.2044:                             ;   in Loop: Header=BB21_1923 Depth=3
	v_bfe_u32 v14, v17, 16, 1
	v_add3_u32 v14, v17, v14, s71
                                        ; implicit-def: $vgpr17
; %bb.2045:                             ;   in Loop: Header=BB21_1923 Depth=3
	s_andn2_saveexec_b64 s[28:29], s[22:23]
; %bb.2046:                             ;   in Loop: Header=BB21_1923 Depth=3
	v_or_b32_e32 v14, 0x10000, v17
	v_cmp_eq_u32_sdwa s[22:23], v17, v3 src0_sel:WORD_0 src1_sel:DWORD
	s_nop 1
	v_cndmask_b32_e64 v14, v14, v17, s[22:23]
; %bb.2047:                             ;   in Loop: Header=BB21_1923 Depth=3
	s_or_b64 exec, exec, s[28:29]
	v_and_b32_e32 v11, 0xffff0000, v11
	v_and_b32_e32 v15, 0xffff0000, v15
	v_max_f32_e32 v15, v15, v15
	v_max_f32_e32 v11, v11, v11
	v_min_f32_e32 v17, v11, v15
	v_max_f32_e32 v11, v11, v15
	v_cndmask_b32_e32 v15, v11, v17, vcc
	v_and_b32_e32 v11, 0x7f800000, v15
	v_cmp_ne_u32_e64 s[22:23], s70, v11
                                        ; implicit-def: $vgpr11
	s_and_saveexec_b64 s[28:29], s[22:23]
	s_xor_b64 s[22:23], exec, s[28:29]
; %bb.2048:                             ;   in Loop: Header=BB21_1923 Depth=3
	v_bfe_u32 v11, v15, 16, 1
	v_add3_u32 v11, v15, v11, s71
                                        ; implicit-def: $vgpr15
; %bb.2049:                             ;   in Loop: Header=BB21_1923 Depth=3
	s_andn2_saveexec_b64 s[28:29], s[22:23]
	s_cbranch_execz .LBB21_1922
; %bb.2050:                             ;   in Loop: Header=BB21_1923 Depth=3
	v_or_b32_e32 v11, 0x10000, v15
	v_cmp_eq_u32_sdwa s[22:23], v15, v3 src0_sel:WORD_0 src1_sel:DWORD
	s_nop 1
	v_cndmask_b32_e64 v11, v11, v15, s[22:23]
	s_branch .LBB21_1922
.LBB21_2051:                            ;   in Loop: Header=BB21_1845 Depth=2
	s_or_b64 exec, exec, s[26:27]
.LBB21_2052:                            ;   in Loop: Header=BB21_1845 Depth=2
	s_or_b64 exec, exec, s[24:25]
	v_lshlrev_b32_e32 v16, 12, v95
	v_cmp_ne_u32_e32 vcc, v61, v16
	s_mov_b64 s[22:23], 0
	v_mov_b32_e32 v18, 0
                                        ; implicit-def: $vgpr19
	s_and_saveexec_b64 s[48:49], vcc
	s_cbranch_execz .LBB21_2058
; %bb.2053:                             ;   in Loop: Header=BB21_1845 Depth=2
	v_lshlrev_b32_e32 v8, 6, v94
	v_sub_u32_e32 v8, v105, v8
	v_ashrrev_i32_e32 v10, 31, v8
	v_lshrrev_b32_e32 v10, 26, v10
	v_add_u32_e32 v10, v8, v10
	v_sub_u32_e32 v9, v61, v16
	v_ashrrev_i32_e32 v11, 6, v10
	v_and_b32_e32 v10, 0xffffffc0, v10
	v_sub_u32_e32 v17, v8, v10
	v_ashrrev_i32_e32 v10, 31, v9
	v_lshrrev_b32_e32 v10, 22, v10
	v_add_u32_e32 v10, v9, v10
	v_and_b32_e32 v18, 0xfffffc00, v10
	v_lshlrev_b32_e32 v8, 4, v17
	v_sub_u32_e32 v19, v9, v18
	v_lshl_add_u32 v8, v11, 10, v8
	v_ashrrev_i32_e32 v12, 10, v10
	v_cmp_lt_i32_e32 vcc, 15, v19
	v_sub_u32_e32 v21, v9, v8
	s_nop 0
	v_addc_co_u32_e64 v9, s[22:23], 0, v12, vcc
	v_sub_u32_e32 v20, v9, v11
	v_cmp_lt_i32_e64 s[22:23], 15, v21
	s_and_saveexec_b64 s[50:51], s[22:23]
	s_cbranch_execz .LBB21_2057
; %bb.2054:                             ;   in Loop: Header=BB21_1845 Depth=2
	s_and_b32 s74, s55, 1
	v_add_u32_e32 v8, v8, v16
	s_cmp_eq_u64 s[74:75], 0
	v_ashrrev_i32_e32 v9, 31, v8
	s_mov_b64 s[52:53], 0
	s_cselect_b64 s[22:23], -1, 0
.LBB21_2055:                            ;   Parent Loop BB21_47 Depth=1
                                        ;     Parent Loop BB21_1845 Depth=2
                                        ; =>    This Inner Loop Header: Depth=3
	v_lshl_add_u64 v[12:13], v[76:77], 0, v[8:9]
	v_lshl_add_u64 v[14:15], v[72:73], 0, v[8:9]
	global_load_dwordx4 v[22:25], v[14:15], off nt
	s_nop 0
	global_load_dwordx4 v[12:15], v[12:13], off nt
	v_sub_u32_e32 v21, v21, v100
	v_cmp_gt_i32_e64 s[24:25], 16, v21
	s_or_b64 s[52:53], s[24:25], s[52:53]
	v_lshl_add_u64 v[10:11], v[74:75], 0, v[8:9]
	v_sub_u32_e32 v20, v20, v84
	v_lshl_add_u64 v[8:9], v[8:9], 0, v[100:101]
	s_waitcnt vmcnt(0)
	v_and_b32_e32 v26, 0xffff0000, v22
	v_and_b32_e32 v27, 0xffff0000, v12
	v_lshlrev_b32_e32 v22, 16, v22
	v_lshlrev_b32_e32 v12, 16, v12
	v_and_b32_e32 v32, 0xffff0000, v23
	v_and_b32_e32 v33, 0xffff0000, v13
	v_lshlrev_b32_e32 v23, 16, v23
	v_lshlrev_b32_e32 v13, 16, v13
	;; [unrolled: 4-line block ×4, first 2 shown]
	v_max_f32_e32 v12, v12, v12
	v_max_f32_e32 v22, v22, v22
	;; [unrolled: 1-line block ×16, first 2 shown]
	v_min_f32_e32 v38, v22, v12
	v_max_f32_e32 v12, v22, v12
	v_min_f32_e32 v22, v26, v27
	v_max_f32_e32 v26, v26, v27
	;; [unrolled: 2-line block ×8, first 2 shown]
	v_cndmask_b32_e64 v12, v12, v38, s[22:23]
	v_cndmask_b32_e64 v22, v26, v22, s[22:23]
	;; [unrolled: 1-line block ×8, first 2 shown]
	v_and_b32_e32 v26, 0x7f800000, v12
	v_bfe_u32 v27, v12, 16, 1
	v_or_b32_e32 v32, 0x10000, v12
	v_cmp_eq_u32_sdwa s[24:25], v12, v3 src0_sel:WORD_0 src1_sel:DWORD
	v_and_b32_e32 v33, 0x7f800000, v22
	v_bfe_u32 v34, v22, 16, 1
	v_or_b32_e32 v35, 0x10000, v22
	v_cmp_eq_u32_sdwa s[26:27], v22, v3 src0_sel:WORD_0 src1_sel:DWORD
	;; [unrolled: 4-line block ×3, first 2 shown]
	v_bfe_u32 v48, v23, 16, 1
	v_or_b32_e32 v49, 0x10000, v23
	v_cmp_eq_u32_sdwa s[40:41], v23, v3 src0_sel:WORD_0 src1_sel:DWORD
	v_and_b32_e32 v50, 0x7f800000, v14
	v_bfe_u32 v51, v14, 16, 1
	v_or_b32_e32 v82, 0x10000, v14
	v_cmp_eq_u32_sdwa s[42:43], v14, v3 src0_sel:WORD_0 src1_sel:DWORD
	v_bfe_u32 v79, v24, 16, 1
	v_or_b32_e32 v88, 0x10000, v24
	v_cmp_eq_u32_sdwa s[44:45], v24, v3 src0_sel:WORD_0 src1_sel:DWORD
	v_and_b32_e32 v89, 0x7f800000, v15
	v_bfe_u32 v90, v15, 16, 1
	v_or_b32_e32 v91, 0x10000, v15
	v_cmp_eq_u32_sdwa s[46:47], v15, v3 src0_sel:WORD_0 src1_sel:DWORD
	v_bfe_u32 v95, v25, 16, 1
	v_or_b32_e32 v120, 0x10000, v25
	v_cmp_eq_u32_sdwa s[56:57], v25, v3 src0_sel:WORD_0 src1_sel:DWORD
	v_and_b32_e32 v39, 0x7f800000, v23
	v_and_b32_e32 v78, 0x7f800000, v24
	;; [unrolled: 1-line block ×3, first 2 shown]
	v_add3_u32 v27, v12, v27, s71
	v_cndmask_b32_e64 v12, v32, v12, s[24:25]
	v_add3_u32 v32, v22, v34, s71
	v_cndmask_b32_e64 v22, v35, v22, s[26:27]
	v_cmp_eq_u32_e64 s[24:25], s70, v33
	v_add3_u32 v33, v13, v37, s71
	v_cndmask_b32_e64 v13, v38, v13, s[28:29]
	v_cmp_eq_u32_e64 s[26:27], s70, v36
	v_add3_u32 v34, v23, v48, s71
	v_cndmask_b32_e64 v23, v49, v23, s[40:41]
	v_add3_u32 v35, v14, v51, s71
	v_cndmask_b32_e64 v14, v82, v14, s[42:43]
	v_cmp_eq_u32_e64 s[40:41], s70, v50
	v_add3_u32 v36, v24, v79, s71
	v_cndmask_b32_e64 v24, v88, v24, s[44:45]
	;; [unrolled: 5-line block ×3, first 2 shown]
	v_cmp_eq_u32_e64 s[56:57], s70, v26
	v_cmp_eq_u32_e64 s[28:29], s70, v39
	;; [unrolled: 1-line block ×4, first 2 shown]
	v_cndmask_b32_e64 v12, v27, v12, s[56:57]
	v_cndmask_b32_e64 v13, v33, v13, s[26:27]
	;; [unrolled: 1-line block ×8, first 2 shown]
	v_lshrrev_b32_e32 v13, 16, v13
	v_lshrrev_b32_e32 v12, 16, v12
	v_lshrrev_b32_e32 v14, 16, v14
	v_lshrrev_b32_e32 v15, 16, v15
	v_and_or_b32 v13, v23, s80, v13
	v_and_or_b32 v12, v22, s80, v12
	;; [unrolled: 1-line block ×4, first 2 shown]
	global_store_dwordx4 v[10:11], v[12:15], off
	s_andn2_b64 exec, exec, s[52:53]
	s_cbranch_execnz .LBB21_2055
; %bb.2056:                             ;   in Loop: Header=BB21_1845 Depth=2
	s_or_b64 exec, exec, s[52:53]
.LBB21_2057:                            ;   in Loop: Header=BB21_1845 Depth=2
	s_or_b64 exec, exec, s[50:51]
	v_and_b32_e32 v8, 14, v61
	v_sub_u32_e32 v9, v19, v8
	v_cndmask_b32_e32 v9, 0, v9, vcc
	v_cndmask_b32_e32 v61, v19, v8, vcc
	v_cmp_lt_i32_e32 vcc, 0, v20
	v_add3_u32 v18, v18, v16, v9
	s_nop 0
	v_cndmask_b32_e32 v8, 0, v84, vcc
	v_sub_u32_e32 v8, v8, v20
	v_cmp_ne_u32_e32 vcc, 0, v61
	v_lshl_add_u32 v19, v8, 6, v17
	s_and_b64 s[22:23], vcc, exec
.LBB21_2058:                            ;   in Loop: Header=BB21_1845 Depth=2
	s_or_b64 exec, exec, s[48:49]
	s_and_saveexec_b64 s[24:25], s[22:23]
	s_cbranch_execz .LBB21_2099
.LBB21_2059:                            ;   in Loop: Header=BB21_1845 Depth=2
	v_ashrrev_i32_e32 v8, 31, v19
	v_ashrrev_i32_e32 v9, 31, v61
	v_lshrrev_b32_e32 v8, 26, v8
	v_lshrrev_b32_e32 v9, 22, v9
	v_add_u32_e32 v8, v19, v8
	v_add_u32_e32 v9, v61, v9
	v_ashrrev_i32_e32 v20, 6, v8
	v_ashrrev_i32_e32 v22, 10, v9
	v_sub_u32_e32 v21, v22, v20
	v_cmp_lt_i32_e32 vcc, 0, v21
	s_and_saveexec_b64 s[26:27], vcc
	s_cbranch_execz .LBB21_2095
; %bb.2060:                             ;   in Loop: Header=BB21_1845 Depth=2
	v_and_b32_e32 v8, 0x7fffffc0, v8
	v_sub_u32_e32 v8, v19, v8
	v_lshlrev_b32_e32 v8, 1, v8
	v_lshlrev_b32_e32 v9, 10, v20
	s_and_b32 s74, s55, 1
	v_add3_u32 v8, v8, v18, v9
	s_cmp_eq_u64 s[74:75], 0
	v_ashrrev_i32_e32 v9, 31, v8
	s_mov_b64 s[28:29], 0
	s_cselect_b64 vcc, -1, 0
	v_mov_b64_e32 v[10:11], v[74:75]
	v_mov_b64_e32 v[12:13], v[72:73]
	;; [unrolled: 1-line block ×3, first 2 shown]
	s_branch .LBB21_2062
.LBB21_2061:                            ;   in Loop: Header=BB21_2062 Depth=3
	s_or_b64 exec, exec, s[40:41]
	v_sub_u32_e32 v21, v21, v84
	v_cmp_gt_i32_e64 s[22:23], 1, v21
	v_lshl_add_u64 v[14:15], v[14:15], 0, v[100:101]
	v_lshl_add_u64 v[12:13], v[12:13], 0, v[100:101]
	s_or_b64 s[28:29], s[22:23], s[28:29]
	v_lshl_add_u64 v[10:11], v[10:11], 0, v[100:101]
	flat_store_short_d16_hi v[16:17], v24 offset:896 nt
	s_andn2_b64 exec, exec, s[28:29]
	s_cbranch_execz .LBB21_2094
.LBB21_2062:                            ;   Parent Loop BB21_47 Depth=1
                                        ;     Parent Loop BB21_1845 Depth=2
                                        ; =>    This Inner Loop Header: Depth=3
	v_lshl_add_u64 v[48:49], v[8:9], 0, v[12:13]
	v_lshl_add_u64 v[16:17], v[8:9], 0, v[14:15]
	flat_load_ushort v37, v[48:49] offset:256 nt
	flat_load_ushort v35, v[48:49] offset:384 nt
	;; [unrolled: 1-line block ×6, first 2 shown]
	flat_load_ushort v50, v[48:49] nt
	flat_load_ushort v38, v[16:17] offset:256 nt
	flat_load_ushort v36, v[16:17] offset:384 nt
	;; [unrolled: 1-line block ×6, first 2 shown]
	flat_load_ushort v51, v[16:17] nt
	flat_load_ushort v39, v[48:49] offset:128 nt
	s_nop 0
	flat_load_ushort v48, v[16:17] offset:128 nt
	s_waitcnt vmcnt(0) lgkmcnt(0)
	v_lshlrev_b32_e32 v16, 16, v50
	v_max_f32_e32 v16, v16, v16
	v_lshlrev_b32_e32 v17, 16, v51
	v_max_f32_e32 v17, v17, v17
	v_min_f32_e32 v49, v16, v17
	v_max_f32_e32 v16, v16, v17
	v_cndmask_b32_e32 v16, v16, v49, vcc
	v_and_b32_e32 v17, 0x7f800000, v16
	v_cmp_ne_u32_e64 s[22:23], s70, v17
                                        ; implicit-def: $vgpr49
	s_and_saveexec_b64 s[40:41], s[22:23]
	s_xor_b64 s[22:23], exec, s[40:41]
; %bb.2063:                             ;   in Loop: Header=BB21_2062 Depth=3
	v_bfe_u32 v17, v16, 16, 1
	v_add3_u32 v49, v16, v17, s71
                                        ; implicit-def: $vgpr16
; %bb.2064:                             ;   in Loop: Header=BB21_2062 Depth=3
	s_andn2_saveexec_b64 s[40:41], s[22:23]
; %bb.2065:                             ;   in Loop: Header=BB21_2062 Depth=3
	v_or_b32_e32 v17, 0x10000, v16
	v_cmp_eq_u32_sdwa s[22:23], v16, v3 src0_sel:WORD_0 src1_sel:DWORD
	s_nop 1
	v_cndmask_b32_e64 v49, v17, v16, s[22:23]
; %bb.2066:                             ;   in Loop: Header=BB21_2062 Depth=3
	s_or_b64 exec, exec, s[40:41]
	v_lshlrev_b32_e32 v39, 16, v39
	v_lshlrev_b32_e32 v48, 16, v48
	v_lshl_add_u64 v[16:17], v[8:9], 0, v[10:11]
	v_max_f32_e32 v48, v48, v48
	v_max_f32_e32 v39, v39, v39
	flat_store_short_d16_hi v[16:17], v49 nt
	v_min_f32_e32 v49, v39, v48
	v_max_f32_e32 v39, v39, v48
	v_cndmask_b32_e32 v39, v39, v49, vcc
	v_and_b32_e32 v48, 0x7f800000, v39
	v_cmp_ne_u32_e64 s[22:23], s70, v48
                                        ; implicit-def: $vgpr48
	s_and_saveexec_b64 s[40:41], s[22:23]
	s_xor_b64 s[22:23], exec, s[40:41]
; %bb.2067:                             ;   in Loop: Header=BB21_2062 Depth=3
	v_bfe_u32 v48, v39, 16, 1
	v_add3_u32 v48, v39, v48, s71
                                        ; implicit-def: $vgpr39
; %bb.2068:                             ;   in Loop: Header=BB21_2062 Depth=3
	s_andn2_saveexec_b64 s[40:41], s[22:23]
; %bb.2069:                             ;   in Loop: Header=BB21_2062 Depth=3
	v_or_b32_e32 v48, 0x10000, v39
	v_cmp_eq_u32_sdwa s[22:23], v39, v3 src0_sel:WORD_0 src1_sel:DWORD
	s_nop 1
	v_cndmask_b32_e64 v48, v48, v39, s[22:23]
; %bb.2070:                             ;   in Loop: Header=BB21_2062 Depth=3
	s_or_b64 exec, exec, s[40:41]
	v_lshlrev_b32_e32 v37, 16, v37
	v_lshlrev_b32_e32 v38, 16, v38
	v_max_f32_e32 v38, v38, v38
	v_max_f32_e32 v37, v37, v37
	v_min_f32_e32 v39, v37, v38
	v_max_f32_e32 v37, v37, v38
	v_cndmask_b32_e32 v37, v37, v39, vcc
	v_and_b32_e32 v38, 0x7f800000, v37
	v_cmp_ne_u32_e64 s[22:23], s70, v38
	flat_store_short_d16_hi v[16:17], v48 offset:128 nt
                                        ; implicit-def: $vgpr38
	s_and_saveexec_b64 s[40:41], s[22:23]
	s_xor_b64 s[22:23], exec, s[40:41]
; %bb.2071:                             ;   in Loop: Header=BB21_2062 Depth=3
	v_bfe_u32 v38, v37, 16, 1
	v_add3_u32 v38, v37, v38, s71
                                        ; implicit-def: $vgpr37
; %bb.2072:                             ;   in Loop: Header=BB21_2062 Depth=3
	s_andn2_saveexec_b64 s[40:41], s[22:23]
; %bb.2073:                             ;   in Loop: Header=BB21_2062 Depth=3
	v_or_b32_e32 v38, 0x10000, v37
	v_cmp_eq_u32_sdwa s[22:23], v37, v3 src0_sel:WORD_0 src1_sel:DWORD
	s_nop 1
	v_cndmask_b32_e64 v38, v38, v37, s[22:23]
; %bb.2074:                             ;   in Loop: Header=BB21_2062 Depth=3
	s_or_b64 exec, exec, s[40:41]
	v_lshlrev_b32_e32 v35, 16, v35
	v_lshlrev_b32_e32 v36, 16, v36
	v_max_f32_e32 v36, v36, v36
	v_max_f32_e32 v35, v35, v35
	v_min_f32_e32 v37, v35, v36
	v_max_f32_e32 v35, v35, v36
	v_cndmask_b32_e32 v35, v35, v37, vcc
	v_and_b32_e32 v36, 0x7f800000, v35
	v_cmp_ne_u32_e64 s[22:23], s70, v36
	flat_store_short_d16_hi v[16:17], v38 offset:256 nt
                                        ; implicit-def: $vgpr36
	s_and_saveexec_b64 s[40:41], s[22:23]
	s_xor_b64 s[22:23], exec, s[40:41]
; %bb.2075:                             ;   in Loop: Header=BB21_2062 Depth=3
	v_bfe_u32 v36, v35, 16, 1
	v_add3_u32 v36, v35, v36, s71
                                        ; implicit-def: $vgpr35
; %bb.2076:                             ;   in Loop: Header=BB21_2062 Depth=3
	s_andn2_saveexec_b64 s[40:41], s[22:23]
; %bb.2077:                             ;   in Loop: Header=BB21_2062 Depth=3
	v_or_b32_e32 v36, 0x10000, v35
	v_cmp_eq_u32_sdwa s[22:23], v35, v3 src0_sel:WORD_0 src1_sel:DWORD
	s_nop 1
	v_cndmask_b32_e64 v36, v36, v35, s[22:23]
; %bb.2078:                             ;   in Loop: Header=BB21_2062 Depth=3
	s_or_b64 exec, exec, s[40:41]
	v_lshlrev_b32_e32 v33, 16, v33
	v_lshlrev_b32_e32 v34, 16, v34
	v_max_f32_e32 v34, v34, v34
	v_max_f32_e32 v33, v33, v33
	v_min_f32_e32 v35, v33, v34
	v_max_f32_e32 v33, v33, v34
	v_cndmask_b32_e32 v33, v33, v35, vcc
	v_and_b32_e32 v34, 0x7f800000, v33
	v_cmp_ne_u32_e64 s[22:23], s70, v34
	flat_store_short_d16_hi v[16:17], v36 offset:384 nt
                                        ; implicit-def: $vgpr34
	s_and_saveexec_b64 s[40:41], s[22:23]
	s_xor_b64 s[22:23], exec, s[40:41]
; %bb.2079:                             ;   in Loop: Header=BB21_2062 Depth=3
	v_bfe_u32 v34, v33, 16, 1
	v_add3_u32 v34, v33, v34, s71
                                        ; implicit-def: $vgpr33
; %bb.2080:                             ;   in Loop: Header=BB21_2062 Depth=3
	s_andn2_saveexec_b64 s[40:41], s[22:23]
; %bb.2081:                             ;   in Loop: Header=BB21_2062 Depth=3
	v_or_b32_e32 v34, 0x10000, v33
	v_cmp_eq_u32_sdwa s[22:23], v33, v3 src0_sel:WORD_0 src1_sel:DWORD
	s_nop 1
	v_cndmask_b32_e64 v34, v34, v33, s[22:23]
; %bb.2082:                             ;   in Loop: Header=BB21_2062 Depth=3
	s_or_b64 exec, exec, s[40:41]
	v_lshlrev_b32_e32 v27, 16, v27
	v_lshlrev_b32_e32 v32, 16, v32
	v_max_f32_e32 v32, v32, v32
	v_max_f32_e32 v27, v27, v27
	v_min_f32_e32 v33, v27, v32
	v_max_f32_e32 v27, v27, v32
	v_cndmask_b32_e32 v27, v27, v33, vcc
	v_and_b32_e32 v32, 0x7f800000, v27
	v_cmp_ne_u32_e64 s[22:23], s70, v32
	flat_store_short_d16_hi v[16:17], v34 offset:512 nt
                                        ; implicit-def: $vgpr32
	s_and_saveexec_b64 s[40:41], s[22:23]
	s_xor_b64 s[22:23], exec, s[40:41]
; %bb.2083:                             ;   in Loop: Header=BB21_2062 Depth=3
	v_bfe_u32 v32, v27, 16, 1
	v_add3_u32 v32, v27, v32, s71
                                        ; implicit-def: $vgpr27
; %bb.2084:                             ;   in Loop: Header=BB21_2062 Depth=3
	s_andn2_saveexec_b64 s[40:41], s[22:23]
; %bb.2085:                             ;   in Loop: Header=BB21_2062 Depth=3
	v_or_b32_e32 v32, 0x10000, v27
	v_cmp_eq_u32_sdwa s[22:23], v27, v3 src0_sel:WORD_0 src1_sel:DWORD
	s_nop 1
	v_cndmask_b32_e64 v32, v32, v27, s[22:23]
; %bb.2086:                             ;   in Loop: Header=BB21_2062 Depth=3
	s_or_b64 exec, exec, s[40:41]
	v_lshlrev_b32_e32 v25, 16, v25
	v_lshlrev_b32_e32 v26, 16, v26
	v_max_f32_e32 v26, v26, v26
	v_max_f32_e32 v25, v25, v25
	v_min_f32_e32 v27, v25, v26
	v_max_f32_e32 v25, v25, v26
	v_cndmask_b32_e32 v25, v25, v27, vcc
	v_and_b32_e32 v26, 0x7f800000, v25
	v_cmp_ne_u32_e64 s[22:23], s70, v26
	flat_store_short_d16_hi v[16:17], v32 offset:640 nt
                                        ; implicit-def: $vgpr26
	s_and_saveexec_b64 s[40:41], s[22:23]
	s_xor_b64 s[22:23], exec, s[40:41]
; %bb.2087:                             ;   in Loop: Header=BB21_2062 Depth=3
	v_bfe_u32 v26, v25, 16, 1
	v_add3_u32 v26, v25, v26, s71
                                        ; implicit-def: $vgpr25
; %bb.2088:                             ;   in Loop: Header=BB21_2062 Depth=3
	s_andn2_saveexec_b64 s[40:41], s[22:23]
; %bb.2089:                             ;   in Loop: Header=BB21_2062 Depth=3
	v_or_b32_e32 v26, 0x10000, v25
	v_cmp_eq_u32_sdwa s[22:23], v25, v3 src0_sel:WORD_0 src1_sel:DWORD
	s_nop 1
	v_cndmask_b32_e64 v26, v26, v25, s[22:23]
; %bb.2090:                             ;   in Loop: Header=BB21_2062 Depth=3
	s_or_b64 exec, exec, s[40:41]
	v_lshlrev_b32_e32 v23, 16, v23
	v_lshlrev_b32_e32 v24, 16, v24
	v_max_f32_e32 v24, v24, v24
	v_max_f32_e32 v23, v23, v23
	v_min_f32_e32 v25, v23, v24
	v_max_f32_e32 v23, v23, v24
	v_cndmask_b32_e32 v23, v23, v25, vcc
	v_and_b32_e32 v24, 0x7f800000, v23
	v_cmp_ne_u32_e64 s[22:23], s70, v24
	flat_store_short_d16_hi v[16:17], v26 offset:768 nt
                                        ; implicit-def: $vgpr24
	s_and_saveexec_b64 s[40:41], s[22:23]
	s_xor_b64 s[22:23], exec, s[40:41]
; %bb.2091:                             ;   in Loop: Header=BB21_2062 Depth=3
	v_bfe_u32 v24, v23, 16, 1
	v_add3_u32 v24, v23, v24, s71
                                        ; implicit-def: $vgpr23
; %bb.2092:                             ;   in Loop: Header=BB21_2062 Depth=3
	s_andn2_saveexec_b64 s[40:41], s[22:23]
	s_cbranch_execz .LBB21_2061
; %bb.2093:                             ;   in Loop: Header=BB21_2062 Depth=3
	v_or_b32_e32 v24, 0x10000, v23
	v_cmp_eq_u32_sdwa s[22:23], v23, v3 src0_sel:WORD_0 src1_sel:DWORD
	s_nop 1
	v_cndmask_b32_e64 v24, v24, v23, s[22:23]
	s_branch .LBB21_2061
.LBB21_2094:                            ;   in Loop: Header=BB21_1845 Depth=2
	s_or_b64 exec, exec, s[28:29]
.LBB21_2095:                            ;   in Loop: Header=BB21_1845 Depth=2
	s_or_b64 exec, exec, s[26:27]
	v_lshlrev_b32_e32 v8, 10, v22
	v_cmp_ne_u32_e32 vcc, v61, v8
	s_and_b64 exec, exec, vcc
	s_cbranch_execz .LBB21_2099
; %bb.2096:                             ;   in Loop: Header=BB21_1845 Depth=2
	v_lshlrev_b32_e32 v9, 6, v20
	v_sub_u32_e32 v9, v19, v9
	v_lshlrev_b32_e32 v10, 6, v21
	v_sub_u32_e32 v9, v9, v10
	v_ashrrev_i32_e32 v10, 31, v9
	v_lshrrev_b32_e32 v10, 26, v10
	v_add_u32_e32 v10, v9, v10
	v_and_b32_e32 v11, 0x7fffffc0, v10
	v_sub_u32_e32 v9, v9, v11
	v_lshlrev_b32_e32 v10, 1, v10
	v_and_b32_e32 v10, 0xffffff80, v10
	v_lshlrev_b32_e32 v9, 1, v9
	v_add3_u32 v8, v10, v9, v8
	v_sub_u32_e32 v10, v61, v8
	v_cmp_lt_i32_e32 vcc, 1, v10
	s_and_b64 exec, exec, vcc
	s_cbranch_execz .LBB21_2099
; %bb.2097:                             ;   in Loop: Header=BB21_1845 Depth=2
	s_and_b32 s74, s55, 1
	v_add_u32_e32 v8, v8, v18
	s_cmp_eq_u64 s[74:75], 0
	v_ashrrev_i32_e32 v9, 31, v8
	s_mov_b64 s[26:27], 0
	s_cselect_b64 vcc, -1, 0
.LBB21_2098:                            ;   Parent Loop BB21_47 Depth=1
                                        ;     Parent Loop BB21_1845 Depth=2
                                        ; =>    This Inner Loop Header: Depth=3
	v_lshl_add_u64 v[14:15], v[72:73], 0, v[8:9]
	v_lshl_add_u64 v[12:13], v[76:77], 0, v[8:9]
	flat_load_ushort v11, v[14:15] nt
	s_nop 0
	flat_load_ushort v14, v[12:13] nt
	v_sub_u32_e32 v10, v10, v102
	v_cmp_gt_i32_e64 s[22:23], 2, v10
	s_or_b64 s[26:27], s[22:23], s[26:27]
	v_lshl_add_u64 v[12:13], v[74:75], 0, v[8:9]
	v_lshl_add_u64 v[8:9], v[8:9], 0, v[102:103]
	s_waitcnt vmcnt(0) lgkmcnt(0)
	v_lshlrev_b32_e32 v11, 16, v11
	v_lshlrev_b32_e32 v14, 16, v14
	v_max_f32_e32 v14, v14, v14
	v_max_f32_e32 v11, v11, v11
	v_min_f32_e32 v15, v11, v14
	v_max_f32_e32 v11, v11, v14
	v_cndmask_b32_e32 v11, v11, v15, vcc
	v_and_b32_e32 v14, 0x7f800000, v11
	v_bfe_u32 v15, v11, 16, 1
	v_or_b32_e32 v16, 0x10000, v11
	v_cmp_eq_u32_sdwa s[22:23], v11, v3 src0_sel:WORD_0 src1_sel:DWORD
	v_add3_u32 v15, v11, v15, s71
	s_nop 0
	v_cndmask_b32_e64 v11, v16, v11, s[22:23]
	v_cmp_eq_u32_e64 s[22:23], s70, v14
	s_nop 1
	v_cndmask_b32_e64 v11, v15, v11, s[22:23]
	flat_store_short_d16_hi v[12:13], v11 nt
	s_andn2_b64 exec, exec, s[26:27]
	s_cbranch_execnz .LBB21_2098
.LBB21_2099:                            ;   in Loop: Header=BB21_1845 Depth=2
	s_or_b64 exec, exec, s[24:25]
	v_cmp_lt_i32_e64 s[22:23], 0, v2
	s_and_saveexec_b64 s[24:25], s[4:5]
	s_cbranch_execz .LBB21_1916
.LBB21_2100:                            ;   in Loop: Header=BB21_1845 Depth=2
	s_and_saveexec_b64 s[26:27], s[76:77]
	s_xor_b64 s[26:27], exec, s[26:27]
	s_cbranch_execz .LBB21_2115
; %bb.2101:                             ;   in Loop: Header=BB21_1845 Depth=2
	s_and_saveexec_b64 s[28:29], s[12:13]
	s_cbranch_execz .LBB21_2114
; %bb.2102:                             ;   in Loop: Header=BB21_1845 Depth=2
	s_mov_b64 s[42:43], exec
	v_mbcnt_lo_u32_b32 v2, s42, 0
	v_mbcnt_hi_u32_b32 v2, s43, v2
	v_cmp_eq_u32_e32 vcc, 0, v2
	s_waitcnt lgkmcnt(0)
	s_and_saveexec_b64 s[40:41], vcc
	s_cbranch_execz .LBB21_2104
; %bb.2103:                             ;   in Loop: Header=BB21_1845 Depth=2
	s_bcnt1_i32_b64 s42, s[42:43]
	v_mov_b32_e32 v2, s42
	ds_add_u64 v0, v[2:3]
	s_trap 2
.LBB21_2104:                            ;   in Loop: Header=BB21_1845 Depth=2
	s_or_b64 exec, exec, s[40:41]
	s_trap 2
	ds_read_b64 v[8:9], v0
	s_waitcnt lgkmcnt(0)
	v_lshl_add_u64 v[70:71], v[70:71], 0, v[84:85]
	v_cmp_lt_u64_e32 vcc, v[8:9], v[70:71]
	s_and_saveexec_b64 s[40:41], vcc
	s_cbranch_execz .LBB21_2113
; %bb.2105:                             ;   in Loop: Header=BB21_1845 Depth=2
	s_mov_b32 s74, 0
	s_mov_b64 s[42:43], 0
                                        ; implicit-def: $sgpr44_sgpr45
                                        ; implicit-def: $sgpr46_sgpr47
	s_branch .LBB21_2107
.LBB21_2106:                            ;   in Loop: Header=BB21_2107 Depth=3
	s_or_b64 exec, exec, s[48:49]
	s_and_b64 s[56:57], exec, vcc
	s_or_b64 s[42:43], s[56:57], s[42:43]
	s_andn2_b64 s[44:45], s[44:45], exec
	s_and_b64 s[56:57], s[46:47], exec
	s_or_b64 s[44:45], s[44:45], s[56:57]
	s_andn2_b64 exec, exec, s[42:43]
	s_cbranch_execz .LBB21_2111
.LBB21_2107:                            ;   Parent Loop BB21_47 Depth=1
                                        ;     Parent Loop BB21_1845 Depth=2
                                        ; =>    This Inner Loop Header: Depth=3
	s_add_i32 s74, s74, 1
	s_cmpk_lg_i32 s74, 0x2710
	s_cselect_b64 s[56:57], -1, 0
	s_and_b64 vcc, exec, s[56:57]
	s_cbranch_vccz .LBB21_2109
; %bb.2108:                             ;   in Loop: Header=BB21_2107 Depth=3
	s_mov_b64 vcc, -1
	s_or_b64 s[46:47], s[46:47], exec
	s_and_saveexec_b64 s[48:49], s[56:57]
	s_cbranch_execz .LBB21_2106
	s_branch .LBB21_2110
.LBB21_2109:                            ;   in Loop: Header=BB21_2107 Depth=3
	s_trap 2
	ds_read_b64 v[8:9], v0
	s_andn2_b64 s[56:57], s[56:57], exec
	s_mov_b32 s74, 0
	s_waitcnt vmcnt(0) lgkmcnt(0)
	flat_load_dword v2, v[8:9] sc0 sc1
	s_waitcnt vmcnt(0) lgkmcnt(0)
	buffer_inv sc0 sc1
	v_cmp_eq_u32_e32 vcc, 0, v2
	s_and_b64 vcc, vcc, exec
	s_or_b64 s[56:57], s[56:57], vcc
	s_mov_b64 vcc, -1
	s_or_b64 s[46:47], s[46:47], exec
	s_and_saveexec_b64 s[48:49], s[56:57]
	s_cbranch_execz .LBB21_2106
.LBB21_2110:                            ;   in Loop: Header=BB21_2107 Depth=3
	s_sleep 1
	s_trap 2
	ds_read_b64 v[8:9], v0
	s_waitcnt lgkmcnt(0)
	s_andn2_b64 s[46:47], s[46:47], exec
	v_cmp_ge_u64_e32 vcc, v[8:9], v[70:71]
	s_orn2_b64 vcc, vcc, exec
	s_branch .LBB21_2106
.LBB21_2111:                            ;   in Loop: Header=BB21_1845 Depth=2
	s_or_b64 exec, exec, s[42:43]
	s_and_saveexec_b64 s[42:43], s[44:45]
	s_xor_b64 s[42:43], exec, s[42:43]
	s_cbranch_execz .LBB21_2113
; %bb.2112:                             ;   in Loop: Header=BB21_1845 Depth=2
	ds_write_b32 v0, v107
	s_trap 2
.LBB21_2113:                            ;   in Loop: Header=BB21_1845 Depth=2
	s_or_b64 exec, exec, s[40:41]
	;;#ASMSTART
	s_wakeup
	;;#ASMEND
.LBB21_2114:                            ;   in Loop: Header=BB21_1845 Depth=2
	s_or_b64 exec, exec, s[28:29]
.LBB21_2115:                            ;   in Loop: Header=BB21_1845 Depth=2
	s_andn2_saveexec_b64 s[26:27], s[26:27]
	s_cbranch_execz .LBB21_2117
; %bb.2116:                             ;   in Loop: Header=BB21_1845 Depth=2
	s_waitcnt lgkmcnt(0)
	s_barrier
.LBB21_2117:                            ;   in Loop: Header=BB21_1845 Depth=2
	s_or_b64 exec, exec, s[26:27]
	s_or_b64 exec, exec, s[24:25]
	s_and_saveexec_b64 s[24:25], s[20:21]
	s_xor_b64 s[24:25], exec, s[24:25]
	s_cbranch_execnz .LBB21_1917
.LBB21_2118:                            ;   in Loop: Header=BB21_1845 Depth=2
	s_andn2_saveexec_b64 s[22:23], s[24:25]
	s_cbranch_execz .LBB21_2137
.LBB21_2119:                            ;   in Loop: Header=BB21_1845 Depth=2
	s_and_saveexec_b64 s[24:25], s[76:77]
	s_xor_b64 s[24:25], exec, s[24:25]
	s_cbranch_execz .LBB21_2134
; %bb.2120:                             ;   in Loop: Header=BB21_1845 Depth=2
	s_and_saveexec_b64 s[26:27], s[12:13]
	s_cbranch_execz .LBB21_2133
; %bb.2121:                             ;   in Loop: Header=BB21_1845 Depth=2
	s_mov_b64 s[40:41], exec
	v_mbcnt_lo_u32_b32 v2, s40, 0
	v_mbcnt_hi_u32_b32 v2, s41, v2
	v_cmp_eq_u32_e32 vcc, 0, v2
	;;#ASMSTART
	s_waitcnt lgkmcnt(0) vmcnt(0)
	;;#ASMEND
	s_and_saveexec_b64 s[28:29], vcc
	s_cbranch_execz .LBB21_2123
; %bb.2122:                             ;   in Loop: Header=BB21_1845 Depth=2
	s_bcnt1_i32_b64 s40, s[40:41]
	v_mov_b32_e32 v2, s40
	s_waitcnt lgkmcnt(0)
	ds_add_u64 v0, v[2:3]
	s_trap 2
.LBB21_2123:                            ;   in Loop: Header=BB21_1845 Depth=2
	s_or_b64 exec, exec, s[28:29]
	s_trap 2
	ds_read_b64 v[8:9], v0
	s_waitcnt lgkmcnt(0)
	v_lshl_add_u64 v[70:71], v[70:71], 0, v[84:85]
	v_cmp_lt_u64_e32 vcc, v[8:9], v[70:71]
	s_and_saveexec_b64 s[28:29], vcc
	s_cbranch_execz .LBB21_2132
; %bb.2124:                             ;   in Loop: Header=BB21_1845 Depth=2
	s_mov_b32 s74, 0
	s_mov_b64 s[40:41], 0
                                        ; implicit-def: $sgpr42_sgpr43
                                        ; implicit-def: $sgpr44_sgpr45
	s_branch .LBB21_2126
.LBB21_2125:                            ;   in Loop: Header=BB21_2126 Depth=3
	s_or_b64 exec, exec, s[56:57]
	s_and_b64 s[46:47], exec, vcc
	s_or_b64 s[40:41], s[46:47], s[40:41]
	s_andn2_b64 s[42:43], s[42:43], exec
	s_and_b64 s[46:47], s[44:45], exec
	s_or_b64 s[42:43], s[42:43], s[46:47]
	s_andn2_b64 exec, exec, s[40:41]
	s_cbranch_execz .LBB21_2130
.LBB21_2126:                            ;   Parent Loop BB21_47 Depth=1
                                        ;     Parent Loop BB21_1845 Depth=2
                                        ; =>    This Inner Loop Header: Depth=3
	s_add_i32 s74, s74, 1
	s_cmpk_lg_i32 s74, 0x2710
	s_cselect_b64 s[46:47], -1, 0
	s_and_b64 vcc, exec, s[46:47]
	s_cbranch_vccz .LBB21_2128
; %bb.2127:                             ;   in Loop: Header=BB21_2126 Depth=3
	s_mov_b64 vcc, -1
	s_or_b64 s[44:45], s[44:45], exec
	s_and_saveexec_b64 s[56:57], s[46:47]
	s_cbranch_execz .LBB21_2125
	s_branch .LBB21_2129
.LBB21_2128:                            ;   in Loop: Header=BB21_2126 Depth=3
	s_trap 2
	ds_read_b64 v[8:9], v0
	s_andn2_b64 s[46:47], s[46:47], exec
	s_mov_b32 s74, 0
	s_waitcnt vmcnt(0) lgkmcnt(0)
	flat_load_dword v2, v[8:9] sc0 sc1
	s_waitcnt vmcnt(0) lgkmcnt(0)
	buffer_inv sc0 sc1
	v_cmp_eq_u32_e32 vcc, 0, v2
	s_and_b64 s[56:57], vcc, exec
	s_or_b64 s[46:47], s[46:47], s[56:57]
	s_mov_b64 vcc, -1
	s_or_b64 s[44:45], s[44:45], exec
	s_and_saveexec_b64 s[56:57], s[46:47]
	s_cbranch_execz .LBB21_2125
.LBB21_2129:                            ;   in Loop: Header=BB21_2126 Depth=3
	s_sleep 1
	s_trap 2
	ds_read_b64 v[8:9], v0
	s_waitcnt lgkmcnt(0)
	s_andn2_b64 s[44:45], s[44:45], exec
	v_cmp_ge_u64_e32 vcc, v[8:9], v[70:71]
	s_orn2_b64 vcc, vcc, exec
	s_branch .LBB21_2125
.LBB21_2130:                            ;   in Loop: Header=BB21_1845 Depth=2
	s_or_b64 exec, exec, s[40:41]
	s_and_saveexec_b64 s[40:41], s[42:43]
	s_xor_b64 s[40:41], exec, s[40:41]
	s_cbranch_execz .LBB21_2132
; %bb.2131:                             ;   in Loop: Header=BB21_1845 Depth=2
	ds_write_b32 v0, v107
	s_trap 2
.LBB21_2132:                            ;   in Loop: Header=BB21_1845 Depth=2
	s_or_b64 exec, exec, s[28:29]
	;;#ASMSTART
	s_wakeup
	;;#ASMEND
.LBB21_2133:                            ;   in Loop: Header=BB21_1845 Depth=2
	s_or_b64 exec, exec, s[26:27]
.LBB21_2134:                            ;   in Loop: Header=BB21_1845 Depth=2
	s_andn2_saveexec_b64 s[24:25], s[24:25]
	s_cbranch_execz .LBB21_2136
; %bb.2135:                             ;   in Loop: Header=BB21_1845 Depth=2
	;;#ASMSTART
	s_waitcnt lgkmcnt(0) vmcnt(0)
	;;#ASMEND
	s_barrier
.LBB21_2136:                            ;   in Loop: Header=BB21_1845 Depth=2
	s_or_b64 exec, exec, s[24:25]
.LBB21_2137:                            ;   in Loop: Header=BB21_1845 Depth=2
	s_or_b64 exec, exec, s[22:23]
	v_and_b32_e32 v2, 32, v104
	v_cmp_ne_u32_e32 vcc, 0, v2
	s_and_saveexec_b64 s[22:23], vcc
	s_cbranch_execz .LBB21_1844
; %bb.2138:                             ;   in Loop: Header=BB21_1845 Depth=2
	v_lshl_add_u64 v[58:59], v[58:59], 0, 2
	flat_store_dwordx2 v[64:65], v[58:59] sc0 sc1
	s_branch .LBB21_1844
.LBB21_2139:                            ;   in Loop: Header=BB21_47 Depth=1
	s_or_b64 exec, exec, s[60:61]
.LBB21_2140:                            ;   in Loop: Header=BB21_47 Depth=1
	s_or_b64 exec, exec, s[58:59]
	v_cmp_gt_i32_e32 vcc, 2, v2
	s_and_saveexec_b64 s[24:25], vcc
	s_cbranch_execz .LBB21_46
; %bb.2141:                             ;   in Loop: Header=BB21_47 Depth=1
	v_cmp_eq_u32_e64 s[28:29], 0, v2
	s_mov_b64 s[26:27], 0
	s_branch .LBB21_2143
.LBB21_2142:                            ;   in Loop: Header=BB21_2143 Depth=2
	s_or_b64 exec, exec, s[22:23]
	v_add_u32_e32 v60, v93, v60
	s_mov_b64 s[28:29], 0
	s_andn2_b64 exec, exec, s[26:27]
	s_cbranch_execz .LBB21_45
.LBB21_2143:                            ;   Parent Loop BB21_47 Depth=1
                                        ; =>  This Loop Header: Depth=2
                                        ;       Child Loop BB21_2149 Depth 3
                                        ;       Child Loop BB21_2173 Depth 3
	;; [unrolled: 1-line block ×3, first 2 shown]
	v_and_b32_e32 v2, 4, v104
	v_cmp_ne_u32_e32 vcc, 0, v2
	s_and_saveexec_b64 s[40:41], vcc
	s_cbranch_execz .LBB21_2165
; %bb.2144:                             ;   in Loop: Header=BB21_2143 Depth=2
	v_lshl_add_u64 v[8:9], v[58:59], 0, 2
	s_waitcnt vmcnt(0) lgkmcnt(0)
	v_cmp_lt_u64_e32 vcc, v[80:81], v[8:9]
	s_and_saveexec_b64 s[42:43], vcc
	s_cbranch_execz .LBB21_2156
; %bb.2145:                             ;   in Loop: Header=BB21_2143 Depth=2
	v_and_b32_e32 v2, 64, v104
	s_mov_b32 s74, 0
	v_cmp_eq_u32_e32 vcc, 0, v2
	s_mov_b64 s[44:45], 0
                                        ; implicit-def: $sgpr46_sgpr47
                                        ; implicit-def: $sgpr56_sgpr57
                                        ; implicit-def: $sgpr58_sgpr59
	s_branch .LBB21_2149
.LBB21_2146:                            ;   in Loop: Header=BB21_2149 Depth=3
	s_waitcnt vmcnt(0) lgkmcnt(0)
	v_cmp_ge_u64_e64 s[22:23], v[80:81], v[8:9]
	s_or_b64 s[48:49], s[48:49], exec
	s_orn2_b64 s[38:39], s[22:23], exec
.LBB21_2147:                            ;   in Loop: Header=BB21_2149 Depth=3
	s_or_b64 exec, exec, s[52:53]
	s_andn2_b64 s[22:23], s[58:59], exec
	s_and_b64 s[58:59], s[48:49], exec
	s_or_b64 s[58:59], s[22:23], s[58:59]
	s_andn2_b64 s[22:23], s[56:57], exec
	s_and_b64 s[56:57], s[38:39], exec
	s_or_b64 s[56:57], s[22:23], s[56:57]
.LBB21_2148:                            ;   in Loop: Header=BB21_2149 Depth=3
	s_or_b64 exec, exec, s[60:61]
	s_and_b64 s[22:23], exec, s[56:57]
	s_or_b64 s[44:45], s[22:23], s[44:45]
	s_andn2_b64 s[22:23], s[46:47], exec
	s_and_b64 s[46:47], s[58:59], exec
	s_or_b64 s[46:47], s[22:23], s[46:47]
	s_andn2_b64 exec, exec, s[44:45]
	s_cbranch_execz .LBB21_2153
.LBB21_2149:                            ;   Parent Loop BB21_47 Depth=1
                                        ;     Parent Loop BB21_2143 Depth=2
                                        ; =>    This Inner Loop Header: Depth=3
	s_sleep 1
	s_waitcnt vmcnt(0) lgkmcnt(0)
	flat_load_dwordx2 v[80:81], v[64:65] sc0 sc1
	s_or_b64 s[58:59], s[58:59], exec
	s_or_b64 s[56:57], s[56:57], exec
                                        ; implicit-def: $vgpr2
	s_and_saveexec_b64 s[60:61], vcc
	s_cbranch_execz .LBB21_2148
; %bb.2150:                             ;   in Loop: Header=BB21_2149 Depth=3
	s_cmpk_lt_i32 s74, 0x270f
	s_cselect_b64 s[50:51], -1, 0
	s_cmpk_gt_i32 s74, 0x270e
	s_mov_b64 s[38:39], -1
	s_cbranch_scc0 .LBB21_2152
; %bb.2151:                             ;   in Loop: Header=BB21_2149 Depth=3
	s_trap 2
	ds_read_b64 v[10:11], v0
	s_andn2_b64 s[50:51], s[50:51], exec
	s_mov_b32 s74, 0
	s_mov_b64 s[48:49], 0
	s_waitcnt vmcnt(0) lgkmcnt(0)
	flat_load_dword v2, v[10:11] sc0 sc1
	s_waitcnt vmcnt(0) lgkmcnt(0)
	buffer_inv sc0 sc1
	v_cmp_eq_u32_e64 s[22:23], 0, v2
	s_and_b64 s[22:23], s[22:23], exec
	s_or_b64 s[50:51], s[50:51], s[22:23]
	s_and_saveexec_b64 s[52:53], s[50:51]
	s_cbranch_execz .LBB21_2147
	s_branch .LBB21_2146
.LBB21_2152:                            ;   in Loop: Header=BB21_2149 Depth=3
	s_add_i32 s74, s74, 1
	s_mov_b64 s[48:49], -1
                                        ; implicit-def: $vgpr2
	s_and_saveexec_b64 s[52:53], s[50:51]
	s_cbranch_execz .LBB21_2147
	s_branch .LBB21_2146
.LBB21_2153:                            ;   in Loop: Header=BB21_2143 Depth=2
	s_or_b64 exec, exec, s[44:45]
	s_xor_b64 s[22:23], s[46:47], -1
	s_and_saveexec_b64 s[44:45], s[22:23]
	s_xor_b64 s[22:23], exec, s[44:45]
	s_cbranch_execz .LBB21_2155
; %bb.2154:                             ;   in Loop: Header=BB21_2143 Depth=2
	v_or_b32_e32 v104, 64, v104
	s_waitcnt lgkmcnt(0)
	ds_write_b32 v0, v2
	s_trap 2
.LBB21_2155:                            ;   in Loop: Header=BB21_2143 Depth=2
	s_or_b64 exec, exec, s[22:23]
.LBB21_2156:                            ;   in Loop: Header=BB21_2143 Depth=2
	s_or_b64 exec, exec, s[42:43]
	v_and_b32_e32 v2, 0x100, v104
	v_cmp_ne_u32_e32 vcc, 0, v2
	v_and_b32_e32 v2, 7, v58
	s_mov_b64 s[22:23], -1
	;;#ASMSTART
	s_wakeup
	;;#ASMEND
                                        ; implicit-def: $vgpr10_vgpr11
	s_and_saveexec_b64 s[42:43], vcc
	s_cbranch_execz .LBB21_2160
; %bb.2157:                             ;   in Loop: Header=BB21_2143 Depth=2
	v_mad_u64_u32 v[12:13], s[22:23], v2, 24, v[6:7]
	flat_load_dword v10, v[12:13]
	s_waitcnt vmcnt(0) lgkmcnt(0)
	v_cmp_ne_u32_e32 vcc, 1, v10
	v_cmp_eq_u32_e64 s[22:23], 1, v10
                                        ; implicit-def: $vgpr10_vgpr11
	s_and_saveexec_b64 s[44:45], s[22:23]
	s_cbranch_execz .LBB21_2159
; %bb.2158:                             ;   in Loop: Header=BB21_2143 Depth=2
	flat_load_dword v10, v[12:13] offset:4 sc0 sc1
	s_waitcnt vmcnt(0) lgkmcnt(0)
	v_ashrrev_i32_e32 v11, 31, v10
	v_lshrrev_b64 v[10:11], 1, v[10:11]
.LBB21_2159:                            ;   in Loop: Header=BB21_2143 Depth=2
	s_or_b64 exec, exec, s[44:45]
	s_orn2_b64 s[22:23], vcc, exec
.LBB21_2160:                            ;   in Loop: Header=BB21_2143 Depth=2
	s_or_b64 exec, exec, s[42:43]
	s_and_saveexec_b64 s[42:43], s[22:23]
; %bb.2161:                             ;   in Loop: Header=BB21_2143 Depth=2
	v_mad_i64_i32 v[10:11], s[22:23], v2, v30, 0
; %bb.2162:                             ;   in Loop: Header=BB21_2143 Depth=2
	s_or_b64 exec, exec, s[42:43]
	v_and_b32_e32 v2, 0x2000, v104
	v_lshl_add_u64 v[10:11], v[10:11], 1, v[66:67]
	v_cmp_ne_u32_e32 vcc, 0, v2
	ds_write_b64 v0, v[10:11] offset:720
	s_and_saveexec_b64 s[22:23], vcc
	s_cbranch_execz .LBB21_2164
; %bb.2163:                             ;   in Loop: Header=BB21_2143 Depth=2
	ds_read_b64 v[10:11], v0 offset:872
	s_waitcnt lgkmcnt(0)
	v_lshl_add_u64 v[10:11], v[10:11], 0, 1
	ds_write_b64 v0, v[10:11] offset:872
.LBB21_2164:                            ;   in Loop: Header=BB21_2143 Depth=2
	s_or_b64 exec, exec, s[22:23]
	v_mov_b64_e32 v[58:59], v[8:9]
.LBB21_2165:                            ;   in Loop: Header=BB21_2143 Depth=2
	s_or_b64 exec, exec, s[40:41]
	s_xor_b64 s[22:23], s[28:29], -1
	s_and_b64 s[22:23], exec, s[22:23]
	s_or_b64 s[26:27], s[22:23], s[26:27]
	s_and_saveexec_b64 s[22:23], s[4:5]
	s_cbranch_execz .LBB21_2184
; %bb.2166:                             ;   in Loop: Header=BB21_2143 Depth=2
	s_and_saveexec_b64 s[28:29], s[76:77]
	s_xor_b64 s[28:29], exec, s[28:29]
	s_cbranch_execz .LBB21_2181
; %bb.2167:                             ;   in Loop: Header=BB21_2143 Depth=2
	s_and_saveexec_b64 s[40:41], s[12:13]
	s_cbranch_execz .LBB21_2180
; %bb.2168:                             ;   in Loop: Header=BB21_2143 Depth=2
	s_mov_b64 s[44:45], exec
	v_mbcnt_lo_u32_b32 v2, s44, 0
	v_mbcnt_hi_u32_b32 v2, s45, v2
	v_cmp_eq_u32_e32 vcc, 0, v2
	s_waitcnt lgkmcnt(0)
	s_and_saveexec_b64 s[42:43], vcc
	s_cbranch_execz .LBB21_2170
; %bb.2169:                             ;   in Loop: Header=BB21_2143 Depth=2
	s_bcnt1_i32_b64 s44, s[44:45]
	v_mov_b32_e32 v2, s44
	ds_add_u64 v0, v[2:3]
	s_trap 2
.LBB21_2170:                            ;   in Loop: Header=BB21_2143 Depth=2
	s_or_b64 exec, exec, s[42:43]
	s_trap 2
	ds_read_b64 v[8:9], v0
	s_waitcnt lgkmcnt(0)
	v_lshl_add_u64 v[70:71], v[70:71], 0, v[84:85]
	v_cmp_lt_u64_e32 vcc, v[8:9], v[70:71]
	s_and_saveexec_b64 s[42:43], vcc
	s_cbranch_execz .LBB21_2179
; %bb.2171:                             ;   in Loop: Header=BB21_2143 Depth=2
	s_mov_b32 s74, 0
	s_mov_b64 s[44:45], 0
                                        ; implicit-def: $sgpr46_sgpr47
                                        ; implicit-def: $sgpr56_sgpr57
	s_branch .LBB21_2173
.LBB21_2172:                            ;   in Loop: Header=BB21_2173 Depth=3
	s_or_b64 exec, exec, s[60:61]
	s_and_b64 s[58:59], exec, vcc
	s_or_b64 s[44:45], s[58:59], s[44:45]
	s_andn2_b64 s[46:47], s[46:47], exec
	s_and_b64 s[58:59], s[56:57], exec
	s_or_b64 s[46:47], s[46:47], s[58:59]
	s_andn2_b64 exec, exec, s[44:45]
	s_cbranch_execz .LBB21_2177
.LBB21_2173:                            ;   Parent Loop BB21_47 Depth=1
                                        ;     Parent Loop BB21_2143 Depth=2
                                        ; =>    This Inner Loop Header: Depth=3
	s_add_i32 s74, s74, 1
	s_cmpk_lg_i32 s74, 0x2710
	s_cselect_b64 s[58:59], -1, 0
	s_and_b64 vcc, exec, s[58:59]
	s_cbranch_vccz .LBB21_2175
; %bb.2174:                             ;   in Loop: Header=BB21_2173 Depth=3
	s_mov_b64 vcc, -1
	s_or_b64 s[56:57], s[56:57], exec
	s_and_saveexec_b64 s[60:61], s[58:59]
	s_cbranch_execz .LBB21_2172
	s_branch .LBB21_2176
.LBB21_2175:                            ;   in Loop: Header=BB21_2173 Depth=3
	s_trap 2
	ds_read_b64 v[8:9], v0
	s_andn2_b64 s[58:59], s[58:59], exec
	s_mov_b32 s74, 0
	s_waitcnt vmcnt(0) lgkmcnt(0)
	flat_load_dword v2, v[8:9] sc0 sc1
	s_waitcnt vmcnt(0) lgkmcnt(0)
	buffer_inv sc0 sc1
	v_cmp_eq_u32_e32 vcc, 0, v2
	s_and_b64 s[60:61], vcc, exec
	s_or_b64 s[58:59], s[58:59], s[60:61]
	s_mov_b64 vcc, -1
	s_or_b64 s[56:57], s[56:57], exec
	s_and_saveexec_b64 s[60:61], s[58:59]
	s_cbranch_execz .LBB21_2172
.LBB21_2176:                            ;   in Loop: Header=BB21_2173 Depth=3
	s_sleep 1
	s_trap 2
	ds_read_b64 v[8:9], v0
	s_waitcnt lgkmcnt(0)
	s_andn2_b64 s[56:57], s[56:57], exec
	v_cmp_ge_u64_e32 vcc, v[8:9], v[70:71]
	s_orn2_b64 vcc, vcc, exec
	s_branch .LBB21_2172
.LBB21_2177:                            ;   in Loop: Header=BB21_2143 Depth=2
	s_or_b64 exec, exec, s[44:45]
	s_and_saveexec_b64 s[44:45], s[46:47]
	s_xor_b64 s[44:45], exec, s[44:45]
	s_cbranch_execz .LBB21_2179
; %bb.2178:                             ;   in Loop: Header=BB21_2143 Depth=2
	ds_write_b32 v0, v107
	s_trap 2
.LBB21_2179:                            ;   in Loop: Header=BB21_2143 Depth=2
	s_or_b64 exec, exec, s[42:43]
	;;#ASMSTART
	s_wakeup
	;;#ASMEND
.LBB21_2180:                            ;   in Loop: Header=BB21_2143 Depth=2
	s_or_b64 exec, exec, s[40:41]
.LBB21_2181:                            ;   in Loop: Header=BB21_2143 Depth=2
	s_andn2_saveexec_b64 s[28:29], s[28:29]
	s_cbranch_execz .LBB21_2183
; %bb.2182:                             ;   in Loop: Header=BB21_2143 Depth=2
	s_waitcnt lgkmcnt(0)
	s_barrier
.LBB21_2183:                            ;   in Loop: Header=BB21_2143 Depth=2
	s_or_b64 exec, exec, s[28:29]
.LBB21_2184:                            ;   in Loop: Header=BB21_2143 Depth=2
	s_or_b64 exec, exec, s[22:23]
	v_sub_u32_e32 v2, v92, v60
	v_min_i32_e32 v93, v93, v2
	s_and_saveexec_b64 s[22:23], s[20:21]
	s_xor_b64 s[22:23], exec, s[22:23]
	s_cbranch_execz .LBB21_2188
; %bb.2185:                             ;   in Loop: Header=BB21_2143 Depth=2
	s_trap 2
	ds_read_b32 v2, v0
	v_cmp_lt_i32_e32 vcc, 0, v93
	v_and_b32_e32 v8, 16, v104
	s_waitcnt lgkmcnt(0)
	v_readfirstlane_b32 s28, v2
	s_cmp_eq_u32 s28, 0
	s_cselect_b64 s[28:29], -1, 0
	s_and_b64 s[28:29], vcc, s[28:29]
	v_cmp_ne_u32_e32 vcc, 0, v8
	s_and_b64 s[40:41], vcc, s[28:29]
	s_and_saveexec_b64 s[28:29], s[40:41]
	s_cbranch_execz .LBB21_2187
; %bb.2186:                             ;   in Loop: Header=BB21_2143 Depth=2
	buffer_wbl2 sc1
	s_waitcnt vmcnt(0)
	buffer_inv sc1
.LBB21_2187:                            ;   in Loop: Header=BB21_2143 Depth=2
	s_or_b64 exec, exec, s[28:29]
.LBB21_2188:                            ;   in Loop: Header=BB21_2143 Depth=2
	s_andn2_saveexec_b64 s[22:23], s[22:23]
	s_cbranch_execz .LBB21_2207
; %bb.2189:                             ;   in Loop: Header=BB21_2143 Depth=2
	s_and_saveexec_b64 s[28:29], s[76:77]
	s_xor_b64 s[28:29], exec, s[28:29]
	s_cbranch_execz .LBB21_2204
; %bb.2190:                             ;   in Loop: Header=BB21_2143 Depth=2
	s_and_saveexec_b64 s[40:41], s[12:13]
	s_cbranch_execz .LBB21_2203
; %bb.2191:                             ;   in Loop: Header=BB21_2143 Depth=2
	s_mov_b64 s[44:45], exec
	v_mbcnt_lo_u32_b32 v2, s44, 0
	v_mbcnt_hi_u32_b32 v2, s45, v2
	v_cmp_eq_u32_e32 vcc, 0, v2
	;;#ASMSTART
	s_waitcnt lgkmcnt(0) vmcnt(0)
	;;#ASMEND
	s_and_saveexec_b64 s[42:43], vcc
	s_cbranch_execz .LBB21_2193
; %bb.2192:                             ;   in Loop: Header=BB21_2143 Depth=2
	s_bcnt1_i32_b64 s44, s[44:45]
	v_mov_b32_e32 v2, s44
	s_waitcnt lgkmcnt(0)
	ds_add_u64 v0, v[2:3]
	s_trap 2
.LBB21_2193:                            ;   in Loop: Header=BB21_2143 Depth=2
	s_or_b64 exec, exec, s[42:43]
	s_trap 2
	ds_read_b64 v[8:9], v0
	s_waitcnt lgkmcnt(0)
	v_lshl_add_u64 v[70:71], v[70:71], 0, v[84:85]
	v_cmp_lt_u64_e32 vcc, v[8:9], v[70:71]
	s_and_saveexec_b64 s[42:43], vcc
	s_cbranch_execz .LBB21_2202
; %bb.2194:                             ;   in Loop: Header=BB21_2143 Depth=2
	s_mov_b32 s74, 0
	s_mov_b64 s[44:45], 0
                                        ; implicit-def: $sgpr46_sgpr47
                                        ; implicit-def: $sgpr56_sgpr57
	s_branch .LBB21_2196
.LBB21_2195:                            ;   in Loop: Header=BB21_2196 Depth=3
	s_or_b64 exec, exec, s[60:61]
	s_and_b64 s[58:59], exec, vcc
	s_or_b64 s[44:45], s[58:59], s[44:45]
	s_andn2_b64 s[46:47], s[46:47], exec
	s_and_b64 s[58:59], s[56:57], exec
	s_or_b64 s[46:47], s[46:47], s[58:59]
	s_andn2_b64 exec, exec, s[44:45]
	s_cbranch_execz .LBB21_2200
.LBB21_2196:                            ;   Parent Loop BB21_47 Depth=1
                                        ;     Parent Loop BB21_2143 Depth=2
                                        ; =>    This Inner Loop Header: Depth=3
	s_add_i32 s74, s74, 1
	s_cmpk_lg_i32 s74, 0x2710
	s_cselect_b64 s[58:59], -1, 0
	s_and_b64 vcc, exec, s[58:59]
	s_cbranch_vccz .LBB21_2198
; %bb.2197:                             ;   in Loop: Header=BB21_2196 Depth=3
	s_mov_b64 vcc, -1
	s_or_b64 s[56:57], s[56:57], exec
	s_and_saveexec_b64 s[60:61], s[58:59]
	s_cbranch_execz .LBB21_2195
	s_branch .LBB21_2199
.LBB21_2198:                            ;   in Loop: Header=BB21_2196 Depth=3
	s_trap 2
	ds_read_b64 v[8:9], v0
	s_andn2_b64 s[58:59], s[58:59], exec
	s_mov_b32 s74, 0
	s_waitcnt vmcnt(0) lgkmcnt(0)
	flat_load_dword v2, v[8:9] sc0 sc1
	s_waitcnt vmcnt(0) lgkmcnt(0)
	buffer_inv sc0 sc1
	v_cmp_eq_u32_e32 vcc, 0, v2
	s_and_b64 s[60:61], vcc, exec
	s_or_b64 s[58:59], s[58:59], s[60:61]
	s_mov_b64 vcc, -1
	s_or_b64 s[56:57], s[56:57], exec
	s_and_saveexec_b64 s[60:61], s[58:59]
	s_cbranch_execz .LBB21_2195
.LBB21_2199:                            ;   in Loop: Header=BB21_2196 Depth=3
	s_sleep 1
	s_trap 2
	ds_read_b64 v[8:9], v0
	s_waitcnt lgkmcnt(0)
	s_andn2_b64 s[56:57], s[56:57], exec
	v_cmp_ge_u64_e32 vcc, v[8:9], v[70:71]
	s_orn2_b64 vcc, vcc, exec
	s_branch .LBB21_2195
.LBB21_2200:                            ;   in Loop: Header=BB21_2143 Depth=2
	s_or_b64 exec, exec, s[44:45]
	s_and_saveexec_b64 s[44:45], s[46:47]
	s_xor_b64 s[44:45], exec, s[44:45]
	s_cbranch_execz .LBB21_2202
; %bb.2201:                             ;   in Loop: Header=BB21_2143 Depth=2
	ds_write_b32 v0, v107
	s_trap 2
.LBB21_2202:                            ;   in Loop: Header=BB21_2143 Depth=2
	s_or_b64 exec, exec, s[42:43]
	;;#ASMSTART
	s_wakeup
	;;#ASMEND
.LBB21_2203:                            ;   in Loop: Header=BB21_2143 Depth=2
	s_or_b64 exec, exec, s[40:41]
.LBB21_2204:                            ;   in Loop: Header=BB21_2143 Depth=2
	s_andn2_saveexec_b64 s[28:29], s[28:29]
	s_cbranch_execz .LBB21_2206
; %bb.2205:                             ;   in Loop: Header=BB21_2143 Depth=2
	;;#ASMSTART
	s_waitcnt lgkmcnt(0) vmcnt(0)
	;;#ASMEND
	s_barrier
.LBB21_2206:                            ;   in Loop: Header=BB21_2143 Depth=2
	s_or_b64 exec, exec, s[28:29]
.LBB21_2207:                            ;   in Loop: Header=BB21_2143 Depth=2
	s_or_b64 exec, exec, s[22:23]
	v_and_b32_e32 v2, 32, v104
	v_cmp_ne_u32_e32 vcc, 0, v2
	s_and_saveexec_b64 s[22:23], vcc
	s_cbranch_execz .LBB21_2142
; %bb.2208:                             ;   in Loop: Header=BB21_2143 Depth=2
	v_lshl_add_u64 v[58:59], v[58:59], 0, 2
	flat_store_dwordx2 v[64:65], v[58:59] sc0 sc1
	s_branch .LBB21_2142
.LBB21_2209:
	s_or_b64 exec, exec, s[78:79]
	scratch_load_dword v21, off, s33 offset:188 ; 4-byte Folded Reload
.LBB21_2210:
	s_or_b64 exec, exec, s[72:73]
	v_and_b32_e32 v0, 0x800, v104
	v_cmp_eq_u32_e32 vcc, 0, v0
	s_and_saveexec_b64 s[2:3], vcc
	s_cbranch_execz .LBB21_2243
; %bb.2211:
	v_and_b32_e32 v0, 48, v104
	v_cmp_ne_u32_e32 vcc, 0, v0
	s_and_saveexec_b64 s[0:1], vcc
	s_cbranch_execz .LBB21_2213
; %bb.2212:
	flat_store_dwordx2 v[54:55], v[58:59] offset:104
.LBB21_2213:
	s_or_b64 exec, exec, s[0:1]
	s_movk_i32 s0, 0x88
	v_and_b32_e32 v0, 0x88, v104
	v_cmp_eq_u32_e32 vcc, s0, v0
	s_and_saveexec_b64 s[4:5], vcc
	s_cbranch_execz .LBB21_2223
; %bb.2214:
	v_add_u32_e32 v0, 6, v58
	v_and_b32_e32 v0, 7, v0
	v_mad_u64_u32 v[2:3], s[0:1], v0, 24, v[6:7]
	flat_load_dwordx2 v[4:5], v[2:3] offset:8 sc0 sc1
	s_waitcnt vmcnt(0)
	v_and_b32_e32 v0, 64, v104
	v_cmp_eq_u32_e64 s[0:1], 0, v0
	s_mov_b32 s18, 0
	s_waitcnt lgkmcnt(0)
	v_cmp_ne_u64_e32 vcc, -1, v[4:5]
	s_and_b64 s[0:1], vcc, s[0:1]
	s_and_b64 exec, exec, s[0:1]
	s_cbranch_execz .LBB21_2223
; %bb.2215:
	s_mov_b64 s[0:1], 0
                                        ; implicit-def: $sgpr6_sgpr7
                                        ; implicit-def: $sgpr10_sgpr11
	s_branch .LBB21_2218
.LBB21_2216:                            ;   in Loop: Header=BB21_2218 Depth=1
	flat_load_dwordx2 v[4:5], v[2:3] offset:8 sc0 sc1
	s_waitcnt vmcnt(0)
	s_andn2_b64 s[10:11], s[10:11], exec
	s_waitcnt lgkmcnt(0)
	v_cmp_eq_u64_e32 vcc, -1, v[4:5]
	s_orn2_b64 s[14:15], vcc, exec
.LBB21_2217:                            ;   in Loop: Header=BB21_2218 Depth=1
	s_or_b64 exec, exec, s[16:17]
	s_and_b64 s[12:13], exec, s[14:15]
	s_or_b64 s[0:1], s[12:13], s[0:1]
	s_andn2_b64 s[6:7], s[6:7], exec
	s_and_b64 s[12:13], s[10:11], exec
	s_or_b64 s[6:7], s[6:7], s[12:13]
	s_andn2_b64 exec, exec, s[0:1]
	s_cbranch_execz .LBB21_2221
.LBB21_2218:                            ; =>This Inner Loop Header: Depth=1
	s_cmpk_lt_i32 s18, 0x270f
	s_cselect_b64 s[12:13], -1, 0
	s_and_b64 vcc, exec, s[12:13]
	s_cbranch_vccnz .LBB21_2220
; %bb.2219:                             ;   in Loop: Header=BB21_2218 Depth=1
	s_trap 2
	ds_read_b64 v[4:5], v0
	s_andn2_b64 s[12:13], s[12:13], exec
	s_mov_b32 s18, 0
	s_waitcnt lgkmcnt(0)
	flat_load_dword v0, v[4:5] sc0 sc1
	s_waitcnt vmcnt(0) lgkmcnt(0)
	buffer_inv sc0 sc1
	v_cmp_eq_u32_e32 vcc, 0, v0
	s_and_b64 s[14:15], vcc, exec
	s_or_b64 s[12:13], s[12:13], s[14:15]
	s_mov_b64 s[14:15], -1
	s_or_b64 s[10:11], s[10:11], exec
	s_and_saveexec_b64 s[16:17], s[12:13]
	s_cbranch_execz .LBB21_2217
	s_branch .LBB21_2216
.LBB21_2220:                            ;   in Loop: Header=BB21_2218 Depth=1
	s_add_i32 s18, s18, 1
                                        ; implicit-def: $vgpr0
	s_mov_b64 s[14:15], -1
	s_or_b64 s[10:11], s[10:11], exec
	s_and_saveexec_b64 s[16:17], s[12:13]
	s_cbranch_execz .LBB21_2217
	s_branch .LBB21_2216
.LBB21_2221:
	s_or_b64 exec, exec, s[0:1]
	s_and_saveexec_b64 s[0:1], s[6:7]
	s_xor_b64 s[0:1], exec, s[0:1]
	s_cbranch_execz .LBB21_2223
; %bb.2222:
	ds_write_b32 v0, v0
	s_trap 2
.LBB21_2223:
	s_or_b64 exec, exec, s[4:5]
	v_and_b32_e32 v0, 0x2000, v104
	v_cmp_ne_u32_e32 vcc, 0, v0
	s_and_saveexec_b64 s[0:1], vcc
	s_cbranch_execz .LBB21_2225
; %bb.2224:
	s_trap 2
	scratch_load_dwordx2 v[4:5], off, s33 offset:192 ; 8-byte Folded Reload
	ds_read_b64 v[2:3], v0
	s_waitcnt vmcnt(0) lgkmcnt(0)
	flat_store_dwordx2 v[4:5], v[2:3] offset:16
.LBB21_2225:
	s_or_b64 exec, exec, s[0:1]
	v_cmp_ne_u32_e32 vcc, 64, v1
	s_and_b64 exec, exec, vcc
	s_cbranch_execz .LBB21_2243
; %bb.2226:
	s_waitcnt vmcnt(0)
	v_cmp_ne_u32_sdwa s[0:1], v1, v21 src0_sel:DWORD src1_sel:WORD_0
	s_and_saveexec_b64 s[4:5], s[0:1]
	s_xor_b64 s[0:1], exec, s[4:5]
	s_cbranch_execz .LBB21_2241
; %bb.2227:
	v_and_b32_e32 v0, 63, v31
	v_cmp_eq_u32_e32 vcc, 0, v0
	s_and_saveexec_b64 s[4:5], vcc
	s_cbranch_execz .LBB21_2240
; %bb.2228:
	s_mov_b64 s[10:11], exec
	v_mbcnt_lo_u32_b32 v0, s10, 0
	v_mbcnt_hi_u32_b32 v0, s11, v0
	v_cmp_eq_u32_e32 vcc, 0, v0
	s_waitcnt lgkmcnt(0)
	s_and_saveexec_b64 s[6:7], vcc
	s_cbranch_execz .LBB21_2230
; %bb.2229:
	s_bcnt1_i32_b64 s10, s[10:11]
	v_mov_b32_e32 v2, s10
	v_mov_b32_e32 v3, 0
	ds_add_u64 v0, v[2:3]
	s_trap 2
.LBB21_2230:
	s_or_b64 exec, exec, s[6:7]
	s_trap 2
	ds_read_b64 v[2:3], v0
	s_waitcnt lgkmcnt(0)
	v_lshrrev_b32_e32 v0, 6, v1
	v_mov_b32_e32 v1, 0
	v_lshl_add_u64 v[0:1], v[70:71], 0, v[0:1]
	v_cmp_lt_u64_e32 vcc, v[2:3], v[0:1]
	s_and_saveexec_b64 s[6:7], vcc
	s_cbranch_execz .LBB21_2239
; %bb.2231:
	s_mov_b32 s22, 0
	s_mov_b64 s[10:11], 0
                                        ; implicit-def: $sgpr12_sgpr13
                                        ; implicit-def: $sgpr14_sgpr15
	s_branch .LBB21_2233
.LBB21_2232:                            ;   in Loop: Header=BB21_2233 Depth=1
	s_or_b64 exec, exec, s[18:19]
	s_and_b64 s[16:17], exec, s[20:21]
	s_or_b64 s[10:11], s[16:17], s[10:11]
	s_andn2_b64 s[12:13], s[12:13], exec
	s_and_b64 s[16:17], s[14:15], exec
	s_or_b64 s[12:13], s[12:13], s[16:17]
	s_andn2_b64 exec, exec, s[10:11]
	s_cbranch_execz .LBB21_2237
.LBB21_2233:                            ; =>This Inner Loop Header: Depth=1
	s_add_i32 s22, s22, 1
	s_cmpk_lg_i32 s22, 0x2710
	s_cselect_b64 s[16:17], -1, 0
	s_and_b64 vcc, exec, s[16:17]
	s_cbranch_vccz .LBB21_2235
; %bb.2234:                             ;   in Loop: Header=BB21_2233 Depth=1
	s_mov_b64 s[20:21], -1
	s_or_b64 s[14:15], s[14:15], exec
	s_and_saveexec_b64 s[18:19], s[16:17]
	s_cbranch_execz .LBB21_2232
	s_branch .LBB21_2236
.LBB21_2235:                            ;   in Loop: Header=BB21_2233 Depth=1
	s_trap 2
	ds_read_b64 v[2:3], v0
	s_andn2_b64 s[16:17], s[16:17], exec
	s_mov_b32 s22, 0
	s_waitcnt lgkmcnt(0)
	flat_load_dword v2, v[2:3] sc0 sc1
	s_waitcnt vmcnt(0) lgkmcnt(0)
	buffer_inv sc0 sc1
	v_cmp_eq_u32_e32 vcc, 0, v2
	s_and_b64 s[18:19], vcc, exec
	s_or_b64 s[16:17], s[16:17], s[18:19]
	s_mov_b64 s[20:21], -1
	s_or_b64 s[14:15], s[14:15], exec
	s_and_saveexec_b64 s[18:19], s[16:17]
	s_cbranch_execz .LBB21_2232
.LBB21_2236:                            ;   in Loop: Header=BB21_2233 Depth=1
	s_sleep 1
	s_trap 2
	ds_read_b64 v[2:3], v0
	s_waitcnt lgkmcnt(0)
	s_andn2_b64 s[14:15], s[14:15], exec
	v_cmp_ge_u64_e32 vcc, v[2:3], v[0:1]
	s_orn2_b64 s[20:21], vcc, exec
	s_branch .LBB21_2232
.LBB21_2237:
	s_or_b64 exec, exec, s[10:11]
	s_and_saveexec_b64 s[10:11], s[12:13]
	s_xor_b64 s[10:11], exec, s[10:11]
	s_cbranch_execz .LBB21_2239
; %bb.2238:
	v_mov_b32_e32 v0, 1
	ds_write_b32 v0, v0
	s_trap 2
.LBB21_2239:
	s_or_b64 exec, exec, s[6:7]
	;;#ASMSTART
	s_wakeup
	;;#ASMEND
.LBB21_2240:
	s_or_b64 exec, exec, s[4:5]
.LBB21_2241:
	s_andn2_saveexec_b64 s[0:1], s[0:1]
	s_cbranch_execz .LBB21_2243
; %bb.2242:
	s_waitcnt lgkmcnt(0)
	s_barrier
.LBB21_2243:
	s_or_b64 exec, exec, s[2:3]
.LBB21_2244:
	s_andn2_saveexec_b64 s[22:23], s[62:63]
	s_cbranch_execz .LBB21_2246
; %bb.2245:
	s_getpc_b64 s[0:1]
	s_add_u32 s0, s0, __PRETTY_FUNCTION__._ZN10PrimitivesI12hip_bfloat1610FuncMinMaxIS0_E12FanSymmetricILi1EELi0E11ProtoSimpleILi2ELi2ELi1ELi2ELi0ELi0EELi0ELb0ELi0ELi0ELi1EEC2EiiPKiS9_PKvPvmhhhP15ncclDevWorkCollP14ncclDevWorkP2pii@rel32@lo+4
	s_addc_u32 s1, s1, __PRETTY_FUNCTION__._ZN10PrimitivesI12hip_bfloat1610FuncMinMaxIS0_E12FanSymmetricILi1EELi0E11ProtoSimpleILi2ELi2ELi1ELi2ELi0ELi0EELi0ELb0ELi0ELi0ELi1EEC2EiiPKiS9_PKvPvmhhhP15ncclDevWorkCollP14ncclDevWorkP2pii@rel32@hi+12
	s_getpc_b64 s[2:3]
	s_add_u32 s2, s2, __assert_fail@rel32@lo+4
	s_addc_u32 s3, s3, __assert_fail@rel32@hi+12
	v_mov_b32_e32 v0, s0
	v_mov_b32_e32 v1, s1
	s_swappc_b64 s[30:31], s[2:3]
	; divergent unreachable
.LBB21_2246:
	s_or_b64 exec, exec, s[22:23]
	scratch_load_dword v126, off, s33       ; 4-byte Folded Reload
	scratch_load_dword v125, off, s33 offset:4 ; 4-byte Folded Reload
	scratch_load_dword v124, off, s33 offset:8 ; 4-byte Folded Reload
	scratch_load_dword v123, off, s33 offset:12 ; 4-byte Folded Reload
	scratch_load_dword v122, off, s33 offset:16 ; 4-byte Folded Reload
	scratch_load_dword v121, off, s33 offset:20 ; 4-byte Folded Reload
	scratch_load_dword v120, off, s33 offset:24 ; 4-byte Folded Reload
	scratch_load_dword v111, off, s33 offset:28 ; 4-byte Folded Reload
	scratch_load_dword v110, off, s33 offset:32 ; 4-byte Folded Reload
	scratch_load_dword v109, off, s33 offset:36 ; 4-byte Folded Reload
	scratch_load_dword v108, off, s33 offset:40 ; 4-byte Folded Reload
	scratch_load_dword v107, off, s33 offset:44 ; 4-byte Folded Reload
	scratch_load_dword v106, off, s33 offset:48 ; 4-byte Folded Reload
	scratch_load_dword v105, off, s33 offset:52 ; 4-byte Folded Reload
	scratch_load_dword v104, off, s33 offset:56 ; 4-byte Folded Reload
	scratch_load_dword v95, off, s33 offset:60 ; 4-byte Folded Reload
	scratch_load_dword v94, off, s33 offset:64 ; 4-byte Folded Reload
	scratch_load_dword v93, off, s33 offset:68 ; 4-byte Folded Reload
	scratch_load_dword v92, off, s33 offset:72 ; 4-byte Folded Reload
	scratch_load_dword v91, off, s33 offset:76 ; 4-byte Folded Reload
	scratch_load_dword v90, off, s33 offset:80 ; 4-byte Folded Reload
	scratch_load_dword v89, off, s33 offset:84 ; 4-byte Folded Reload
	scratch_load_dword v88, off, s33 offset:88 ; 4-byte Folded Reload
	scratch_load_dword v79, off, s33 offset:92 ; 4-byte Folded Reload
	scratch_load_dword v78, off, s33 offset:96 ; 4-byte Folded Reload
	s_waitcnt lgkmcnt(0)
	scratch_load_dword v77, off, s33 offset:100 ; 4-byte Folded Reload
	scratch_load_dword v76, off, s33 offset:104 ; 4-byte Folded Reload
	;; [unrolled: 1-line block ×22, first 2 shown]
	v_readlane_b32 s30, v127, 33
	v_readlane_b32 s31, v127, 34
	v_readlane_b32 s98, v127, 32
	v_readlane_b32 s97, v127, 31
	v_readlane_b32 s96, v127, 30
	v_readlane_b32 s87, v127, 29
	v_readlane_b32 s86, v127, 28
	v_readlane_b32 s85, v127, 27
	v_readlane_b32 s84, v127, 26
	v_readlane_b32 s83, v127, 25
	v_readlane_b32 s82, v127, 24
	v_readlane_b32 s81, v127, 23
	v_readlane_b32 s80, v127, 22
	v_readlane_b32 s71, v127, 21
	v_readlane_b32 s70, v127, 20
	v_readlane_b32 s69, v127, 19
	v_readlane_b32 s68, v127, 18
	v_readlane_b32 s67, v127, 17
	v_readlane_b32 s66, v127, 16
	v_readlane_b32 s65, v127, 15
	v_readlane_b32 s64, v127, 14
	v_readlane_b32 s55, v127, 13
	v_readlane_b32 s54, v127, 12
	v_readlane_b32 s53, v127, 11
	v_readlane_b32 s52, v127, 10
	v_readlane_b32 s51, v127, 9
	v_readlane_b32 s50, v127, 8
	v_readlane_b32 s49, v127, 7
	v_readlane_b32 s48, v127, 6
	v_readlane_b32 s39, v127, 5
	v_readlane_b32 s38, v127, 4
	v_readlane_b32 s37, v127, 3
	v_readlane_b32 s36, v127, 2
	v_readlane_b32 s35, v127, 1
	v_readlane_b32 s34, v127, 0
	s_mov_b32 s32, s33
	v_readlane_b32 s0, v127, 35
	s_or_saveexec_b64 s[2:3], -1
	scratch_load_dword v127, off, s33 offset:200 ; 4-byte Folded Reload
	s_mov_b64 exec, s[2:3]
	s_mov_b32 s33, s0
	s_waitcnt vmcnt(0)
	s_setpc_b64 s[30:31]
.Lfunc_end21:
	.size	_ZN12_GLOBAL__N_17runRingI12hip_bfloat1610FuncMinMaxIS1_E11ProtoSimpleILi2ELi2ELi1ELi2ELi0ELi0EELi0ELi1ELi2ELi0EEEviiP15ncclDevWorkColl, .Lfunc_end21-_ZN12_GLOBAL__N_17runRingI12hip_bfloat1610FuncMinMaxIS1_E11ProtoSimpleILi2ELi2ELi1ELi2ELi0ELi0EELi0ELi1ELi2ELi0EEEviiP15ncclDevWorkColl
                                        ; -- End function
	.set .L_ZN12_GLOBAL__N_17runRingI12hip_bfloat1610FuncMinMaxIS1_E11ProtoSimpleILi2ELi2ELi1ELi2ELi0ELi0EELi0ELi1ELi2ELi0EEEviiP15ncclDevWorkColl.num_vgpr, max(128, .L__assert_fail.num_vgpr)
	.set .L_ZN12_GLOBAL__N_17runRingI12hip_bfloat1610FuncMinMaxIS1_E11ProtoSimpleILi2ELi2ELi1ELi2ELi0ELi0EELi0ELi1ELi2ELi0EEEviiP15ncclDevWorkColl.num_agpr, max(0, .L__assert_fail.num_agpr)
	.set .L_ZN12_GLOBAL__N_17runRingI12hip_bfloat1610FuncMinMaxIS1_E11ProtoSimpleILi2ELi2ELi1ELi2ELi0ELi0EELi0ELi1ELi2ELi0EEEviiP15ncclDevWorkColl.numbered_sgpr, max(99, .L__assert_fail.numbered_sgpr)
	.set .L_ZN12_GLOBAL__N_17runRingI12hip_bfloat1610FuncMinMaxIS1_E11ProtoSimpleILi2ELi2ELi1ELi2ELi0ELi0EELi0ELi1ELi2ELi0EEEviiP15ncclDevWorkColl.num_named_barrier, max(0, .L__assert_fail.num_named_barrier)
	.set .L_ZN12_GLOBAL__N_17runRingI12hip_bfloat1610FuncMinMaxIS1_E11ProtoSimpleILi2ELi2ELi1ELi2ELi0ELi0EELi0ELi1ELi2ELi0EEEviiP15ncclDevWorkColl.private_seg_size, 208+max(.L__assert_fail.private_seg_size)
	.set .L_ZN12_GLOBAL__N_17runRingI12hip_bfloat1610FuncMinMaxIS1_E11ProtoSimpleILi2ELi2ELi1ELi2ELi0ELi0EELi0ELi1ELi2ELi0EEEviiP15ncclDevWorkColl.uses_vcc, or(1, .L__assert_fail.uses_vcc)
	.set .L_ZN12_GLOBAL__N_17runRingI12hip_bfloat1610FuncMinMaxIS1_E11ProtoSimpleILi2ELi2ELi1ELi2ELi0ELi0EELi0ELi1ELi2ELi0EEEviiP15ncclDevWorkColl.uses_flat_scratch, or(0, .L__assert_fail.uses_flat_scratch)
	.set .L_ZN12_GLOBAL__N_17runRingI12hip_bfloat1610FuncMinMaxIS1_E11ProtoSimpleILi2ELi2ELi1ELi2ELi0ELi0EELi0ELi1ELi2ELi0EEEviiP15ncclDevWorkColl.has_dyn_sized_stack, or(0, .L__assert_fail.has_dyn_sized_stack)
	.set .L_ZN12_GLOBAL__N_17runRingI12hip_bfloat1610FuncMinMaxIS1_E11ProtoSimpleILi2ELi2ELi1ELi2ELi0ELi0EELi0ELi1ELi2ELi0EEEviiP15ncclDevWorkColl.has_recursion, or(1, .L__assert_fail.has_recursion)
	.set .L_ZN12_GLOBAL__N_17runRingI12hip_bfloat1610FuncMinMaxIS1_E11ProtoSimpleILi2ELi2ELi1ELi2ELi0ELi0EELi0ELi1ELi2ELi0EEEviiP15ncclDevWorkColl.has_indirect_call, or(0, .L__assert_fail.has_indirect_call)
	.section	.AMDGPU.csdata,"",@progbits
; Function info:
; codeLenInByte = 71432
; TotalNumSgprs: 105
; NumVgprs: 128
; NumAgprs: 0
; TotalNumVgprs: 128
; ScratchSize: 272
; MemoryBound: 1
	.text
	.p2align	2                               ; -- Begin function _Z51ncclDevFunc_AllReduce_RING_SIMPLE_MinMax_bf16_1_0_2v
	.type	_Z51ncclDevFunc_AllReduce_RING_SIMPLE_MinMax_bf16_1_0_2v,@function
_Z51ncclDevFunc_AllReduce_RING_SIMPLE_MinMax_bf16_1_0_2v: ; @_Z51ncclDevFunc_AllReduce_RING_SIMPLE_MinMax_bf16_1_0_2v
; %bb.0:
	s_waitcnt vmcnt(0) expcnt(0) lgkmcnt(0)
	s_mov_b32 s0, s33
	s_mov_b32 s33, s32
	s_or_saveexec_b64 s[2:3], -1
	scratch_store_dword off, v44, s33 offset:20 ; 4-byte Folded Spill
	scratch_store_dword off, v45, s33 offset:24 ; 4-byte Folded Spill
	s_mov_b64 exec, s[2:3]
	v_writelane_b32 v45, s0, 38
	v_writelane_b32 v45, s100, 36
	;; [unrolled: 1-line block ×3, first 2 shown]
	s_add_i32 s32, s32, 32
	scratch_store_dword off, v40, s33 offset:12 ; 4-byte Folded Spill
	scratch_store_dword off, v41, s33 offset:8 ; 4-byte Folded Spill
	;; [unrolled: 1-line block ×3, first 2 shown]
	scratch_store_dword off, v43, s33       ; 4-byte Folded Spill
	v_writelane_b32 v45, s34, 0
	v_writelane_b32 v45, s35, 1
	;; [unrolled: 1-line block ×35, first 2 shown]
	s_nop 1
	v_writelane_b32 v45, s31, 35
	s_trap 2
	ds_read_b32 v0, v0
	v_mov_b32_e32 v40, v31
                                        ; implicit-def: $vgpr44 : SGPR spill to VGPR lane
	v_and_b32_e32 v41, 0x3ff, v40
	s_mov_b32 s98, s12
	v_writelane_b32 v44, s8, 0
	s_waitcnt lgkmcnt(0)
	v_cmp_lt_i32_e32 vcc, v41, v0
	v_writelane_b32 v44, s9, 1
	s_and_saveexec_b64 s[0:1], vcc
	s_cbranch_execz .LBB22_5
; %bb.1:
	v_readlane_b32 s4, v44, 0
	v_readlane_b32 s5, v44, 1
	s_load_dword s2, s[4:5], 0x0
	v_mov_b32_e32 v1, 0
	s_mov_b32 s6, 0
	v_mov_b32_e32 v4, v41
                                        ; implicit-def: $vgpr2
	s_waitcnt lgkmcnt(0)
	s_cmp_lt_u32 s98, s2
	s_cselect_b32 s2, 12, 18
	s_add_u32 s2, s4, s2
	s_addc_u32 s3, s5, 0
	global_load_ushort v1, v1, s[2:3]
	s_trap 2
	ds_read_b32 v3, v0
	s_mov_b64 s[2:3], 0
	s_waitcnt vmcnt(0) lgkmcnt(0)
	v_mul_lo_u32 v3, v3, v1
	s_branch .LBB22_3
.LBB22_2:                               ;   in Loop: Header=BB22_3 Depth=1
	s_or_b64 exec, exec, s[4:5]
	v_add_u32_e32 v4, v4, v1
	v_cmp_ge_i32_e32 vcc, v4, v0
	s_or_b64 s[2:3], vcc, s[2:3]
	v_add_u32_e32 v2, v2, v3
	s_andn2_b64 exec, exec, s[2:3]
	s_cbranch_execz .LBB22_5
.LBB22_3:                               ; =>This Inner Loop Header: Depth=1
	ds_read_b32 v5, v2
	s_waitcnt lgkmcnt(0)
	v_and_b32_e32 v5, 0x1000000, v5
	v_cmp_ne_u32_e32 vcc, 0, v5
	s_and_saveexec_b64 s[4:5], vcc
	s_cbranch_execz .LBB22_2
; %bb.4:                                ;   in Loop: Header=BB22_3 Depth=1
	ds_read_b64 v[6:7], v2 offset:104
	s_waitcnt lgkmcnt(0)
	flat_load_ushort v5, v[6:7]
	v_mov_b32_e32 v7, s6
	s_waitcnt vmcnt(0) lgkmcnt(0)
	v_and_b32_e32 v6, 0xffff, v5
	ds_write_b64 v2, v[6:7] offset:104
	s_branch .LBB22_2
.LBB22_5:
	s_or_b64 exec, exec, s[0:1]
	s_waitcnt lgkmcnt(0)
	s_barrier
	s_trap 2
	ds_read_b32 v0, v0
	s_waitcnt lgkmcnt(0)
	v_cmp_gt_i32_e32 vcc, 1, v0
	s_cbranch_vccnz .LBB22_16
; %bb.6:
	s_mov_b32 s99, 0
	v_mov_b32_e32 v43, 6
	v_writelane_b32 v44, s98, 2
	s_branch .LBB22_8
.LBB22_7:                               ;   in Loop: Header=BB22_8 Depth=1
	s_or_b64 exec, exec, s[2:3]
	s_trap 2
	ds_read_b32 v0, v0
	s_add_i32 s99, s99, 1
	s_waitcnt lgkmcnt(0)
	v_cmp_lt_i32_e32 vcc, s99, v0
	s_cbranch_vccz .LBB22_16
.LBB22_8:                               ; =>This Inner Loop Header: Depth=1
	s_trap 2
	ds_read_b32 v0, v0
	s_cmp_eq_u32 s99, 0
	s_cbranch_scc1 .LBB22_11
; %bb.9:                                ;   in Loop: Header=BB22_8 Depth=1
	s_trap 2
	s_waitcnt lgkmcnt(0)
	ds_read_b32 v1, v0
	s_waitcnt lgkmcnt(0)
	v_xor_b32_e32 v1, v1, v0
	v_and_b32_e32 v1, 0xff0000, v1
	v_cmp_eq_u32_e32 vcc, 0, v1
	s_cbranch_vccnz .LBB22_11
; %bb.10:                               ;   in Loop: Header=BB22_8 Depth=1
	s_barrier
	ds_read_b32 v0, v0
.LBB22_11:                              ;   in Loop: Header=BB22_8 Depth=1
	s_waitcnt lgkmcnt(0)
	v_lshlrev_b32_sdwa v42, v43, v0 dst_sel:DWORD dst_unused:UNUSED_PAD src0_sel:DWORD src1_sel:BYTE_2
	v_cmp_lt_u32_e32 vcc, v41, v42
	s_and_saveexec_b64 s[2:3], vcc
	s_cbranch_execz .LBB22_7
; %bb.12:                               ;   in Loop: Header=BB22_8 Depth=1
	s_mov_b64 s[96:97], src_shared_base
	v_cmp_lt_i32_e32 vcc, -1, v0
	s_mov_b64 s[0:1], -1
	v_writelane_b32 v44, s2, 3
	s_and_b64 vcc, exec, vcc
	s_nop 0
	v_writelane_b32 v44, s3, 4
	s_or_saveexec_b64 s[100:101], -1
	scratch_store_dword off, v44, s33 offset:16 ; 4-byte Folded Spill
	s_mov_b64 exec, s[100:101]
	s_cbranch_vccnz .LBB22_14
; %bb.13:                               ;   in Loop: Header=BB22_8 Depth=1
	v_readlane_b32 s8, v44, 0
	s_getpc_b64 s[0:1]
	s_add_u32 s0, s0, _ZN12_GLOBAL__N_17runRingI12hip_bfloat1610FuncMinMaxIS1_E11ProtoSimpleILi1ELi4ELi1ELi2ELi0ELi0EELi0ELi1ELi2ELi0EEEviiP15ncclDevWorkColl@rel32@lo+4
	s_addc_u32 s1, s1, _ZN12_GLOBAL__N_17runRingI12hip_bfloat1610FuncMinMaxIS1_E11ProtoSimpleILi1ELi4ELi1ELi2ELi0ELi0EELi0ELi1ELi2ELi0EEEviiP15ncclDevWorkColl@rel32@hi+12
	v_readlane_b32 s9, v44, 1
	s_mov_b32 s12, s98
	v_mov_b32_e32 v31, v40
	v_mov_b32_e32 v0, v41
	;; [unrolled: 1-line block ×4, first 2 shown]
	s_swappc_b64 s[30:31], s[0:1]
	s_or_saveexec_b64 s[100:101], -1
	scratch_load_dword v44, off, s33 offset:16 ; 4-byte Folded Reload
	s_mov_b64 exec, s[100:101]
	s_waitcnt vmcnt(0)
	v_readlane_b32 s2, v44, 3
	v_readlane_b32 s3, v44, 4
	s_mov_b64 s[0:1], 0
.LBB22_14:                              ;   in Loop: Header=BB22_8 Depth=1
	s_andn2_b64 vcc, exec, s[0:1]
	s_cbranch_vccnz .LBB22_7
; %bb.15:                               ;   in Loop: Header=BB22_8 Depth=1
	v_readlane_b32 s8, v44, 0
	s_getpc_b64 s[0:1]
	s_add_u32 s0, s0, _ZN12_GLOBAL__N_17runRingI12hip_bfloat1610FuncMinMaxIS1_E11ProtoSimpleILi2ELi2ELi1ELi2ELi0ELi0EELi0ELi1ELi2ELi0EEEviiP15ncclDevWorkColl@rel32@lo+4
	s_addc_u32 s1, s1, _ZN12_GLOBAL__N_17runRingI12hip_bfloat1610FuncMinMaxIS1_E11ProtoSimpleILi2ELi2ELi1ELi2ELi0ELi0EELi0ELi1ELi2ELi0EEEviiP15ncclDevWorkColl@rel32@hi+12
	v_readlane_b32 s9, v44, 1
	s_mov_b32 s12, s98
	v_mov_b32_e32 v31, v40
	v_mov_b32_e32 v0, v41
	;; [unrolled: 1-line block ×4, first 2 shown]
	s_swappc_b64 s[30:31], s[0:1]
	s_or_saveexec_b64 s[100:101], -1
	scratch_load_dword v44, off, s33 offset:16 ; 4-byte Folded Reload
	s_mov_b64 exec, s[100:101]
	s_waitcnt vmcnt(0)
	v_readlane_b32 s2, v44, 3
	v_readlane_b32 s3, v44, 4
	;; [unrolled: 1-line block ×3, first 2 shown]
	s_branch .LBB22_7
.LBB22_16:
	scratch_load_dword v43, off, s33        ; 4-byte Folded Reload
	scratch_load_dword v42, off, s33 offset:4 ; 4-byte Folded Reload
	scratch_load_dword v41, off, s33 offset:8 ; 4-byte Folded Reload
	;; [unrolled: 1-line block ×3, first 2 shown]
	v_readlane_b32 s30, v45, 34
	v_readlane_b32 s31, v45, 35
	;; [unrolled: 1-line block ×36, first 2 shown]
	s_mov_b32 s32, s33
	v_readlane_b32 s0, v45, 38
	v_readlane_b32 s100, v45, 36
	;; [unrolled: 1-line block ×3, first 2 shown]
	s_or_saveexec_b64 s[2:3], -1
	scratch_load_dword v44, off, s33 offset:20 ; 4-byte Folded Reload
	scratch_load_dword v45, off, s33 offset:24 ; 4-byte Folded Reload
	s_mov_b64 exec, s[2:3]
	s_mov_b32 s33, s0
	s_waitcnt vmcnt(0)
	s_setpc_b64 s[30:31]
.Lfunc_end22:
	.size	_Z51ncclDevFunc_AllReduce_RING_SIMPLE_MinMax_bf16_1_0_2v, .Lfunc_end22-_Z51ncclDevFunc_AllReduce_RING_SIMPLE_MinMax_bf16_1_0_2v
                                        ; -- End function
	.set .L_Z51ncclDevFunc_AllReduce_RING_SIMPLE_MinMax_bf16_1_0_2v.num_vgpr, max(46, .L_ZN12_GLOBAL__N_17runRingI12hip_bfloat1610FuncMinMaxIS1_E11ProtoSimpleILi1ELi4ELi1ELi2ELi0ELi0EELi0ELi1ELi2ELi0EEEviiP15ncclDevWorkColl.num_vgpr, .L_ZN12_GLOBAL__N_17runRingI12hip_bfloat1610FuncMinMaxIS1_E11ProtoSimpleILi2ELi2ELi1ELi2ELi0ELi0EELi0ELi1ELi2ELi0EEEviiP15ncclDevWorkColl.num_vgpr)
	.set .L_Z51ncclDevFunc_AllReduce_RING_SIMPLE_MinMax_bf16_1_0_2v.num_agpr, max(0, .L_ZN12_GLOBAL__N_17runRingI12hip_bfloat1610FuncMinMaxIS1_E11ProtoSimpleILi1ELi4ELi1ELi2ELi0ELi0EELi0ELi1ELi2ELi0EEEviiP15ncclDevWorkColl.num_agpr, .L_ZN12_GLOBAL__N_17runRingI12hip_bfloat1610FuncMinMaxIS1_E11ProtoSimpleILi2ELi2ELi1ELi2ELi0ELi0EELi0ELi1ELi2ELi0EEEviiP15ncclDevWorkColl.num_agpr)
	.set .L_Z51ncclDevFunc_AllReduce_RING_SIMPLE_MinMax_bf16_1_0_2v.numbered_sgpr, max(102, .L_ZN12_GLOBAL__N_17runRingI12hip_bfloat1610FuncMinMaxIS1_E11ProtoSimpleILi1ELi4ELi1ELi2ELi0ELi0EELi0ELi1ELi2ELi0EEEviiP15ncclDevWorkColl.numbered_sgpr, .L_ZN12_GLOBAL__N_17runRingI12hip_bfloat1610FuncMinMaxIS1_E11ProtoSimpleILi2ELi2ELi1ELi2ELi0ELi0EELi0ELi1ELi2ELi0EEEviiP15ncclDevWorkColl.numbered_sgpr)
	.set .L_Z51ncclDevFunc_AllReduce_RING_SIMPLE_MinMax_bf16_1_0_2v.num_named_barrier, max(0, .L_ZN12_GLOBAL__N_17runRingI12hip_bfloat1610FuncMinMaxIS1_E11ProtoSimpleILi1ELi4ELi1ELi2ELi0ELi0EELi0ELi1ELi2ELi0EEEviiP15ncclDevWorkColl.num_named_barrier, .L_ZN12_GLOBAL__N_17runRingI12hip_bfloat1610FuncMinMaxIS1_E11ProtoSimpleILi2ELi2ELi1ELi2ELi0ELi0EELi0ELi1ELi2ELi0EEEviiP15ncclDevWorkColl.num_named_barrier)
	.set .L_Z51ncclDevFunc_AllReduce_RING_SIMPLE_MinMax_bf16_1_0_2v.private_seg_size, 32+max(.L_ZN12_GLOBAL__N_17runRingI12hip_bfloat1610FuncMinMaxIS1_E11ProtoSimpleILi1ELi4ELi1ELi2ELi0ELi0EELi0ELi1ELi2ELi0EEEviiP15ncclDevWorkColl.private_seg_size, .L_ZN12_GLOBAL__N_17runRingI12hip_bfloat1610FuncMinMaxIS1_E11ProtoSimpleILi2ELi2ELi1ELi2ELi0ELi0EELi0ELi1ELi2ELi0EEEviiP15ncclDevWorkColl.private_seg_size)
	.set .L_Z51ncclDevFunc_AllReduce_RING_SIMPLE_MinMax_bf16_1_0_2v.uses_vcc, or(1, .L_ZN12_GLOBAL__N_17runRingI12hip_bfloat1610FuncMinMaxIS1_E11ProtoSimpleILi1ELi4ELi1ELi2ELi0ELi0EELi0ELi1ELi2ELi0EEEviiP15ncclDevWorkColl.uses_vcc, .L_ZN12_GLOBAL__N_17runRingI12hip_bfloat1610FuncMinMaxIS1_E11ProtoSimpleILi2ELi2ELi1ELi2ELi0ELi0EELi0ELi1ELi2ELi0EEEviiP15ncclDevWorkColl.uses_vcc)
	.set .L_Z51ncclDevFunc_AllReduce_RING_SIMPLE_MinMax_bf16_1_0_2v.uses_flat_scratch, or(0, .L_ZN12_GLOBAL__N_17runRingI12hip_bfloat1610FuncMinMaxIS1_E11ProtoSimpleILi1ELi4ELi1ELi2ELi0ELi0EELi0ELi1ELi2ELi0EEEviiP15ncclDevWorkColl.uses_flat_scratch, .L_ZN12_GLOBAL__N_17runRingI12hip_bfloat1610FuncMinMaxIS1_E11ProtoSimpleILi2ELi2ELi1ELi2ELi0ELi0EELi0ELi1ELi2ELi0EEEviiP15ncclDevWorkColl.uses_flat_scratch)
	.set .L_Z51ncclDevFunc_AllReduce_RING_SIMPLE_MinMax_bf16_1_0_2v.has_dyn_sized_stack, or(0, .L_ZN12_GLOBAL__N_17runRingI12hip_bfloat1610FuncMinMaxIS1_E11ProtoSimpleILi1ELi4ELi1ELi2ELi0ELi0EELi0ELi1ELi2ELi0EEEviiP15ncclDevWorkColl.has_dyn_sized_stack, .L_ZN12_GLOBAL__N_17runRingI12hip_bfloat1610FuncMinMaxIS1_E11ProtoSimpleILi2ELi2ELi1ELi2ELi0ELi0EELi0ELi1ELi2ELi0EEEviiP15ncclDevWorkColl.has_dyn_sized_stack)
	.set .L_Z51ncclDevFunc_AllReduce_RING_SIMPLE_MinMax_bf16_1_0_2v.has_recursion, or(1, .L_ZN12_GLOBAL__N_17runRingI12hip_bfloat1610FuncMinMaxIS1_E11ProtoSimpleILi1ELi4ELi1ELi2ELi0ELi0EELi0ELi1ELi2ELi0EEEviiP15ncclDevWorkColl.has_recursion, .L_ZN12_GLOBAL__N_17runRingI12hip_bfloat1610FuncMinMaxIS1_E11ProtoSimpleILi2ELi2ELi1ELi2ELi0ELi0EELi0ELi1ELi2ELi0EEEviiP15ncclDevWorkColl.has_recursion)
	.set .L_Z51ncclDevFunc_AllReduce_RING_SIMPLE_MinMax_bf16_1_0_2v.has_indirect_call, or(0, .L_ZN12_GLOBAL__N_17runRingI12hip_bfloat1610FuncMinMaxIS1_E11ProtoSimpleILi1ELi4ELi1ELi2ELi0ELi0EELi0ELi1ELi2ELi0EEEviiP15ncclDevWorkColl.has_indirect_call, .L_ZN12_GLOBAL__N_17runRingI12hip_bfloat1610FuncMinMaxIS1_E11ProtoSimpleILi2ELi2ELi1ELi2ELi0ELi0EELi0ELi1ELi2ELi0EEEviiP15ncclDevWorkColl.has_indirect_call)
	.section	.AMDGPU.csdata,"",@progbits
; Function info:
; codeLenInByte = 1492
; TotalNumSgprs: 108
; NumVgprs: 128
; NumAgprs: 0
; TotalNumVgprs: 128
; ScratchSize: 304
; MemoryBound: 0
	.text
	.p2align	2                               ; -- Begin function _ZN12_GLOBAL__N_17runRingI12hip_bfloat1610FuncMinMaxIS1_E11ProtoSimpleILi1ELi4ELi1ELi2ELi0ELi0EELi0ELi1ELi2ELi1EEEviiP15ncclDevWorkColl
	.type	_ZN12_GLOBAL__N_17runRingI12hip_bfloat1610FuncMinMaxIS1_E11ProtoSimpleILi1ELi4ELi1ELi2ELi0ELi0EELi0ELi1ELi2ELi1EEEviiP15ncclDevWorkColl,@function
_ZN12_GLOBAL__N_17runRingI12hip_bfloat1610FuncMinMaxIS1_E11ProtoSimpleILi1ELi4ELi1ELi2ELi0ELi0EELi0ELi1ELi2ELi1EEEviiP15ncclDevWorkColl: ; @_ZN12_GLOBAL__N_17runRingI12hip_bfloat1610FuncMinMaxIS1_E11ProtoSimpleILi1ELi4ELi1ELi2ELi0ELi0EELi0ELi1ELi2ELi1EEEviiP15ncclDevWorkColl
; %bb.0:
	s_waitcnt vmcnt(0) expcnt(0) lgkmcnt(0)
	s_mov_b32 s0, s33
	s_mov_b32 s33, s32
	s_or_saveexec_b64 s[2:3], -1
	scratch_store_dword off, v127, s33 offset:332 ; 4-byte Folded Spill
	scratch_store_dword off, v126, s33 offset:336 ; 4-byte Folded Spill
	s_mov_b64 exec, s[2:3]
	v_writelane_b32 v127, s0, 34
	s_addk_i32 s32, 0x160
	scratch_store_dword off, v40, s33 offset:180 ; 4-byte Folded Spill
	scratch_store_dword off, v41, s33 offset:176 ; 4-byte Folded Spill
	scratch_store_dword off, v42, s33 offset:172 ; 4-byte Folded Spill
	scratch_store_dword off, v43, s33 offset:168 ; 4-byte Folded Spill
	scratch_store_dword off, v44, s33 offset:164 ; 4-byte Folded Spill
	scratch_store_dword off, v45, s33 offset:160 ; 4-byte Folded Spill
	scratch_store_dword off, v46, s33 offset:156 ; 4-byte Folded Spill
	scratch_store_dword off, v47, s33 offset:152 ; 4-byte Folded Spill
	scratch_store_dword off, v56, s33 offset:148 ; 4-byte Folded Spill
	scratch_store_dword off, v57, s33 offset:144 ; 4-byte Folded Spill
	scratch_store_dword off, v58, s33 offset:140 ; 4-byte Folded Spill
	scratch_store_dword off, v59, s33 offset:136 ; 4-byte Folded Spill
	scratch_store_dword off, v60, s33 offset:132 ; 4-byte Folded Spill
	scratch_store_dword off, v61, s33 offset:128 ; 4-byte Folded Spill
	scratch_store_dword off, v62, s33 offset:124 ; 4-byte Folded Spill
	scratch_store_dword off, v63, s33 offset:120 ; 4-byte Folded Spill
	scratch_store_dword off, v72, s33 offset:116 ; 4-byte Folded Spill
	scratch_store_dword off, v73, s33 offset:112 ; 4-byte Folded Spill
	scratch_store_dword off, v74, s33 offset:108 ; 4-byte Folded Spill
	scratch_store_dword off, v75, s33 offset:104 ; 4-byte Folded Spill
	scratch_store_dword off, v76, s33 offset:100 ; 4-byte Folded Spill
	scratch_store_dword off, v77, s33 offset:96 ; 4-byte Folded Spill
	scratch_store_dword off, v78, s33 offset:92 ; 4-byte Folded Spill
	scratch_store_dword off, v79, s33 offset:88 ; 4-byte Folded Spill
	scratch_store_dword off, v88, s33 offset:84 ; 4-byte Folded Spill
	scratch_store_dword off, v89, s33 offset:80 ; 4-byte Folded Spill
	scratch_store_dword off, v90, s33 offset:76 ; 4-byte Folded Spill
	scratch_store_dword off, v91, s33 offset:72 ; 4-byte Folded Spill
	scratch_store_dword off, v92, s33 offset:68 ; 4-byte Folded Spill
	scratch_store_dword off, v93, s33 offset:64 ; 4-byte Folded Spill
	scratch_store_dword off, v94, s33 offset:60 ; 4-byte Folded Spill
	scratch_store_dword off, v95, s33 offset:56 ; 4-byte Folded Spill
	scratch_store_dword off, v104, s33 offset:52 ; 4-byte Folded Spill
	scratch_store_dword off, v105, s33 offset:48 ; 4-byte Folded Spill
	scratch_store_dword off, v106, s33 offset:44 ; 4-byte Folded Spill
	scratch_store_dword off, v107, s33 offset:40 ; 4-byte Folded Spill
	scratch_store_dword off, v108, s33 offset:36 ; 4-byte Folded Spill
	scratch_store_dword off, v109, s33 offset:32 ; 4-byte Folded Spill
	scratch_store_dword off, v110, s33 offset:28 ; 4-byte Folded Spill
	scratch_store_dword off, v111, s33 offset:24 ; 4-byte Folded Spill
	scratch_store_dword off, v120, s33 offset:20 ; 4-byte Folded Spill
	scratch_store_dword off, v121, s33 offset:16 ; 4-byte Folded Spill
	scratch_store_dword off, v122, s33 offset:12 ; 4-byte Folded Spill
	scratch_store_dword off, v123, s33 offset:8 ; 4-byte Folded Spill
	scratch_store_dword off, v124, s33 offset:4 ; 4-byte Folded Spill
	scratch_store_dword off, v125, s33      ; 4-byte Folded Spill
	v_writelane_b32 v127, s34, 0
	v_writelane_b32 v127, s35, 1
	;; [unrolled: 1-line block ×33, first 2 shown]
	s_nop 1
	v_writelane_b32 v127, s31, 33
	s_trap 2
	flat_load_dword v9, v[2:3]
	ds_read_b32 v6, v0
	v_mov_b32_e32 v21, v1
                                        ; implicit-def: $vgpr14_vgpr15
                                        ; implicit-def: $vgpr4_vgpr5
                                        ; kill: killed $vgpr4_vgpr5
                                        ; implicit-def: $vgpr24_vgpr25
	s_waitcnt lgkmcnt(0)
	v_readfirstlane_b32 s68, v6
	s_waitcnt vmcnt(0)
	v_cmp_ne_u32_sdwa s[0:1], v6, v9 src0_sel:DWORD src1_sel:BYTE_0
	s_and_saveexec_b64 s[2:3], s[0:1]
	s_xor_b64 s[0:1], exec, s[2:3]
	s_cbranch_execz .LBB23_6
; %bb.1:
	v_not_b32_sdwa v8, v9 dst_sel:DWORD dst_unused:UNUSED_PAD src0_sel:BYTE_0
	v_cmp_ne_u32_sdwa s[2:3], v6, v9 src0_sel:DWORD src1_sel:BYTE_1
                                        ; implicit-def: $vgpr14_vgpr15
                                        ; implicit-def: $vgpr4_vgpr5
                                        ; kill: killed $vgpr4_vgpr5
                                        ; implicit-def: $vgpr24_vgpr25
	s_and_saveexec_b64 s[4:5], s[2:3]
	s_xor_b64 s[2:3], exec, s[4:5]
	s_cbranch_execz .LBB23_3
; %bb.2:
	flat_load_dwordx4 v[10:13], v[2:3] offset:72
	flat_load_dwordx2 v[4:5], v[2:3] offset:96
	v_add_u32_e32 v1, v6, v8
	v_ashrrev_i32_e32 v6, 31, v1
	s_waitcnt vmcnt(0) lgkmcnt(0)
	v_mul_lo_u32 v6, v12, v6
	v_mad_u64_u32 v[8:9], s[4:5], v12, v1, v[10:11]
	v_mul_lo_u32 v1, v13, v1
	v_add3_u32 v9, v1, v9, v6
	v_lshrrev_b64 v[14:15], 13, v[4:5]
	scratch_store_dwordx2 off, v[8:9], s33 offset:256 ; 8-byte Folded Spill
	v_mov_b64_e32 v[24:25], v[12:13]
                                        ; implicit-def: $vgpr9
                                        ; implicit-def: $vgpr8
.LBB23_3:
	s_andn2_saveexec_b64 s[2:3], s[2:3]
	s_cbranch_execz .LBB23_5
; %bb.4:
	flat_load_dwordx4 v[10:13], v[2:3] offset:72
	flat_load_dwordx4 v[24:27], v[2:3] offset:88
	v_add_u32_sdwa v1, v9, v8 dst_sel:DWORD dst_unused:UNUSED_PAD src0_sel:BYTE_1 src1_sel:DWORD
	v_ashrrev_i32_e32 v4, 31, v1
	s_waitcnt vmcnt(0) lgkmcnt(0)
	v_mul_lo_u32 v4, v12, v4
	v_mad_u64_u32 v[6:7], s[4:5], v12, v1, v[10:11]
	v_mul_lo_u32 v1, v13, v1
	v_add3_u32 v7, v1, v7, v4
	v_lshrrev_b32_e32 v14, 2, v27
	scratch_store_dwordx2 off, v[6:7], s33 offset:256 ; 8-byte Folded Spill
.LBB23_5:
	s_or_b64 exec, exec, s[2:3]
.LBB23_6:
	s_andn2_saveexec_b64 s[0:1], s[0:1]
	s_cbranch_execz .LBB23_8
; %bb.7:
	flat_load_dwordx2 v[4:5], v[2:3] offset:96
	flat_load_dwordx2 v[24:25], v[2:3] offset:72
	s_waitcnt vmcnt(0) lgkmcnt(0)
	v_lshlrev_b64 v[14:15], 8, v[4:5]
	v_mov_b64_e32 v[4:5], 0
	scratch_store_dwordx2 off, v[4:5], s33 offset:256 ; 8-byte Folded Spill
.LBB23_8:
	s_or_b64 exec, exec, s[0:1]
	s_trap 2
	ds_read_b64 v[4:5], v0
	s_waitcnt lgkmcnt(0)
	v_cmp_ne_u32_e32 vcc, -1, v4
	s_nop 1
	v_cndmask_b32_e64 v15, 0, 1, vcc
	v_cmp_ne_u32_e32 vcc, -1, v5
	s_nop 1
	v_addc_co_u32_e64 v8, s[0:1], 0, v15, vcc
	v_lshlrev_b32_e32 v1, 1, v8
	v_cmp_le_u32_e64 s[0:1], v1, v21
	s_and_saveexec_b64 s[2:3], s[0:1]
	s_xor_b64 s[24:25], exec, s[2:3]
	s_cbranch_execz .LBB23_2556
; %bb.9:
	flat_load_dwordx4 v[10:13], v[2:3] offset:16
	flat_load_dwordx2 v[16:17], v[2:3] offset:104
	flat_load_ushort v7, v[2:3] offset:8
	flat_load_dword v6, v[2:3] offset:4
	s_trap 2
	s_load_dword s0, s[8:9], 0x0
	v_mov_b32_e32 v1, 0
	v_mov_b32_e32 v110, 4
	s_waitcnt lgkmcnt(0)
	s_cmp_lt_u32 s12, s0
	s_cselect_b32 s0, 12, 18
	s_add_u32 s0, s8, s0
	s_addc_u32 s1, s9, 0
	global_load_ushort v22, v1, s[0:1]
	ds_read_b32 v1, v0
	v_cmp_ge_u32_e64 s[0:1], v0, v15
	s_waitcnt lgkmcnt(0)
	v_readfirstlane_b32 s22, v1
	s_and_saveexec_b64 s[2:3], s[0:1]
	s_cbranch_execz .LBB23_19
; %bb.10:
	v_cmp_ge_u32_e64 s[0:1], v0, v8
                                        ; implicit-def: $vgpr110
	s_and_saveexec_b64 s[4:5], s[0:1]
	s_xor_b64 s[0:1], exec, s[4:5]
	s_cbranch_execz .LBB23_16
; %bb.11:
	v_cndmask_b32_e64 v1, 0, 1, vcc
	v_sub_u32_e32 v1, v21, v1
	v_cmp_ge_u32_e32 vcc, v0, v1
	s_and_saveexec_b64 s[4:5], vcc
	s_xor_b64 s[4:5], exec, s[4:5]
; %bb.12:
                                        ; implicit-def: $vgpr8
; %bb.13:
	s_or_saveexec_b64 s[4:5], s[4:5]
	v_mov_b32_e32 v110, 16
	s_xor_b64 exec, exec, s[4:5]
; %bb.14:
	v_sub_u32_e32 v1, v21, v8
	v_cmp_lt_i32_e32 vcc, v0, v1
	s_nop 1
	v_cndmask_b32_e64 v110, 32, 0, vcc
; %bb.15:
	s_or_b64 exec, exec, s[4:5]
.LBB23_16:
	s_andn2_saveexec_b64 s[0:1], s[0:1]
; %bb.17:
	v_mov_b32_e32 v110, 8
; %bb.18:
	s_or_b64 exec, exec, s[0:1]
.LBB23_19:
	s_or_b64 exec, exec, s[2:3]
	v_and_b32_e32 v1, 36, v110
	v_cmp_ne_u32_e32 vcc, 0, v1
	v_mov_b32_e32 v8, -1
	s_and_saveexec_b64 s[0:1], vcc
	s_cbranch_execz .LBB23_21
; %bb.20:
	s_trap 2
	ds_read_b32 v8, v0
.LBB23_21:
	s_or_b64 exec, exec, s[0:1]
	v_and_b32_e32 v1, 24, v110
	v_cmp_ne_u32_e64 s[0:1], 0, v1
	s_and_saveexec_b64 s[2:3], s[0:1]
	s_cbranch_execz .LBB23_23
; %bb.22:
	s_trap 2
	s_waitcnt lgkmcnt(0)
	ds_read_b32 v8, v0
.LBB23_23:
	s_or_b64 exec, exec, s[2:3]
	s_waitcnt vmcnt(0)
	v_lshrrev_b64 v[4:5], 31, v[6:7]
	v_and_b32_e32 v20, 3, v4
	v_mov_b64_e32 v[4:5], 0
	s_waitcnt lgkmcnt(0)
	v_ashrrev_i32_e32 v9, 31, v8
	v_mov_b64_e32 v[6:7], 0
	scratch_store_dwordx2 off, v[4:5], s33 offset:304 ; 8-byte Folded Spill
                                        ; implicit-def: $vgpr4_vgpr5
                                        ; kill: killed $vgpr4_vgpr5
                                        ; implicit-def: $vgpr30
                                        ; implicit-def: $vgpr76_vgpr77
                                        ; implicit-def: $vgpr66_vgpr67
                                        ; implicit-def: $vgpr70_vgpr71
                                        ; implicit-def: $vgpr64_vgpr65
	s_and_saveexec_b64 s[0:1], vcc
	s_cbranch_execz .LBB23_33
; %bb.24:
	s_trap 2
	ds_read_b64 v[4:5], v0
	v_and_b32_e32 v1, 0xffff, v20
	s_movk_i32 s2, 0xa8
	s_waitcnt lgkmcnt(0)
	v_lshl_add_u64 v[4:5], v[8:9], 3, v[4:5]
	flat_load_dwordx2 v[4:5], v[4:5]
	s_waitcnt vmcnt(0) lgkmcnt(0)
	v_mad_u64_u32 v[18:19], s[2:3], v1, s2, v[4:5]
	flat_load_dword v1, v[18:19] offset:640
                                        ; implicit-def: $vgpr4_vgpr5
                                        ; kill: killed $vgpr4_vgpr5
	s_waitcnt vmcnt(0) lgkmcnt(0)
	v_cmp_eq_u32_e32 vcc, 1, v1
	s_and_saveexec_b64 s[2:3], vcc
	s_cbranch_execz .LBB23_26
; %bb.25:
	flat_load_dwordx2 v[6:7], v[18:19] offset:648
	v_or_b32_e32 v110, 0x2000, v110
	s_waitcnt vmcnt(0) lgkmcnt(0)
	flat_load_dwordx2 v[4:5], v[6:7]
	s_trap 2
	scratch_store_dwordx2 off, v[6:7], s33 offset:324 ; 8-byte Folded Spill
	s_waitcnt vmcnt(0) lgkmcnt(0)
	ds_write_b64 v0, v[4:5]
	flat_load_dwordx2 v[4:5], v[6:7] offset:8
	s_waitcnt vmcnt(0) lgkmcnt(0)
	ds_write_b64 v0, v[4:5]
	flat_load_dwordx2 v[4:5], v[6:7] offset:16
	s_waitcnt vmcnt(0) lgkmcnt(0)
	ds_write_b64 v0, v[4:5]
.LBB23_26:
	s_or_b64 exec, exec, s[2:3]
	flat_load_dwordx2 v[4:5], v[18:19] offset:608
	v_and_b32_e32 v1, 32, v110
	v_cmp_ne_u32_e32 vcc, 0, v1
                                        ; implicit-def: $vgpr64_vgpr65
	s_waitcnt vmcnt(0) lgkmcnt(0)
	v_lshl_add_u64 v[76:77], v[4:5], 0, 3
	v_and_b32_e32 v76, -4, v76
	s_and_saveexec_b64 s[2:3], vcc
	s_cbranch_execz .LBB23_28
; %bb.27:
	flat_load_dwordx2 v[64:65], v[18:19] offset:560
	s_waitcnt vmcnt(0) lgkmcnt(0)
	flat_store_dwordx2 v[64:65], v[76:77] sc0 sc1
.LBB23_28:
	s_or_b64 exec, exec, s[2:3]
	s_mov_b64 s[2:3], 0x1f8
	v_and_b32_e32 v1, 4, v110
	v_lshl_add_u64 v[4:5], v[18:19], 0, s[2:3]
	v_cmp_ne_u32_e32 vcc, 0, v1
	v_mov_b64_e32 v[6:7], 0
	scratch_store_dwordx2 off, v[4:5], s33 offset:304 ; 8-byte Folded Spill
                                        ; implicit-def: $vgpr30
                                        ; implicit-def: $vgpr66_vgpr67
                                        ; implicit-def: $vgpr70_vgpr71
	s_and_saveexec_b64 s[2:3], vcc
	s_cbranch_execz .LBB23_32
; %bb.29:
	v_and_b32_e32 v1, 0x800, v110
	v_cmp_eq_u32_e32 vcc, 0, v1
	s_and_saveexec_b64 s[4:5], vcc
	s_cbranch_execz .LBB23_31
; %bb.30:
	s_trap 2
	scratch_load_dwordx2 v[4:5], off, s33 offset:304 ; 8-byte Folded Reload
	s_waitcnt vmcnt(0)
	ds_write_b64 v0, v[4:5]
.LBB23_31:
	s_or_b64 exec, exec, s[4:5]
	flat_load_dwordx2 v[64:65], v[18:19] offset:552
	v_or_b32_e32 v4, 0x100, v110
	s_waitcnt vmcnt(0) lgkmcnt(0)
	flat_load_dwordx2 v[70:71], v[64:65] sc0 sc1
	flat_load_dword v1, v[18:19] offset:576
	flat_load_dwordx2 v[6:7], v[18:19] offset:600
	flat_load_dwordx2 v[66:67], v[18:19] offset:520
	s_waitcnt vmcnt(0) lgkmcnt(0)
	v_ashrrev_i32_e32 v30, 1, v1
	v_cmp_eq_u64_e32 vcc, 0, v[6:7]
	s_nop 1
	v_cndmask_b32_e32 v110, v4, v110, vcc
.LBB23_32:
	s_or_b64 exec, exec, s[2:3]
.LBB23_33:
	s_or_b64 exec, exec, s[0:1]
	v_and_b32_e32 v1, 24, v110
	v_cmp_ne_u32_e32 vcc, 0, v1
                                        ; implicit-def: $vgpr68_vgpr69
	s_and_saveexec_b64 s[0:1], vcc
	s_cbranch_execz .LBB23_41
; %bb.34:
	s_trap 2
	ds_read_b64 v[4:5], v0
	v_and_b32_e32 v1, 0xffff, v20
	s_movk_i32 s2, 0xa8
                                        ; implicit-def: $vgpr68_vgpr69
	s_waitcnt lgkmcnt(0)
	v_lshl_add_u64 v[4:5], v[8:9], 3, v[4:5]
	flat_load_dwordx2 v[4:5], v[4:5]
	s_waitcnt vmcnt(0) lgkmcnt(0)
	v_mad_u64_u32 v[4:5], s[2:3], v1, s2, v[4:5]
	flat_load_dwordx4 v[6:9], v[4:5] offset:96
	v_or_b32_e32 v1, 0x100, v110
	scratch_store_dwordx2 off, v[4:5], s33 offset:304 ; 8-byte Folded Spill
	s_waitcnt vmcnt(0) lgkmcnt(0)
	v_cmp_eq_u64_e32 vcc, 0, v[6:7]
	s_nop 1
	v_cndmask_b32_e32 v110, v1, v110, vcc
	v_and_b32_e32 v1, 16, v110
	v_cmp_ne_u32_e32 vcc, 0, v1
	s_and_saveexec_b64 s[2:3], vcc
	s_cbranch_execz .LBB23_36
; %bb.35:
	scratch_load_dwordx2 v[4:5], off, s33 offset:304 ; 8-byte Folded Reload
	s_waitcnt vmcnt(0)
	flat_load_dwordx2 v[64:65], v[4:5] offset:48
	flat_load_dwordx2 v[68:69], v[4:5] offset:120
	;; [unrolled: 1-line block ×3, first 2 shown]
.LBB23_36:
	s_or_b64 exec, exec, s[2:3]
	v_lshl_add_u64 v[76:77], v[8:9], 0, 3
	v_and_b32_e32 v1, 8, v110
	v_and_b32_e32 v76, -4, v76
	v_cmp_ne_u32_e32 vcc, 0, v1
	s_and_saveexec_b64 s[2:3], vcc
	s_cbranch_execz .LBB23_40
; %bb.37:
	v_and_b32_e32 v1, 0x800, v110
	v_cmp_eq_u32_e32 vcc, 0, v1
	s_and_saveexec_b64 s[4:5], vcc
	s_cbranch_execz .LBB23_39
; %bb.38:
	s_trap 2
	scratch_load_dwordx2 v[4:5], off, s33 offset:304 ; 8-byte Folded Reload
	s_waitcnt vmcnt(0)
	ds_write_b64 v0, v[4:5]
.LBB23_39:
	s_or_b64 exec, exec, s[4:5]
	scratch_load_dwordx2 v[4:5], off, s33 offset:304 ; 8-byte Folded Reload
	s_waitcnt vmcnt(0) lgkmcnt(0)
	flat_load_dwordx2 v[64:65], v[4:5] offset:56
	s_waitcnt vmcnt(0) lgkmcnt(0)
	flat_load_dwordx2 v[70:71], v[64:65] sc0 sc1
	flat_load_dword v1, v[4:5] offset:72
	flat_load_dwordx2 v[66:67], v[4:5] offset:16
	s_waitcnt vmcnt(0) lgkmcnt(0)
	v_ashrrev_i32_e32 v30, 1, v1
.LBB23_40:
	s_or_b64 exec, exec, s[2:3]
.LBB23_41:
	s_or_b64 exec, exec, s[0:1]
	v_cmp_eq_u32_e64 s[0:1], 0, v0
	s_and_saveexec_b64 s[2:3], s[0:1]
	s_cbranch_execz .LBB23_43
; %bb.42:
	flat_load_dwordx2 v[4:5], v[2:3] offset:32
	v_mov_b32_e32 v8, v12
	v_mov_b32_e32 v9, v13
	ds_write2_b64 v0, v[8:9], v[10:11] offset1:1
	s_trap 2
	s_waitcnt vmcnt(0) lgkmcnt(0)
	ds_write_b64 v0, v[4:5]
	ds_write_b64 v0, v[16:17]
.LBB23_43:
	s_or_b64 exec, exec, s[2:3]
	v_mov_b64_e32 v[80:81], 0
	s_trap 2
	v_cmp_lt_i64_e32 vcc, 0, v[24:25]
	s_mov_b64 s[2:3], exec
                                        ; implicit-def: $vgpr126 : SGPR spill to VGPR lane
	v_writelane_b32 v126, s2, 0
	s_nop 1
	v_writelane_b32 v126, s3, 1
	s_and_b64 s[2:3], s[2:3], vcc
	s_mov_b64 exec, s[2:3]
	s_cbranch_execz .LBB23_2522
; %bb.44:
	flat_load_dword v1, v[2:3] offset:4
	s_ashr_i32 s16, s22, 31
	s_lshr_b32 s23, s16, 29
	s_add_i32 s22, s22, s23
	s_ashr_i32 s69, s68, 31
	s_ashr_i32 s23, s22, 4
	v_writelane_b32 v126, s24, 2
	s_add_u32 s34, s68, -1
	s_addc_u32 s35, s69, -1
	v_writelane_b32 v126, s25, 3
	s_add_i32 s71, s68, s68
	s_not_b32 s24, s68
	s_cmp_gt_i32 s68, 0
	s_cselect_b32 s24, s24, -1
	s_ashr_i32 s22, s22, 31
	s_lshr_b32 s22, s22, 29
	s_add_i32 s80, s24, s71
	s_add_i32 s23, s23, s22
	s_ashr_i32 s81, s80, 31
	s_ashr_i32 s82, s23, 3
	s_cmp_gt_i32 s68, 2
	v_and_b32_e32 v2, 0x1fffff00, v14
	v_lshrrev_b32_e32 v84, 6, v21
	v_lshlrev_b32_e32 v8, 1, v21
	s_cselect_b64 s[36:37], -1, 0
	s_add_i32 s72, s33, 0xf0
	s_add_i32 s84, s33, 0xd0
	;; [unrolled: 1-line block ×3, first 2 shown]
	v_and_b32_e32 v4, 63, v31
	v_and_b32_e32 v9, 63, v0
	v_mov_b32_e32 v5, 0xfffff000
	v_mad_i64_i32 v[16:17], s[14:15], v2, s68, 0
	v_lshlrev_b32_e32 v100, 10, v84
	v_lshlrev_b32_e32 v121, 7, v84
	;; [unrolled: 1-line block ×3, first 2 shown]
	v_and_b32_e32 v114, 0x7f80, v8
	v_lshrrev_b32_e32 v10, 6, v0
	v_cmp_eq_u32_e64 s[14:15], 0, v4
	v_lshlrev_b32_e32 v4, 4, v9
	v_lshl_add_u32 v12, v84, 12, v5
	v_add_u32_e32 v116, 0xfffffc00, v100
	v_add_u32_e32 v118, 0xffffff80, v121
	v_add_u32_e32 v40, 0xfffff800, v112
	v_add_u32_e32 v42, 0xffffff80, v114
	v_mov_b32_e32 v3, 0
	s_mov_b64 s[88:89], 0x1000
	s_mov_b64 s[90:91], 0x400
	;; [unrolled: 1-line block ×4, first 2 shown]
	v_lshl_or_b32 v122, v10, 12, v4
	v_ashrrev_i32_e32 v13, 31, v12
	v_ashrrev_i32_e32 v117, 31, v116
	;; [unrolled: 1-line block ×5, first 2 shown]
	s_mov_b32 s77, 0
	v_cmp_ge_u32_e64 s[2:3], v0, v21
	v_ashrrev_i32_e32 v83, 31, v30
	v_cmp_eq_u32_e64 s[4:5], 64, v21
	v_cmp_ne_u32_e64 s[6:7], 64, v21
	v_cmp_ne_u32_sdwa s[78:79], v21, v22 src0_sel:DWORD src1_sel:WORD_0
	s_movk_i32 s70, 0xff80
	s_mov_b64 s[94:95], 0
	s_waitcnt vmcnt(0) lgkmcnt(0)
	v_cmp_eq_u64_e64 s[10:11], 0, v[68:69]
	v_cmp_ne_u64_e64 s[12:13], 0, v[68:69]
	v_mov_b32_e32 v85, v3
	v_cmp_eq_u32_e64 s[16:17], 0, v9
	v_cmp_lt_u32_e64 s[18:19], v9, v15
	v_mov_b32_e32 v123, v3
	v_cmp_le_u32_e64 s[20:21], v9, v15
	v_mov_b32_e32 v103, v3
	v_mov_b32_e32 v113, v3
	;; [unrolled: 1-line block ×3, first 2 shown]
	v_lshl_or_b32 v102, v10, 11, v4
	v_lshl_add_u64 v[44:45], v[12:13], 0, s[88:89]
	v_lshl_add_u64 v[46:47], v[116:117], 0, s[90:91]
	;; [unrolled: 1-line block ×5, first 2 shown]
	v_and_b32_e32 v1, 1, v1
	v_cmp_eq_u32_e64 s[22:23], 1, v1
	s_xor_b64 s[38:39], s[22:23], -1
	s_cmp_ge_i32 s24, s68
	s_cselect_b32 s25, s68, 0
	s_sub_i32 s85, s24, s25
	v_mov_b32_e32 v115, v3
	s_ashr_i32 s86, s85, 31
	s_add_i32 s87, s68, -2
	v_or_b32_e32 v4, 0xc00, v122
	v_mov_b32_e32 v5, v3
	v_mov_b64_e32 v[72:73], 0
	v_mov_b32_e32 v1, 1
	s_movk_i32 s96, 0x108
	s_mov_b32 s97, 0x7f800000
	s_movk_i32 s74, 0x7fff
	s_mov_b32 s75, 0xffff0000
	s_movk_i32 s48, 0xfc80
	v_mov_b32_e32 v86, v3
	v_mov_b32_e32 v87, v3
	;; [unrolled: 1-line block ×6, first 2 shown]
	v_mov_b64_e32 v[80:81], 0
	v_mov_b64_e32 v[74:75], v[2:3]
	scratch_store_dword off, v22, s33 offset:320 ; 4-byte Folded Spill
	scratch_store_dword off, v31, s33 offset:316 ; 4-byte Folded Spill
	s_trap 2
	scratch_store_dword off, v21, s33 offset:312 ; 4-byte Folded Spill
	scratch_store_dwordx2 off, v[12:13], s33 offset:288 ; 8-byte Folded Spill
	scratch_store_dwordx2 off, v[4:5], s33 offset:296 ; 8-byte Folded Spill
	scratch_store_dwordx4 off, v[24:27], s33 offset:264 ; 16-byte Folded Spill
	scratch_store_dwordx2 off, v[16:17], s33 offset:280 ; 8-byte Folded Spill
	s_branch .LBB23_47
.LBB23_45:                              ;   in Loop: Header=BB23_47 Depth=1
	s_or_b64 exec, exec, s[24:25]
.LBB23_46:                              ;   in Loop: Header=BB23_47 Depth=1
	s_or_b64 exec, exec, s[26:27]
	s_waitcnt vmcnt(0)
	v_lshl_add_u64 v[72:73], v[72:73], 0, v[16:17]
	v_cmp_ge_i64_e32 vcc, v[72:73], v[24:25]
	s_or_b64 s[94:95], vcc, s[94:95]
	s_andn2_b64 exec, exec, s[94:95]
	s_cbranch_execz .LBB23_2521
.LBB23_47:                              ; =>This Loop Header: Depth=1
                                        ;     Child Loop BB23_62 Depth 2
                                        ;     Child Loop BB23_86 Depth 2
	;; [unrolled: 1-line block ×13, first 2 shown]
                                        ;       Child Loop BB23_305 Depth 3
                                        ;       Child Loop BB23_333 Depth 3
	;; [unrolled: 1-line block ×5, first 2 shown]
                                        ;         Child Loop BB23_586 Depth 4
                                        ;         Child Loop BB23_623 Depth 4
                                        ;       Child Loop BB23_700 Depth 3
                                        ;       Child Loop BB23_807 Depth 3
                                        ;         Child Loop BB23_808 Depth 4
                                        ;         Child Loop BB23_817 Depth 4
                                        ;       Child Loop BB23_836 Depth 3
                                        ;       Child Loop BB23_855 Depth 3
	;; [unrolled: 1-line block ×5, first 2 shown]
                                        ;     Child Loop BB23_957 Depth 2
                                        ;     Child Loop BB23_992 Depth 2
	;; [unrolled: 1-line block ×9, first 2 shown]
                                        ;       Child Loop BB23_1265 Depth 3
                                        ;     Child Loop BB23_1273 Depth 2
                                        ;     Child Loop BB23_1341 Depth 2
                                        ;       Child Loop BB23_1346 Depth 3
                                        ;     Child Loop BB23_1610 Depth 2
                                        ;     Child Loop BB23_1633 Depth 2
	;; [unrolled: 1-line block ×6, first 2 shown]
                                        ;       Child Loop BB23_1664 Depth 3
                                        ;       Child Loop BB23_1704 Depth 3
	;; [unrolled: 1-line block ×9, first 2 shown]
                                        ;         Child Loop BB23_1880 Depth 4
                                        ;       Child Loop BB23_1888 Depth 3
                                        ;       Child Loop BB23_1924 Depth 3
                                        ;         Child Loop BB23_1925 Depth 4
                                        ;       Child Loop BB23_2121 Depth 3
                                        ;       Child Loop BB23_2140 Depth 3
                                        ;       Child Loop BB23_1671 Depth 3
                                        ;       Child Loop BB23_1731 Depth 3
                                        ;       Child Loop BB23_1769 Depth 3
                                        ;     Child Loop BB23_2167 Depth 2
                                        ;     Child Loop BB23_2191 Depth 2
	;; [unrolled: 1-line block ×12, first 2 shown]
	v_sub_co_u32_e32 v78, vcc, v24, v72
	s_nop 1
	v_subb_co_u32_e32 v79, vcc, v25, v73, vcc
	v_cmp_lt_i64_e32 vcc, v[78:79], v[16:17]
	s_and_saveexec_b64 s[26:27], vcc
	s_cbranch_execz .LBB23_53
; %bb.48:                               ;   in Loop: Header=BB23_47 Depth=1
	v_lshl_add_u64 v[8:9], s[34:35], 0, v[78:79]
	v_or_b32_e32 v5, s69, v9
	v_mov_b32_e32 v4, v3
	v_cmp_ne_u64_e32 vcc, 0, v[4:5]
                                        ; implicit-def: $vgpr10_vgpr11
	s_and_saveexec_b64 s[24:25], vcc
	s_xor_b64 s[28:29], exec, s[24:25]
	s_cbranch_execz .LBB23_50
; %bb.49:                               ;   in Loop: Header=BB23_47 Depth=1
	s_ashr_i32 s40, s69, 31
	s_add_u32 s24, s68, s40
	s_mov_b32 s41, s40
	s_addc_u32 s25, s69, s40
	s_xor_b64 s[42:43], s[24:25], s[40:41]
	v_cvt_f32_u32_e32 v2, s42
	v_cvt_f32_u32_e32 v4, s43
	s_sub_u32 s41, 0, s42
	s_subb_u32 s44, 0, s43
	v_fmac_f32_e32 v2, 0x4f800000, v4
	v_rcp_f32_e32 v2, v2
	s_nop 0
	v_mul_f32_e32 v2, 0x5f7ffffc, v2
	v_mul_f32_e32 v4, 0x2f800000, v2
	v_trunc_f32_e32 v4, v4
	v_fmac_f32_e32 v2, 0xcf800000, v4
	v_cvt_u32_f32_e32 v4, v4
	v_cvt_u32_f32_e32 v2, v2
	v_readfirstlane_b32 s45, v4
	v_readfirstlane_b32 s24, v2
	s_mul_i32 s25, s41, s45
	s_mul_hi_u32 s47, s41, s24
	s_mul_i32 s46, s44, s24
	s_add_i32 s25, s47, s25
	s_add_i32 s25, s25, s46
	s_mul_i32 s56, s41, s24
	s_mul_i32 s47, s24, s25
	s_mul_hi_u32 s57, s24, s56
	s_mul_hi_u32 s46, s24, s25
	s_add_u32 s47, s57, s47
	s_addc_u32 s46, 0, s46
	s_mul_hi_u32 s58, s45, s56
	s_mul_i32 s56, s45, s56
	s_add_u32 s47, s47, s56
	s_mul_hi_u32 s57, s45, s25
	s_addc_u32 s46, s46, s58
	s_addc_u32 s47, s57, 0
	s_mul_i32 s25, s45, s25
	s_add_u32 s25, s46, s25
	s_addc_u32 s46, 0, s47
	s_add_u32 s47, s24, s25
	s_cselect_b64 s[24:25], -1, 0
	s_cmp_lg_u64 s[24:25], 0
	s_addc_u32 s45, s45, s46
	s_mul_i32 s24, s41, s45
	s_mul_hi_u32 s25, s41, s47
	s_add_i32 s24, s25, s24
	s_mul_i32 s44, s44, s47
	s_add_i32 s24, s24, s44
	s_mul_i32 s41, s41, s47
	s_mul_hi_u32 s44, s45, s41
	s_mul_i32 s46, s45, s41
	s_mul_i32 s57, s47, s24
	s_mul_hi_u32 s41, s47, s41
	s_mul_hi_u32 s56, s47, s24
	s_add_u32 s41, s41, s57
	s_addc_u32 s56, 0, s56
	s_add_u32 s41, s41, s46
	s_mul_hi_u32 s25, s45, s24
	s_addc_u32 s41, s56, s44
	s_addc_u32 s25, s25, 0
	s_mul_i32 s24, s45, s24
	s_add_u32 s24, s41, s24
	s_addc_u32 s41, 0, s25
	s_add_u32 s44, s47, s24
	v_ashrrev_i32_e32 v4, 31, v9
	s_cselect_b64 s[24:25], -1, 0
	v_mov_b32_e32 v5, v4
	s_cmp_lg_u64 s[24:25], 0
	v_lshl_add_u64 v[8:9], v[8:9], 0, v[4:5]
	s_addc_u32 s41, s45, s41
	v_xor_b32_e32 v14, v8, v4
	v_xor_b32_e32 v5, v9, v4
	v_mad_u64_u32 v[8:9], s[24:25], v14, s41, 0
	v_mul_hi_u32 v2, v14, s44
	v_lshl_add_u64 v[8:9], v[2:3], 0, v[8:9]
	v_mad_u64_u32 v[12:13], s[24:25], v5, s44, 0
	v_add_co_u32_e32 v2, vcc, v8, v12
	v_mad_u64_u32 v[10:11], s[24:25], v5, s41, 0
	s_nop 0
	v_addc_co_u32_e32 v2, vcc, v9, v13, vcc
	v_xor_b32_e32 v4, s40, v4
	s_nop 0
	v_addc_co_u32_e32 v11, vcc, 0, v11, vcc
	v_lshl_add_u64 v[8:9], v[2:3], 0, v[10:11]
	v_mul_lo_u32 v2, s43, v8
	v_mul_lo_u32 v12, s42, v9
	v_mad_u64_u32 v[10:11], s[24:25], s42, v8, 0
	v_add3_u32 v2, v11, v12, v2
	v_sub_u32_e32 v11, v5, v2
	v_mov_b32_e32 v12, s43
	v_sub_co_u32_e32 v14, vcc, v14, v10
	s_nop 1
	v_subb_co_u32_e64 v10, s[24:25], v11, v12, vcc
	v_subrev_co_u32_e64 v11, s[24:25], s42, v14
	v_subb_co_u32_e32 v2, vcc, v5, v2, vcc
	s_nop 0
	v_subbrev_co_u32_e64 v10, s[24:25], 0, v10, s[24:25]
	v_cmp_le_u32_e64 s[24:25], s43, v10
	v_cmp_le_u32_e32 vcc, s43, v2
	s_nop 0
	v_cndmask_b32_e64 v12, 0, -1, s[24:25]
	v_cmp_le_u32_e64 s[24:25], s42, v11
	v_cndmask_b32_e64 v5, 0, -1, vcc
	v_cmp_le_u32_e32 vcc, s42, v14
	v_cndmask_b32_e64 v11, 0, -1, s[24:25]
	v_cmp_eq_u32_e64 s[24:25], s43, v10
	s_nop 1
	v_cndmask_b32_e64 v15, v12, v11, s[24:25]
	v_lshl_add_u64 v[10:11], v[8:9], 0, 2
	v_lshl_add_u64 v[12:13], v[8:9], 0, 1
	v_cmp_ne_u32_e64 s[24:25], 0, v15
	s_nop 1
	v_cndmask_b32_e64 v11, v13, v11, s[24:25]
	v_cndmask_b32_e64 v13, 0, -1, vcc
	v_cmp_eq_u32_e32 vcc, s43, v2
	s_nop 1
	v_cndmask_b32_e32 v2, v5, v13, vcc
	v_cmp_ne_u32_e32 vcc, 0, v2
	v_cndmask_b32_e64 v5, v12, v10, s[24:25]
	s_nop 0
	v_cndmask_b32_e32 v5, v8, v5, vcc
	v_cndmask_b32_e32 v2, v9, v11, vcc
	v_xor_b32_e32 v5, v5, v4
	v_xor_b32_e32 v2, v2, v4
	v_sub_co_u32_e32 v10, vcc, v5, v4
                                        ; implicit-def: $vgpr8_vgpr9
	s_nop 1
	v_subb_co_u32_e32 v11, vcc, v2, v4, vcc
.LBB23_50:                              ;   in Loop: Header=BB23_47 Depth=1
	s_andn2_saveexec_b64 s[24:25], s[28:29]
	s_cbranch_execz .LBB23_52
; %bb.51:                               ;   in Loop: Header=BB23_47 Depth=1
	v_cvt_f32_u32_e32 v2, s68
	s_sub_i32 s28, 0, s68
	v_rcp_iflag_f32_e32 v2, v2
	s_nop 0
	v_mul_f32_e32 v2, 0x4f7ffffe, v2
	v_cvt_u32_f32_e32 v2, v2
	v_mul_lo_u32 v4, s28, v2
	v_mul_hi_u32 v4, v2, v4
	v_add_u32_e32 v2, v2, v4
	v_mul_hi_u32 v2, v8, v2
	v_mul_lo_u32 v4, v2, s68
	v_sub_u32_e32 v4, v8, v4
	v_add_u32_e32 v5, 1, v2
	v_subrev_u32_e32 v8, s68, v4
	v_cmp_le_u32_e32 vcc, s68, v4
	s_nop 1
	v_cndmask_b32_e32 v4, v4, v8, vcc
	v_cndmask_b32_e32 v2, v2, v5, vcc
	v_add_u32_e32 v5, 1, v2
	v_cmp_le_u32_e32 vcc, s68, v4
	s_nop 1
	v_cndmask_b32_e32 v2, v2, v5, vcc
	v_mov_b64_e32 v[10:11], v[2:3]
.LBB23_52:                              ;   in Loop: Header=BB23_47 Depth=1
	s_or_b64 exec, exec, s[24:25]
	v_lshl_add_u64 v[74:75], v[10:11], 0, 7
	v_and_b32_e32 v74, -8, v74
.LBB23_53:                              ;   in Loop: Header=BB23_47 Depth=1
	s_or_b64 exec, exec, s[26:27]
	v_mul_lo_u32 v2, v75, s80
	v_mul_lo_u32 v4, v74, s81
	v_mad_u64_u32 v[8:9], s[24:25], v74, s80, 0
	v_add3_u32 v9, v9, v4, v2
	scratch_load_dwordx2 v[4:5], off, s33 offset:256 ; 8-byte Folded Reload
	v_mov_b32_e32 v2, 0
	s_waitcnt vmcnt(0)
	v_lshl_add_u64 v[88:89], v[72:73], 0, v[4:5]
	v_sub_co_u32_e32 v4, vcc, v78, v8
	s_nop 1
	v_subb_co_u32_e32 v5, vcc, v79, v9, vcc
	v_cmp_lt_i64_e32 vcc, v[74:75], v[4:5]
	s_nop 1
	v_cndmask_b32_e32 v4, v4, v74, vcc
	v_max_i32_e32 v53, 0, v4
	v_add_u32_e32 v5, 15, v53
	v_ashrrev_i32_e32 v10, 31, v5
	v_lshrrev_b32_e32 v10, 28, v10
	v_add_u32_e32 v5, v5, v10
	v_cmp_gt_i32_e32 vcc, 1, v4
	v_and_b32_e32 v5, -16, v5
	s_or_b64 s[26:27], s[2:3], vcc
	v_max_i32_e32 v90, s82, v5
	s_xor_b64 s[24:25], s[26:27], -1
	s_and_saveexec_b64 s[28:29], s[24:25]
	s_cbranch_execz .LBB23_222
; %bb.54:                               ;   in Loop: Header=BB23_47 Depth=1
	s_and_saveexec_b64 s[24:25], s[0:1]
	s_cbranch_execz .LBB23_56
; %bb.55:                               ;   in Loop: Header=BB23_47 Depth=1
	s_trap 2
	ds_read_b64 v[4:5], v0
	s_waitcnt lgkmcnt(0)
	v_lshl_add_u64 v[4:5], v[88:89], 1, v[4:5]
	v_lshl_add_u64 v[4:5], v[8:9], 1, v[4:5]
	ds_write_b64 v0, v[4:5]
	ds_write_b64 v0, v[86:87]
.LBB23_56:                              ;   in Loop: Header=BB23_47 Depth=1
	s_or_b64 exec, exec, s[24:25]
	v_and_b32_e32 v2, 8, v110
	v_min_i32_e32 v90, v90, v53
	v_cmp_ne_u32_e32 vcc, 0, v2
	s_and_saveexec_b64 s[40:41], vcc
	s_cbranch_execz .LBB23_78
; %bb.57:                               ;   in Loop: Header=BB23_47 Depth=1
	s_waitcnt lgkmcnt(0)
	v_lshl_add_u64 v[4:5], v[70:71], 0, 8
	v_lshl_add_u64 v[8:9], v[76:77], 0, 4
	v_cmp_lt_u64_e32 vcc, v[4:5], v[8:9]
	s_and_saveexec_b64 s[42:43], vcc
	s_cbranch_execz .LBB23_69
; %bb.58:                               ;   in Loop: Header=BB23_47 Depth=1
	v_and_b32_e32 v2, 64, v110
	s_mov_b32 s76, 0
	v_cmp_eq_u32_e32 vcc, 0, v2
	s_mov_b64 s[44:45], 0
                                        ; implicit-def: $sgpr46_sgpr47
                                        ; implicit-def: $sgpr56_sgpr57
                                        ; implicit-def: $sgpr58_sgpr59
	s_branch .LBB23_62
.LBB23_59:                              ;   in Loop: Header=BB23_62 Depth=2
	s_waitcnt vmcnt(0) lgkmcnt(0)
	v_lshl_add_u64 v[4:5], v[70:71], 0, 8
	v_cmp_ge_u64_e64 s[24:25], v[4:5], v[8:9]
	s_or_b64 s[50:51], s[50:51], exec
	s_orn2_b64 s[62:63], s[24:25], exec
.LBB23_60:                              ;   in Loop: Header=BB23_62 Depth=2
	s_or_b64 exec, exec, s[54:55]
	s_andn2_b64 s[24:25], s[58:59], exec
	s_and_b64 s[58:59], s[50:51], exec
	s_or_b64 s[58:59], s[24:25], s[58:59]
	s_andn2_b64 s[24:25], s[56:57], exec
	s_and_b64 s[56:57], s[62:63], exec
	s_or_b64 s[56:57], s[24:25], s[56:57]
.LBB23_61:                              ;   in Loop: Header=BB23_62 Depth=2
	s_or_b64 exec, exec, s[60:61]
	s_and_b64 s[24:25], exec, s[56:57]
	s_or_b64 s[44:45], s[24:25], s[44:45]
	s_andn2_b64 s[24:25], s[46:47], exec
	s_and_b64 s[46:47], s[58:59], exec
	s_or_b64 s[46:47], s[24:25], s[46:47]
	s_andn2_b64 exec, exec, s[44:45]
	s_cbranch_execz .LBB23_66
.LBB23_62:                              ;   Parent Loop BB23_47 Depth=1
                                        ; =>  This Inner Loop Header: Depth=2
	s_sleep 1
	s_waitcnt vmcnt(0) lgkmcnt(0)
	flat_load_dwordx2 v[70:71], v[64:65] sc0 sc1
	s_or_b64 s[58:59], s[58:59], exec
	s_or_b64 s[56:57], s[56:57], exec
                                        ; implicit-def: $vgpr2
	s_and_saveexec_b64 s[60:61], vcc
	s_cbranch_execz .LBB23_61
; %bb.63:                               ;   in Loop: Header=BB23_62 Depth=2
	s_cmpk_lt_i32 s76, 0x270f
	s_cselect_b64 s[52:53], -1, 0
	s_cmpk_gt_i32 s76, 0x270e
	s_mov_b64 s[62:63], -1
	s_cbranch_scc0 .LBB23_65
; %bb.64:                               ;   in Loop: Header=BB23_62 Depth=2
	s_trap 2
	ds_read_b64 v[4:5], v0
	s_andn2_b64 s[52:53], s[52:53], exec
	s_mov_b32 s76, 0
	s_mov_b64 s[50:51], 0
	s_waitcnt vmcnt(0) lgkmcnt(0)
	flat_load_dword v2, v[4:5] sc0 sc1
	s_waitcnt vmcnt(0) lgkmcnt(0)
	buffer_inv sc0 sc1
	v_cmp_eq_u32_e64 s[24:25], 0, v2
	s_and_b64 s[24:25], s[24:25], exec
	s_or_b64 s[52:53], s[52:53], s[24:25]
	s_and_saveexec_b64 s[54:55], s[52:53]
	s_cbranch_execz .LBB23_60
	s_branch .LBB23_59
.LBB23_65:                              ;   in Loop: Header=BB23_62 Depth=2
	s_add_i32 s76, s76, 1
	s_mov_b64 s[50:51], -1
                                        ; implicit-def: $vgpr2
	s_and_saveexec_b64 s[54:55], s[52:53]
	s_cbranch_execz .LBB23_60
	s_branch .LBB23_59
.LBB23_66:                              ;   in Loop: Header=BB23_47 Depth=1
	s_or_b64 exec, exec, s[44:45]
	s_xor_b64 s[24:25], s[46:47], -1
	s_and_saveexec_b64 s[44:45], s[24:25]
	s_xor_b64 s[24:25], exec, s[44:45]
	s_cbranch_execz .LBB23_68
; %bb.67:                               ;   in Loop: Header=BB23_47 Depth=1
	v_or_b32_e32 v110, 64, v110
	s_waitcnt lgkmcnt(0)
	ds_write_b32 v0, v2
	s_trap 2
.LBB23_68:                              ;   in Loop: Header=BB23_47 Depth=1
	s_or_b64 exec, exec, s[24:25]
.LBB23_69:                              ;   in Loop: Header=BB23_47 Depth=1
	s_or_b64 exec, exec, s[42:43]
	v_and_b32_e32 v2, 0x100, v110
	v_cmp_ne_u32_e32 vcc, 0, v2
	v_and_b32_e32 v2, 7, v76
	s_mov_b64 s[24:25], -1
	;;#ASMSTART
	s_wakeup
	;;#ASMEND
                                        ; implicit-def: $vgpr10_vgpr11
	s_and_saveexec_b64 s[42:43], vcc
	s_cbranch_execz .LBB23_73
; %bb.70:                               ;   in Loop: Header=BB23_47 Depth=1
	v_mad_u64_u32 v[12:13], s[24:25], v2, 24, v[6:7]
	flat_load_dword v10, v[12:13]
	v_ashrrev_i32_e32 v91, 31, v90
	v_lshlrev_b64 v[4:5], 1, v[90:91]
	flat_store_dwordx2 v[12:13], v[4:5] offset:8
	s_waitcnt vmcnt(0) lgkmcnt(0)
	v_cmp_ne_u32_e32 vcc, 1, v10
	v_cmp_eq_u32_e64 s[24:25], 1, v10
                                        ; implicit-def: $vgpr10_vgpr11
	s_and_saveexec_b64 s[44:45], s[24:25]
	s_cbranch_execz .LBB23_72
; %bb.71:                               ;   in Loop: Header=BB23_47 Depth=1
	flat_load_dword v4, v[12:13] offset:4 sc0 sc1
	s_waitcnt vmcnt(0) lgkmcnt(0)
	v_ashrrev_i32_e32 v5, 31, v4
	v_lshrrev_b64 v[10:11], 1, v[4:5]
.LBB23_72:                              ;   in Loop: Header=BB23_47 Depth=1
	s_or_b64 exec, exec, s[44:45]
	s_orn2_b64 s[24:25], vcc, exec
.LBB23_73:                              ;   in Loop: Header=BB23_47 Depth=1
	s_or_b64 exec, exec, s[42:43]
	s_and_saveexec_b64 s[42:43], s[24:25]
; %bb.74:                               ;   in Loop: Header=BB23_47 Depth=1
	v_mad_i64_i32 v[10:11], s[24:25], v2, v30, 0
; %bb.75:                               ;   in Loop: Header=BB23_47 Depth=1
	s_or_b64 exec, exec, s[42:43]
	v_and_b32_e32 v2, 0x2000, v110
	v_lshl_add_u64 v[4:5], v[10:11], 1, v[66:67]
	v_cmp_ne_u32_e32 vcc, 0, v2
	ds_write_b64 v0, v[4:5] offset:784
	s_and_saveexec_b64 s[24:25], vcc
	s_cbranch_execz .LBB23_77
; %bb.76:                               ;   in Loop: Header=BB23_47 Depth=1
	ds_read_b64 v[4:5], v0 offset:872
	s_waitcnt lgkmcnt(0)
	v_lshl_add_u64 v[4:5], v[4:5], 0, 1
	ds_write_b64 v0, v[4:5] offset:872
.LBB23_77:                              ;   in Loop: Header=BB23_47 Depth=1
	s_or_b64 exec, exec, s[24:25]
	v_mov_b64_e32 v[76:77], v[8:9]
.LBB23_78:                              ;   in Loop: Header=BB23_47 Depth=1
	s_or_b64 exec, exec, s[40:41]
	s_and_saveexec_b64 s[24:25], s[6:7]
	s_cbranch_execz .LBB23_97
; %bb.79:                               ;   in Loop: Header=BB23_47 Depth=1
	s_and_saveexec_b64 s[40:41], s[78:79]
	s_xor_b64 s[40:41], exec, s[40:41]
	s_cbranch_execz .LBB23_94
; %bb.80:                               ;   in Loop: Header=BB23_47 Depth=1
	s_and_saveexec_b64 s[42:43], s[14:15]
	s_cbranch_execz .LBB23_93
; %bb.81:                               ;   in Loop: Header=BB23_47 Depth=1
	s_mov_b64 s[46:47], exec
	v_mbcnt_lo_u32_b32 v2, s46, 0
	v_mbcnt_hi_u32_b32 v2, s47, v2
	v_cmp_eq_u32_e32 vcc, 0, v2
	s_waitcnt lgkmcnt(0)
	s_and_saveexec_b64 s[44:45], vcc
	s_cbranch_execz .LBB23_83
; %bb.82:                               ;   in Loop: Header=BB23_47 Depth=1
	s_bcnt1_i32_b64 s46, s[46:47]
	v_mov_b32_e32 v2, s46
	ds_add_u64 v0, v[2:3]
	s_trap 2
.LBB23_83:                              ;   in Loop: Header=BB23_47 Depth=1
	s_or_b64 exec, exec, s[44:45]
	s_trap 2
	ds_read_b64 v[4:5], v0
	s_waitcnt lgkmcnt(0)
	v_lshl_add_u64 v[80:81], v[80:81], 0, v[84:85]
	v_cmp_lt_u64_e32 vcc, v[4:5], v[80:81]
	s_and_saveexec_b64 s[44:45], vcc
	s_cbranch_execz .LBB23_92
; %bb.84:                               ;   in Loop: Header=BB23_47 Depth=1
	s_mov_b32 s76, 0
	s_mov_b64 s[46:47], 0
                                        ; implicit-def: $sgpr56_sgpr57
                                        ; implicit-def: $sgpr58_sgpr59
	s_branch .LBB23_86
.LBB23_85:                              ;   in Loop: Header=BB23_86 Depth=2
	s_or_b64 exec, exec, s[62:63]
	s_and_b64 s[60:61], exec, vcc
	s_or_b64 s[46:47], s[60:61], s[46:47]
	s_andn2_b64 s[56:57], s[56:57], exec
	s_and_b64 s[60:61], s[58:59], exec
	s_or_b64 s[56:57], s[56:57], s[60:61]
	s_andn2_b64 exec, exec, s[46:47]
	s_cbranch_execz .LBB23_90
.LBB23_86:                              ;   Parent Loop BB23_47 Depth=1
                                        ; =>  This Inner Loop Header: Depth=2
	s_add_i32 s76, s76, 1
	s_cmpk_lg_i32 s76, 0x2710
	s_cselect_b64 s[60:61], -1, 0
	s_and_b64 vcc, exec, s[60:61]
	s_cbranch_vccz .LBB23_88
; %bb.87:                               ;   in Loop: Header=BB23_86 Depth=2
	s_mov_b64 vcc, -1
	s_or_b64 s[58:59], s[58:59], exec
	s_and_saveexec_b64 s[62:63], s[60:61]
	s_cbranch_execz .LBB23_85
	s_branch .LBB23_89
.LBB23_88:                              ;   in Loop: Header=BB23_86 Depth=2
	s_trap 2
	ds_read_b64 v[4:5], v0
	s_andn2_b64 s[60:61], s[60:61], exec
	s_mov_b32 s76, 0
	s_waitcnt vmcnt(0) lgkmcnt(0)
	flat_load_dword v2, v[4:5] sc0 sc1
	s_waitcnt vmcnt(0) lgkmcnt(0)
	buffer_inv sc0 sc1
	v_cmp_eq_u32_e32 vcc, 0, v2
	s_and_b64 s[62:63], vcc, exec
	s_or_b64 s[60:61], s[60:61], s[62:63]
	s_mov_b64 vcc, -1
	s_or_b64 s[58:59], s[58:59], exec
	s_and_saveexec_b64 s[62:63], s[60:61]
	s_cbranch_execz .LBB23_85
.LBB23_89:                              ;   in Loop: Header=BB23_86 Depth=2
	s_sleep 1
	s_trap 2
	ds_read_b64 v[4:5], v0
	s_waitcnt lgkmcnt(0)
	s_andn2_b64 s[58:59], s[58:59], exec
	v_cmp_ge_u64_e32 vcc, v[4:5], v[80:81]
	s_orn2_b64 vcc, vcc, exec
	s_branch .LBB23_85
.LBB23_90:                              ;   in Loop: Header=BB23_47 Depth=1
	s_or_b64 exec, exec, s[46:47]
	s_and_saveexec_b64 s[46:47], s[56:57]
	s_xor_b64 s[46:47], exec, s[46:47]
	s_cbranch_execz .LBB23_92
; %bb.91:                               ;   in Loop: Header=BB23_47 Depth=1
	ds_write_b32 v0, v1
	s_trap 2
.LBB23_92:                              ;   in Loop: Header=BB23_47 Depth=1
	s_or_b64 exec, exec, s[44:45]
	;;#ASMSTART
	s_wakeup
	;;#ASMEND
.LBB23_93:                              ;   in Loop: Header=BB23_47 Depth=1
	s_or_b64 exec, exec, s[42:43]
.LBB23_94:                              ;   in Loop: Header=BB23_47 Depth=1
	s_andn2_saveexec_b64 s[40:41], s[40:41]
	s_cbranch_execz .LBB23_96
; %bb.95:                               ;   in Loop: Header=BB23_47 Depth=1
	s_waitcnt lgkmcnt(0)
	s_barrier
.LBB23_96:                              ;   in Loop: Header=BB23_47 Depth=1
	s_or_b64 exec, exec, s[40:41]
.LBB23_97:                              ;   in Loop: Header=BB23_47 Depth=1
	s_or_b64 exec, exec, s[24:25]
	s_trap 2
	ds_read_b32 v8, v0
	v_and_b32_e32 v2, 0x4000, v110
	v_cmp_ne_u32_e32 vcc, 0, v2
	s_xor_b64 s[24:25], s[4:5], -1
	s_and_b64 s[40:41], s[24:25], vcc
	s_and_saveexec_b64 s[24:25], s[40:41]
	s_cbranch_execz .LBB23_116
; %bb.98:                               ;   in Loop: Header=BB23_47 Depth=1
	s_and_saveexec_b64 s[40:41], s[78:79]
	s_xor_b64 s[40:41], exec, s[40:41]
	s_cbranch_execz .LBB23_113
; %bb.99:                               ;   in Loop: Header=BB23_47 Depth=1
	s_and_saveexec_b64 s[42:43], s[14:15]
	s_cbranch_execz .LBB23_112
; %bb.100:                              ;   in Loop: Header=BB23_47 Depth=1
	s_mov_b64 s[46:47], exec
	v_mbcnt_lo_u32_b32 v2, s46, 0
	v_mbcnt_hi_u32_b32 v2, s47, v2
	v_cmp_eq_u32_e32 vcc, 0, v2
	s_waitcnt lgkmcnt(0)
	s_and_saveexec_b64 s[44:45], vcc
	s_cbranch_execz .LBB23_102
; %bb.101:                              ;   in Loop: Header=BB23_47 Depth=1
	s_bcnt1_i32_b64 s46, s[46:47]
	v_mov_b32_e32 v2, s46
	ds_add_u64 v0, v[2:3]
	s_trap 2
.LBB23_102:                             ;   in Loop: Header=BB23_47 Depth=1
	s_or_b64 exec, exec, s[44:45]
	s_trap 2
	ds_read_b64 v[4:5], v0
	s_waitcnt lgkmcnt(0)
	v_lshl_add_u64 v[80:81], v[80:81], 0, v[84:85]
	v_cmp_lt_u64_e32 vcc, v[4:5], v[80:81]
	s_and_saveexec_b64 s[44:45], vcc
	s_cbranch_execz .LBB23_111
; %bb.103:                              ;   in Loop: Header=BB23_47 Depth=1
	s_mov_b32 s76, 0
	s_mov_b64 s[46:47], 0
                                        ; implicit-def: $sgpr56_sgpr57
                                        ; implicit-def: $sgpr58_sgpr59
	s_branch .LBB23_105
.LBB23_104:                             ;   in Loop: Header=BB23_105 Depth=2
	s_or_b64 exec, exec, s[62:63]
	s_and_b64 s[60:61], exec, vcc
	s_or_b64 s[46:47], s[60:61], s[46:47]
	s_andn2_b64 s[56:57], s[56:57], exec
	s_and_b64 s[60:61], s[58:59], exec
	s_or_b64 s[56:57], s[56:57], s[60:61]
	s_andn2_b64 exec, exec, s[46:47]
	s_cbranch_execz .LBB23_109
.LBB23_105:                             ;   Parent Loop BB23_47 Depth=1
                                        ; =>  This Inner Loop Header: Depth=2
	s_add_i32 s76, s76, 1
	s_cmpk_lg_i32 s76, 0x2710
	s_cselect_b64 s[60:61], -1, 0
	s_and_b64 vcc, exec, s[60:61]
	s_cbranch_vccz .LBB23_107
; %bb.106:                              ;   in Loop: Header=BB23_105 Depth=2
	s_mov_b64 vcc, -1
	s_or_b64 s[58:59], s[58:59], exec
	s_and_saveexec_b64 s[62:63], s[60:61]
	s_cbranch_execz .LBB23_104
	s_branch .LBB23_108
.LBB23_107:                             ;   in Loop: Header=BB23_105 Depth=2
	s_trap 2
	ds_read_b64 v[4:5], v0
	s_andn2_b64 s[60:61], s[60:61], exec
	s_mov_b32 s76, 0
	s_waitcnt vmcnt(0) lgkmcnt(0)
	flat_load_dword v2, v[4:5] sc0 sc1
	s_waitcnt vmcnt(0) lgkmcnt(0)
	buffer_inv sc0 sc1
	v_cmp_eq_u32_e32 vcc, 0, v2
	s_and_b64 s[62:63], vcc, exec
	s_or_b64 s[60:61], s[60:61], s[62:63]
	s_mov_b64 vcc, -1
	s_or_b64 s[58:59], s[58:59], exec
	s_and_saveexec_b64 s[62:63], s[60:61]
	s_cbranch_execz .LBB23_104
.LBB23_108:                             ;   in Loop: Header=BB23_105 Depth=2
	s_sleep 1
	s_trap 2
	ds_read_b64 v[4:5], v0
	s_waitcnt lgkmcnt(0)
	s_andn2_b64 s[58:59], s[58:59], exec
	v_cmp_ge_u64_e32 vcc, v[4:5], v[80:81]
	s_orn2_b64 vcc, vcc, exec
	s_branch .LBB23_104
.LBB23_109:                             ;   in Loop: Header=BB23_47 Depth=1
	s_or_b64 exec, exec, s[46:47]
	s_and_saveexec_b64 s[46:47], s[56:57]
	s_xor_b64 s[46:47], exec, s[46:47]
	s_cbranch_execz .LBB23_111
; %bb.110:                              ;   in Loop: Header=BB23_47 Depth=1
	ds_write_b32 v0, v1
	s_trap 2
.LBB23_111:                             ;   in Loop: Header=BB23_47 Depth=1
	s_or_b64 exec, exec, s[44:45]
	;;#ASMSTART
	s_wakeup
	;;#ASMEND
.LBB23_112:                             ;   in Loop: Header=BB23_47 Depth=1
	s_or_b64 exec, exec, s[42:43]
.LBB23_113:                             ;   in Loop: Header=BB23_47 Depth=1
	s_andn2_saveexec_b64 s[40:41], s[40:41]
	s_cbranch_execz .LBB23_115
; %bb.114:                              ;   in Loop: Header=BB23_47 Depth=1
	s_waitcnt lgkmcnt(0)
	s_barrier
.LBB23_115:                             ;   in Loop: Header=BB23_47 Depth=1
	s_or_b64 exec, exec, s[40:41]
.LBB23_116:                             ;   in Loop: Header=BB23_47 Depth=1
	s_or_b64 exec, exec, s[24:25]
	s_trap 2
	ds_read_b64 v[92:93], v0
	s_waitcnt lgkmcnt(0)
	v_cmp_eq_u64_e32 vcc, 0, v[92:93]
	s_cbranch_vccnz .LBB23_124
; %bb.117:                              ;   in Loop: Header=BB23_47 Depth=1
	s_trap 2
	ds_read_b64 v[94:95], v0
	s_waitcnt lgkmcnt(0)
	v_cmp_eq_u64_e32 vcc, 0, v[94:95]
	s_cbranch_vccnz .LBB23_124
; %bb.118:                              ;   in Loop: Header=BB23_47 Depth=1
	s_mov_b64 s[40:41], -1
	s_and_saveexec_b64 s[24:25], s[16:17]
	s_cbranch_execz .LBB23_120
; %bb.119:                              ;   in Loop: Header=BB23_47 Depth=1
	ds_read_b32 v2, v0 offset:720
	s_waitcnt lgkmcnt(0)
	v_and_b32_e32 v2, 15, v2
	v_cmp_eq_u32_e32 vcc, 0, v2
	s_orn2_b64 s[40:41], vcc, exec
.LBB23_120:                             ;   in Loop: Header=BB23_47 Depth=1
	s_or_b64 exec, exec, s[24:25]
	s_and_saveexec_b64 s[24:25], s[18:19]
	s_cbranch_execz .LBB23_122
; %bb.121:                              ;   in Loop: Header=BB23_47 Depth=1
	ds_read_b32 v2, v0 offset:784
	s_waitcnt lgkmcnt(0)
	v_and_b32_e32 v2, 15, v2
	v_cmp_eq_u32_e32 vcc, 0, v2
	s_and_b64 s[42:43], s[40:41], vcc
	s_andn2_b64 s[40:41], s[40:41], exec
	s_and_b64 s[42:43], s[42:43], exec
	s_or_b64 s[40:41], s[40:41], s[42:43]
.LBB23_122:                             ;   in Loop: Header=BB23_47 Depth=1
	s_or_b64 exec, exec, s[24:25]
	s_xor_b64 s[40:41], s[40:41], -1
	v_cndmask_b32_e64 v2, 0, 1, s[40:41]
	v_cmp_eq_u32_e64 s[24:25], 0, v8
	s_mov_b64 s[42:43], -1
	v_cmp_ne_u32_e32 vcc, 0, v2
	s_cbranch_vccz .LBB23_125
; %bb.123:                              ;   in Loop: Header=BB23_47 Depth=1
	s_mov_b64 s[42:43], 0
	s_mov_b64 s[40:41], -1
	s_branch .LBB23_126
.LBB23_124:                             ;   in Loop: Header=BB23_47 Depth=1
	s_mov_b64 s[24:25], 0
	s_and_saveexec_b64 s[40:41], s[6:7]
	s_cbranch_execnz .LBB23_176
	s_branch .LBB23_194
.LBB23_125:                             ;   in Loop: Header=BB23_47 Depth=1
	s_mov_b64 s[40:41], 0
.LBB23_126:                             ;   in Loop: Header=BB23_47 Depth=1
	v_cndmask_b32_e64 v2, 0, v90, s[24:25]
	v_lshlrev_b32_e32 v54, 1, v2
	s_andn2_b64 vcc, exec, s[42:43]
	v_mov_b32_e32 v14, 0
	s_cbranch_vccnz .LBB23_134
; %bb.127:                              ;   in Loop: Header=BB23_47 Depth=1
	v_ashrrev_i32_e32 v4, 31, v54
	v_lshrrev_b32_e32 v4, 20, v4
	v_add_u32_e32 v4, v54, v4
	v_ashrrev_i32_e32 v55, 12, v4
	v_lshrrev_b32_e32 v4, 6, v0
	v_sub_u32_e32 v28, v55, v4
	v_lshl_add_u64 v[104:105], v[94:95], 0, v[122:123]
	v_cmp_lt_i32_e32 vcc, 0, v28
	s_mov_b64 s[42:43], 0
                                        ; implicit-def: $vgpr8_vgpr9
                                        ; implicit-def: $vgpr12_vgpr13
                                        ; implicit-def: $vgpr16_vgpr17
                                        ; implicit-def: $vgpr20_vgpr21
	s_and_saveexec_b64 s[24:25], vcc
	s_cbranch_execz .LBB23_136
; %bb.128:                              ;   in Loop: Header=BB23_47 Depth=1
	v_lshl_add_u64 v[106:107], v[92:93], 0, v[122:123]
	s_mov_b64 s[46:47], 0
                                        ; implicit-def: $sgpr44_sgpr45
                                        ; implicit-def: $vgpr8_vgpr9
                                        ; implicit-def: $vgpr12_vgpr13
                                        ; implicit-def: $vgpr16_vgpr17
                                        ; implicit-def: $vgpr20_vgpr21
	s_branch .LBB23_130
.LBB23_129:                             ;   in Loop: Header=BB23_130 Depth=2
	s_or_b64 exec, exec, s[56:57]
	v_sub_u32_e32 v28, v28, v29
	v_cmp_gt_i32_e32 vcc, 1, v28
	s_or_b64 s[42:43], vcc, s[42:43]
	s_waitcnt vmcnt(0)
	v_lshl_add_u64 v[4:5], v[104:105], 0, v[108:109]
	s_andn2_b64 s[44:45], s[44:45], exec
	s_and_b64 s[56:57], s[46:47], exec
	global_store_dwordx4 v[104:105], v[24:27], off
	global_store_dwordx4 v[104:105], v[32:35], off offset:1024
	global_store_dwordx4 v[104:105], v[36:39], off offset:2048
	;; [unrolled: 1-line block ×3, first 2 shown]
	v_lshl_add_u64 v[104:105], v[4:5], 0, s[88:89]
	v_lshl_add_u64 v[106:107], v[106:107], 0, v[108:109]
	s_or_b64 s[44:45], s[44:45], s[56:57]
	s_andn2_b64 exec, exec, s[42:43]
	s_cbranch_execz .LBB23_135
.LBB23_130:                             ;   Parent Loop BB23_47 Depth=1
                                        ; =>  This Inner Loop Header: Depth=2
	global_load_dwordx4 v[24:27], v[106:107], off nt
	global_load_dwordx4 v[32:35], v[106:107], off offset:1024 nt
	global_load_dwordx4 v[36:39], v[106:107], off offset:2048 nt
	;; [unrolled: 1-line block ×3, first 2 shown]
	s_and_saveexec_b64 s[56:57], s[46:47]
	s_cbranch_execz .LBB23_132
; %bb.131:                              ;   in Loop: Header=BB23_130 Depth=2
	global_store_dwordx4 v[104:105], v[8:11], off
	global_store_dwordx4 v[104:105], v[12:15], off offset:1024
	global_store_dwordx4 v[104:105], v[16:19], off offset:2048
	;; [unrolled: 1-line block ×3, first 2 shown]
	v_lshl_add_u64 v[104:105], v[104:105], 0, v[44:45]
.LBB23_132:                             ;   in Loop: Header=BB23_130 Depth=2
	s_or_b64 exec, exec, s[56:57]
	v_sub_u32_e32 v28, v28, v84
	v_lshl_add_u64 v[106:107], v[106:107], 0, v[44:45]
	v_mov_b32_e32 v29, 0
	v_cmp_lt_i32_e64 s[46:47], 0, v28
	v_mov_b64_e32 v[108:109], 0
	s_and_saveexec_b64 s[56:57], s[46:47]
	s_cbranch_execz .LBB23_129
; %bb.133:                              ;   in Loop: Header=BB23_130 Depth=2
	global_load_dwordx4 v[8:11], v[106:107], off nt
	global_load_dwordx4 v[12:15], v[106:107], off offset:1024 nt
	global_load_dwordx4 v[16:19], v[106:107], off offset:2048 nt
	;; [unrolled: 1-line block ×3, first 2 shown]
	scratch_load_dwordx2 v[108:109], off, s33 offset:288 ; 8-byte Folded Reload
	v_lshl_add_u64 v[106:107], v[106:107], 0, s[88:89]
	v_mov_b32_e32 v29, v84
	s_branch .LBB23_129
.LBB23_134:                             ;   in Loop: Header=BB23_47 Depth=1
	v_mov_b32_e32 v8, v0
	v_and_b32_e32 v15, 63, v0
	s_and_saveexec_b64 s[24:25], s[40:41]
	s_cbranch_execnz .LBB23_155
	s_branch .LBB23_175
.LBB23_135:                             ;   in Loop: Header=BB23_47 Depth=1
	s_or_b64 exec, exec, s[42:43]
	s_and_b64 s[42:43], s[44:45], exec
.LBB23_136:                             ;   in Loop: Header=BB23_47 Depth=1
	s_or_b64 exec, exec, s[24:25]
	s_and_saveexec_b64 s[24:25], s[42:43]
	s_cbranch_execz .LBB23_138
; %bb.137:                              ;   in Loop: Header=BB23_47 Depth=1
	global_store_dwordx4 v[104:105], v[8:11], off
	global_store_dwordx4 v[104:105], v[12:15], off offset:1024
	global_store_dwordx4 v[104:105], v[16:19], off offset:2048
	global_store_dwordx4 v[104:105], v[20:23], off offset:3072
.LBB23_138:                             ;   in Loop: Header=BB23_47 Depth=1
	s_or_b64 exec, exec, s[24:25]
	s_nop 0
	v_lshlrev_b32_e32 v20, 12, v55
	v_cmp_ne_u32_e32 vcc, v54, v20
                                        ; implicit-def: $vgpr14
                                        ; implicit-def: $vgpr8
                                        ; implicit-def: $vgpr15
	s_and_saveexec_b64 s[42:43], vcc
	s_cbranch_execz .LBB23_154
; %bb.139:                              ;   in Loop: Header=BB23_47 Depth=1
	v_lshlrev_b32_e32 v5, 6, v28
	v_and_b32_e32 v8, 63, v0
	v_sub_u32_e32 v5, v8, v5
	v_ashrrev_i32_e32 v8, 31, v5
	v_lshrrev_b32_e32 v8, 26, v8
	v_add_u32_e32 v8, v5, v8
	v_ashrrev_i32_e32 v9, 6, v8
	v_and_b32_e32 v8, 0xffffffc0, v8
	v_sub_u32_e32 v21, v5, v8
	v_lshlrev_b32_e32 v5, 4, v21
	v_sub_u32_e32 v4, v54, v20
	v_lshl_add_u32 v5, v9, 10, v5
	v_add_u32_e32 v10, v5, v20
	v_sub_u32_e32 v25, v4, v5
	v_ashrrev_i32_e32 v5, 31, v4
	v_lshrrev_b32_e32 v5, 22, v5
	v_add_u32_e32 v5, v4, v5
	v_and_b32_e32 v22, 0xfffffc00, v5
	v_sub_u32_e32 v24, v4, v22
	v_ashrrev_i32_e32 v8, 10, v5
	v_cmp_lt_i32_e32 vcc, 15, v24
	v_ashrrev_i32_e32 v11, 31, v10
	v_lshl_add_u64 v[16:17], v[10:11], 0, v[94:95]
	v_addc_co_u32_e64 v4, s[24:25], 0, v8, vcc
	v_sub_u32_e32 v23, v4, v9
	v_cmp_lt_i32_e64 s[24:25], 15, v25
	s_mov_b64 s[46:47], 0
                                        ; implicit-def: $vgpr8_vgpr9
	s_and_saveexec_b64 s[44:45], s[24:25]
	s_cbranch_execz .LBB23_149
; %bb.140:                              ;   in Loop: Header=BB23_47 Depth=1
	v_lshl_add_u64 v[18:19], v[10:11], 0, v[92:93]
	s_mov_b64 s[58:59], 0
                                        ; implicit-def: $sgpr56_sgpr57
                                        ; implicit-def: $vgpr8_vgpr9
	s_branch .LBB23_142
.LBB23_141:                             ;   in Loop: Header=BB23_142 Depth=2
	s_or_b64 exec, exec, s[24:25]
	v_cmp_gt_i32_e64 s[24:25], 16, v25
	s_or_b64 s[46:47], s[24:25], s[46:47]
	s_andn2_b64 s[24:25], s[56:57], exec
	s_and_b64 s[56:57], s[58:59], exec
	s_or_b64 s[56:57], s[24:25], s[56:57]
	s_andn2_b64 exec, exec, s[46:47]
	s_cbranch_execz .LBB23_148
.LBB23_142:                             ;   Parent Loop BB23_47 Depth=1
                                        ; =>  This Inner Loop Header: Depth=2
	global_load_dwordx4 v[12:15], v[18:19], off nt
	s_and_saveexec_b64 s[24:25], s[58:59]
	s_cbranch_execz .LBB23_144
; %bb.143:                              ;   in Loop: Header=BB23_142 Depth=2
	v_lshl_add_u64 v[4:5], v[16:17], 0, v[46:47]
	global_store_dwordx4 v[16:17], v[8:11], off
	v_mov_b64_e32 v[16:17], v[4:5]
.LBB23_144:                             ;   in Loop: Header=BB23_142 Depth=2
	s_or_b64 exec, exec, s[24:25]
	v_sub_u32_e32 v25, v25, v100
	v_lshl_add_u64 v[18:19], v[18:19], 0, v[46:47]
	v_cmp_lt_i32_e64 s[58:59], 15, v25
	s_and_saveexec_b64 s[24:25], s[58:59]
	s_cbranch_execz .LBB23_146
; %bb.145:                              ;   in Loop: Header=BB23_142 Depth=2
	global_load_dwordx4 v[8:11], v[18:19], off nt
	v_lshl_add_u64 v[18:19], v[18:19], 0, s[90:91]
.LBB23_146:                             ;   in Loop: Header=BB23_142 Depth=2
	s_or_b64 exec, exec, s[24:25]
	v_sub_u32_e32 v23, v23, v84
	s_waitcnt vmcnt(0)
	global_store_dwordx4 v[16:17], v[12:15], off
	v_lshl_add_u64 v[16:17], v[16:17], 0, s[90:91]
	s_and_saveexec_b64 s[24:25], s[58:59]
	s_cbranch_execz .LBB23_141
; %bb.147:                              ;   in Loop: Header=BB23_142 Depth=2
	v_sub_u32_e32 v23, v23, v84
	v_sub_u32_e32 v25, v25, v100
	v_lshl_add_u64 v[18:19], v[18:19], 0, v[116:117]
	v_lshl_add_u64 v[16:17], v[16:17], 0, v[116:117]
	s_branch .LBB23_141
.LBB23_148:                             ;   in Loop: Header=BB23_47 Depth=1
	s_or_b64 exec, exec, s[46:47]
	s_and_b64 s[46:47], s[56:57], exec
.LBB23_149:                             ;   in Loop: Header=BB23_47 Depth=1
	s_or_b64 exec, exec, s[44:45]
	s_and_saveexec_b64 s[24:25], s[46:47]
	s_cbranch_execz .LBB23_151
; %bb.150:                              ;   in Loop: Header=BB23_47 Depth=1
	global_store_dwordx4 v[16:17], v[8:11], off
.LBB23_151:                             ;   in Loop: Header=BB23_47 Depth=1
	s_or_b64 exec, exec, s[24:25]
	s_nop 0
	v_and_b32_e32 v9, 14, v54
	v_cndmask_b32_e32 v54, v24, v9, vcc
	v_cmp_ne_u32_e64 s[24:25], 0, v54
	s_mov_b64 s[46:47], s[40:41]
                                        ; implicit-def: $vgpr14
                                        ; implicit-def: $vgpr8
                                        ; implicit-def: $vgpr15
	s_and_saveexec_b64 s[44:45], s[24:25]
	s_cbranch_execz .LBB23_153
; %bb.152:                              ;   in Loop: Header=BB23_47 Depth=1
	v_sub_u32_e32 v4, v24, v9
	v_cndmask_b32_e32 v4, 0, v4, vcc
	v_cmp_lt_i32_e32 vcc, 0, v23
	v_add3_u32 v14, v22, v20, v4
	s_or_b64 s[46:47], s[40:41], exec
	v_cndmask_b32_e32 v4, 0, v84, vcc
	v_sub_u32_e32 v4, v4, v23
	v_lshl_add_u32 v8, v4, 6, v21
	v_ashrrev_i32_e32 v4, 31, v8
	v_lshrrev_b32_e32 v4, 26, v4
	v_add_u32_e32 v4, v8, v4
	v_and_b32_e32 v4, 0xffffffc0, v4
	v_sub_u32_e32 v15, v8, v4
.LBB23_153:                             ;   in Loop: Header=BB23_47 Depth=1
	s_or_b64 exec, exec, s[44:45]
	s_andn2_b64 s[24:25], s[40:41], exec
	s_and_b64 s[40:41], s[46:47], exec
	s_or_b64 s[40:41], s[24:25], s[40:41]
.LBB23_154:                             ;   in Loop: Header=BB23_47 Depth=1
	s_or_b64 exec, exec, s[42:43]
	s_and_saveexec_b64 s[24:25], s[40:41]
	s_cbranch_execz .LBB23_175
.LBB23_155:                             ;   in Loop: Header=BB23_47 Depth=1
	v_ashrrev_i32_e32 v4, 31, v8
	v_lshrrev_b32_e32 v4, 26, v4
	v_add_u32_e32 v4, v8, v4
	v_ashrrev_i32_e32 v4, 6, v4
	v_lshlrev_b32_e32 v5, 10, v4
	v_lshlrev_b32_e32 v8, 1, v15
	v_add3_u32 v10, v14, v8, v5
	v_ashrrev_i32_e32 v5, 31, v54
	v_lshrrev_b32_e32 v5, 22, v5
	v_add_u32_e32 v5, v54, v5
	v_ashrrev_i32_e32 v16, 10, v5
	v_sub_u32_e32 v12, v16, v4
	v_ashrrev_i32_e32 v11, 31, v10
	v_lshl_add_u64 v[8:9], v[94:95], 0, v[10:11]
	v_cmp_lt_i32_e32 vcc, 0, v12
	s_mov_b64 s[42:43], 0
                                        ; implicit-def: $vgpr17
                                        ; implicit-def: $vgpr18
                                        ; implicit-def: $vgpr19
                                        ; implicit-def: $vgpr20
                                        ; implicit-def: $vgpr21
                                        ; implicit-def: $vgpr22
                                        ; implicit-def: $vgpr23
                                        ; implicit-def: $vgpr24
	s_and_saveexec_b64 s[40:41], vcc
	s_cbranch_execz .LBB23_163
; %bb.156:                              ;   in Loop: Header=BB23_47 Depth=1
	v_lshl_add_u64 v[10:11], v[10:11], 0, v[92:93]
	s_mov_b64 s[46:47], 0
                                        ; implicit-def: $sgpr44_sgpr45
                                        ; implicit-def: $vgpr17
                                        ; implicit-def: $vgpr18
                                        ; implicit-def: $vgpr19
                                        ; implicit-def: $vgpr20
                                        ; implicit-def: $vgpr21
                                        ; implicit-def: $vgpr22
                                        ; implicit-def: $vgpr23
                                        ; implicit-def: $vgpr24
	s_branch .LBB23_158
.LBB23_157:                             ;   in Loop: Header=BB23_158 Depth=2
	s_or_b64 exec, exec, s[56:57]
	v_lshl_add_u64 v[4:5], v[8:9], 0, v[12:13]
	v_lshl_add_u64 v[10:11], v[10:11], 0, v[12:13]
	v_sub_u32_e32 v12, v35, v36
	v_cmp_gt_i32_e32 vcc, 1, v12
	s_or_b64 s[42:43], vcc, s[42:43]
	s_andn2_b64 s[44:45], s[44:45], exec
	s_and_b64 s[56:57], s[46:47], exec
	s_waitcnt vmcnt(0) lgkmcnt(0)
	flat_store_short v[8:9], v25 nt
	flat_store_short v[8:9], v26 offset:128 nt
	flat_store_short v[8:9], v27 offset:256 nt
	flat_store_short v[8:9], v28 offset:384 nt
	flat_store_short v[8:9], v29 offset:512 nt
	flat_store_short v[8:9], v32 offset:640 nt
	flat_store_short v[8:9], v33 offset:768 nt
	flat_store_short v[8:9], v34 offset:896 nt
	v_lshl_add_u64 v[8:9], v[4:5], 0, s[90:91]
	s_or_b64 s[44:45], s[44:45], s[56:57]
	s_andn2_b64 exec, exec, s[42:43]
	s_cbranch_execz .LBB23_162
.LBB23_158:                             ;   Parent Loop BB23_47 Depth=1
                                        ; =>  This Inner Loop Header: Depth=2
	flat_load_ushort v25, v[10:11] nt
	flat_load_ushort v26, v[10:11] offset:128 nt
	flat_load_ushort v27, v[10:11] offset:256 nt
	;; [unrolled: 1-line block ×7, first 2 shown]
	s_and_saveexec_b64 s[56:57], s[46:47]
	s_cbranch_execz .LBB23_160
; %bb.159:                              ;   in Loop: Header=BB23_158 Depth=2
	flat_store_short v[8:9], v17 nt
	flat_store_short v[8:9], v18 offset:128 nt
	flat_store_short v[8:9], v19 offset:256 nt
	;; [unrolled: 1-line block ×7, first 2 shown]
	v_lshl_add_u64 v[8:9], v[8:9], 0, v[46:47]
.LBB23_160:                             ;   in Loop: Header=BB23_158 Depth=2
	s_or_b64 exec, exec, s[56:57]
	v_sub_u32_e32 v35, v12, v84
	v_lshl_add_u64 v[10:11], v[10:11], 0, v[46:47]
	v_mov_b32_e32 v36, 0
	v_cmp_lt_i32_e64 s[46:47], 0, v35
	v_mov_b64_e32 v[12:13], 0
	s_and_saveexec_b64 s[56:57], s[46:47]
	s_cbranch_execz .LBB23_157
; %bb.161:                              ;   in Loop: Header=BB23_158 Depth=2
	flat_load_ushort v17, v[10:11] nt
	flat_load_ushort v18, v[10:11] offset:128 nt
	flat_load_ushort v19, v[10:11] offset:256 nt
	;; [unrolled: 1-line block ×7, first 2 shown]
	v_lshl_add_u64 v[10:11], v[10:11], 0, s[90:91]
	v_mov_b32_e32 v36, v84
	v_mov_b64_e32 v[12:13], v[116:117]
	s_branch .LBB23_157
.LBB23_162:                             ;   in Loop: Header=BB23_47 Depth=1
	s_or_b64 exec, exec, s[42:43]
	s_and_b64 s[42:43], s[44:45], exec
.LBB23_163:                             ;   in Loop: Header=BB23_47 Depth=1
	s_or_b64 exec, exec, s[40:41]
	s_and_saveexec_b64 s[40:41], s[42:43]
	s_cbranch_execz .LBB23_165
; %bb.164:                              ;   in Loop: Header=BB23_47 Depth=1
	flat_store_short v[8:9], v17 nt
	flat_store_short v[8:9], v18 offset:128 nt
	flat_store_short v[8:9], v19 offset:256 nt
	;; [unrolled: 1-line block ×7, first 2 shown]
.LBB23_165:                             ;   in Loop: Header=BB23_47 Depth=1
	s_or_b64 exec, exec, s[40:41]
	v_lshlrev_b32_e32 v8, 10, v16
	v_cmp_ne_u32_e32 vcc, v54, v8
	s_and_b64 exec, exec, vcc
	s_cbranch_execz .LBB23_175
; %bb.166:                              ;   in Loop: Header=BB23_47 Depth=1
	v_lshlrev_b32_e32 v4, 6, v12
	v_sub_u32_e32 v4, v15, v4
	v_ashrrev_i32_e32 v5, 31, v4
	v_lshrrev_b32_e32 v5, 26, v5
	v_add_u32_e32 v5, v4, v5
	v_and_b32_e32 v9, 0x7fffffc0, v5
	v_sub_u32_e32 v4, v4, v9
	v_lshlrev_b32_e32 v5, 1, v5
	v_and_b32_e32 v5, 0xffffff80, v5
	v_lshlrev_b32_e32 v4, 1, v4
	v_add3_u32 v8, v5, v4, v8
	v_sub_u32_e32 v12, v54, v8
	v_cmp_lt_i32_e32 vcc, 1, v12
	s_and_b64 exec, exec, vcc
	s_cbranch_execz .LBB23_175
; %bb.167:                              ;   in Loop: Header=BB23_47 Depth=1
	v_add_u32_e32 v4, v8, v14
	v_ashrrev_i32_e32 v5, 31, v4
	v_lshl_add_u64 v[8:9], v[94:95], 0, v[4:5]
	v_lshl_add_u64 v[10:11], v[4:5], 0, v[92:93]
	s_mov_b64 s[44:45], 0
	s_mov_b64 s[40:41], 0
                                        ; implicit-def: $sgpr42_sgpr43
                                        ; implicit-def: $vgpr14
	s_branch .LBB23_169
.LBB23_168:                             ;   in Loop: Header=BB23_169 Depth=2
	s_or_b64 exec, exec, s[46:47]
	v_lshl_add_u64 v[4:5], v[8:9], 0, v[12:13]
	v_lshl_add_u64 v[10:11], v[10:11], 0, v[12:13]
	v_sub_u32_e32 v12, v16, v17
	v_cmp_gt_i32_e32 vcc, 2, v12
	s_or_b64 s[40:41], vcc, s[40:41]
	s_andn2_b64 s[42:43], s[42:43], exec
	s_and_b64 s[46:47], s[44:45], exec
	s_waitcnt vmcnt(0) lgkmcnt(0)
	flat_store_short v[8:9], v15 nt
	v_lshl_add_u64 v[8:9], v[4:5], 0, s[92:93]
	s_or_b64 s[42:43], s[42:43], s[46:47]
	s_andn2_b64 exec, exec, s[40:41]
	s_cbranch_execz .LBB23_173
.LBB23_169:                             ;   Parent Loop BB23_47 Depth=1
                                        ; =>  This Inner Loop Header: Depth=2
	flat_load_ushort v15, v[10:11] nt
	s_and_saveexec_b64 s[46:47], s[44:45]
	s_cbranch_execz .LBB23_171
; %bb.170:                              ;   in Loop: Header=BB23_169 Depth=2
	v_lshl_add_u64 v[4:5], v[8:9], 0, v[56:57]
	flat_store_short v[8:9], v14 nt
	v_mov_b64_e32 v[8:9], v[4:5]
.LBB23_171:                             ;   in Loop: Header=BB23_169 Depth=2
	s_or_b64 exec, exec, s[46:47]
	v_sub_u32_e32 v16, v12, v121
	v_lshl_add_u64 v[10:11], v[10:11], 0, v[56:57]
	v_cmp_lt_i32_e64 s[44:45], 1, v16
	v_mov_b64_e32 v[12:13], 0
	v_mov_b32_e32 v17, 0
	s_and_saveexec_b64 s[46:47], s[44:45]
	s_cbranch_execz .LBB23_168
; %bb.172:                              ;   in Loop: Header=BB23_169 Depth=2
	flat_load_ushort v14, v[10:11] nt
	v_lshl_add_u64 v[10:11], v[10:11], 0, s[92:93]
	v_mov_b32_e32 v17, v121
	v_mov_b64_e32 v[12:13], v[118:119]
	s_branch .LBB23_168
.LBB23_173:                             ;   in Loop: Header=BB23_47 Depth=1
	s_or_b64 exec, exec, s[40:41]
	s_and_b64 exec, exec, s[42:43]
	s_cbranch_execz .LBB23_175
; %bb.174:                              ;   in Loop: Header=BB23_47 Depth=1
	flat_store_short v[8:9], v14 nt
.LBB23_175:                             ;   in Loop: Header=BB23_47 Depth=1
	s_or_b64 exec, exec, s[24:25]
	v_cmp_lt_i32_e64 s[24:25], 0, v2
	s_and_saveexec_b64 s[40:41], s[6:7]
	s_cbranch_execz .LBB23_194
.LBB23_176:                             ;   in Loop: Header=BB23_47 Depth=1
	s_and_saveexec_b64 s[42:43], s[78:79]
	s_xor_b64 s[42:43], exec, s[42:43]
	s_cbranch_execz .LBB23_191
; %bb.177:                              ;   in Loop: Header=BB23_47 Depth=1
	s_and_saveexec_b64 s[44:45], s[14:15]
	s_cbranch_execz .LBB23_190
; %bb.178:                              ;   in Loop: Header=BB23_47 Depth=1
	s_mov_b64 s[56:57], exec
	v_mbcnt_lo_u32_b32 v2, s56, 0
	v_mbcnt_hi_u32_b32 v2, s57, v2
	v_cmp_eq_u32_e32 vcc, 0, v2
	s_waitcnt lgkmcnt(0)
	s_and_saveexec_b64 s[46:47], vcc
	s_cbranch_execz .LBB23_180
; %bb.179:                              ;   in Loop: Header=BB23_47 Depth=1
	s_bcnt1_i32_b64 s56, s[56:57]
	v_mov_b32_e32 v2, s56
	ds_add_u64 v0, v[2:3]
	s_trap 2
.LBB23_180:                             ;   in Loop: Header=BB23_47 Depth=1
	s_or_b64 exec, exec, s[46:47]
	s_trap 2
	ds_read_b64 v[4:5], v0
	s_waitcnt lgkmcnt(0)
	v_lshl_add_u64 v[80:81], v[80:81], 0, v[84:85]
	v_cmp_lt_u64_e32 vcc, v[4:5], v[80:81]
	s_and_saveexec_b64 s[46:47], vcc
	s_cbranch_execz .LBB23_189
; %bb.181:                              ;   in Loop: Header=BB23_47 Depth=1
	s_mov_b32 s76, 0
	s_mov_b64 s[56:57], 0
                                        ; implicit-def: $sgpr58_sgpr59
                                        ; implicit-def: $sgpr60_sgpr61
	s_branch .LBB23_183
.LBB23_182:                             ;   in Loop: Header=BB23_183 Depth=2
	s_or_b64 exec, exec, s[50:51]
	s_and_b64 s[62:63], exec, vcc
	s_or_b64 s[56:57], s[62:63], s[56:57]
	s_andn2_b64 s[58:59], s[58:59], exec
	s_and_b64 s[62:63], s[60:61], exec
	s_or_b64 s[58:59], s[58:59], s[62:63]
	s_andn2_b64 exec, exec, s[56:57]
	s_cbranch_execz .LBB23_187
.LBB23_183:                             ;   Parent Loop BB23_47 Depth=1
                                        ; =>  This Inner Loop Header: Depth=2
	s_add_i32 s76, s76, 1
	s_cmpk_lg_i32 s76, 0x2710
	s_cselect_b64 s[62:63], -1, 0
	s_and_b64 vcc, exec, s[62:63]
	s_cbranch_vccz .LBB23_185
; %bb.184:                              ;   in Loop: Header=BB23_183 Depth=2
	s_mov_b64 vcc, -1
	s_or_b64 s[60:61], s[60:61], exec
	s_and_saveexec_b64 s[50:51], s[62:63]
	s_cbranch_execz .LBB23_182
	s_branch .LBB23_186
.LBB23_185:                             ;   in Loop: Header=BB23_183 Depth=2
	s_trap 2
	ds_read_b64 v[4:5], v0
	s_andn2_b64 s[62:63], s[62:63], exec
	s_mov_b32 s76, 0
	s_waitcnt vmcnt(0) lgkmcnt(0)
	flat_load_dword v2, v[4:5] sc0 sc1
	s_waitcnt vmcnt(0) lgkmcnt(0)
	buffer_inv sc0 sc1
	v_cmp_eq_u32_e32 vcc, 0, v2
	s_and_b64 vcc, vcc, exec
	s_or_b64 s[62:63], s[62:63], vcc
	s_mov_b64 vcc, -1
	s_or_b64 s[60:61], s[60:61], exec
	s_and_saveexec_b64 s[50:51], s[62:63]
	s_cbranch_execz .LBB23_182
.LBB23_186:                             ;   in Loop: Header=BB23_183 Depth=2
	s_sleep 1
	s_trap 2
	ds_read_b64 v[4:5], v0
	s_waitcnt lgkmcnt(0)
	s_andn2_b64 s[60:61], s[60:61], exec
	v_cmp_ge_u64_e32 vcc, v[4:5], v[80:81]
	s_orn2_b64 vcc, vcc, exec
	s_branch .LBB23_182
.LBB23_187:                             ;   in Loop: Header=BB23_47 Depth=1
	s_or_b64 exec, exec, s[56:57]
	s_and_saveexec_b64 s[56:57], s[58:59]
	s_xor_b64 s[56:57], exec, s[56:57]
	s_cbranch_execz .LBB23_189
; %bb.188:                              ;   in Loop: Header=BB23_47 Depth=1
	ds_write_b32 v0, v1
	s_trap 2
.LBB23_189:                             ;   in Loop: Header=BB23_47 Depth=1
	s_or_b64 exec, exec, s[46:47]
	;;#ASMSTART
	s_wakeup
	;;#ASMEND
.LBB23_190:                             ;   in Loop: Header=BB23_47 Depth=1
	s_or_b64 exec, exec, s[44:45]
.LBB23_191:                             ;   in Loop: Header=BB23_47 Depth=1
	s_andn2_saveexec_b64 s[42:43], s[42:43]
	s_cbranch_execz .LBB23_193
; %bb.192:                              ;   in Loop: Header=BB23_47 Depth=1
	s_waitcnt lgkmcnt(0)
	s_barrier
.LBB23_193:                             ;   in Loop: Header=BB23_47 Depth=1
	s_or_b64 exec, exec, s[42:43]
.LBB23_194:                             ;   in Loop: Header=BB23_47 Depth=1
	s_or_b64 exec, exec, s[40:41]
	v_and_b32_e32 v8, 16, v110
	s_and_saveexec_b64 s[40:41], s[22:23]
	s_xor_b64 s[40:41], exec, s[40:41]
	s_cbranch_execz .LBB23_199
; %bb.195:                              ;   in Loop: Header=BB23_47 Depth=1
	v_and_b32_e32 v2, 16, v110
	v_cmp_ne_u32_e32 vcc, 0, v2
	v_and_b32_e32 v8, 16, v110
	s_and_b64 s[42:43], vcc, s[24:25]
	s_and_saveexec_b64 s[24:25], s[42:43]
	s_cbranch_execz .LBB23_197
; %bb.196:                              ;   in Loop: Header=BB23_47 Depth=1
	v_mov_b32_e32 v8, 1
	buffer_wbl2 sc1
	s_waitcnt vmcnt(0) lgkmcnt(0)
	buffer_inv sc1
.LBB23_197:                             ;   in Loop: Header=BB23_47 Depth=1
	s_or_b64 exec, exec, s[24:25]
	s_andn2_saveexec_b64 s[24:25], s[40:41]
	s_cbranch_execnz .LBB23_200
.LBB23_198:                             ;   in Loop: Header=BB23_47 Depth=1
	s_or_b64 exec, exec, s[24:25]
	v_cmp_ne_u32_e32 vcc, 0, v8
	s_and_saveexec_b64 s[24:25], vcc
	s_cbranch_execnz .LBB23_218
	s_branch .LBB23_221
.LBB23_199:                             ;   in Loop: Header=BB23_47 Depth=1
	s_andn2_saveexec_b64 s[24:25], s[40:41]
	s_cbranch_execz .LBB23_198
.LBB23_200:                             ;   in Loop: Header=BB23_47 Depth=1
	s_and_saveexec_b64 s[40:41], s[78:79]
	s_xor_b64 s[40:41], exec, s[40:41]
	s_cbranch_execz .LBB23_215
; %bb.201:                              ;   in Loop: Header=BB23_47 Depth=1
	s_and_saveexec_b64 s[42:43], s[14:15]
	s_cbranch_execz .LBB23_214
; %bb.202:                              ;   in Loop: Header=BB23_47 Depth=1
	s_mov_b64 s[46:47], exec
	v_mbcnt_lo_u32_b32 v2, s46, 0
	v_mbcnt_hi_u32_b32 v2, s47, v2
	v_cmp_eq_u32_e32 vcc, 0, v2
	;;#ASMSTART
	s_waitcnt lgkmcnt(0) vmcnt(0)
	;;#ASMEND
	s_and_saveexec_b64 s[44:45], vcc
	s_cbranch_execz .LBB23_204
; %bb.203:                              ;   in Loop: Header=BB23_47 Depth=1
	s_bcnt1_i32_b64 s46, s[46:47]
	v_mov_b32_e32 v2, s46
	s_waitcnt lgkmcnt(0)
	ds_add_u64 v0, v[2:3]
	s_trap 2
.LBB23_204:                             ;   in Loop: Header=BB23_47 Depth=1
	s_or_b64 exec, exec, s[44:45]
	s_trap 2
	ds_read_b64 v[4:5], v0
	s_waitcnt lgkmcnt(0)
	v_lshl_add_u64 v[80:81], v[80:81], 0, v[84:85]
	v_cmp_lt_u64_e32 vcc, v[4:5], v[80:81]
	s_and_saveexec_b64 s[44:45], vcc
	s_cbranch_execz .LBB23_213
; %bb.205:                              ;   in Loop: Header=BB23_47 Depth=1
	s_mov_b32 s76, 0
	s_mov_b64 s[46:47], 0
                                        ; implicit-def: $sgpr56_sgpr57
                                        ; implicit-def: $sgpr58_sgpr59
	s_branch .LBB23_207
.LBB23_206:                             ;   in Loop: Header=BB23_207 Depth=2
	s_or_b64 exec, exec, s[62:63]
	s_and_b64 s[60:61], exec, vcc
	s_or_b64 s[46:47], s[60:61], s[46:47]
	s_andn2_b64 s[56:57], s[56:57], exec
	s_and_b64 s[60:61], s[58:59], exec
	s_or_b64 s[56:57], s[56:57], s[60:61]
	s_andn2_b64 exec, exec, s[46:47]
	s_cbranch_execz .LBB23_211
.LBB23_207:                             ;   Parent Loop BB23_47 Depth=1
                                        ; =>  This Inner Loop Header: Depth=2
	s_add_i32 s76, s76, 1
	s_cmpk_lg_i32 s76, 0x2710
	s_cselect_b64 s[60:61], -1, 0
	s_and_b64 vcc, exec, s[60:61]
	s_cbranch_vccz .LBB23_209
; %bb.208:                              ;   in Loop: Header=BB23_207 Depth=2
	s_mov_b64 vcc, -1
	s_or_b64 s[58:59], s[58:59], exec
	s_and_saveexec_b64 s[62:63], s[60:61]
	s_cbranch_execz .LBB23_206
	s_branch .LBB23_210
.LBB23_209:                             ;   in Loop: Header=BB23_207 Depth=2
	s_trap 2
	ds_read_b64 v[4:5], v0
	s_andn2_b64 s[60:61], s[60:61], exec
	s_mov_b32 s76, 0
	s_waitcnt vmcnt(0) lgkmcnt(0)
	flat_load_dword v2, v[4:5] sc0 sc1
	s_waitcnt vmcnt(0) lgkmcnt(0)
	buffer_inv sc0 sc1
	v_cmp_eq_u32_e32 vcc, 0, v2
	s_and_b64 s[62:63], vcc, exec
	s_or_b64 s[60:61], s[60:61], s[62:63]
	s_mov_b64 vcc, -1
	s_or_b64 s[58:59], s[58:59], exec
	s_and_saveexec_b64 s[62:63], s[60:61]
	s_cbranch_execz .LBB23_206
.LBB23_210:                             ;   in Loop: Header=BB23_207 Depth=2
	s_sleep 1
	s_trap 2
	ds_read_b64 v[4:5], v0
	s_waitcnt lgkmcnt(0)
	s_andn2_b64 s[58:59], s[58:59], exec
	v_cmp_ge_u64_e32 vcc, v[4:5], v[80:81]
	s_orn2_b64 vcc, vcc, exec
	s_branch .LBB23_206
.LBB23_211:                             ;   in Loop: Header=BB23_47 Depth=1
	s_or_b64 exec, exec, s[46:47]
	s_and_saveexec_b64 s[46:47], s[56:57]
	s_xor_b64 s[46:47], exec, s[46:47]
	s_cbranch_execz .LBB23_213
; %bb.212:                              ;   in Loop: Header=BB23_47 Depth=1
	ds_write_b32 v0, v1
	s_trap 2
.LBB23_213:                             ;   in Loop: Header=BB23_47 Depth=1
	s_or_b64 exec, exec, s[44:45]
	;;#ASMSTART
	s_wakeup
	;;#ASMEND
.LBB23_214:                             ;   in Loop: Header=BB23_47 Depth=1
	s_or_b64 exec, exec, s[42:43]
.LBB23_215:                             ;   in Loop: Header=BB23_47 Depth=1
	s_andn2_saveexec_b64 s[40:41], s[40:41]
	s_cbranch_execz .LBB23_217
; %bb.216:                              ;   in Loop: Header=BB23_47 Depth=1
	;;#ASMSTART
	s_waitcnt lgkmcnt(0) vmcnt(0)
	;;#ASMEND
	s_barrier
.LBB23_217:                             ;   in Loop: Header=BB23_47 Depth=1
	s_or_b64 exec, exec, s[40:41]
	s_or_b64 exec, exec, s[24:25]
	v_cmp_ne_u32_e32 vcc, 0, v8
	s_and_saveexec_b64 s[24:25], vcc
	s_cbranch_execz .LBB23_221
.LBB23_218:                             ;   in Loop: Header=BB23_47 Depth=1
	s_and_saveexec_b64 s[40:41], s[12:13]
	s_cbranch_execz .LBB23_220
; %bb.219:                              ;   in Loop: Header=BB23_47 Depth=1
	flat_store_dword v[68:69], v1 sc0 sc1
.LBB23_220:                             ;   in Loop: Header=BB23_47 Depth=1
	s_or_b64 exec, exec, s[40:41]
	v_lshl_add_u64 v[76:77], v[76:77], 0, 4
	flat_store_dwordx2 v[64:65], v[76:77] sc0 sc1
.LBB23_221:                             ;   in Loop: Header=BB23_47 Depth=1
	s_or_b64 exec, exec, s[24:25]
	v_mov_b32_e32 v2, v90
.LBB23_222:                             ;   in Loop: Header=BB23_47 Depth=1
	s_or_b64 exec, exec, s[28:29]
	s_and_saveexec_b64 s[28:29], s[26:27]
	s_cbranch_execz .LBB23_292
; %bb.223:                              ;   in Loop: Header=BB23_47 Depth=1
	v_sub_u32_e32 v2, v53, v2
	v_min_i32_e32 v8, v90, v2
	v_and_b32_e32 v2, 8, v110
	v_cmp_ne_u32_e32 vcc, 0, v2
	s_and_saveexec_b64 s[26:27], vcc
	s_cbranch_execz .LBB23_245
; %bb.224:                              ;   in Loop: Header=BB23_47 Depth=1
	s_waitcnt vmcnt(0) lgkmcnt(0)
	v_lshl_add_u64 v[4:5], v[70:71], 0, 8
	v_lshl_add_u64 v[10:11], v[76:77], 0, 4
	v_cmp_lt_u64_e32 vcc, v[4:5], v[10:11]
	s_and_saveexec_b64 s[40:41], vcc
	s_cbranch_execz .LBB23_236
; %bb.225:                              ;   in Loop: Header=BB23_47 Depth=1
	v_and_b32_e32 v2, 64, v110
	s_mov_b32 s76, 0
	v_cmp_eq_u32_e32 vcc, 0, v2
	s_mov_b64 s[42:43], 0
                                        ; implicit-def: $sgpr44_sgpr45
                                        ; implicit-def: $sgpr46_sgpr47
                                        ; implicit-def: $sgpr56_sgpr57
	s_branch .LBB23_229
.LBB23_226:                             ;   in Loop: Header=BB23_229 Depth=2
	s_waitcnt vmcnt(0) lgkmcnt(0)
	v_lshl_add_u64 v[4:5], v[70:71], 0, 8
	v_cmp_ge_u64_e64 s[24:25], v[4:5], v[10:11]
	s_or_b64 s[62:63], s[62:63], exec
	s_orn2_b64 s[60:61], s[24:25], exec
.LBB23_227:                             ;   in Loop: Header=BB23_229 Depth=2
	s_or_b64 exec, exec, s[52:53]
	s_andn2_b64 s[24:25], s[56:57], exec
	s_and_b64 s[56:57], s[62:63], exec
	s_or_b64 s[56:57], s[24:25], s[56:57]
	s_andn2_b64 s[24:25], s[46:47], exec
	s_and_b64 s[46:47], s[60:61], exec
	s_or_b64 s[46:47], s[24:25], s[46:47]
.LBB23_228:                             ;   in Loop: Header=BB23_229 Depth=2
	s_or_b64 exec, exec, s[58:59]
	s_and_b64 s[24:25], exec, s[46:47]
	s_or_b64 s[42:43], s[24:25], s[42:43]
	s_andn2_b64 s[24:25], s[44:45], exec
	s_and_b64 s[44:45], s[56:57], exec
	s_or_b64 s[44:45], s[24:25], s[44:45]
	s_andn2_b64 exec, exec, s[42:43]
	s_cbranch_execz .LBB23_233
.LBB23_229:                             ;   Parent Loop BB23_47 Depth=1
                                        ; =>  This Inner Loop Header: Depth=2
	s_sleep 1
	s_waitcnt vmcnt(0) lgkmcnt(0)
	flat_load_dwordx2 v[70:71], v[64:65] sc0 sc1
	s_or_b64 s[56:57], s[56:57], exec
	s_or_b64 s[46:47], s[46:47], exec
                                        ; implicit-def: $vgpr2
	s_and_saveexec_b64 s[58:59], vcc
	s_cbranch_execz .LBB23_228
; %bb.230:                              ;   in Loop: Header=BB23_229 Depth=2
	s_cmpk_lt_i32 s76, 0x270f
	s_cselect_b64 s[50:51], -1, 0
	s_cmpk_gt_i32 s76, 0x270e
	s_mov_b64 s[60:61], -1
	s_cbranch_scc0 .LBB23_232
; %bb.231:                              ;   in Loop: Header=BB23_229 Depth=2
	s_trap 2
	ds_read_b64 v[4:5], v0
	s_andn2_b64 s[50:51], s[50:51], exec
	s_mov_b32 s76, 0
	s_mov_b64 s[62:63], 0
	s_waitcnt vmcnt(0) lgkmcnt(0)
	flat_load_dword v2, v[4:5] sc0 sc1
	s_waitcnt vmcnt(0) lgkmcnt(0)
	buffer_inv sc0 sc1
	v_cmp_eq_u32_e64 s[24:25], 0, v2
	s_and_b64 s[24:25], s[24:25], exec
	s_or_b64 s[50:51], s[50:51], s[24:25]
	s_and_saveexec_b64 s[52:53], s[50:51]
	s_cbranch_execz .LBB23_227
	s_branch .LBB23_226
.LBB23_232:                             ;   in Loop: Header=BB23_229 Depth=2
	s_add_i32 s76, s76, 1
	s_mov_b64 s[62:63], -1
                                        ; implicit-def: $vgpr2
	s_and_saveexec_b64 s[52:53], s[50:51]
	s_cbranch_execz .LBB23_227
	s_branch .LBB23_226
.LBB23_233:                             ;   in Loop: Header=BB23_47 Depth=1
	s_or_b64 exec, exec, s[42:43]
	s_xor_b64 s[24:25], s[44:45], -1
	s_and_saveexec_b64 s[42:43], s[24:25]
	s_xor_b64 s[24:25], exec, s[42:43]
	s_cbranch_execz .LBB23_235
; %bb.234:                              ;   in Loop: Header=BB23_47 Depth=1
	v_or_b32_e32 v110, 64, v110
	s_waitcnt lgkmcnt(0)
	ds_write_b32 v0, v2
	s_trap 2
.LBB23_235:                             ;   in Loop: Header=BB23_47 Depth=1
	s_or_b64 exec, exec, s[24:25]
.LBB23_236:                             ;   in Loop: Header=BB23_47 Depth=1
	s_or_b64 exec, exec, s[40:41]
	v_and_b32_e32 v2, 0x100, v110
	v_cmp_ne_u32_e32 vcc, 0, v2
	v_and_b32_e32 v2, 7, v76
	s_mov_b64 s[24:25], -1
	;;#ASMSTART
	s_wakeup
	;;#ASMEND
                                        ; implicit-def: $vgpr12_vgpr13
	s_and_saveexec_b64 s[40:41], vcc
	s_cbranch_execz .LBB23_240
; %bb.237:                              ;   in Loop: Header=BB23_47 Depth=1
	v_mad_u64_u32 v[14:15], s[24:25], v2, 24, v[6:7]
	flat_load_dword v12, v[14:15]
	v_ashrrev_i32_e32 v9, 31, v8
	v_lshlrev_b64 v[4:5], 1, v[8:9]
	flat_store_dwordx2 v[14:15], v[4:5] offset:8
	s_waitcnt vmcnt(0) lgkmcnt(0)
	v_cmp_ne_u32_e32 vcc, 1, v12
	v_cmp_eq_u32_e64 s[24:25], 1, v12
                                        ; implicit-def: $vgpr12_vgpr13
	s_and_saveexec_b64 s[42:43], s[24:25]
	s_cbranch_execz .LBB23_239
; %bb.238:                              ;   in Loop: Header=BB23_47 Depth=1
	flat_load_dword v4, v[14:15] offset:4 sc0 sc1
	s_waitcnt vmcnt(0) lgkmcnt(0)
	v_ashrrev_i32_e32 v5, 31, v4
	v_lshrrev_b64 v[12:13], 1, v[4:5]
.LBB23_239:                             ;   in Loop: Header=BB23_47 Depth=1
	s_or_b64 exec, exec, s[42:43]
	s_orn2_b64 s[24:25], vcc, exec
.LBB23_240:                             ;   in Loop: Header=BB23_47 Depth=1
	s_or_b64 exec, exec, s[40:41]
	s_and_saveexec_b64 s[40:41], s[24:25]
; %bb.241:                              ;   in Loop: Header=BB23_47 Depth=1
	v_mad_i64_i32 v[12:13], s[24:25], v2, v30, 0
; %bb.242:                              ;   in Loop: Header=BB23_47 Depth=1
	s_or_b64 exec, exec, s[40:41]
	v_and_b32_e32 v2, 0x2000, v110
	v_lshl_add_u64 v[4:5], v[12:13], 1, v[66:67]
	v_cmp_ne_u32_e32 vcc, 0, v2
	ds_write_b64 v0, v[4:5] offset:784
	s_and_saveexec_b64 s[24:25], vcc
	s_cbranch_execz .LBB23_244
; %bb.243:                              ;   in Loop: Header=BB23_47 Depth=1
	ds_read_b64 v[4:5], v0 offset:872
	s_waitcnt lgkmcnt(0)
	v_lshl_add_u64 v[4:5], v[4:5], 0, 1
	ds_write_b64 v0, v[4:5] offset:872
.LBB23_244:                             ;   in Loop: Header=BB23_47 Depth=1
	s_or_b64 exec, exec, s[24:25]
	v_mov_b64_e32 v[76:77], v[10:11]
.LBB23_245:                             ;   in Loop: Header=BB23_47 Depth=1
	s_or_b64 exec, exec, s[26:27]
	s_and_saveexec_b64 s[24:25], s[6:7]
	s_cbranch_execz .LBB23_264
; %bb.246:                              ;   in Loop: Header=BB23_47 Depth=1
	s_and_saveexec_b64 s[26:27], s[78:79]
	s_xor_b64 s[26:27], exec, s[26:27]
	s_cbranch_execz .LBB23_261
; %bb.247:                              ;   in Loop: Header=BB23_47 Depth=1
	s_and_saveexec_b64 s[40:41], s[14:15]
	s_cbranch_execz .LBB23_260
; %bb.248:                              ;   in Loop: Header=BB23_47 Depth=1
	s_mov_b64 s[44:45], exec
	v_mbcnt_lo_u32_b32 v2, s44, 0
	v_mbcnt_hi_u32_b32 v2, s45, v2
	v_cmp_eq_u32_e32 vcc, 0, v2
	s_waitcnt lgkmcnt(0)
	s_and_saveexec_b64 s[42:43], vcc
	s_cbranch_execz .LBB23_250
; %bb.249:                              ;   in Loop: Header=BB23_47 Depth=1
	s_bcnt1_i32_b64 s44, s[44:45]
	v_mov_b32_e32 v2, s44
	ds_add_u64 v0, v[2:3]
	s_trap 2
.LBB23_250:                             ;   in Loop: Header=BB23_47 Depth=1
	s_or_b64 exec, exec, s[42:43]
	s_trap 2
	ds_read_b64 v[4:5], v0
	s_waitcnt lgkmcnt(0)
	v_lshl_add_u64 v[80:81], v[80:81], 0, v[84:85]
	v_cmp_lt_u64_e32 vcc, v[4:5], v[80:81]
	s_and_saveexec_b64 s[42:43], vcc
	s_cbranch_execz .LBB23_259
; %bb.251:                              ;   in Loop: Header=BB23_47 Depth=1
	s_mov_b32 s76, 0
	s_mov_b64 s[44:45], 0
                                        ; implicit-def: $sgpr46_sgpr47
                                        ; implicit-def: $sgpr56_sgpr57
	s_branch .LBB23_253
.LBB23_252:                             ;   in Loop: Header=BB23_253 Depth=2
	s_or_b64 exec, exec, s[60:61]
	s_and_b64 s[58:59], exec, s[62:63]
	s_or_b64 s[44:45], s[58:59], s[44:45]
	s_andn2_b64 s[46:47], s[46:47], exec
	s_and_b64 s[58:59], s[56:57], exec
	s_or_b64 s[46:47], s[46:47], s[58:59]
	s_andn2_b64 exec, exec, s[44:45]
	s_cbranch_execz .LBB23_257
.LBB23_253:                             ;   Parent Loop BB23_47 Depth=1
                                        ; =>  This Inner Loop Header: Depth=2
	s_add_i32 s76, s76, 1
	s_cmpk_lg_i32 s76, 0x2710
	s_cselect_b64 s[58:59], -1, 0
	s_and_b64 vcc, exec, s[58:59]
	s_cbranch_vccz .LBB23_255
; %bb.254:                              ;   in Loop: Header=BB23_253 Depth=2
	s_mov_b64 s[62:63], -1
	s_or_b64 s[56:57], s[56:57], exec
	s_and_saveexec_b64 s[60:61], s[58:59]
	s_cbranch_execz .LBB23_252
	s_branch .LBB23_256
.LBB23_255:                             ;   in Loop: Header=BB23_253 Depth=2
	s_trap 2
	ds_read_b64 v[4:5], v0
	s_andn2_b64 s[58:59], s[58:59], exec
	s_mov_b32 s76, 0
	s_waitcnt vmcnt(0) lgkmcnt(0)
	flat_load_dword v2, v[4:5] sc0 sc1
	s_waitcnt vmcnt(0) lgkmcnt(0)
	buffer_inv sc0 sc1
	v_cmp_eq_u32_e32 vcc, 0, v2
	s_and_b64 s[60:61], vcc, exec
	s_or_b64 s[58:59], s[58:59], s[60:61]
	s_mov_b64 s[62:63], -1
	s_or_b64 s[56:57], s[56:57], exec
	s_and_saveexec_b64 s[60:61], s[58:59]
	s_cbranch_execz .LBB23_252
.LBB23_256:                             ;   in Loop: Header=BB23_253 Depth=2
	s_sleep 1
	s_trap 2
	ds_read_b64 v[4:5], v0
	s_waitcnt lgkmcnt(0)
	s_andn2_b64 s[56:57], s[56:57], exec
	v_cmp_ge_u64_e32 vcc, v[4:5], v[80:81]
	s_orn2_b64 s[62:63], vcc, exec
	s_branch .LBB23_252
.LBB23_257:                             ;   in Loop: Header=BB23_47 Depth=1
	s_or_b64 exec, exec, s[44:45]
	s_and_saveexec_b64 s[44:45], s[46:47]
	s_xor_b64 s[44:45], exec, s[44:45]
	s_cbranch_execz .LBB23_259
; %bb.258:                              ;   in Loop: Header=BB23_47 Depth=1
	ds_write_b32 v0, v1
	s_trap 2
.LBB23_259:                             ;   in Loop: Header=BB23_47 Depth=1
	s_or_b64 exec, exec, s[42:43]
	;;#ASMSTART
	s_wakeup
	;;#ASMEND
.LBB23_260:                             ;   in Loop: Header=BB23_47 Depth=1
	s_or_b64 exec, exec, s[40:41]
.LBB23_261:                             ;   in Loop: Header=BB23_47 Depth=1
	s_andn2_saveexec_b64 s[26:27], s[26:27]
	s_cbranch_execz .LBB23_263
; %bb.262:                              ;   in Loop: Header=BB23_47 Depth=1
	s_waitcnt lgkmcnt(0)
	s_barrier
.LBB23_263:                             ;   in Loop: Header=BB23_47 Depth=1
	s_or_b64 exec, exec, s[26:27]
.LBB23_264:                             ;   in Loop: Header=BB23_47 Depth=1
	s_or_b64 exec, exec, s[24:25]
	v_and_b32_e32 v9, 16, v110
	s_and_saveexec_b64 s[24:25], s[22:23]
	s_xor_b64 s[24:25], exec, s[24:25]
	s_cbranch_execz .LBB23_269
; %bb.265:                              ;   in Loop: Header=BB23_47 Depth=1
	s_trap 2
	ds_read_b32 v2, v0
	v_cmp_lt_i32_e32 vcc, 0, v8
	v_and_b32_e32 v4, 16, v110
	v_and_b32_e32 v9, 16, v110
	s_waitcnt lgkmcnt(0)
	v_readfirstlane_b32 s26, v2
	s_cmp_eq_u32 s26, 0
	s_cselect_b64 s[26:27], -1, 0
	s_and_b64 s[26:27], vcc, s[26:27]
	v_cmp_ne_u32_e32 vcc, 0, v4
	s_and_b64 s[40:41], vcc, s[26:27]
	s_and_saveexec_b64 s[26:27], s[40:41]
	s_cbranch_execz .LBB23_267
; %bb.266:                              ;   in Loop: Header=BB23_47 Depth=1
	v_mov_b32_e32 v9, 1
	buffer_wbl2 sc1
	s_waitcnt vmcnt(0)
	buffer_inv sc1
.LBB23_267:                             ;   in Loop: Header=BB23_47 Depth=1
	s_or_b64 exec, exec, s[26:27]
	s_andn2_saveexec_b64 s[24:25], s[24:25]
	s_cbranch_execnz .LBB23_270
.LBB23_268:                             ;   in Loop: Header=BB23_47 Depth=1
	s_or_b64 exec, exec, s[24:25]
	v_cmp_ne_u32_e32 vcc, 0, v9
	s_and_saveexec_b64 s[24:25], vcc
	s_cbranch_execnz .LBB23_288
	s_branch .LBB23_291
.LBB23_269:                             ;   in Loop: Header=BB23_47 Depth=1
	s_andn2_saveexec_b64 s[24:25], s[24:25]
	s_cbranch_execz .LBB23_268
.LBB23_270:                             ;   in Loop: Header=BB23_47 Depth=1
	s_and_saveexec_b64 s[26:27], s[78:79]
	s_xor_b64 s[26:27], exec, s[26:27]
	s_cbranch_execz .LBB23_285
; %bb.271:                              ;   in Loop: Header=BB23_47 Depth=1
	s_and_saveexec_b64 s[40:41], s[14:15]
	s_cbranch_execz .LBB23_284
; %bb.272:                              ;   in Loop: Header=BB23_47 Depth=1
	s_mov_b64 s[44:45], exec
	v_mbcnt_lo_u32_b32 v2, s44, 0
	v_mbcnt_hi_u32_b32 v2, s45, v2
	v_cmp_eq_u32_e32 vcc, 0, v2
	;;#ASMSTART
	s_waitcnt lgkmcnt(0) vmcnt(0)
	;;#ASMEND
	s_and_saveexec_b64 s[42:43], vcc
	s_cbranch_execz .LBB23_274
; %bb.273:                              ;   in Loop: Header=BB23_47 Depth=1
	s_bcnt1_i32_b64 s44, s[44:45]
	v_mov_b32_e32 v2, s44
	s_waitcnt lgkmcnt(0)
	ds_add_u64 v0, v[2:3]
	s_trap 2
.LBB23_274:                             ;   in Loop: Header=BB23_47 Depth=1
	s_or_b64 exec, exec, s[42:43]
	s_trap 2
	ds_read_b64 v[4:5], v0
	s_waitcnt lgkmcnt(0)
	v_lshl_add_u64 v[80:81], v[80:81], 0, v[84:85]
	v_cmp_lt_u64_e32 vcc, v[4:5], v[80:81]
	s_and_saveexec_b64 s[42:43], vcc
	s_cbranch_execz .LBB23_283
; %bb.275:                              ;   in Loop: Header=BB23_47 Depth=1
	s_mov_b32 s76, 0
	s_mov_b64 s[44:45], 0
                                        ; implicit-def: $sgpr46_sgpr47
                                        ; implicit-def: $sgpr56_sgpr57
	s_branch .LBB23_277
.LBB23_276:                             ;   in Loop: Header=BB23_277 Depth=2
	s_or_b64 exec, exec, s[60:61]
	s_and_b64 s[58:59], exec, s[62:63]
	s_or_b64 s[44:45], s[58:59], s[44:45]
	s_andn2_b64 s[46:47], s[46:47], exec
	s_and_b64 s[58:59], s[56:57], exec
	s_or_b64 s[46:47], s[46:47], s[58:59]
	s_andn2_b64 exec, exec, s[44:45]
	s_cbranch_execz .LBB23_281
.LBB23_277:                             ;   Parent Loop BB23_47 Depth=1
                                        ; =>  This Inner Loop Header: Depth=2
	s_add_i32 s76, s76, 1
	s_cmpk_lg_i32 s76, 0x2710
	s_cselect_b64 s[58:59], -1, 0
	s_and_b64 vcc, exec, s[58:59]
	s_cbranch_vccz .LBB23_279
; %bb.278:                              ;   in Loop: Header=BB23_277 Depth=2
	s_mov_b64 s[62:63], -1
	s_or_b64 s[56:57], s[56:57], exec
	s_and_saveexec_b64 s[60:61], s[58:59]
	s_cbranch_execz .LBB23_276
	s_branch .LBB23_280
.LBB23_279:                             ;   in Loop: Header=BB23_277 Depth=2
	s_trap 2
	ds_read_b64 v[4:5], v0
	s_andn2_b64 s[58:59], s[58:59], exec
	s_mov_b32 s76, 0
	s_waitcnt vmcnt(0) lgkmcnt(0)
	flat_load_dword v2, v[4:5] sc0 sc1
	s_waitcnt vmcnt(0) lgkmcnt(0)
	buffer_inv sc0 sc1
	v_cmp_eq_u32_e32 vcc, 0, v2
	s_and_b64 s[60:61], vcc, exec
	s_or_b64 s[58:59], s[58:59], s[60:61]
	s_mov_b64 s[62:63], -1
	s_or_b64 s[56:57], s[56:57], exec
	s_and_saveexec_b64 s[60:61], s[58:59]
	s_cbranch_execz .LBB23_276
.LBB23_280:                             ;   in Loop: Header=BB23_277 Depth=2
	s_sleep 1
	s_trap 2
	ds_read_b64 v[4:5], v0
	s_waitcnt lgkmcnt(0)
	s_andn2_b64 s[56:57], s[56:57], exec
	v_cmp_ge_u64_e32 vcc, v[4:5], v[80:81]
	s_orn2_b64 s[62:63], vcc, exec
	s_branch .LBB23_276
.LBB23_281:                             ;   in Loop: Header=BB23_47 Depth=1
	s_or_b64 exec, exec, s[44:45]
	s_and_saveexec_b64 s[44:45], s[46:47]
	s_xor_b64 s[44:45], exec, s[44:45]
	s_cbranch_execz .LBB23_283
; %bb.282:                              ;   in Loop: Header=BB23_47 Depth=1
	ds_write_b32 v0, v1
	s_trap 2
.LBB23_283:                             ;   in Loop: Header=BB23_47 Depth=1
	s_or_b64 exec, exec, s[42:43]
	;;#ASMSTART
	s_wakeup
	;;#ASMEND
.LBB23_284:                             ;   in Loop: Header=BB23_47 Depth=1
	s_or_b64 exec, exec, s[40:41]
.LBB23_285:                             ;   in Loop: Header=BB23_47 Depth=1
	s_andn2_saveexec_b64 s[26:27], s[26:27]
	s_cbranch_execz .LBB23_287
; %bb.286:                              ;   in Loop: Header=BB23_47 Depth=1
	;;#ASMSTART
	s_waitcnt lgkmcnt(0) vmcnt(0)
	;;#ASMEND
	s_barrier
.LBB23_287:                             ;   in Loop: Header=BB23_47 Depth=1
	s_or_b64 exec, exec, s[26:27]
	s_or_b64 exec, exec, s[24:25]
	v_cmp_ne_u32_e32 vcc, 0, v9
	s_and_saveexec_b64 s[24:25], vcc
	s_cbranch_execz .LBB23_291
.LBB23_288:                             ;   in Loop: Header=BB23_47 Depth=1
	s_and_saveexec_b64 s[26:27], s[12:13]
	s_cbranch_execz .LBB23_290
; %bb.289:                              ;   in Loop: Header=BB23_47 Depth=1
	flat_store_dword v[68:69], v1 sc0 sc1
.LBB23_290:                             ;   in Loop: Header=BB23_47 Depth=1
	s_or_b64 exec, exec, s[26:27]
	v_lshl_add_u64 v[76:77], v[76:77], 0, 4
	flat_store_dwordx2 v[64:65], v[76:77] sc0 sc1
.LBB23_291:                             ;   in Loop: Header=BB23_47 Depth=1
	s_or_b64 exec, exec, s[24:25]
.LBB23_292:                             ;   in Loop: Header=BB23_47 Depth=1
	s_or_b64 exec, exec, s[28:29]
	v_cndmask_b32_e64 v2, 0, 1, s[36:37]
	v_cmp_ne_u32_e64 s[24:25], 1, v2
	s_andn2_b64 vcc, exec, s[36:37]
	s_cbranch_vccnz .LBB23_944
; %bb.293:                              ;   in Loop: Header=BB23_47 Depth=1
	s_mov_b32 s76, 2
	s_branch .LBB23_296
.LBB23_294:                             ;   in Loop: Header=BB23_296 Depth=2
	s_or_b64 exec, exec, s[26:27]
.LBB23_295:                             ;   in Loop: Header=BB23_296 Depth=2
	s_or_b64 exec, exec, s[28:29]
	s_add_i32 s76, s76, 1
	s_cmp_eq_u32 s76, s68
	s_cbranch_scc1 .LBB23_944
.LBB23_296:                             ;   Parent Loop BB23_47 Depth=1
                                        ; =>  This Loop Header: Depth=2
                                        ;       Child Loop BB23_305 Depth 3
                                        ;       Child Loop BB23_333 Depth 3
	;; [unrolled: 1-line block ×5, first 2 shown]
                                        ;         Child Loop BB23_586 Depth 4
                                        ;         Child Loop BB23_623 Depth 4
                                        ;       Child Loop BB23_700 Depth 3
                                        ;       Child Loop BB23_807 Depth 3
                                        ;         Child Loop BB23_808 Depth 4
                                        ;         Child Loop BB23_817 Depth 4
                                        ;       Child Loop BB23_836 Depth 3
                                        ;       Child Loop BB23_855 Depth 3
	;; [unrolled: 1-line block ×5, first 2 shown]
	s_sub_i32 s26, s71, s76
	s_cmp_ge_i32 s26, s68
	s_cselect_b32 s27, s68, 0
	s_sub_i32 s26, s26, s27
	s_ashr_i32 s27, s26, 31
	v_mul_lo_u32 v2, v74, s27
	v_mul_lo_u32 v4, v75, s26
	v_mad_u64_u32 v[8:9], s[26:27], v74, s26, 0
	v_add3_u32 v9, v9, v2, v4
	v_sub_co_u32_e32 v4, vcc, v78, v8
	s_nop 1
	v_subb_co_u32_e32 v5, vcc, v79, v9, vcc
	v_cmp_lt_i64_e32 vcc, v[74:75], v[4:5]
	s_nop 1
	v_cndmask_b32_e32 v2, v4, v74, vcc
	v_max_i32_e32 v53, 0, v2
	v_add_u32_e32 v4, 15, v53
	v_ashrrev_i32_e32 v5, 31, v4
	v_lshrrev_b32_e32 v5, 28, v5
	v_add_u32_e32 v4, v4, v5
	v_cmp_gt_i32_e32 vcc, 1, v2
	v_and_b32_e32 v4, -16, v4
	s_or_b64 s[44:45], s[2:3], vcc
	v_max_i32_e32 v90, s82, v4
	s_xor_b64 s[26:27], s[44:45], -1
	v_mov_b32_e32 v2, 0
	s_and_saveexec_b64 s[46:47], s[26:27]
	s_cbranch_execz .LBB23_871
; %bb.297:                              ;   in Loop: Header=BB23_296 Depth=2
	s_and_saveexec_b64 s[26:27], s[0:1]
	s_cbranch_execz .LBB23_299
; %bb.298:                              ;   in Loop: Header=BB23_296 Depth=2
	s_trap 2
	ds_read_b64 v[4:5], v0
	s_waitcnt lgkmcnt(0)
	v_lshl_add_u64 v[4:5], v[88:89], 1, v[4:5]
	v_lshl_add_u64 v[4:5], v[8:9], 1, v[4:5]
	ds_write_b64 v0, v[4:5]
	ds_write_b64 v0, v[86:87]
.LBB23_299:                             ;   in Loop: Header=BB23_296 Depth=2
	s_or_b64 exec, exec, s[26:27]
	v_and_b32_e32 v2, 12, v110
	v_min_i32_e32 v90, v90, v53
	v_cmp_ne_u32_e32 vcc, 0, v2
	s_and_saveexec_b64 s[28:29], vcc
	s_cbranch_execz .LBB23_325
; %bb.300:                              ;   in Loop: Header=BB23_296 Depth=2
	v_and_b32_e32 v2, 8, v110
	s_waitcnt vmcnt(0) lgkmcnt(0)
	v_lshl_add_u64 v[4:5], v[70:71], 0, v[2:3]
	v_lshl_add_u64 v[8:9], v[76:77], 0, 4
	v_cmp_lt_u64_e32 vcc, v[4:5], v[8:9]
	s_and_saveexec_b64 s[40:41], vcc
	s_cbranch_execz .LBB23_312
; %bb.301:                              ;   in Loop: Header=BB23_296 Depth=2
	v_and_b32_e32 v4, 64, v110
	s_mov_b32 s49, 0
	v_cmp_eq_u32_e32 vcc, 0, v4
	s_mov_b64 s[42:43], 0
                                        ; implicit-def: $sgpr56_sgpr57
                                        ; implicit-def: $sgpr58_sgpr59
                                        ; implicit-def: $sgpr60_sgpr61
	s_branch .LBB23_305
.LBB23_302:                             ;   in Loop: Header=BB23_305 Depth=3
	s_waitcnt vmcnt(0) lgkmcnt(0)
	v_lshl_add_u64 v[4:5], v[70:71], 0, v[2:3]
	v_cmp_ge_u64_e64 s[26:27], v[4:5], v[8:9]
	s_or_b64 s[52:53], s[52:53], exec
	s_orn2_b64 s[50:51], s[26:27], exec
.LBB23_303:                             ;   in Loop: Header=BB23_305 Depth=3
	s_or_b64 exec, exec, s[64:65]
	s_andn2_b64 s[26:27], s[60:61], exec
	s_and_b64 s[60:61], s[52:53], exec
	s_or_b64 s[60:61], s[26:27], s[60:61]
	s_andn2_b64 s[26:27], s[58:59], exec
	s_and_b64 s[58:59], s[50:51], exec
	s_or_b64 s[58:59], s[26:27], s[58:59]
.LBB23_304:                             ;   in Loop: Header=BB23_305 Depth=3
	s_or_b64 exec, exec, s[62:63]
	s_and_b64 s[26:27], exec, s[58:59]
	s_or_b64 s[42:43], s[26:27], s[42:43]
	s_andn2_b64 s[26:27], s[56:57], exec
	s_and_b64 s[56:57], s[60:61], exec
	s_or_b64 s[56:57], s[26:27], s[56:57]
	s_andn2_b64 exec, exec, s[42:43]
	s_cbranch_execz .LBB23_309
.LBB23_305:                             ;   Parent Loop BB23_47 Depth=1
                                        ;     Parent Loop BB23_296 Depth=2
                                        ; =>    This Inner Loop Header: Depth=3
	s_sleep 1
	s_waitcnt vmcnt(0) lgkmcnt(0)
	flat_load_dwordx2 v[70:71], v[64:65] sc0 sc1
	s_or_b64 s[60:61], s[60:61], exec
	s_or_b64 s[58:59], s[58:59], exec
                                        ; implicit-def: $vgpr10
	s_and_saveexec_b64 s[62:63], vcc
	s_cbranch_execz .LBB23_304
; %bb.306:                              ;   in Loop: Header=BB23_305 Depth=3
	s_cmpk_lt_i32 s49, 0x270f
	s_cselect_b64 s[54:55], -1, 0
	s_cmpk_gt_i32 s49, 0x270e
	s_mov_b64 s[50:51], -1
	s_cbranch_scc0 .LBB23_308
; %bb.307:                              ;   in Loop: Header=BB23_305 Depth=3
	s_trap 2
	ds_read_b64 v[4:5], v0
	s_andn2_b64 s[54:55], s[54:55], exec
	s_mov_b32 s49, 0
	s_mov_b64 s[52:53], 0
	s_waitcnt vmcnt(0) lgkmcnt(0)
	flat_load_dword v10, v[4:5] sc0 sc1
	s_waitcnt vmcnt(0) lgkmcnt(0)
	buffer_inv sc0 sc1
	v_cmp_eq_u32_e64 s[26:27], 0, v10
	s_and_b64 s[26:27], s[26:27], exec
	s_or_b64 s[54:55], s[54:55], s[26:27]
	s_and_saveexec_b64 s[64:65], s[54:55]
	s_cbranch_execz .LBB23_303
	s_branch .LBB23_302
.LBB23_308:                             ;   in Loop: Header=BB23_305 Depth=3
	s_add_i32 s49, s49, 1
	s_mov_b64 s[52:53], -1
                                        ; implicit-def: $vgpr10
	s_and_saveexec_b64 s[64:65], s[54:55]
	s_cbranch_execz .LBB23_303
	s_branch .LBB23_302
.LBB23_309:                             ;   in Loop: Header=BB23_296 Depth=2
	s_or_b64 exec, exec, s[42:43]
	s_xor_b64 s[26:27], s[56:57], -1
	s_and_saveexec_b64 s[42:43], s[26:27]
	s_xor_b64 s[26:27], exec, s[42:43]
	s_cbranch_execz .LBB23_311
; %bb.310:                              ;   in Loop: Header=BB23_296 Depth=2
	v_or_b32_e32 v110, 64, v110
	s_waitcnt lgkmcnt(0)
	ds_write_b32 v0, v10
	s_trap 2
.LBB23_311:                             ;   in Loop: Header=BB23_296 Depth=2
	s_or_b64 exec, exec, s[26:27]
.LBB23_312:                             ;   in Loop: Header=BB23_296 Depth=2
	s_or_b64 exec, exec, s[40:41]
	v_and_b32_e32 v4, 0x108, v110
	v_cmp_ne_u32_e32 vcc, s96, v4
	;;#ASMSTART
	s_wakeup
	;;#ASMEND
                                        ; implicit-def: $vgpr10_vgpr11
	s_and_saveexec_b64 s[26:27], vcc
	s_xor_b64 s[26:27], exec, s[26:27]
; %bb.313:                              ;   in Loop: Header=BB23_296 Depth=2
	v_and_b32_e32 v10, 7, v76
	v_mov_b32_e32 v11, v3
                                        ; implicit-def: $vgpr76_vgpr77
; %bb.314:                              ;   in Loop: Header=BB23_296 Depth=2
	s_andn2_saveexec_b64 s[26:27], s[26:27]
	s_cbranch_execz .LBB23_316
; %bb.315:                              ;   in Loop: Header=BB23_296 Depth=2
	v_and_b32_e32 v10, 7, v76
	v_ashrrev_i32_e32 v91, 31, v90
	v_mov_b32_e32 v11, v3
	v_mad_u64_u32 v[4:5], s[40:41], v10, 24, v[6:7]
	v_lshlrev_b64 v[12:13], 1, v[90:91]
	flat_store_dwordx2 v[4:5], v[12:13] offset:8
.LBB23_316:                             ;   in Loop: Header=BB23_296 Depth=2
	s_or_b64 exec, exec, s[26:27]
	v_and_b32_e32 v4, 0x100, v110
	v_cmp_ne_u32_e32 vcc, 0, v4
	s_mov_b64 s[26:27], -1
                                        ; implicit-def: $vgpr12_vgpr13
	s_and_saveexec_b64 s[40:41], vcc
	s_cbranch_execz .LBB23_320
; %bb.317:                              ;   in Loop: Header=BB23_296 Depth=2
	v_mad_u64_u32 v[14:15], s[26:27], v10, 24, v[6:7]
	v_mov_b32_e32 v4, v15
	v_mad_u64_u32 v[4:5], s[26:27], v11, 24, v[4:5]
	v_mov_b32_e32 v15, v4
	flat_load_dword v4, v[14:15]
                                        ; implicit-def: $vgpr12_vgpr13
	s_waitcnt vmcnt(0) lgkmcnt(0)
	v_cmp_ne_u32_e32 vcc, 1, v4
	v_cmp_eq_u32_e64 s[26:27], 1, v4
	s_and_saveexec_b64 s[42:43], s[26:27]
	s_cbranch_execz .LBB23_319
; %bb.318:                              ;   in Loop: Header=BB23_296 Depth=2
	flat_load_dword v4, v[14:15] offset:4 sc0 sc1
	s_waitcnt vmcnt(0) lgkmcnt(0)
	v_ashrrev_i32_e32 v5, 31, v4
	v_lshrrev_b64 v[12:13], 1, v[4:5]
.LBB23_319:                             ;   in Loop: Header=BB23_296 Depth=2
	s_or_b64 exec, exec, s[42:43]
	s_orn2_b64 s[26:27], vcc, exec
.LBB23_320:                             ;   in Loop: Header=BB23_296 Depth=2
	s_or_b64 exec, exec, s[40:41]
	s_and_saveexec_b64 s[40:41], s[26:27]
; %bb.321:                              ;   in Loop: Header=BB23_296 Depth=2
	v_mul_lo_u32 v4, v11, v30
	v_mul_lo_u32 v5, v10, v83
	v_mad_u64_u32 v[12:13], s[26:27], v10, v30, 0
	v_add3_u32 v13, v13, v5, v4
; %bb.322:                              ;   in Loop: Header=BB23_296 Depth=2
	s_or_b64 exec, exec, s[40:41]
	v_cmp_eq_u32_e32 vcc, 0, v2
	v_lshl_add_u64 v[4:5], v[12:13], 1, v[66:67]
	s_nop 0
	v_cndmask_b32_e32 v2, v111, v96, vcc
	v_add_u32_e32 v2, v0, v2
	ds_write_b64 v2, v[4:5] offset:584
	v_and_b32_e32 v2, 0x2000, v110
	v_cmp_ne_u32_e32 vcc, 0, v2
	s_and_saveexec_b64 s[26:27], vcc
	s_cbranch_execz .LBB23_324
; %bb.323:                              ;   in Loop: Header=BB23_296 Depth=2
	ds_read_b64 v[4:5], v0 offset:872
	s_waitcnt lgkmcnt(0)
	v_lshl_add_u64 v[4:5], v[4:5], 0, 1
	ds_write_b64 v0, v[4:5] offset:872
.LBB23_324:                             ;   in Loop: Header=BB23_296 Depth=2
	s_or_b64 exec, exec, s[26:27]
	v_mov_b64_e32 v[76:77], v[8:9]
.LBB23_325:                             ;   in Loop: Header=BB23_296 Depth=2
	s_or_b64 exec, exec, s[28:29]
	s_and_saveexec_b64 s[26:27], s[6:7]
	s_cbranch_execz .LBB23_344
; %bb.326:                              ;   in Loop: Header=BB23_296 Depth=2
	s_and_saveexec_b64 s[28:29], s[78:79]
	s_xor_b64 s[28:29], exec, s[28:29]
	s_cbranch_execz .LBB23_341
; %bb.327:                              ;   in Loop: Header=BB23_296 Depth=2
	s_and_saveexec_b64 s[40:41], s[14:15]
	s_cbranch_execz .LBB23_340
; %bb.328:                              ;   in Loop: Header=BB23_296 Depth=2
	s_mov_b64 s[56:57], exec
	v_mbcnt_lo_u32_b32 v2, s56, 0
	v_mbcnt_hi_u32_b32 v2, s57, v2
	v_cmp_eq_u32_e32 vcc, 0, v2
	s_waitcnt lgkmcnt(0)
	s_and_saveexec_b64 s[42:43], vcc
	s_cbranch_execz .LBB23_330
; %bb.329:                              ;   in Loop: Header=BB23_296 Depth=2
	s_bcnt1_i32_b64 s56, s[56:57]
	v_mov_b32_e32 v2, s56
	ds_add_u64 v0, v[2:3]
	s_trap 2
.LBB23_330:                             ;   in Loop: Header=BB23_296 Depth=2
	s_or_b64 exec, exec, s[42:43]
	s_trap 2
	ds_read_b64 v[4:5], v0
	s_waitcnt lgkmcnt(0)
	v_lshl_add_u64 v[80:81], v[80:81], 0, v[84:85]
	v_cmp_lt_u64_e32 vcc, v[4:5], v[80:81]
	s_and_saveexec_b64 s[42:43], vcc
	s_cbranch_execz .LBB23_339
; %bb.331:                              ;   in Loop: Header=BB23_296 Depth=2
	s_mov_b32 s49, 0
	s_mov_b64 s[56:57], 0
                                        ; implicit-def: $sgpr58_sgpr59
                                        ; implicit-def: $sgpr60_sgpr61
	s_branch .LBB23_333
.LBB23_332:                             ;   in Loop: Header=BB23_333 Depth=3
	s_or_b64 exec, exec, s[50:51]
	s_and_b64 s[62:63], exec, vcc
	s_or_b64 s[56:57], s[62:63], s[56:57]
	s_andn2_b64 s[58:59], s[58:59], exec
	s_and_b64 s[62:63], s[60:61], exec
	s_or_b64 s[58:59], s[58:59], s[62:63]
	s_andn2_b64 exec, exec, s[56:57]
	s_cbranch_execz .LBB23_337
.LBB23_333:                             ;   Parent Loop BB23_47 Depth=1
                                        ;     Parent Loop BB23_296 Depth=2
                                        ; =>    This Inner Loop Header: Depth=3
	s_add_i32 s49, s49, 1
	s_cmpk_lg_i32 s49, 0x2710
	s_cselect_b64 s[62:63], -1, 0
	s_and_b64 vcc, exec, s[62:63]
	s_cbranch_vccz .LBB23_335
; %bb.334:                              ;   in Loop: Header=BB23_333 Depth=3
	s_mov_b64 vcc, -1
	s_or_b64 s[60:61], s[60:61], exec
	s_and_saveexec_b64 s[50:51], s[62:63]
	s_cbranch_execz .LBB23_332
	s_branch .LBB23_336
.LBB23_335:                             ;   in Loop: Header=BB23_333 Depth=3
	s_trap 2
	ds_read_b64 v[4:5], v0
	s_andn2_b64 s[62:63], s[62:63], exec
	s_mov_b32 s49, 0
	s_waitcnt vmcnt(0) lgkmcnt(0)
	flat_load_dword v2, v[4:5] sc0 sc1
	s_waitcnt vmcnt(0) lgkmcnt(0)
	buffer_inv sc0 sc1
	v_cmp_eq_u32_e32 vcc, 0, v2
	s_and_b64 vcc, vcc, exec
	s_or_b64 s[62:63], s[62:63], vcc
	s_mov_b64 vcc, -1
	s_or_b64 s[60:61], s[60:61], exec
	s_and_saveexec_b64 s[50:51], s[62:63]
	s_cbranch_execz .LBB23_332
.LBB23_336:                             ;   in Loop: Header=BB23_333 Depth=3
	s_sleep 1
	s_trap 2
	ds_read_b64 v[4:5], v0
	s_waitcnt lgkmcnt(0)
	s_andn2_b64 s[60:61], s[60:61], exec
	v_cmp_ge_u64_e32 vcc, v[4:5], v[80:81]
	s_orn2_b64 vcc, vcc, exec
	s_branch .LBB23_332
.LBB23_337:                             ;   in Loop: Header=BB23_296 Depth=2
	s_or_b64 exec, exec, s[56:57]
	s_and_saveexec_b64 s[56:57], s[58:59]
	s_xor_b64 s[56:57], exec, s[56:57]
	s_cbranch_execz .LBB23_339
; %bb.338:                              ;   in Loop: Header=BB23_296 Depth=2
	ds_write_b32 v0, v1
	s_trap 2
.LBB23_339:                             ;   in Loop: Header=BB23_296 Depth=2
	s_or_b64 exec, exec, s[42:43]
	;;#ASMSTART
	s_wakeup
	;;#ASMEND
.LBB23_340:                             ;   in Loop: Header=BB23_296 Depth=2
	s_or_b64 exec, exec, s[40:41]
.LBB23_341:                             ;   in Loop: Header=BB23_296 Depth=2
	s_andn2_saveexec_b64 s[28:29], s[28:29]
	s_cbranch_execz .LBB23_343
; %bb.342:                              ;   in Loop: Header=BB23_296 Depth=2
	s_waitcnt lgkmcnt(0)
	s_barrier
.LBB23_343:                             ;   in Loop: Header=BB23_296 Depth=2
	s_or_b64 exec, exec, s[28:29]
.LBB23_344:                             ;   in Loop: Header=BB23_296 Depth=2
	s_or_b64 exec, exec, s[26:27]
	s_trap 2
	ds_read_b32 v8, v0
	v_and_b32_e32 v2, 0x4000, v110
	v_cmp_ne_u32_e32 vcc, 0, v2
	s_xor_b64 s[26:27], s[4:5], -1
	s_and_b64 s[28:29], s[26:27], vcc
	s_and_saveexec_b64 s[26:27], s[28:29]
	s_cbranch_execz .LBB23_363
; %bb.345:                              ;   in Loop: Header=BB23_296 Depth=2
	s_and_saveexec_b64 s[28:29], s[78:79]
	s_xor_b64 s[28:29], exec, s[28:29]
	s_cbranch_execz .LBB23_360
; %bb.346:                              ;   in Loop: Header=BB23_296 Depth=2
	s_and_saveexec_b64 s[40:41], s[14:15]
	s_cbranch_execz .LBB23_359
; %bb.347:                              ;   in Loop: Header=BB23_296 Depth=2
	s_mov_b64 s[56:57], exec
	v_mbcnt_lo_u32_b32 v2, s56, 0
	v_mbcnt_hi_u32_b32 v2, s57, v2
	v_cmp_eq_u32_e32 vcc, 0, v2
	s_waitcnt lgkmcnt(0)
	s_and_saveexec_b64 s[42:43], vcc
	s_cbranch_execz .LBB23_349
; %bb.348:                              ;   in Loop: Header=BB23_296 Depth=2
	s_bcnt1_i32_b64 s56, s[56:57]
	v_mov_b32_e32 v2, s56
	ds_add_u64 v0, v[2:3]
	s_trap 2
.LBB23_349:                             ;   in Loop: Header=BB23_296 Depth=2
	s_or_b64 exec, exec, s[42:43]
	s_trap 2
	ds_read_b64 v[4:5], v0
	s_waitcnt lgkmcnt(0)
	v_lshl_add_u64 v[80:81], v[80:81], 0, v[84:85]
	v_cmp_lt_u64_e32 vcc, v[4:5], v[80:81]
	s_and_saveexec_b64 s[42:43], vcc
	s_cbranch_execz .LBB23_358
; %bb.350:                              ;   in Loop: Header=BB23_296 Depth=2
	s_mov_b32 s49, 0
	s_mov_b64 s[56:57], 0
                                        ; implicit-def: $sgpr58_sgpr59
                                        ; implicit-def: $sgpr60_sgpr61
	s_branch .LBB23_352
.LBB23_351:                             ;   in Loop: Header=BB23_352 Depth=3
	s_or_b64 exec, exec, s[50:51]
	s_and_b64 s[62:63], exec, vcc
	s_or_b64 s[56:57], s[62:63], s[56:57]
	s_andn2_b64 s[58:59], s[58:59], exec
	s_and_b64 s[62:63], s[60:61], exec
	s_or_b64 s[58:59], s[58:59], s[62:63]
	s_andn2_b64 exec, exec, s[56:57]
	s_cbranch_execz .LBB23_356
.LBB23_352:                             ;   Parent Loop BB23_47 Depth=1
                                        ;     Parent Loop BB23_296 Depth=2
                                        ; =>    This Inner Loop Header: Depth=3
	s_add_i32 s49, s49, 1
	s_cmpk_lg_i32 s49, 0x2710
	s_cselect_b64 s[62:63], -1, 0
	s_and_b64 vcc, exec, s[62:63]
	s_cbranch_vccz .LBB23_354
; %bb.353:                              ;   in Loop: Header=BB23_352 Depth=3
	s_mov_b64 vcc, -1
	s_or_b64 s[60:61], s[60:61], exec
	s_and_saveexec_b64 s[50:51], s[62:63]
	s_cbranch_execz .LBB23_351
	s_branch .LBB23_355
.LBB23_354:                             ;   in Loop: Header=BB23_352 Depth=3
	s_trap 2
	ds_read_b64 v[4:5], v0
	s_andn2_b64 s[62:63], s[62:63], exec
	s_mov_b32 s49, 0
	s_waitcnt vmcnt(0) lgkmcnt(0)
	flat_load_dword v2, v[4:5] sc0 sc1
	s_waitcnt vmcnt(0) lgkmcnt(0)
	buffer_inv sc0 sc1
	v_cmp_eq_u32_e32 vcc, 0, v2
	s_and_b64 vcc, vcc, exec
	s_or_b64 s[62:63], s[62:63], vcc
	s_mov_b64 vcc, -1
	s_or_b64 s[60:61], s[60:61], exec
	s_and_saveexec_b64 s[50:51], s[62:63]
	s_cbranch_execz .LBB23_351
.LBB23_355:                             ;   in Loop: Header=BB23_352 Depth=3
	s_sleep 1
	s_trap 2
	ds_read_b64 v[4:5], v0
	s_waitcnt lgkmcnt(0)
	s_andn2_b64 s[60:61], s[60:61], exec
	v_cmp_ge_u64_e32 vcc, v[4:5], v[80:81]
	s_orn2_b64 vcc, vcc, exec
	s_branch .LBB23_351
.LBB23_356:                             ;   in Loop: Header=BB23_296 Depth=2
	s_or_b64 exec, exec, s[56:57]
	s_and_saveexec_b64 s[56:57], s[58:59]
	s_xor_b64 s[56:57], exec, s[56:57]
	s_cbranch_execz .LBB23_358
; %bb.357:                              ;   in Loop: Header=BB23_296 Depth=2
	ds_write_b32 v0, v1
	s_trap 2
.LBB23_358:                             ;   in Loop: Header=BB23_296 Depth=2
	s_or_b64 exec, exec, s[42:43]
	;;#ASMSTART
	s_wakeup
	;;#ASMEND
.LBB23_359:                             ;   in Loop: Header=BB23_296 Depth=2
	s_or_b64 exec, exec, s[40:41]
.LBB23_360:                             ;   in Loop: Header=BB23_296 Depth=2
	s_andn2_saveexec_b64 s[28:29], s[28:29]
	s_cbranch_execz .LBB23_362
; %bb.361:                              ;   in Loop: Header=BB23_296 Depth=2
	s_waitcnt lgkmcnt(0)
	s_barrier
.LBB23_362:                             ;   in Loop: Header=BB23_296 Depth=2
	s_or_b64 exec, exec, s[28:29]
.LBB23_363:                             ;   in Loop: Header=BB23_296 Depth=2
	s_or_b64 exec, exec, s[26:27]
	s_trap 2
	ds_read_b64 v[92:93], v0
	s_waitcnt lgkmcnt(0)
	v_cmp_eq_u64_e32 vcc, 0, v[92:93]
	s_cbranch_vccnz .LBB23_371
; %bb.364:                              ;   in Loop: Header=BB23_296 Depth=2
	s_trap 2
	ds_read_b64 v[94:95], v0
	s_waitcnt lgkmcnt(0)
	v_cmp_eq_u64_e32 vcc, 0, v[94:95]
	s_cbranch_vccnz .LBB23_371
; %bb.365:                              ;   in Loop: Header=BB23_296 Depth=2
	s_trap 2
	ds_read_b64 v[4:5], v0
	s_mov_b64 s[28:29], -1
	s_waitcnt lgkmcnt(0)
	v_readfirstlane_b32 s42, v4
	s_and_saveexec_b64 s[26:27], s[20:21]
	s_cbranch_execz .LBB23_367
; %bb.366:                              ;   in Loop: Header=BB23_296 Depth=2
	ds_read_b32 v2, v0 offset:720
	s_waitcnt lgkmcnt(0)
	v_and_b32_e32 v2, 15, v2
	v_cmp_eq_u32_e32 vcc, 0, v2
	s_orn2_b64 s[28:29], vcc, exec
.LBB23_367:                             ;   in Loop: Header=BB23_296 Depth=2
	s_or_b64 exec, exec, s[26:27]
	s_and_saveexec_b64 s[26:27], s[18:19]
	s_cbranch_execz .LBB23_369
; %bb.368:                              ;   in Loop: Header=BB23_296 Depth=2
	ds_read_b32 v2, v0 offset:784
	s_waitcnt lgkmcnt(0)
	v_and_b32_e32 v2, 15, v2
	v_cmp_eq_u32_e32 vcc, 0, v2
	s_and_b64 s[40:41], s[28:29], vcc
	s_andn2_b64 s[28:29], s[28:29], exec
	s_and_b64 s[40:41], s[40:41], exec
	s_or_b64 s[28:29], s[28:29], s[40:41]
.LBB23_369:                             ;   in Loop: Header=BB23_296 Depth=2
	s_or_b64 exec, exec, s[26:27]
	s_xor_b64 s[28:29], s[28:29], -1
	v_cndmask_b32_e64 v2, 0, 1, s[28:29]
	v_cmp_eq_u32_e64 s[26:27], 0, v8
	s_mov_b64 s[40:41], -1
	v_cmp_ne_u32_e32 vcc, 0, v2
	s_cbranch_vccz .LBB23_376
; %bb.370:                              ;   in Loop: Header=BB23_296 Depth=2
	s_and_b32 s49, s42, 1
	s_mov_b64 s[40:41], 0
	s_mov_b64 s[56:57], -1
	s_branch .LBB23_377
.LBB23_371:                             ;   in Loop: Header=BB23_296 Depth=2
	s_mov_b64 s[26:27], 0
	s_and_saveexec_b64 s[28:29], s[6:7]
	s_cbranch_execnz .LBB23_829
.LBB23_372:                             ;   in Loop: Header=BB23_296 Depth=2
	s_or_b64 exec, exec, s[28:29]
                                        ; implicit-def: $vgpr2
	s_and_saveexec_b64 s[28:29], s[22:23]
	s_xor_b64 s[28:29], exec, s[28:29]
	s_cbranch_execz .LBB23_847
.LBB23_373:                             ;   in Loop: Header=BB23_296 Depth=2
	v_and_b32_e32 v4, 16, v110
	v_cmp_ne_u32_e32 vcc, 0, v4
	v_and_b32_e32 v2, 16, v110
	s_and_b64 s[40:41], vcc, s[26:27]
	s_and_saveexec_b64 s[26:27], s[40:41]
	s_cbranch_execz .LBB23_375
; %bb.374:                              ;   in Loop: Header=BB23_296 Depth=2
	v_mov_b32_e32 v2, 1
	buffer_wbl2 sc1
	s_waitcnt vmcnt(0) lgkmcnt(0)
	buffer_inv sc1
.LBB23_375:                             ;   in Loop: Header=BB23_296 Depth=2
	s_or_b64 exec, exec, s[26:27]
	s_andn2_saveexec_b64 s[26:27], s[28:29]
	s_cbranch_execz .LBB23_866
	s_branch .LBB23_848
.LBB23_376:                             ;   in Loop: Header=BB23_296 Depth=2
	s_mov_b64 s[56:57], 0
                                        ; implicit-def: $sgpr49
.LBB23_377:                             ;   in Loop: Header=BB23_296 Depth=2
	v_cndmask_b32_e64 v2, 0, v90, s[26:27]
	v_lshlrev_b32_e32 v91, 1, v2
	s_andn2_b64 vcc, exec, s[40:41]
	v_mov_b32_e32 v14, 0
	s_cbranch_vccnz .LBB23_513
; %bb.378:                              ;   in Loop: Header=BB23_296 Depth=2
	v_ashrrev_i32_e32 v4, 31, v91
	v_lshrrev_b32_e32 v4, 21, v4
	v_add_u32_e32 v4, v91, v4
	v_ashrrev_i32_e32 v82, 11, v4
	v_lshrrev_b32_e32 v4, 6, v0
	v_sub_u32_e32 v54, v82, v4
	s_and_b32 s49, s42, 1
	v_lshl_add_u64 v[104:105], v[94:95], 0, v[102:103]
	v_cmp_lt_i32_e32 vcc, 0, v54
	s_mov_b64 s[26:27], 0
                                        ; implicit-def: $vgpr20_vgpr21
                                        ; implicit-def: $vgpr12_vgpr13
                                        ; implicit-def: $vgpr16_vgpr17
                                        ; implicit-def: $vgpr8_vgpr9
	s_and_saveexec_b64 s[28:29], vcc
	s_cbranch_execz .LBB23_515
; %bb.379:                              ;   in Loop: Header=BB23_296 Depth=2
	s_trap 2
	ds_read_b64 v[4:5], v0
	s_and_b32 s26, 0xffff, s49
	s_cmp_eq_u32 s26, 0
	v_lshl_add_u64 v[106:107], v[92:93], 0, v[102:103]
	s_mov_b64 s[58:59], 0
	s_waitcnt lgkmcnt(0)
	v_lshl_add_u64 v[108:109], v[4:5], 0, v[102:103]
	s_mov_b64 s[40:41], 0
	s_cselect_b64 vcc, -1, 0
                                        ; implicit-def: $sgpr42_sgpr43
                                        ; implicit-def: $vgpr20_vgpr21
                                        ; implicit-def: $vgpr12_vgpr13
                                        ; implicit-def: $vgpr16_vgpr17
                                        ; implicit-def: $vgpr8_vgpr9
	s_branch .LBB23_381
.LBB23_380:                             ;   in Loop: Header=BB23_381 Depth=3
	s_or_b64 exec, exec, s[60:61]
	v_lshrrev_b32_e32 v4, 16, v48
	v_and_or_b32 v35, v37, s75, v4
	v_lshrrev_b32_e32 v4, 16, v55
	v_and_or_b32 v34, v36, s75, v4
	;; [unrolled: 2-line block ×8, first 2 shown]
	v_lshl_add_u64 v[4:5], v[106:107], 0, v[40:41]
	v_cndmask_b32_e64 v106, v106, v4, s[58:59]
	v_cndmask_b32_e64 v4, 0, v84, s[58:59]
	v_sub_u32_e32 v54, v54, v4
	v_cmp_gt_i32_e64 s[26:27], 1, v54
	global_store_dwordx4 v[104:105], v[34:37], off
	global_store_dwordx4 v[104:105], v[24:27], off offset:1024
	s_or_b64 s[40:41], s[26:27], s[40:41]
	s_andn2_b64 s[26:27], s[42:43], exec
	v_mov_b32_e32 v26, 0x800
	v_lshl_add_u64 v[24:25], v[108:109], 0, v[40:41]
	v_cndmask_b32_e64 v27, 0, v59, s[58:59]
	v_cndmask_b32_e64 v26, v26, v58, s[58:59]
	s_and_b64 s[42:43], s[58:59], exec
	v_lshl_add_u64 v[104:105], v[104:105], 0, v[26:27]
	v_cndmask_b32_e64 v107, v107, v5, s[58:59]
	v_cndmask_b32_e64 v109, v109, v25, s[58:59]
	;; [unrolled: 1-line block ×3, first 2 shown]
	s_or_b64 s[42:43], s[26:27], s[42:43]
	s_andn2_b64 exec, exec, s[40:41]
	s_cbranch_execz .LBB23_514
.LBB23_381:                             ;   Parent Loop BB23_47 Depth=1
                                        ;     Parent Loop BB23_296 Depth=2
                                        ; =>    This Inner Loop Header: Depth=3
	global_load_dwordx4 v[36:39], v[106:107], off nt
	global_load_dwordx4 v[24:27], v[106:107], off offset:1024 nt
	global_load_dwordx4 v[48:51], v[108:109], off nt
	global_load_dwordx4 v[32:35], v[108:109], off offset:1024 nt
	s_and_saveexec_b64 s[60:61], s[58:59]
	s_cbranch_execz .LBB23_447
; %bb.382:                              ;   in Loop: Header=BB23_381 Depth=3
	v_lshlrev_b32_e32 v4, 16, v20
	v_lshlrev_b32_e32 v5, 16, v16
	v_max_f32_e32 v5, v5, v5
	v_max_f32_e32 v4, v4, v4
	v_min_f32_e32 v28, v4, v5
	v_max_f32_e32 v4, v4, v5
	v_cndmask_b32_e32 v28, v4, v28, vcc
	v_and_b32_e32 v4, 0x7f800000, v28
	v_cmp_ne_u32_e64 s[26:27], s97, v4
                                        ; implicit-def: $vgpr55
	s_and_saveexec_b64 s[58:59], s[26:27]
	s_xor_b64 s[26:27], exec, s[58:59]
; %bb.383:                              ;   in Loop: Header=BB23_381 Depth=3
	v_bfe_u32 v4, v28, 16, 1
	v_add3_u32 v55, v28, v4, s74
                                        ; implicit-def: $vgpr28
; %bb.384:                              ;   in Loop: Header=BB23_381 Depth=3
	s_andn2_saveexec_b64 s[58:59], s[26:27]
; %bb.385:                              ;   in Loop: Header=BB23_381 Depth=3
	v_or_b32_e32 v4, 0x10000, v28
	v_cmp_eq_u32_sdwa s[26:27], v28, v3 src0_sel:WORD_0 src1_sel:DWORD
	s_nop 1
	v_cndmask_b32_e64 v55, v4, v28, s[26:27]
; %bb.386:                              ;   in Loop: Header=BB23_381 Depth=3
	s_or_b64 exec, exec, s[58:59]
	v_and_b32_e32 v4, 0xffff0000, v20
	v_and_b32_e32 v5, 0xffff0000, v16
	v_max_f32_e32 v5, v5, v5
	v_max_f32_e32 v4, v4, v4
	v_min_f32_e32 v20, v4, v5
	v_max_f32_e32 v4, v4, v5
	v_cndmask_b32_e32 v28, v4, v20, vcc
	v_and_b32_e32 v4, 0x7f800000, v28
	v_cmp_ne_u32_e64 s[26:27], s97, v4
                                        ; implicit-def: $vgpr20
	s_and_saveexec_b64 s[58:59], s[26:27]
	s_xor_b64 s[26:27], exec, s[58:59]
; %bb.387:                              ;   in Loop: Header=BB23_381 Depth=3
	v_bfe_u32 v4, v28, 16, 1
	v_add3_u32 v20, v28, v4, s74
                                        ; implicit-def: $vgpr28
; %bb.388:                              ;   in Loop: Header=BB23_381 Depth=3
	s_andn2_saveexec_b64 s[58:59], s[26:27]
; %bb.389:                              ;   in Loop: Header=BB23_381 Depth=3
	v_or_b32_e32 v4, 0x10000, v28
	v_cmp_eq_u32_sdwa s[26:27], v28, v3 src0_sel:WORD_0 src1_sel:DWORD
	s_nop 1
	v_cndmask_b32_e64 v20, v4, v28, s[26:27]
; %bb.390:                              ;   in Loop: Header=BB23_381 Depth=3
	s_or_b64 exec, exec, s[58:59]
	v_lshlrev_b32_e32 v4, 16, v21
	v_lshlrev_b32_e32 v5, 16, v17
	v_max_f32_e32 v5, v5, v5
	v_max_f32_e32 v4, v4, v4
	v_min_f32_e32 v28, v4, v5
	v_max_f32_e32 v4, v4, v5
	v_cndmask_b32_e32 v28, v4, v28, vcc
	v_and_b32_e32 v4, 0x7f800000, v28
	v_cmp_ne_u32_e64 s[26:27], s97, v4
                                        ; implicit-def: $vgpr62
	s_and_saveexec_b64 s[58:59], s[26:27]
	s_xor_b64 s[26:27], exec, s[58:59]
; %bb.391:                              ;   in Loop: Header=BB23_381 Depth=3
	v_bfe_u32 v4, v28, 16, 1
	v_add3_u32 v62, v28, v4, s74
                                        ; implicit-def: $vgpr28
; %bb.392:                              ;   in Loop: Header=BB23_381 Depth=3
	s_andn2_saveexec_b64 s[58:59], s[26:27]
; %bb.393:                              ;   in Loop: Header=BB23_381 Depth=3
	v_or_b32_e32 v4, 0x10000, v28
	v_cmp_eq_u32_sdwa s[26:27], v28, v3 src0_sel:WORD_0 src1_sel:DWORD
	s_nop 1
	v_cndmask_b32_e64 v62, v4, v28, s[26:27]
; %bb.394:                              ;   in Loop: Header=BB23_381 Depth=3
	s_or_b64 exec, exec, s[58:59]
	v_and_b32_e32 v4, 0xffff0000, v21
	v_and_b32_e32 v5, 0xffff0000, v17
	v_max_f32_e32 v5, v5, v5
	v_max_f32_e32 v4, v4, v4
	v_min_f32_e32 v21, v4, v5
	v_max_f32_e32 v4, v4, v5
	v_cndmask_b32_e32 v28, v4, v21, vcc
	v_and_b32_e32 v4, 0x7f800000, v28
	v_cmp_ne_u32_e64 s[26:27], s97, v4
                                        ; implicit-def: $vgpr21
	s_and_saveexec_b64 s[58:59], s[26:27]
	s_xor_b64 s[26:27], exec, s[58:59]
; %bb.395:                              ;   in Loop: Header=BB23_381 Depth=3
	v_bfe_u32 v4, v28, 16, 1
	v_add3_u32 v21, v28, v4, s74
                                        ; implicit-def: $vgpr28
; %bb.396:                              ;   in Loop: Header=BB23_381 Depth=3
	s_andn2_saveexec_b64 s[58:59], s[26:27]
; %bb.397:                              ;   in Loop: Header=BB23_381 Depth=3
	v_or_b32_e32 v4, 0x10000, v28
	v_cmp_eq_u32_sdwa s[26:27], v28, v3 src0_sel:WORD_0 src1_sel:DWORD
	s_nop 1
	v_cndmask_b32_e64 v21, v4, v28, s[26:27]
; %bb.398:                              ;   in Loop: Header=BB23_381 Depth=3
	s_or_b64 exec, exec, s[58:59]
	v_lshlrev_b32_e32 v4, 16, v22
	v_lshlrev_b32_e32 v5, 16, v18
	v_max_f32_e32 v5, v5, v5
	v_max_f32_e32 v4, v4, v4
	v_min_f32_e32 v28, v4, v5
	v_max_f32_e32 v4, v4, v5
	v_cndmask_b32_e32 v28, v4, v28, vcc
	v_and_b32_e32 v4, 0x7f800000, v28
	v_cmp_ne_u32_e64 s[26:27], s97, v4
                                        ; implicit-def: $vgpr63
	s_and_saveexec_b64 s[58:59], s[26:27]
	s_xor_b64 s[26:27], exec, s[58:59]
; %bb.399:                              ;   in Loop: Header=BB23_381 Depth=3
	v_bfe_u32 v4, v28, 16, 1
	v_add3_u32 v63, v28, v4, s74
                                        ; implicit-def: $vgpr28
; %bb.400:                              ;   in Loop: Header=BB23_381 Depth=3
	s_andn2_saveexec_b64 s[58:59], s[26:27]
; %bb.401:                              ;   in Loop: Header=BB23_381 Depth=3
	v_or_b32_e32 v4, 0x10000, v28
	v_cmp_eq_u32_sdwa s[26:27], v28, v3 src0_sel:WORD_0 src1_sel:DWORD
	s_nop 1
	v_cndmask_b32_e64 v63, v4, v28, s[26:27]
; %bb.402:                              ;   in Loop: Header=BB23_381 Depth=3
	s_or_b64 exec, exec, s[58:59]
	v_and_b32_e32 v4, 0xffff0000, v22
	v_and_b32_e32 v5, 0xffff0000, v18
	v_max_f32_e32 v5, v5, v5
	v_max_f32_e32 v4, v4, v4
	v_min_f32_e32 v22, v4, v5
	v_max_f32_e32 v4, v4, v5
	v_cndmask_b32_e32 v28, v4, v22, vcc
	v_and_b32_e32 v4, 0x7f800000, v28
	v_cmp_ne_u32_e64 s[26:27], s97, v4
                                        ; implicit-def: $vgpr22
	s_and_saveexec_b64 s[58:59], s[26:27]
	s_xor_b64 s[26:27], exec, s[58:59]
; %bb.403:                              ;   in Loop: Header=BB23_381 Depth=3
	v_bfe_u32 v4, v28, 16, 1
	v_add3_u32 v22, v28, v4, s74
                                        ; implicit-def: $vgpr28
; %bb.404:                              ;   in Loop: Header=BB23_381 Depth=3
	s_andn2_saveexec_b64 s[58:59], s[26:27]
; %bb.405:                              ;   in Loop: Header=BB23_381 Depth=3
	v_or_b32_e32 v4, 0x10000, v28
	v_cmp_eq_u32_sdwa s[26:27], v28, v3 src0_sel:WORD_0 src1_sel:DWORD
	s_nop 1
	v_cndmask_b32_e64 v22, v4, v28, s[26:27]
; %bb.406:                              ;   in Loop: Header=BB23_381 Depth=3
	s_or_b64 exec, exec, s[58:59]
	v_lshlrev_b32_e32 v4, 16, v23
	v_lshlrev_b32_e32 v5, 16, v19
	v_max_f32_e32 v5, v5, v5
	v_max_f32_e32 v4, v4, v4
	v_min_f32_e32 v28, v4, v5
	v_max_f32_e32 v4, v4, v5
	v_cndmask_b32_e32 v28, v4, v28, vcc
	v_and_b32_e32 v4, 0x7f800000, v28
	v_cmp_ne_u32_e64 s[26:27], s97, v4
                                        ; implicit-def: $vgpr98
	s_and_saveexec_b64 s[58:59], s[26:27]
	s_xor_b64 s[26:27], exec, s[58:59]
; %bb.407:                              ;   in Loop: Header=BB23_381 Depth=3
	v_bfe_u32 v4, v28, 16, 1
	v_add3_u32 v98, v28, v4, s74
                                        ; implicit-def: $vgpr28
; %bb.408:                              ;   in Loop: Header=BB23_381 Depth=3
	s_andn2_saveexec_b64 s[58:59], s[26:27]
; %bb.409:                              ;   in Loop: Header=BB23_381 Depth=3
	v_or_b32_e32 v4, 0x10000, v28
	v_cmp_eq_u32_sdwa s[26:27], v28, v3 src0_sel:WORD_0 src1_sel:DWORD
	s_nop 1
	v_cndmask_b32_e64 v98, v4, v28, s[26:27]
; %bb.410:                              ;   in Loop: Header=BB23_381 Depth=3
	s_or_b64 exec, exec, s[58:59]
	v_and_b32_e32 v4, 0xffff0000, v23
	v_and_b32_e32 v5, 0xffff0000, v19
	v_max_f32_e32 v5, v5, v5
	v_max_f32_e32 v4, v4, v4
	v_min_f32_e32 v23, v4, v5
	v_max_f32_e32 v4, v4, v5
	v_cndmask_b32_e32 v28, v4, v23, vcc
	v_and_b32_e32 v4, 0x7f800000, v28
	v_cmp_ne_u32_e64 s[26:27], s97, v4
                                        ; implicit-def: $vgpr23
	s_and_saveexec_b64 s[58:59], s[26:27]
	s_xor_b64 s[26:27], exec, s[58:59]
; %bb.411:                              ;   in Loop: Header=BB23_381 Depth=3
	v_bfe_u32 v4, v28, 16, 1
	v_add3_u32 v23, v28, v4, s74
                                        ; implicit-def: $vgpr28
; %bb.412:                              ;   in Loop: Header=BB23_381 Depth=3
	s_andn2_saveexec_b64 s[58:59], s[26:27]
; %bb.413:                              ;   in Loop: Header=BB23_381 Depth=3
	v_or_b32_e32 v4, 0x10000, v28
	v_cmp_eq_u32_sdwa s[26:27], v28, v3 src0_sel:WORD_0 src1_sel:DWORD
	s_nop 1
	v_cndmask_b32_e64 v23, v4, v28, s[26:27]
; %bb.414:                              ;   in Loop: Header=BB23_381 Depth=3
	s_or_b64 exec, exec, s[58:59]
	v_lshlrev_b32_e32 v4, 16, v12
	v_lshlrev_b32_e32 v5, 16, v8
	v_max_f32_e32 v5, v5, v5
	v_max_f32_e32 v4, v4, v4
	v_min_f32_e32 v28, v4, v5
	v_max_f32_e32 v4, v4, v5
	v_cndmask_b32_e32 v28, v4, v28, vcc
	v_and_b32_e32 v4, 0x7f800000, v28
	v_cmp_ne_u32_e64 s[26:27], s97, v4
                                        ; implicit-def: $vgpr99
	s_and_saveexec_b64 s[58:59], s[26:27]
	s_xor_b64 s[26:27], exec, s[58:59]
; %bb.415:                              ;   in Loop: Header=BB23_381 Depth=3
	v_bfe_u32 v4, v28, 16, 1
	v_add3_u32 v99, v28, v4, s74
                                        ; implicit-def: $vgpr28
; %bb.416:                              ;   in Loop: Header=BB23_381 Depth=3
	s_andn2_saveexec_b64 s[58:59], s[26:27]
; %bb.417:                              ;   in Loop: Header=BB23_381 Depth=3
	v_or_b32_e32 v4, 0x10000, v28
	v_cmp_eq_u32_sdwa s[26:27], v28, v3 src0_sel:WORD_0 src1_sel:DWORD
	s_nop 1
	v_cndmask_b32_e64 v99, v4, v28, s[26:27]
; %bb.418:                              ;   in Loop: Header=BB23_381 Depth=3
	s_or_b64 exec, exec, s[58:59]
	v_and_b32_e32 v4, 0xffff0000, v12
	v_and_b32_e32 v5, 0xffff0000, v8
	v_max_f32_e32 v5, v5, v5
	v_max_f32_e32 v4, v4, v4
	v_min_f32_e32 v12, v4, v5
	v_max_f32_e32 v4, v4, v5
	v_cndmask_b32_e32 v28, v4, v12, vcc
	v_and_b32_e32 v4, 0x7f800000, v28
	v_cmp_ne_u32_e64 s[26:27], s97, v4
                                        ; implicit-def: $vgpr12
	s_and_saveexec_b64 s[58:59], s[26:27]
	s_xor_b64 s[26:27], exec, s[58:59]
; %bb.419:                              ;   in Loop: Header=BB23_381 Depth=3
	v_bfe_u32 v4, v28, 16, 1
	v_add3_u32 v12, v28, v4, s74
                                        ; implicit-def: $vgpr28
; %bb.420:                              ;   in Loop: Header=BB23_381 Depth=3
	s_andn2_saveexec_b64 s[58:59], s[26:27]
; %bb.421:                              ;   in Loop: Header=BB23_381 Depth=3
	v_or_b32_e32 v4, 0x10000, v28
	v_cmp_eq_u32_sdwa s[26:27], v28, v3 src0_sel:WORD_0 src1_sel:DWORD
	s_nop 1
	v_cndmask_b32_e64 v12, v4, v28, s[26:27]
; %bb.422:                              ;   in Loop: Header=BB23_381 Depth=3
	s_or_b64 exec, exec, s[58:59]
	v_lshlrev_b32_e32 v4, 16, v13
	v_lshlrev_b32_e32 v5, 16, v9
	v_max_f32_e32 v5, v5, v5
	v_max_f32_e32 v4, v4, v4
	v_min_f32_e32 v28, v4, v5
	v_max_f32_e32 v4, v4, v5
	v_cndmask_b32_e32 v29, v4, v28, vcc
	v_and_b32_e32 v4, 0x7f800000, v29
	v_cmp_ne_u32_e64 s[26:27], s97, v4
                                        ; implicit-def: $vgpr28
	s_and_saveexec_b64 s[58:59], s[26:27]
	s_xor_b64 s[26:27], exec, s[58:59]
; %bb.423:                              ;   in Loop: Header=BB23_381 Depth=3
	v_bfe_u32 v4, v29, 16, 1
	v_add3_u32 v28, v29, v4, s74
                                        ; implicit-def: $vgpr29
; %bb.424:                              ;   in Loop: Header=BB23_381 Depth=3
	s_andn2_saveexec_b64 s[58:59], s[26:27]
; %bb.425:                              ;   in Loop: Header=BB23_381 Depth=3
	v_or_b32_e32 v4, 0x10000, v29
	v_cmp_eq_u32_sdwa s[26:27], v29, v3 src0_sel:WORD_0 src1_sel:DWORD
	s_nop 1
	v_cndmask_b32_e64 v28, v4, v29, s[26:27]
; %bb.426:                              ;   in Loop: Header=BB23_381 Depth=3
	s_or_b64 exec, exec, s[58:59]
	v_and_b32_e32 v4, 0xffff0000, v13
	v_and_b32_e32 v5, 0xffff0000, v9
	v_max_f32_e32 v5, v5, v5
	v_max_f32_e32 v4, v4, v4
	v_min_f32_e32 v13, v4, v5
	v_max_f32_e32 v4, v4, v5
	v_cndmask_b32_e32 v29, v4, v13, vcc
	v_and_b32_e32 v4, 0x7f800000, v29
	v_cmp_ne_u32_e64 s[26:27], s97, v4
                                        ; implicit-def: $vgpr13
	s_and_saveexec_b64 s[58:59], s[26:27]
	s_xor_b64 s[26:27], exec, s[58:59]
; %bb.427:                              ;   in Loop: Header=BB23_381 Depth=3
	v_bfe_u32 v4, v29, 16, 1
	v_add3_u32 v13, v29, v4, s74
                                        ; implicit-def: $vgpr29
; %bb.428:                              ;   in Loop: Header=BB23_381 Depth=3
	s_andn2_saveexec_b64 s[58:59], s[26:27]
; %bb.429:                              ;   in Loop: Header=BB23_381 Depth=3
	v_or_b32_e32 v4, 0x10000, v29
	v_cmp_eq_u32_sdwa s[26:27], v29, v3 src0_sel:WORD_0 src1_sel:DWORD
	s_nop 1
	v_cndmask_b32_e64 v13, v4, v29, s[26:27]
; %bb.430:                              ;   in Loop: Header=BB23_381 Depth=3
	s_or_b64 exec, exec, s[58:59]
	v_lshlrev_b32_e32 v4, 16, v14
	v_lshlrev_b32_e32 v5, 16, v10
	v_max_f32_e32 v5, v5, v5
	v_max_f32_e32 v4, v4, v4
	v_min_f32_e32 v29, v4, v5
	v_max_f32_e32 v4, v4, v5
	v_cndmask_b32_e32 v120, v4, v29, vcc
	v_and_b32_e32 v4, 0x7f800000, v120
	v_cmp_ne_u32_e64 s[26:27], s97, v4
                                        ; implicit-def: $vgpr29
	s_and_saveexec_b64 s[58:59], s[26:27]
	s_xor_b64 s[26:27], exec, s[58:59]
; %bb.431:                              ;   in Loop: Header=BB23_381 Depth=3
	v_bfe_u32 v4, v120, 16, 1
	v_add3_u32 v29, v120, v4, s74
                                        ; implicit-def: $vgpr120
; %bb.432:                              ;   in Loop: Header=BB23_381 Depth=3
	s_andn2_saveexec_b64 s[58:59], s[26:27]
; %bb.433:                              ;   in Loop: Header=BB23_381 Depth=3
	v_or_b32_e32 v4, 0x10000, v120
	v_cmp_eq_u32_sdwa s[26:27], v120, v3 src0_sel:WORD_0 src1_sel:DWORD
	s_nop 1
	v_cndmask_b32_e64 v29, v4, v120, s[26:27]
; %bb.434:                              ;   in Loop: Header=BB23_381 Depth=3
	s_or_b64 exec, exec, s[58:59]
	v_and_b32_e32 v4, 0xffff0000, v14
	v_and_b32_e32 v5, 0xffff0000, v10
	v_max_f32_e32 v5, v5, v5
	v_max_f32_e32 v4, v4, v4
	v_min_f32_e32 v14, v4, v5
	v_max_f32_e32 v4, v4, v5
	v_cndmask_b32_e32 v120, v4, v14, vcc
	v_and_b32_e32 v4, 0x7f800000, v120
	v_cmp_ne_u32_e64 s[26:27], s97, v4
                                        ; implicit-def: $vgpr14
	s_and_saveexec_b64 s[58:59], s[26:27]
	s_xor_b64 s[26:27], exec, s[58:59]
; %bb.435:                              ;   in Loop: Header=BB23_381 Depth=3
	v_bfe_u32 v4, v120, 16, 1
	v_add3_u32 v14, v120, v4, s74
                                        ; implicit-def: $vgpr120
; %bb.436:                              ;   in Loop: Header=BB23_381 Depth=3
	s_andn2_saveexec_b64 s[58:59], s[26:27]
; %bb.437:                              ;   in Loop: Header=BB23_381 Depth=3
	v_or_b32_e32 v4, 0x10000, v120
	v_cmp_eq_u32_sdwa s[26:27], v120, v3 src0_sel:WORD_0 src1_sel:DWORD
	s_nop 1
	v_cndmask_b32_e64 v14, v4, v120, s[26:27]
; %bb.438:                              ;   in Loop: Header=BB23_381 Depth=3
	s_or_b64 exec, exec, s[58:59]
	v_lshlrev_b32_e32 v4, 16, v15
	v_lshlrev_b32_e32 v5, 16, v11
	v_max_f32_e32 v5, v5, v5
	v_max_f32_e32 v4, v4, v4
	v_min_f32_e32 v31, v4, v5
	v_max_f32_e32 v4, v4, v5
	v_cndmask_b32_e32 v31, v4, v31, vcc
	v_and_b32_e32 v4, 0x7f800000, v31
	v_cmp_ne_u32_e64 s[26:27], s97, v4
                                        ; implicit-def: $vgpr120
	s_and_saveexec_b64 s[58:59], s[26:27]
	s_xor_b64 s[26:27], exec, s[58:59]
; %bb.439:                              ;   in Loop: Header=BB23_381 Depth=3
	v_bfe_u32 v4, v31, 16, 1
	v_add3_u32 v120, v31, v4, s74
                                        ; implicit-def: $vgpr31
; %bb.440:                              ;   in Loop: Header=BB23_381 Depth=3
	s_andn2_saveexec_b64 s[58:59], s[26:27]
; %bb.441:                              ;   in Loop: Header=BB23_381 Depth=3
	v_or_b32_e32 v4, 0x10000, v31
	v_cmp_eq_u32_sdwa s[26:27], v31, v3 src0_sel:WORD_0 src1_sel:DWORD
	s_nop 1
	v_cndmask_b32_e64 v120, v4, v31, s[26:27]
; %bb.442:                              ;   in Loop: Header=BB23_381 Depth=3
	s_or_b64 exec, exec, s[58:59]
	v_and_b32_e32 v4, 0xffff0000, v15
	v_and_b32_e32 v5, 0xffff0000, v11
	v_max_f32_e32 v5, v5, v5
	v_max_f32_e32 v4, v4, v4
	v_min_f32_e32 v15, v4, v5
	v_max_f32_e32 v4, v4, v5
	v_cndmask_b32_e32 v31, v4, v15, vcc
	v_and_b32_e32 v4, 0x7f800000, v31
	v_cmp_ne_u32_e64 s[26:27], s97, v4
                                        ; implicit-def: $vgpr15
	s_and_saveexec_b64 s[58:59], s[26:27]
	s_xor_b64 s[26:27], exec, s[58:59]
; %bb.443:                              ;   in Loop: Header=BB23_381 Depth=3
	v_bfe_u32 v4, v31, 16, 1
	v_add3_u32 v15, v31, v4, s74
                                        ; implicit-def: $vgpr31
; %bb.444:                              ;   in Loop: Header=BB23_381 Depth=3
	s_andn2_saveexec_b64 s[58:59], s[26:27]
; %bb.445:                              ;   in Loop: Header=BB23_381 Depth=3
	v_or_b32_e32 v4, 0x10000, v31
	v_cmp_eq_u32_sdwa s[26:27], v31, v3 src0_sel:WORD_0 src1_sel:DWORD
	s_nop 1
	v_cndmask_b32_e64 v15, v4, v31, s[26:27]
; %bb.446:                              ;   in Loop: Header=BB23_381 Depth=3
	s_or_b64 exec, exec, s[58:59]
	v_lshrrev_b32_e32 v4, 16, v62
	v_and_or_b32 v21, v21, s75, v4
	v_lshrrev_b32_e32 v4, 16, v55
	v_and_or_b32 v20, v20, s75, v4
	;; [unrolled: 2-line block ×8, first 2 shown]
	global_store_dwordx4 v[104:105], v[20:23], off
	global_store_dwordx4 v[104:105], v[12:15], off offset:1024
	v_lshl_add_u64 v[104:105], v[104:105], 0, v[58:59]
.LBB23_447:                             ;   in Loop: Header=BB23_381 Depth=3
	s_or_b64 exec, exec, s[60:61]
	v_sub_u32_e32 v54, v54, v84
	v_lshl_add_u64 v[106:107], v[106:107], 0, v[58:59]
	v_lshl_add_u64 v[108:109], v[108:109], 0, v[58:59]
	v_cmp_lt_i32_e64 s[58:59], 0, v54
	s_and_saveexec_b64 s[26:27], s[58:59]
	s_cbranch_execz .LBB23_449
; %bb.448:                              ;   in Loop: Header=BB23_381 Depth=3
	global_load_dwordx4 v[20:23], v[106:107], off nt
	global_load_dwordx4 v[12:15], v[106:107], off offset:1024 nt
	global_load_dwordx4 v[16:19], v[108:109], off nt
	global_load_dwordx4 v[8:11], v[108:109], off offset:1024 nt
	v_lshl_add_u64 v[106:107], v[106:107], 0, s[30:31]
	v_lshl_add_u64 v[108:109], v[108:109], 0, s[30:31]
.LBB23_449:                             ;   in Loop: Header=BB23_381 Depth=3
	s_or_b64 exec, exec, s[26:27]
	s_waitcnt vmcnt(0)
	v_lshlrev_b32_e32 v4, 16, v36
	v_lshlrev_b32_e32 v5, 16, v48
	v_max_f32_e32 v5, v5, v5
	v_max_f32_e32 v4, v4, v4
	v_min_f32_e32 v28, v4, v5
	v_max_f32_e32 v4, v4, v5
	v_cndmask_b32_e32 v28, v4, v28, vcc
	v_and_b32_e32 v4, 0x7f800000, v28
	v_cmp_ne_u32_e64 s[26:27], s97, v4
                                        ; implicit-def: $vgpr55
	s_and_saveexec_b64 s[60:61], s[26:27]
	s_xor_b64 s[26:27], exec, s[60:61]
; %bb.450:                              ;   in Loop: Header=BB23_381 Depth=3
	v_bfe_u32 v4, v28, 16, 1
	v_add3_u32 v55, v28, v4, s74
                                        ; implicit-def: $vgpr28
; %bb.451:                              ;   in Loop: Header=BB23_381 Depth=3
	s_andn2_saveexec_b64 s[60:61], s[26:27]
; %bb.452:                              ;   in Loop: Header=BB23_381 Depth=3
	v_or_b32_e32 v4, 0x10000, v28
	v_cmp_eq_u32_sdwa s[26:27], v28, v3 src0_sel:WORD_0 src1_sel:DWORD
	s_nop 1
	v_cndmask_b32_e64 v55, v4, v28, s[26:27]
; %bb.453:                              ;   in Loop: Header=BB23_381 Depth=3
	s_or_b64 exec, exec, s[60:61]
	v_and_b32_e32 v4, 0xffff0000, v36
	v_and_b32_e32 v5, 0xffff0000, v48
	v_max_f32_e32 v5, v5, v5
	v_max_f32_e32 v4, v4, v4
	v_min_f32_e32 v28, v4, v5
	v_max_f32_e32 v4, v4, v5
	v_cndmask_b32_e32 v28, v4, v28, vcc
	v_and_b32_e32 v4, 0x7f800000, v28
	v_cmp_ne_u32_e64 s[26:27], s97, v4
                                        ; implicit-def: $vgpr36
	s_and_saveexec_b64 s[60:61], s[26:27]
	s_xor_b64 s[26:27], exec, s[60:61]
; %bb.454:                              ;   in Loop: Header=BB23_381 Depth=3
	v_bfe_u32 v4, v28, 16, 1
	v_add3_u32 v36, v28, v4, s74
                                        ; implicit-def: $vgpr28
; %bb.455:                              ;   in Loop: Header=BB23_381 Depth=3
	s_andn2_saveexec_b64 s[60:61], s[26:27]
; %bb.456:                              ;   in Loop: Header=BB23_381 Depth=3
	v_or_b32_e32 v4, 0x10000, v28
	v_cmp_eq_u32_sdwa s[26:27], v28, v3 src0_sel:WORD_0 src1_sel:DWORD
	s_nop 1
	v_cndmask_b32_e64 v36, v4, v28, s[26:27]
; %bb.457:                              ;   in Loop: Header=BB23_381 Depth=3
	s_or_b64 exec, exec, s[60:61]
	v_lshlrev_b32_e32 v4, 16, v37
	v_lshlrev_b32_e32 v5, 16, v49
	v_max_f32_e32 v5, v5, v5
	v_max_f32_e32 v4, v4, v4
	v_min_f32_e32 v28, v4, v5
	v_max_f32_e32 v4, v4, v5
	v_cndmask_b32_e32 v28, v4, v28, vcc
	v_and_b32_e32 v4, 0x7f800000, v28
	v_cmp_ne_u32_e64 s[26:27], s97, v4
                                        ; implicit-def: $vgpr48
	s_and_saveexec_b64 s[60:61], s[26:27]
	s_xor_b64 s[26:27], exec, s[60:61]
; %bb.458:                              ;   in Loop: Header=BB23_381 Depth=3
	v_bfe_u32 v4, v28, 16, 1
	v_add3_u32 v48, v28, v4, s74
                                        ; implicit-def: $vgpr28
; %bb.459:                              ;   in Loop: Header=BB23_381 Depth=3
	s_andn2_saveexec_b64 s[60:61], s[26:27]
; %bb.460:                              ;   in Loop: Header=BB23_381 Depth=3
	v_or_b32_e32 v4, 0x10000, v28
	v_cmp_eq_u32_sdwa s[26:27], v28, v3 src0_sel:WORD_0 src1_sel:DWORD
	s_nop 1
	v_cndmask_b32_e64 v48, v4, v28, s[26:27]
; %bb.461:                              ;   in Loop: Header=BB23_381 Depth=3
	s_or_b64 exec, exec, s[60:61]
	v_and_b32_e32 v4, 0xffff0000, v37
	v_and_b32_e32 v5, 0xffff0000, v49
	v_max_f32_e32 v5, v5, v5
	v_max_f32_e32 v4, v4, v4
	v_min_f32_e32 v28, v4, v5
	v_max_f32_e32 v4, v4, v5
	v_cndmask_b32_e32 v28, v4, v28, vcc
	v_and_b32_e32 v4, 0x7f800000, v28
	v_cmp_ne_u32_e64 s[26:27], s97, v4
                                        ; implicit-def: $vgpr37
	s_and_saveexec_b64 s[60:61], s[26:27]
	s_xor_b64 s[26:27], exec, s[60:61]
; %bb.462:                              ;   in Loop: Header=BB23_381 Depth=3
	v_bfe_u32 v4, v28, 16, 1
	v_add3_u32 v37, v28, v4, s74
                                        ; implicit-def: $vgpr28
; %bb.463:                              ;   in Loop: Header=BB23_381 Depth=3
	s_andn2_saveexec_b64 s[60:61], s[26:27]
; %bb.464:                              ;   in Loop: Header=BB23_381 Depth=3
	v_or_b32_e32 v4, 0x10000, v28
	v_cmp_eq_u32_sdwa s[26:27], v28, v3 src0_sel:WORD_0 src1_sel:DWORD
	s_nop 1
	v_cndmask_b32_e64 v37, v4, v28, s[26:27]
; %bb.465:                              ;   in Loop: Header=BB23_381 Depth=3
	s_or_b64 exec, exec, s[60:61]
	v_lshlrev_b32_e32 v4, 16, v38
	v_lshlrev_b32_e32 v5, 16, v50
	v_max_f32_e32 v5, v5, v5
	v_max_f32_e32 v4, v4, v4
	v_min_f32_e32 v28, v4, v5
	v_max_f32_e32 v4, v4, v5
	v_cndmask_b32_e32 v28, v4, v28, vcc
	v_and_b32_e32 v4, 0x7f800000, v28
	v_cmp_ne_u32_e64 s[26:27], s97, v4
                                        ; implicit-def: $vgpr49
	s_and_saveexec_b64 s[60:61], s[26:27]
	s_xor_b64 s[26:27], exec, s[60:61]
; %bb.466:                              ;   in Loop: Header=BB23_381 Depth=3
	v_bfe_u32 v4, v28, 16, 1
	v_add3_u32 v49, v28, v4, s74
                                        ; implicit-def: $vgpr28
; %bb.467:                              ;   in Loop: Header=BB23_381 Depth=3
	s_andn2_saveexec_b64 s[60:61], s[26:27]
; %bb.468:                              ;   in Loop: Header=BB23_381 Depth=3
	v_or_b32_e32 v4, 0x10000, v28
	v_cmp_eq_u32_sdwa s[26:27], v28, v3 src0_sel:WORD_0 src1_sel:DWORD
	s_nop 1
	v_cndmask_b32_e64 v49, v4, v28, s[26:27]
; %bb.469:                              ;   in Loop: Header=BB23_381 Depth=3
	s_or_b64 exec, exec, s[60:61]
	v_and_b32_e32 v4, 0xffff0000, v38
	v_and_b32_e32 v5, 0xffff0000, v50
	v_max_f32_e32 v5, v5, v5
	v_max_f32_e32 v4, v4, v4
	v_min_f32_e32 v28, v4, v5
	v_max_f32_e32 v4, v4, v5
	v_cndmask_b32_e32 v28, v4, v28, vcc
	v_and_b32_e32 v4, 0x7f800000, v28
	v_cmp_ne_u32_e64 s[26:27], s97, v4
                                        ; implicit-def: $vgpr38
	s_and_saveexec_b64 s[60:61], s[26:27]
	s_xor_b64 s[26:27], exec, s[60:61]
; %bb.470:                              ;   in Loop: Header=BB23_381 Depth=3
	v_bfe_u32 v4, v28, 16, 1
	v_add3_u32 v38, v28, v4, s74
                                        ; implicit-def: $vgpr28
; %bb.471:                              ;   in Loop: Header=BB23_381 Depth=3
	s_andn2_saveexec_b64 s[60:61], s[26:27]
; %bb.472:                              ;   in Loop: Header=BB23_381 Depth=3
	v_or_b32_e32 v4, 0x10000, v28
	v_cmp_eq_u32_sdwa s[26:27], v28, v3 src0_sel:WORD_0 src1_sel:DWORD
	s_nop 1
	v_cndmask_b32_e64 v38, v4, v28, s[26:27]
; %bb.473:                              ;   in Loop: Header=BB23_381 Depth=3
	s_or_b64 exec, exec, s[60:61]
	v_lshlrev_b32_e32 v4, 16, v39
	v_lshlrev_b32_e32 v5, 16, v51
	v_max_f32_e32 v5, v5, v5
	v_max_f32_e32 v4, v4, v4
	v_min_f32_e32 v28, v4, v5
	v_max_f32_e32 v4, v4, v5
	v_cndmask_b32_e32 v28, v4, v28, vcc
	v_and_b32_e32 v4, 0x7f800000, v28
	v_cmp_ne_u32_e64 s[26:27], s97, v4
                                        ; implicit-def: $vgpr50
	s_and_saveexec_b64 s[60:61], s[26:27]
	s_xor_b64 s[26:27], exec, s[60:61]
; %bb.474:                              ;   in Loop: Header=BB23_381 Depth=3
	v_bfe_u32 v4, v28, 16, 1
	v_add3_u32 v50, v28, v4, s74
                                        ; implicit-def: $vgpr28
; %bb.475:                              ;   in Loop: Header=BB23_381 Depth=3
	s_andn2_saveexec_b64 s[60:61], s[26:27]
; %bb.476:                              ;   in Loop: Header=BB23_381 Depth=3
	v_or_b32_e32 v4, 0x10000, v28
	v_cmp_eq_u32_sdwa s[26:27], v28, v3 src0_sel:WORD_0 src1_sel:DWORD
	s_nop 1
	v_cndmask_b32_e64 v50, v4, v28, s[26:27]
; %bb.477:                              ;   in Loop: Header=BB23_381 Depth=3
	s_or_b64 exec, exec, s[60:61]
	v_and_b32_e32 v4, 0xffff0000, v39
	v_and_b32_e32 v5, 0xffff0000, v51
	v_max_f32_e32 v5, v5, v5
	v_max_f32_e32 v4, v4, v4
	v_min_f32_e32 v28, v4, v5
	v_max_f32_e32 v4, v4, v5
	v_cndmask_b32_e32 v28, v4, v28, vcc
	v_and_b32_e32 v4, 0x7f800000, v28
	v_cmp_ne_u32_e64 s[26:27], s97, v4
                                        ; implicit-def: $vgpr39
	s_and_saveexec_b64 s[60:61], s[26:27]
	s_xor_b64 s[26:27], exec, s[60:61]
; %bb.478:                              ;   in Loop: Header=BB23_381 Depth=3
	v_bfe_u32 v4, v28, 16, 1
	v_add3_u32 v39, v28, v4, s74
                                        ; implicit-def: $vgpr28
; %bb.479:                              ;   in Loop: Header=BB23_381 Depth=3
	s_andn2_saveexec_b64 s[60:61], s[26:27]
; %bb.480:                              ;   in Loop: Header=BB23_381 Depth=3
	v_or_b32_e32 v4, 0x10000, v28
	v_cmp_eq_u32_sdwa s[26:27], v28, v3 src0_sel:WORD_0 src1_sel:DWORD
	s_nop 1
	v_cndmask_b32_e64 v39, v4, v28, s[26:27]
; %bb.481:                              ;   in Loop: Header=BB23_381 Depth=3
	s_or_b64 exec, exec, s[60:61]
	v_lshlrev_b32_e32 v4, 16, v24
	v_lshlrev_b32_e32 v5, 16, v32
	v_max_f32_e32 v5, v5, v5
	v_max_f32_e32 v4, v4, v4
	v_min_f32_e32 v28, v4, v5
	v_max_f32_e32 v4, v4, v5
	v_cndmask_b32_e32 v28, v4, v28, vcc
	v_and_b32_e32 v4, 0x7f800000, v28
	v_cmp_ne_u32_e64 s[26:27], s97, v4
                                        ; implicit-def: $vgpr51
	s_and_saveexec_b64 s[60:61], s[26:27]
	s_xor_b64 s[26:27], exec, s[60:61]
; %bb.482:                              ;   in Loop: Header=BB23_381 Depth=3
	v_bfe_u32 v4, v28, 16, 1
	v_add3_u32 v51, v28, v4, s74
                                        ; implicit-def: $vgpr28
; %bb.483:                              ;   in Loop: Header=BB23_381 Depth=3
	s_andn2_saveexec_b64 s[60:61], s[26:27]
; %bb.484:                              ;   in Loop: Header=BB23_381 Depth=3
	v_or_b32_e32 v4, 0x10000, v28
	v_cmp_eq_u32_sdwa s[26:27], v28, v3 src0_sel:WORD_0 src1_sel:DWORD
	s_nop 1
	v_cndmask_b32_e64 v51, v4, v28, s[26:27]
; %bb.485:                              ;   in Loop: Header=BB23_381 Depth=3
	s_or_b64 exec, exec, s[60:61]
	v_and_b32_e32 v4, 0xffff0000, v24
	v_and_b32_e32 v5, 0xffff0000, v32
	v_max_f32_e32 v5, v5, v5
	v_max_f32_e32 v4, v4, v4
	v_min_f32_e32 v24, v4, v5
	v_max_f32_e32 v4, v4, v5
	v_cndmask_b32_e32 v28, v4, v24, vcc
	v_and_b32_e32 v4, 0x7f800000, v28
	v_cmp_ne_u32_e64 s[26:27], s97, v4
                                        ; implicit-def: $vgpr24
	s_and_saveexec_b64 s[60:61], s[26:27]
	s_xor_b64 s[26:27], exec, s[60:61]
; %bb.486:                              ;   in Loop: Header=BB23_381 Depth=3
	v_bfe_u32 v4, v28, 16, 1
	v_add3_u32 v24, v28, v4, s74
                                        ; implicit-def: $vgpr28
; %bb.487:                              ;   in Loop: Header=BB23_381 Depth=3
	s_andn2_saveexec_b64 s[60:61], s[26:27]
; %bb.488:                              ;   in Loop: Header=BB23_381 Depth=3
	v_or_b32_e32 v4, 0x10000, v28
	v_cmp_eq_u32_sdwa s[26:27], v28, v3 src0_sel:WORD_0 src1_sel:DWORD
	s_nop 1
	v_cndmask_b32_e64 v24, v4, v28, s[26:27]
; %bb.489:                              ;   in Loop: Header=BB23_381 Depth=3
	s_or_b64 exec, exec, s[60:61]
	v_lshlrev_b32_e32 v4, 16, v25
	v_lshlrev_b32_e32 v5, 16, v33
	v_max_f32_e32 v5, v5, v5
	v_max_f32_e32 v4, v4, v4
	v_min_f32_e32 v28, v4, v5
	v_max_f32_e32 v4, v4, v5
	v_cndmask_b32_e32 v29, v4, v28, vcc
	v_and_b32_e32 v4, 0x7f800000, v29
	v_cmp_ne_u32_e64 s[26:27], s97, v4
                                        ; implicit-def: $vgpr28
	s_and_saveexec_b64 s[60:61], s[26:27]
	s_xor_b64 s[26:27], exec, s[60:61]
; %bb.490:                              ;   in Loop: Header=BB23_381 Depth=3
	v_bfe_u32 v4, v29, 16, 1
	v_add3_u32 v28, v29, v4, s74
                                        ; implicit-def: $vgpr29
; %bb.491:                              ;   in Loop: Header=BB23_381 Depth=3
	s_andn2_saveexec_b64 s[60:61], s[26:27]
; %bb.492:                              ;   in Loop: Header=BB23_381 Depth=3
	v_or_b32_e32 v4, 0x10000, v29
	v_cmp_eq_u32_sdwa s[26:27], v29, v3 src0_sel:WORD_0 src1_sel:DWORD
	s_nop 1
	v_cndmask_b32_e64 v28, v4, v29, s[26:27]
; %bb.493:                              ;   in Loop: Header=BB23_381 Depth=3
	s_or_b64 exec, exec, s[60:61]
	v_and_b32_e32 v4, 0xffff0000, v25
	v_and_b32_e32 v5, 0xffff0000, v33
	v_max_f32_e32 v5, v5, v5
	v_max_f32_e32 v4, v4, v4
	v_min_f32_e32 v25, v4, v5
	v_max_f32_e32 v4, v4, v5
	v_cndmask_b32_e32 v29, v4, v25, vcc
	v_and_b32_e32 v4, 0x7f800000, v29
	v_cmp_ne_u32_e64 s[26:27], s97, v4
                                        ; implicit-def: $vgpr25
	s_and_saveexec_b64 s[60:61], s[26:27]
	s_xor_b64 s[26:27], exec, s[60:61]
; %bb.494:                              ;   in Loop: Header=BB23_381 Depth=3
	v_bfe_u32 v4, v29, 16, 1
	v_add3_u32 v25, v29, v4, s74
                                        ; implicit-def: $vgpr29
; %bb.495:                              ;   in Loop: Header=BB23_381 Depth=3
	s_andn2_saveexec_b64 s[60:61], s[26:27]
; %bb.496:                              ;   in Loop: Header=BB23_381 Depth=3
	v_or_b32_e32 v4, 0x10000, v29
	v_cmp_eq_u32_sdwa s[26:27], v29, v3 src0_sel:WORD_0 src1_sel:DWORD
	s_nop 1
	v_cndmask_b32_e64 v25, v4, v29, s[26:27]
; %bb.497:                              ;   in Loop: Header=BB23_381 Depth=3
	s_or_b64 exec, exec, s[60:61]
	v_lshlrev_b32_e32 v4, 16, v26
	v_lshlrev_b32_e32 v5, 16, v34
	v_max_f32_e32 v5, v5, v5
	v_max_f32_e32 v4, v4, v4
	v_min_f32_e32 v29, v4, v5
	v_max_f32_e32 v4, v4, v5
	v_cndmask_b32_e32 v31, v4, v29, vcc
	v_and_b32_e32 v4, 0x7f800000, v31
	v_cmp_ne_u32_e64 s[26:27], s97, v4
                                        ; implicit-def: $vgpr29
	s_and_saveexec_b64 s[60:61], s[26:27]
	s_xor_b64 s[26:27], exec, s[60:61]
; %bb.498:                              ;   in Loop: Header=BB23_381 Depth=3
	v_bfe_u32 v4, v31, 16, 1
	v_add3_u32 v29, v31, v4, s74
                                        ; implicit-def: $vgpr31
; %bb.499:                              ;   in Loop: Header=BB23_381 Depth=3
	s_andn2_saveexec_b64 s[60:61], s[26:27]
; %bb.500:                              ;   in Loop: Header=BB23_381 Depth=3
	v_or_b32_e32 v4, 0x10000, v31
	v_cmp_eq_u32_sdwa s[26:27], v31, v3 src0_sel:WORD_0 src1_sel:DWORD
	s_nop 1
	v_cndmask_b32_e64 v29, v4, v31, s[26:27]
; %bb.501:                              ;   in Loop: Header=BB23_381 Depth=3
	s_or_b64 exec, exec, s[60:61]
	v_and_b32_e32 v4, 0xffff0000, v26
	v_and_b32_e32 v5, 0xffff0000, v34
	v_max_f32_e32 v5, v5, v5
	v_max_f32_e32 v4, v4, v4
	v_min_f32_e32 v26, v4, v5
	v_max_f32_e32 v4, v4, v5
	v_cndmask_b32_e32 v31, v4, v26, vcc
	v_and_b32_e32 v4, 0x7f800000, v31
	v_cmp_ne_u32_e64 s[26:27], s97, v4
                                        ; implicit-def: $vgpr26
	s_and_saveexec_b64 s[60:61], s[26:27]
	s_xor_b64 s[26:27], exec, s[60:61]
; %bb.502:                              ;   in Loop: Header=BB23_381 Depth=3
	v_bfe_u32 v4, v31, 16, 1
	v_add3_u32 v26, v31, v4, s74
                                        ; implicit-def: $vgpr31
; %bb.503:                              ;   in Loop: Header=BB23_381 Depth=3
	s_andn2_saveexec_b64 s[60:61], s[26:27]
; %bb.504:                              ;   in Loop: Header=BB23_381 Depth=3
	v_or_b32_e32 v4, 0x10000, v31
	v_cmp_eq_u32_sdwa s[26:27], v31, v3 src0_sel:WORD_0 src1_sel:DWORD
	s_nop 1
	v_cndmask_b32_e64 v26, v4, v31, s[26:27]
; %bb.505:                              ;   in Loop: Header=BB23_381 Depth=3
	s_or_b64 exec, exec, s[60:61]
	v_lshlrev_b32_e32 v4, 16, v27
	v_lshlrev_b32_e32 v5, 16, v35
	v_max_f32_e32 v5, v5, v5
	v_max_f32_e32 v4, v4, v4
	v_min_f32_e32 v31, v4, v5
	v_max_f32_e32 v4, v4, v5
	v_cndmask_b32_e32 v31, v4, v31, vcc
	v_and_b32_e32 v4, 0x7f800000, v31
	v_cmp_ne_u32_e64 s[26:27], s97, v4
                                        ; implicit-def: $vgpr32
	s_and_saveexec_b64 s[60:61], s[26:27]
	s_xor_b64 s[26:27], exec, s[60:61]
; %bb.506:                              ;   in Loop: Header=BB23_381 Depth=3
	v_bfe_u32 v4, v31, 16, 1
	v_add3_u32 v32, v31, v4, s74
                                        ; implicit-def: $vgpr31
; %bb.507:                              ;   in Loop: Header=BB23_381 Depth=3
	s_andn2_saveexec_b64 s[60:61], s[26:27]
; %bb.508:                              ;   in Loop: Header=BB23_381 Depth=3
	v_or_b32_e32 v4, 0x10000, v31
	v_cmp_eq_u32_sdwa s[26:27], v31, v3 src0_sel:WORD_0 src1_sel:DWORD
	s_nop 1
	v_cndmask_b32_e64 v32, v4, v31, s[26:27]
; %bb.509:                              ;   in Loop: Header=BB23_381 Depth=3
	s_or_b64 exec, exec, s[60:61]
	v_and_b32_e32 v4, 0xffff0000, v27
	v_and_b32_e32 v5, 0xffff0000, v35
	v_max_f32_e32 v5, v5, v5
	v_max_f32_e32 v4, v4, v4
	v_min_f32_e32 v27, v4, v5
	v_max_f32_e32 v4, v4, v5
	v_cndmask_b32_e32 v31, v4, v27, vcc
	v_and_b32_e32 v4, 0x7f800000, v31
	v_cmp_ne_u32_e64 s[26:27], s97, v4
                                        ; implicit-def: $vgpr27
	s_and_saveexec_b64 s[60:61], s[26:27]
	s_xor_b64 s[26:27], exec, s[60:61]
; %bb.510:                              ;   in Loop: Header=BB23_381 Depth=3
	v_bfe_u32 v4, v31, 16, 1
	v_add3_u32 v27, v31, v4, s74
                                        ; implicit-def: $vgpr31
; %bb.511:                              ;   in Loop: Header=BB23_381 Depth=3
	s_andn2_saveexec_b64 s[60:61], s[26:27]
	s_cbranch_execz .LBB23_380
; %bb.512:                              ;   in Loop: Header=BB23_381 Depth=3
	v_or_b32_e32 v4, 0x10000, v31
	v_cmp_eq_u32_sdwa s[26:27], v31, v3 src0_sel:WORD_0 src1_sel:DWORD
	s_nop 1
	v_cndmask_b32_e64 v27, v4, v31, s[26:27]
	s_branch .LBB23_380
.LBB23_513:                             ;   in Loop: Header=BB23_296 Depth=2
	v_mov_b32_e32 v8, v0
	v_and_b32_e32 v15, 63, v0
	s_and_saveexec_b64 s[42:43], s[56:57]
	s_cbranch_execnz .LBB23_697
	s_branch .LBB23_828
.LBB23_514:                             ;   in Loop: Header=BB23_296 Depth=2
	s_or_b64 exec, exec, s[40:41]
	s_and_b64 s[26:27], s[42:43], exec
.LBB23_515:                             ;   in Loop: Header=BB23_296 Depth=2
	s_or_b64 exec, exec, s[28:29]
	s_and_saveexec_b64 s[28:29], s[26:27]
	s_cbranch_execz .LBB23_581
; %bb.516:                              ;   in Loop: Header=BB23_296 Depth=2
	s_and_b32 s26, 0xffff, s49
	v_lshlrev_b32_e32 v4, 16, v20
	v_lshlrev_b32_e32 v5, 16, v16
	s_cmp_eq_u32 s26, 0
	v_max_f32_e32 v5, v5, v5
	v_max_f32_e32 v4, v4, v4
	v_min_f32_e32 v24, v4, v5
	v_max_f32_e32 v4, v4, v5
	s_cselect_b64 vcc, -1, 0
	v_cndmask_b32_e32 v25, v4, v24, vcc
	v_and_b32_e32 v4, 0x7f800000, v25
	v_cmp_ne_u32_e64 s[26:27], s97, v4
                                        ; implicit-def: $vgpr24
	s_and_saveexec_b64 s[40:41], s[26:27]
	s_xor_b64 s[26:27], exec, s[40:41]
; %bb.517:                              ;   in Loop: Header=BB23_296 Depth=2
	v_bfe_u32 v4, v25, 16, 1
	v_add3_u32 v24, v25, v4, s74
                                        ; implicit-def: $vgpr25
; %bb.518:                              ;   in Loop: Header=BB23_296 Depth=2
	s_andn2_saveexec_b64 s[40:41], s[26:27]
; %bb.519:                              ;   in Loop: Header=BB23_296 Depth=2
	v_or_b32_e32 v4, 0x10000, v25
	v_cmp_eq_u32_sdwa s[26:27], v25, v3 src0_sel:WORD_0 src1_sel:DWORD
	s_nop 1
	v_cndmask_b32_e64 v24, v4, v25, s[26:27]
; %bb.520:                              ;   in Loop: Header=BB23_296 Depth=2
	s_or_b64 exec, exec, s[40:41]
	v_and_b32_e32 v4, 0xffff0000, v20
	v_and_b32_e32 v5, 0xffff0000, v16
	v_max_f32_e32 v5, v5, v5
	v_max_f32_e32 v4, v4, v4
	v_min_f32_e32 v16, v4, v5
	v_max_f32_e32 v4, v4, v5
	v_cndmask_b32_e32 v20, v4, v16, vcc
	v_and_b32_e32 v4, 0x7f800000, v20
	v_cmp_ne_u32_e64 s[26:27], s97, v4
                                        ; implicit-def: $vgpr16
	s_and_saveexec_b64 s[40:41], s[26:27]
	s_xor_b64 s[26:27], exec, s[40:41]
; %bb.521:                              ;   in Loop: Header=BB23_296 Depth=2
	v_bfe_u32 v4, v20, 16, 1
	v_add3_u32 v16, v20, v4, s74
                                        ; implicit-def: $vgpr20
; %bb.522:                              ;   in Loop: Header=BB23_296 Depth=2
	s_andn2_saveexec_b64 s[40:41], s[26:27]
; %bb.523:                              ;   in Loop: Header=BB23_296 Depth=2
	v_or_b32_e32 v4, 0x10000, v20
	v_cmp_eq_u32_sdwa s[26:27], v20, v3 src0_sel:WORD_0 src1_sel:DWORD
	s_nop 1
	v_cndmask_b32_e64 v16, v4, v20, s[26:27]
; %bb.524:                              ;   in Loop: Header=BB23_296 Depth=2
	s_or_b64 exec, exec, s[40:41]
	v_lshlrev_b32_e32 v4, 16, v21
	v_lshlrev_b32_e32 v5, 16, v17
	v_max_f32_e32 v5, v5, v5
	v_max_f32_e32 v4, v4, v4
	v_min_f32_e32 v20, v4, v5
	v_max_f32_e32 v4, v4, v5
	v_cndmask_b32_e32 v25, v4, v20, vcc
	v_and_b32_e32 v4, 0x7f800000, v25
	v_cmp_ne_u32_e64 s[26:27], s97, v4
                                        ; implicit-def: $vgpr20
	s_and_saveexec_b64 s[40:41], s[26:27]
	s_xor_b64 s[26:27], exec, s[40:41]
; %bb.525:                              ;   in Loop: Header=BB23_296 Depth=2
	v_bfe_u32 v4, v25, 16, 1
	v_add3_u32 v20, v25, v4, s74
                                        ; implicit-def: $vgpr25
; %bb.526:                              ;   in Loop: Header=BB23_296 Depth=2
	s_andn2_saveexec_b64 s[40:41], s[26:27]
; %bb.527:                              ;   in Loop: Header=BB23_296 Depth=2
	v_or_b32_e32 v4, 0x10000, v25
	v_cmp_eq_u32_sdwa s[26:27], v25, v3 src0_sel:WORD_0 src1_sel:DWORD
	s_nop 1
	v_cndmask_b32_e64 v20, v4, v25, s[26:27]
; %bb.528:                              ;   in Loop: Header=BB23_296 Depth=2
	s_or_b64 exec, exec, s[40:41]
	v_and_b32_e32 v4, 0xffff0000, v21
	v_and_b32_e32 v5, 0xffff0000, v17
	v_max_f32_e32 v5, v5, v5
	v_max_f32_e32 v4, v4, v4
	v_min_f32_e32 v17, v4, v5
	v_max_f32_e32 v4, v4, v5
	v_cndmask_b32_e32 v21, v4, v17, vcc
	v_and_b32_e32 v4, 0x7f800000, v21
	v_cmp_ne_u32_e64 s[26:27], s97, v4
                                        ; implicit-def: $vgpr17
	s_and_saveexec_b64 s[40:41], s[26:27]
	s_xor_b64 s[26:27], exec, s[40:41]
; %bb.529:                              ;   in Loop: Header=BB23_296 Depth=2
	v_bfe_u32 v4, v21, 16, 1
	v_add3_u32 v17, v21, v4, s74
                                        ; implicit-def: $vgpr21
; %bb.530:                              ;   in Loop: Header=BB23_296 Depth=2
	s_andn2_saveexec_b64 s[40:41], s[26:27]
; %bb.531:                              ;   in Loop: Header=BB23_296 Depth=2
	v_or_b32_e32 v4, 0x10000, v21
	v_cmp_eq_u32_sdwa s[26:27], v21, v3 src0_sel:WORD_0 src1_sel:DWORD
	s_nop 1
	v_cndmask_b32_e64 v17, v4, v21, s[26:27]
; %bb.532:                              ;   in Loop: Header=BB23_296 Depth=2
	s_or_b64 exec, exec, s[40:41]
	v_lshlrev_b32_e32 v4, 16, v22
	v_lshlrev_b32_e32 v5, 16, v18
	v_max_f32_e32 v5, v5, v5
	v_max_f32_e32 v4, v4, v4
	v_min_f32_e32 v21, v4, v5
	v_max_f32_e32 v4, v4, v5
	v_cndmask_b32_e32 v25, v4, v21, vcc
	v_and_b32_e32 v4, 0x7f800000, v25
	v_cmp_ne_u32_e64 s[26:27], s97, v4
                                        ; implicit-def: $vgpr21
	s_and_saveexec_b64 s[40:41], s[26:27]
	s_xor_b64 s[26:27], exec, s[40:41]
; %bb.533:                              ;   in Loop: Header=BB23_296 Depth=2
	v_bfe_u32 v4, v25, 16, 1
	v_add3_u32 v21, v25, v4, s74
                                        ; implicit-def: $vgpr25
; %bb.534:                              ;   in Loop: Header=BB23_296 Depth=2
	s_andn2_saveexec_b64 s[40:41], s[26:27]
; %bb.535:                              ;   in Loop: Header=BB23_296 Depth=2
	v_or_b32_e32 v4, 0x10000, v25
	v_cmp_eq_u32_sdwa s[26:27], v25, v3 src0_sel:WORD_0 src1_sel:DWORD
	s_nop 1
	v_cndmask_b32_e64 v21, v4, v25, s[26:27]
; %bb.536:                              ;   in Loop: Header=BB23_296 Depth=2
	s_or_b64 exec, exec, s[40:41]
	v_and_b32_e32 v4, 0xffff0000, v22
	v_and_b32_e32 v5, 0xffff0000, v18
	v_max_f32_e32 v5, v5, v5
	v_max_f32_e32 v4, v4, v4
	v_min_f32_e32 v18, v4, v5
	v_max_f32_e32 v4, v4, v5
	v_cndmask_b32_e32 v22, v4, v18, vcc
	v_and_b32_e32 v4, 0x7f800000, v22
	v_cmp_ne_u32_e64 s[26:27], s97, v4
                                        ; implicit-def: $vgpr18
	s_and_saveexec_b64 s[40:41], s[26:27]
	s_xor_b64 s[26:27], exec, s[40:41]
; %bb.537:                              ;   in Loop: Header=BB23_296 Depth=2
	v_bfe_u32 v4, v22, 16, 1
	v_add3_u32 v18, v22, v4, s74
                                        ; implicit-def: $vgpr22
; %bb.538:                              ;   in Loop: Header=BB23_296 Depth=2
	s_andn2_saveexec_b64 s[40:41], s[26:27]
; %bb.539:                              ;   in Loop: Header=BB23_296 Depth=2
	v_or_b32_e32 v4, 0x10000, v22
	v_cmp_eq_u32_sdwa s[26:27], v22, v3 src0_sel:WORD_0 src1_sel:DWORD
	s_nop 1
	v_cndmask_b32_e64 v18, v4, v22, s[26:27]
; %bb.540:                              ;   in Loop: Header=BB23_296 Depth=2
	s_or_b64 exec, exec, s[40:41]
	v_lshlrev_b32_e32 v4, 16, v23
	v_lshlrev_b32_e32 v5, 16, v19
	v_max_f32_e32 v5, v5, v5
	v_max_f32_e32 v4, v4, v4
	v_min_f32_e32 v22, v4, v5
	v_max_f32_e32 v4, v4, v5
	v_cndmask_b32_e32 v25, v4, v22, vcc
	v_and_b32_e32 v4, 0x7f800000, v25
	v_cmp_ne_u32_e64 s[26:27], s97, v4
                                        ; implicit-def: $vgpr22
	s_and_saveexec_b64 s[40:41], s[26:27]
	s_xor_b64 s[26:27], exec, s[40:41]
; %bb.541:                              ;   in Loop: Header=BB23_296 Depth=2
	v_bfe_u32 v4, v25, 16, 1
	v_add3_u32 v22, v25, v4, s74
                                        ; implicit-def: $vgpr25
; %bb.542:                              ;   in Loop: Header=BB23_296 Depth=2
	s_andn2_saveexec_b64 s[40:41], s[26:27]
; %bb.543:                              ;   in Loop: Header=BB23_296 Depth=2
	v_or_b32_e32 v4, 0x10000, v25
	v_cmp_eq_u32_sdwa s[26:27], v25, v3 src0_sel:WORD_0 src1_sel:DWORD
	s_nop 1
	v_cndmask_b32_e64 v22, v4, v25, s[26:27]
; %bb.544:                              ;   in Loop: Header=BB23_296 Depth=2
	s_or_b64 exec, exec, s[40:41]
	v_and_b32_e32 v4, 0xffff0000, v23
	v_and_b32_e32 v5, 0xffff0000, v19
	v_max_f32_e32 v5, v5, v5
	v_max_f32_e32 v4, v4, v4
	v_min_f32_e32 v19, v4, v5
	v_max_f32_e32 v4, v4, v5
	v_cndmask_b32_e32 v23, v4, v19, vcc
	v_and_b32_e32 v4, 0x7f800000, v23
	v_cmp_ne_u32_e64 s[26:27], s97, v4
                                        ; implicit-def: $vgpr19
	s_and_saveexec_b64 s[40:41], s[26:27]
	s_xor_b64 s[26:27], exec, s[40:41]
; %bb.545:                              ;   in Loop: Header=BB23_296 Depth=2
	v_bfe_u32 v4, v23, 16, 1
	v_add3_u32 v19, v23, v4, s74
                                        ; implicit-def: $vgpr23
; %bb.546:                              ;   in Loop: Header=BB23_296 Depth=2
	s_andn2_saveexec_b64 s[40:41], s[26:27]
; %bb.547:                              ;   in Loop: Header=BB23_296 Depth=2
	v_or_b32_e32 v4, 0x10000, v23
	v_cmp_eq_u32_sdwa s[26:27], v23, v3 src0_sel:WORD_0 src1_sel:DWORD
	s_nop 1
	v_cndmask_b32_e64 v19, v4, v23, s[26:27]
; %bb.548:                              ;   in Loop: Header=BB23_296 Depth=2
	s_or_b64 exec, exec, s[40:41]
	v_lshlrev_b32_e32 v4, 16, v12
	v_lshlrev_b32_e32 v5, 16, v8
	v_max_f32_e32 v5, v5, v5
	v_max_f32_e32 v4, v4, v4
	v_min_f32_e32 v23, v4, v5
	v_max_f32_e32 v4, v4, v5
	v_cndmask_b32_e32 v25, v4, v23, vcc
	v_and_b32_e32 v4, 0x7f800000, v25
	v_cmp_ne_u32_e64 s[26:27], s97, v4
                                        ; implicit-def: $vgpr23
	s_and_saveexec_b64 s[40:41], s[26:27]
	s_xor_b64 s[26:27], exec, s[40:41]
; %bb.549:                              ;   in Loop: Header=BB23_296 Depth=2
	v_bfe_u32 v4, v25, 16, 1
	v_add3_u32 v23, v25, v4, s74
                                        ; implicit-def: $vgpr25
; %bb.550:                              ;   in Loop: Header=BB23_296 Depth=2
	s_andn2_saveexec_b64 s[40:41], s[26:27]
; %bb.551:                              ;   in Loop: Header=BB23_296 Depth=2
	v_or_b32_e32 v4, 0x10000, v25
	v_cmp_eq_u32_sdwa s[26:27], v25, v3 src0_sel:WORD_0 src1_sel:DWORD
	s_nop 1
	v_cndmask_b32_e64 v23, v4, v25, s[26:27]
; %bb.552:                              ;   in Loop: Header=BB23_296 Depth=2
	s_or_b64 exec, exec, s[40:41]
	v_and_b32_e32 v4, 0xffff0000, v12
	v_and_b32_e32 v5, 0xffff0000, v8
	v_max_f32_e32 v5, v5, v5
	v_max_f32_e32 v4, v4, v4
	v_min_f32_e32 v8, v4, v5
	v_max_f32_e32 v4, v4, v5
	v_cndmask_b32_e32 v12, v4, v8, vcc
	v_and_b32_e32 v4, 0x7f800000, v12
	v_cmp_ne_u32_e64 s[26:27], s97, v4
                                        ; implicit-def: $vgpr8
	s_and_saveexec_b64 s[40:41], s[26:27]
	s_xor_b64 s[26:27], exec, s[40:41]
; %bb.553:                              ;   in Loop: Header=BB23_296 Depth=2
	v_bfe_u32 v4, v12, 16, 1
	v_add3_u32 v8, v12, v4, s74
                                        ; implicit-def: $vgpr12
; %bb.554:                              ;   in Loop: Header=BB23_296 Depth=2
	s_andn2_saveexec_b64 s[40:41], s[26:27]
; %bb.555:                              ;   in Loop: Header=BB23_296 Depth=2
	v_or_b32_e32 v4, 0x10000, v12
	v_cmp_eq_u32_sdwa s[26:27], v12, v3 src0_sel:WORD_0 src1_sel:DWORD
	s_nop 1
	v_cndmask_b32_e64 v8, v4, v12, s[26:27]
; %bb.556:                              ;   in Loop: Header=BB23_296 Depth=2
	s_or_b64 exec, exec, s[40:41]
	v_lshlrev_b32_e32 v4, 16, v13
	v_lshlrev_b32_e32 v5, 16, v9
	v_max_f32_e32 v5, v5, v5
	v_max_f32_e32 v4, v4, v4
	v_min_f32_e32 v12, v4, v5
	v_max_f32_e32 v4, v4, v5
	v_cndmask_b32_e32 v25, v4, v12, vcc
	v_and_b32_e32 v4, 0x7f800000, v25
	v_cmp_ne_u32_e64 s[26:27], s97, v4
                                        ; implicit-def: $vgpr12
	s_and_saveexec_b64 s[40:41], s[26:27]
	s_xor_b64 s[26:27], exec, s[40:41]
; %bb.557:                              ;   in Loop: Header=BB23_296 Depth=2
	v_bfe_u32 v4, v25, 16, 1
	v_add3_u32 v12, v25, v4, s74
                                        ; implicit-def: $vgpr25
; %bb.558:                              ;   in Loop: Header=BB23_296 Depth=2
	s_andn2_saveexec_b64 s[40:41], s[26:27]
; %bb.559:                              ;   in Loop: Header=BB23_296 Depth=2
	v_or_b32_e32 v4, 0x10000, v25
	v_cmp_eq_u32_sdwa s[26:27], v25, v3 src0_sel:WORD_0 src1_sel:DWORD
	s_nop 1
	v_cndmask_b32_e64 v12, v4, v25, s[26:27]
; %bb.560:                              ;   in Loop: Header=BB23_296 Depth=2
	s_or_b64 exec, exec, s[40:41]
	v_and_b32_e32 v4, 0xffff0000, v13
	v_and_b32_e32 v5, 0xffff0000, v9
	v_max_f32_e32 v5, v5, v5
	v_max_f32_e32 v4, v4, v4
	v_min_f32_e32 v9, v4, v5
	v_max_f32_e32 v4, v4, v5
	v_cndmask_b32_e32 v13, v4, v9, vcc
	v_and_b32_e32 v4, 0x7f800000, v13
	v_cmp_ne_u32_e64 s[26:27], s97, v4
                                        ; implicit-def: $vgpr9
	s_and_saveexec_b64 s[40:41], s[26:27]
	s_xor_b64 s[26:27], exec, s[40:41]
; %bb.561:                              ;   in Loop: Header=BB23_296 Depth=2
	v_bfe_u32 v4, v13, 16, 1
	v_add3_u32 v9, v13, v4, s74
                                        ; implicit-def: $vgpr13
; %bb.562:                              ;   in Loop: Header=BB23_296 Depth=2
	s_andn2_saveexec_b64 s[40:41], s[26:27]
; %bb.563:                              ;   in Loop: Header=BB23_296 Depth=2
	v_or_b32_e32 v4, 0x10000, v13
	v_cmp_eq_u32_sdwa s[26:27], v13, v3 src0_sel:WORD_0 src1_sel:DWORD
	s_nop 1
	v_cndmask_b32_e64 v9, v4, v13, s[26:27]
; %bb.564:                              ;   in Loop: Header=BB23_296 Depth=2
	s_or_b64 exec, exec, s[40:41]
	v_lshlrev_b32_e32 v4, 16, v14
	v_lshlrev_b32_e32 v5, 16, v10
	v_max_f32_e32 v5, v5, v5
	v_max_f32_e32 v4, v4, v4
	v_min_f32_e32 v13, v4, v5
	v_max_f32_e32 v4, v4, v5
	v_cndmask_b32_e32 v25, v4, v13, vcc
	v_and_b32_e32 v4, 0x7f800000, v25
	v_cmp_ne_u32_e64 s[26:27], s97, v4
                                        ; implicit-def: $vgpr13
	s_and_saveexec_b64 s[40:41], s[26:27]
	s_xor_b64 s[26:27], exec, s[40:41]
; %bb.565:                              ;   in Loop: Header=BB23_296 Depth=2
	v_bfe_u32 v4, v25, 16, 1
	v_add3_u32 v13, v25, v4, s74
                                        ; implicit-def: $vgpr25
; %bb.566:                              ;   in Loop: Header=BB23_296 Depth=2
	s_andn2_saveexec_b64 s[40:41], s[26:27]
; %bb.567:                              ;   in Loop: Header=BB23_296 Depth=2
	v_or_b32_e32 v4, 0x10000, v25
	v_cmp_eq_u32_sdwa s[26:27], v25, v3 src0_sel:WORD_0 src1_sel:DWORD
	s_nop 1
	v_cndmask_b32_e64 v13, v4, v25, s[26:27]
; %bb.568:                              ;   in Loop: Header=BB23_296 Depth=2
	s_or_b64 exec, exec, s[40:41]
	v_and_b32_e32 v4, 0xffff0000, v14
	v_and_b32_e32 v5, 0xffff0000, v10
	v_max_f32_e32 v5, v5, v5
	v_max_f32_e32 v4, v4, v4
	v_min_f32_e32 v10, v4, v5
	v_max_f32_e32 v4, v4, v5
	v_cndmask_b32_e32 v14, v4, v10, vcc
	v_and_b32_e32 v4, 0x7f800000, v14
	v_cmp_ne_u32_e64 s[26:27], s97, v4
                                        ; implicit-def: $vgpr10
	s_and_saveexec_b64 s[40:41], s[26:27]
	s_xor_b64 s[26:27], exec, s[40:41]
; %bb.569:                              ;   in Loop: Header=BB23_296 Depth=2
	v_bfe_u32 v4, v14, 16, 1
	v_add3_u32 v10, v14, v4, s74
                                        ; implicit-def: $vgpr14
; %bb.570:                              ;   in Loop: Header=BB23_296 Depth=2
	s_andn2_saveexec_b64 s[40:41], s[26:27]
; %bb.571:                              ;   in Loop: Header=BB23_296 Depth=2
	v_or_b32_e32 v4, 0x10000, v14
	v_cmp_eq_u32_sdwa s[26:27], v14, v3 src0_sel:WORD_0 src1_sel:DWORD
	s_nop 1
	v_cndmask_b32_e64 v10, v4, v14, s[26:27]
; %bb.572:                              ;   in Loop: Header=BB23_296 Depth=2
	s_or_b64 exec, exec, s[40:41]
	v_lshlrev_b32_e32 v4, 16, v15
	v_lshlrev_b32_e32 v5, 16, v11
	v_max_f32_e32 v5, v5, v5
	v_max_f32_e32 v4, v4, v4
	v_min_f32_e32 v14, v4, v5
	v_max_f32_e32 v4, v4, v5
	v_cndmask_b32_e32 v25, v4, v14, vcc
	v_and_b32_e32 v4, 0x7f800000, v25
	v_cmp_ne_u32_e64 s[26:27], s97, v4
                                        ; implicit-def: $vgpr14
	s_and_saveexec_b64 s[40:41], s[26:27]
	s_xor_b64 s[26:27], exec, s[40:41]
; %bb.573:                              ;   in Loop: Header=BB23_296 Depth=2
	v_bfe_u32 v4, v25, 16, 1
	v_add3_u32 v14, v25, v4, s74
                                        ; implicit-def: $vgpr25
; %bb.574:                              ;   in Loop: Header=BB23_296 Depth=2
	s_andn2_saveexec_b64 s[40:41], s[26:27]
; %bb.575:                              ;   in Loop: Header=BB23_296 Depth=2
	v_or_b32_e32 v4, 0x10000, v25
	v_cmp_eq_u32_sdwa s[26:27], v25, v3 src0_sel:WORD_0 src1_sel:DWORD
	s_nop 1
	v_cndmask_b32_e64 v14, v4, v25, s[26:27]
; %bb.576:                              ;   in Loop: Header=BB23_296 Depth=2
	s_or_b64 exec, exec, s[40:41]
	v_and_b32_e32 v4, 0xffff0000, v15
	v_and_b32_e32 v5, 0xffff0000, v11
	v_max_f32_e32 v5, v5, v5
	v_max_f32_e32 v4, v4, v4
	v_min_f32_e32 v11, v4, v5
	v_max_f32_e32 v4, v4, v5
	v_cndmask_b32_e32 v15, v4, v11, vcc
	v_and_b32_e32 v4, 0x7f800000, v15
	v_cmp_ne_u32_e32 vcc, s97, v4
                                        ; implicit-def: $vgpr11
	s_and_saveexec_b64 s[26:27], vcc
	s_xor_b64 s[26:27], exec, s[26:27]
; %bb.577:                              ;   in Loop: Header=BB23_296 Depth=2
	v_bfe_u32 v4, v15, 16, 1
	v_add3_u32 v11, v15, v4, s74
                                        ; implicit-def: $vgpr15
; %bb.578:                              ;   in Loop: Header=BB23_296 Depth=2
	s_andn2_saveexec_b64 s[26:27], s[26:27]
; %bb.579:                              ;   in Loop: Header=BB23_296 Depth=2
	v_or_b32_e32 v4, 0x10000, v15
	v_cmp_eq_u32_sdwa vcc, v15, v3 src0_sel:WORD_0 src1_sel:DWORD
	s_nop 1
	v_cndmask_b32_e32 v11, v4, v15, vcc
; %bb.580:                              ;   in Loop: Header=BB23_296 Depth=2
	s_or_b64 exec, exec, s[26:27]
	v_lshrrev_b32_e32 v4, 16, v20
	v_and_or_b32 v17, v17, s75, v4
	v_lshrrev_b32_e32 v4, 16, v24
	v_and_or_b32 v16, v16, s75, v4
	;; [unrolled: 2-line block ×8, first 2 shown]
	global_store_dwordx4 v[104:105], v[16:19], off
	global_store_dwordx4 v[104:105], v[8:11], off offset:1024
.LBB23_581:                             ;   in Loop: Header=BB23_296 Depth=2
	s_or_b64 exec, exec, s[28:29]
	v_lshlrev_b32_e32 v22, 11, v82
	v_cmp_ne_u32_e32 vcc, v91, v22
                                        ; implicit-def: $vgpr14
                                        ; implicit-def: $vgpr8
                                        ; implicit-def: $vgpr15
	s_and_saveexec_b64 s[58:59], vcc
	s_cbranch_execz .LBB23_696
; %bb.582:                              ;   in Loop: Header=BB23_296 Depth=2
	v_lshlrev_b32_e32 v5, 6, v54
	v_and_b32_e32 v8, 63, v0
	v_sub_u32_e32 v5, v8, v5
	v_ashrrev_i32_e32 v8, 31, v5
	v_lshrrev_b32_e32 v8, 26, v8
	v_add_u32_e32 v8, v5, v8
	v_ashrrev_i32_e32 v10, 6, v8
	v_and_b32_e32 v8, 0xffffffc0, v8
	v_sub_u32_e32 v23, v5, v8
	v_lshlrev_b32_e32 v5, 4, v23
	v_sub_u32_e32 v4, v91, v22
	v_lshl_add_u32 v5, v10, 10, v5
	v_add_u32_e32 v8, v5, v22
	v_sub_u32_e32 v27, v4, v5
	v_ashrrev_i32_e32 v5, 31, v4
	v_lshrrev_b32_e32 v5, 22, v5
	v_add_u32_e32 v5, v4, v5
	v_and_b32_e32 v24, 0xfffffc00, v5
	v_sub_u32_e32 v25, v4, v24
	v_ashrrev_i32_e32 v9, 10, v5
	v_cmp_lt_i32_e64 s[26:27], 15, v25
	s_mov_b64 s[28:29], 0
	s_nop 0
	v_addc_co_u32_e64 v4, vcc, 0, v9, s[26:27]
	v_ashrrev_i32_e32 v9, 31, v8
	v_sub_u32_e32 v26, v4, v10
	v_lshl_add_u64 v[16:17], v[8:9], 0, v[94:95]
	v_cmp_lt_i32_e32 vcc, 15, v27
	s_and_saveexec_b64 s[60:61], vcc
	s_cbranch_execz .LBB23_659
; %bb.583:                              ;   in Loop: Header=BB23_296 Depth=2
	s_trap 2
	ds_read_b64 v[4:5], v0
	s_and_b32 s28, 0xffff, s49
	s_cmp_eq_u32 s28, 0
	v_lshl_add_u64 v[18:19], v[8:9], 0, v[92:93]
	s_mov_b64 s[52:53], 0
	s_waitcnt lgkmcnt(0)
	v_lshl_add_u64 v[20:21], v[4:5], 0, v[8:9]
	s_mov_b64 s[62:63], 0
	s_cselect_b64 s[28:29], -1, 0
                                        ; implicit-def: $sgpr50_sgpr51
	s_branch .LBB23_585
.LBB23_584:                             ;   in Loop: Header=BB23_585 Depth=3
	s_or_b64 exec, exec, s[40:41]
	v_cmp_gt_i32_e32 vcc, 16, v27
	s_or_b64 s[62:63], vcc, s[62:63]
	s_andn2_b64 s[40:41], s[50:51], exec
	s_and_b64 s[42:43], s[52:53], exec
	s_or_b64 s[50:51], s[40:41], s[42:43]
	s_andn2_b64 exec, exec, s[62:63]
	s_cbranch_execz .LBB23_658
.LBB23_585:                             ;   Parent Loop BB23_47 Depth=1
                                        ;     Parent Loop BB23_296 Depth=2
                                        ; =>    This Loop Header: Depth=3
                                        ;         Child Loop BB23_586 Depth 4
                                        ;         Child Loop BB23_623 Depth 4
	s_add_i32 s40, s33, 0xc0
	s_mov_b32 s73, s40
	s_mov_b64 s[54:55], -1
	s_mov_b64 s[64:65], 0
.LBB23_586:                             ;   Parent Loop BB23_47 Depth=1
                                        ;     Parent Loop BB23_296 Depth=2
                                        ;       Parent Loop BB23_585 Depth=3
                                        ; =>      This Inner Loop Header: Depth=4
	s_cmp_eq_u32 s64, 1
	s_cselect_b64 vcc, -1, 0
	v_cndmask_b32_e32 v5, v19, v21, vcc
	v_cndmask_b32_e32 v4, v18, v20, vcc
	global_load_dwordx4 v[8:11], v[4:5], off nt
	s_cmp_eq_u32 s64, 0
	v_lshl_add_u64 v[4:5], v[4:5], 0, s[90:91]
	s_cselect_b64 s[40:41], -1, 0
	s_and_b64 s[42:43], exec, s[54:55]
	s_mov_b64 s[64:65], 1
	s_mov_b64 s[54:55], 0
	v_cndmask_b32_e64 v19, v19, v5, s[40:41]
	v_cndmask_b32_e64 v18, v18, v4, s[40:41]
	v_cndmask_b32_e32 v21, v21, v5, vcc
	v_cndmask_b32_e32 v20, v20, v4, vcc
	s_mov_b64 vcc, s[42:43]
	s_waitcnt vmcnt(0)
	scratch_store_dwordx4 off, v[8:11], s73
	s_mov_b32 s73, s84
	s_cbranch_vccnz .LBB23_586
; %bb.587:                              ;   in Loop: Header=BB23_585 Depth=3
	s_and_saveexec_b64 s[40:41], s[52:53]
	s_cbranch_execz .LBB23_621
; %bb.588:                              ;   in Loop: Header=BB23_585 Depth=3
	scratch_load_dwordx4 v[8:11], off, s33 offset:224
	scratch_load_dwordx4 v[12:15], off, s33 offset:240
                                        ; implicit-def: $vgpr32
	s_waitcnt vmcnt(1)
	v_lshlrev_b32_e32 v4, 16, v8
	s_waitcnt vmcnt(0)
	v_lshlrev_b32_e32 v5, 16, v12
	v_max_f32_e32 v5, v5, v5
	v_max_f32_e32 v4, v4, v4
	v_min_f32_e32 v28, v4, v5
	v_max_f32_e32 v4, v4, v5
	v_cndmask_b32_e64 v28, v4, v28, s[28:29]
	v_and_b32_e32 v4, 0x7f800000, v28
	v_cmp_ne_u32_e32 vcc, s97, v4
	s_and_saveexec_b64 s[42:43], vcc
	s_xor_b64 s[42:43], exec, s[42:43]
; %bb.589:                              ;   in Loop: Header=BB23_585 Depth=3
	v_bfe_u32 v4, v28, 16, 1
	v_add3_u32 v32, v28, v4, s74
                                        ; implicit-def: $vgpr28
; %bb.590:                              ;   in Loop: Header=BB23_585 Depth=3
	s_andn2_saveexec_b64 s[42:43], s[42:43]
; %bb.591:                              ;   in Loop: Header=BB23_585 Depth=3
	v_or_b32_e32 v4, 0x10000, v28
	v_cmp_eq_u32_sdwa vcc, v28, v3 src0_sel:WORD_0 src1_sel:DWORD
	s_nop 1
	v_cndmask_b32_e32 v32, v4, v28, vcc
; %bb.592:                              ;   in Loop: Header=BB23_585 Depth=3
	s_or_b64 exec, exec, s[42:43]
	v_and_b32_e32 v4, 0xffff0000, v8
	v_and_b32_e32 v5, 0xffff0000, v12
	v_max_f32_e32 v5, v5, v5
	v_max_f32_e32 v4, v4, v4
	v_min_f32_e32 v8, v4, v5
	v_max_f32_e32 v4, v4, v5
	v_cndmask_b32_e64 v12, v4, v8, s[28:29]
	v_and_b32_e32 v4, 0x7f800000, v12
	v_cmp_ne_u32_e32 vcc, s97, v4
                                        ; implicit-def: $vgpr8
	s_and_saveexec_b64 s[42:43], vcc
	s_xor_b64 s[42:43], exec, s[42:43]
; %bb.593:                              ;   in Loop: Header=BB23_585 Depth=3
	v_bfe_u32 v4, v12, 16, 1
	v_add3_u32 v8, v12, v4, s74
                                        ; implicit-def: $vgpr12
; %bb.594:                              ;   in Loop: Header=BB23_585 Depth=3
	s_andn2_saveexec_b64 s[42:43], s[42:43]
; %bb.595:                              ;   in Loop: Header=BB23_585 Depth=3
	v_or_b32_e32 v4, 0x10000, v12
	v_cmp_eq_u32_sdwa vcc, v12, v3 src0_sel:WORD_0 src1_sel:DWORD
	s_nop 1
	v_cndmask_b32_e32 v8, v4, v12, vcc
; %bb.596:                              ;   in Loop: Header=BB23_585 Depth=3
	s_or_b64 exec, exec, s[42:43]
	v_lshlrev_b32_e32 v4, 16, v9
	v_lshlrev_b32_e32 v5, 16, v13
	v_max_f32_e32 v5, v5, v5
	v_max_f32_e32 v4, v4, v4
	v_min_f32_e32 v12, v4, v5
	v_max_f32_e32 v4, v4, v5
	v_cndmask_b32_e64 v28, v4, v12, s[28:29]
	v_and_b32_e32 v4, 0x7f800000, v28
	v_cmp_ne_u32_e32 vcc, s97, v4
                                        ; implicit-def: $vgpr12
	s_and_saveexec_b64 s[42:43], vcc
	s_xor_b64 s[42:43], exec, s[42:43]
; %bb.597:                              ;   in Loop: Header=BB23_585 Depth=3
	v_bfe_u32 v4, v28, 16, 1
	v_add3_u32 v12, v28, v4, s74
                                        ; implicit-def: $vgpr28
; %bb.598:                              ;   in Loop: Header=BB23_585 Depth=3
	s_andn2_saveexec_b64 s[42:43], s[42:43]
; %bb.599:                              ;   in Loop: Header=BB23_585 Depth=3
	v_or_b32_e32 v4, 0x10000, v28
	v_cmp_eq_u32_sdwa vcc, v28, v3 src0_sel:WORD_0 src1_sel:DWORD
	s_nop 1
	v_cndmask_b32_e32 v12, v4, v28, vcc
; %bb.600:                              ;   in Loop: Header=BB23_585 Depth=3
	s_or_b64 exec, exec, s[42:43]
	v_and_b32_e32 v4, 0xffff0000, v9
	v_and_b32_e32 v5, 0xffff0000, v13
	v_max_f32_e32 v5, v5, v5
	v_max_f32_e32 v4, v4, v4
	v_min_f32_e32 v9, v4, v5
	v_max_f32_e32 v4, v4, v5
	v_cndmask_b32_e64 v13, v4, v9, s[28:29]
	v_and_b32_e32 v4, 0x7f800000, v13
	v_cmp_ne_u32_e32 vcc, s97, v4
                                        ; implicit-def: $vgpr9
	s_and_saveexec_b64 s[42:43], vcc
	s_xor_b64 s[42:43], exec, s[42:43]
; %bb.601:                              ;   in Loop: Header=BB23_585 Depth=3
	v_bfe_u32 v4, v13, 16, 1
	v_add3_u32 v9, v13, v4, s74
                                        ; implicit-def: $vgpr13
; %bb.602:                              ;   in Loop: Header=BB23_585 Depth=3
	s_andn2_saveexec_b64 s[42:43], s[42:43]
; %bb.603:                              ;   in Loop: Header=BB23_585 Depth=3
	v_or_b32_e32 v4, 0x10000, v13
	v_cmp_eq_u32_sdwa vcc, v13, v3 src0_sel:WORD_0 src1_sel:DWORD
	s_nop 1
	v_cndmask_b32_e32 v9, v4, v13, vcc
; %bb.604:                              ;   in Loop: Header=BB23_585 Depth=3
	s_or_b64 exec, exec, s[42:43]
	v_lshlrev_b32_e32 v4, 16, v10
	v_lshlrev_b32_e32 v5, 16, v14
	v_max_f32_e32 v5, v5, v5
	v_max_f32_e32 v4, v4, v4
	v_min_f32_e32 v13, v4, v5
	v_max_f32_e32 v4, v4, v5
	v_cndmask_b32_e64 v28, v4, v13, s[28:29]
	v_and_b32_e32 v4, 0x7f800000, v28
	v_cmp_ne_u32_e32 vcc, s97, v4
                                        ; implicit-def: $vgpr13
	s_and_saveexec_b64 s[42:43], vcc
	s_xor_b64 s[42:43], exec, s[42:43]
; %bb.605:                              ;   in Loop: Header=BB23_585 Depth=3
	v_bfe_u32 v4, v28, 16, 1
	v_add3_u32 v13, v28, v4, s74
                                        ; implicit-def: $vgpr28
; %bb.606:                              ;   in Loop: Header=BB23_585 Depth=3
	s_andn2_saveexec_b64 s[42:43], s[42:43]
; %bb.607:                              ;   in Loop: Header=BB23_585 Depth=3
	v_or_b32_e32 v4, 0x10000, v28
	v_cmp_eq_u32_sdwa vcc, v28, v3 src0_sel:WORD_0 src1_sel:DWORD
	s_nop 1
	v_cndmask_b32_e32 v13, v4, v28, vcc
; %bb.608:                              ;   in Loop: Header=BB23_585 Depth=3
	s_or_b64 exec, exec, s[42:43]
	v_and_b32_e32 v4, 0xffff0000, v10
	v_and_b32_e32 v5, 0xffff0000, v14
	v_max_f32_e32 v5, v5, v5
	v_max_f32_e32 v4, v4, v4
	v_min_f32_e32 v10, v4, v5
	v_max_f32_e32 v4, v4, v5
	v_cndmask_b32_e64 v14, v4, v10, s[28:29]
	v_and_b32_e32 v4, 0x7f800000, v14
	v_cmp_ne_u32_e32 vcc, s97, v4
                                        ; implicit-def: $vgpr10
	s_and_saveexec_b64 s[42:43], vcc
	s_xor_b64 s[42:43], exec, s[42:43]
; %bb.609:                              ;   in Loop: Header=BB23_585 Depth=3
	v_bfe_u32 v4, v14, 16, 1
	v_add3_u32 v10, v14, v4, s74
                                        ; implicit-def: $vgpr14
; %bb.610:                              ;   in Loop: Header=BB23_585 Depth=3
	s_andn2_saveexec_b64 s[42:43], s[42:43]
; %bb.611:                              ;   in Loop: Header=BB23_585 Depth=3
	v_or_b32_e32 v4, 0x10000, v14
	v_cmp_eq_u32_sdwa vcc, v14, v3 src0_sel:WORD_0 src1_sel:DWORD
	s_nop 1
	v_cndmask_b32_e32 v10, v4, v14, vcc
; %bb.612:                              ;   in Loop: Header=BB23_585 Depth=3
	s_or_b64 exec, exec, s[42:43]
	v_lshlrev_b32_e32 v4, 16, v11
	v_lshlrev_b32_e32 v5, 16, v15
	v_max_f32_e32 v5, v5, v5
	v_max_f32_e32 v4, v4, v4
	v_min_f32_e32 v14, v4, v5
	v_max_f32_e32 v4, v4, v5
	v_cndmask_b32_e64 v28, v4, v14, s[28:29]
	v_and_b32_e32 v4, 0x7f800000, v28
	v_cmp_ne_u32_e32 vcc, s97, v4
                                        ; implicit-def: $vgpr14
	s_and_saveexec_b64 s[42:43], vcc
	s_xor_b64 s[42:43], exec, s[42:43]
; %bb.613:                              ;   in Loop: Header=BB23_585 Depth=3
	v_bfe_u32 v4, v28, 16, 1
	v_add3_u32 v14, v28, v4, s74
                                        ; implicit-def: $vgpr28
; %bb.614:                              ;   in Loop: Header=BB23_585 Depth=3
	s_andn2_saveexec_b64 s[42:43], s[42:43]
; %bb.615:                              ;   in Loop: Header=BB23_585 Depth=3
	v_or_b32_e32 v4, 0x10000, v28
	v_cmp_eq_u32_sdwa vcc, v28, v3 src0_sel:WORD_0 src1_sel:DWORD
	s_nop 1
	v_cndmask_b32_e32 v14, v4, v28, vcc
; %bb.616:                              ;   in Loop: Header=BB23_585 Depth=3
	s_or_b64 exec, exec, s[42:43]
	v_and_b32_e32 v4, 0xffff0000, v11
	v_and_b32_e32 v5, 0xffff0000, v15
	v_max_f32_e32 v5, v5, v5
	v_max_f32_e32 v4, v4, v4
	v_min_f32_e32 v11, v4, v5
	v_max_f32_e32 v4, v4, v5
	v_cndmask_b32_e64 v15, v4, v11, s[28:29]
	v_and_b32_e32 v4, 0x7f800000, v15
	v_cmp_ne_u32_e32 vcc, s97, v4
                                        ; implicit-def: $vgpr11
	s_and_saveexec_b64 s[42:43], vcc
	s_xor_b64 s[42:43], exec, s[42:43]
; %bb.617:                              ;   in Loop: Header=BB23_585 Depth=3
	v_bfe_u32 v4, v15, 16, 1
	v_add3_u32 v11, v15, v4, s74
                                        ; implicit-def: $vgpr15
; %bb.618:                              ;   in Loop: Header=BB23_585 Depth=3
	s_andn2_saveexec_b64 s[42:43], s[42:43]
; %bb.619:                              ;   in Loop: Header=BB23_585 Depth=3
	v_or_b32_e32 v4, 0x10000, v15
	v_cmp_eq_u32_sdwa vcc, v15, v3 src0_sel:WORD_0 src1_sel:DWORD
	s_nop 1
	v_cndmask_b32_e32 v11, v4, v15, vcc
; %bb.620:                              ;   in Loop: Header=BB23_585 Depth=3
	s_or_b64 exec, exec, s[42:43]
	v_lshrrev_b32_e32 v4, 16, v12
	v_and_or_b32 v9, v9, s75, v4
	v_lshrrev_b32_e32 v4, 16, v32
	v_and_or_b32 v8, v8, s75, v4
	;; [unrolled: 2-line block ×4, first 2 shown]
	scratch_store_dwordx4 off, v[8:11], s33 offset:224
	global_store_dwordx4 v[16:17], v[8:11], off
	v_lshl_add_u64 v[16:17], v[46:47], 0, v[16:17]
.LBB23_621:                             ;   in Loop: Header=BB23_585 Depth=3
	s_or_b64 exec, exec, s[40:41]
	v_sub_u32_e32 v27, v27, v100
	v_lshl_add_u64 v[18:19], v[18:19], 0, v[116:117]
	v_lshl_add_u64 v[20:21], v[20:21], 0, v[116:117]
	v_cmp_lt_i32_e64 s[52:53], 15, v27
	s_and_saveexec_b64 s[54:55], s[52:53]
	s_cbranch_execz .LBB23_624
; %bb.622:                              ;   in Loop: Header=BB23_585 Depth=3
	s_add_i32 s40, s33, 0xe0
	s_mov_b32 s83, s40
	s_mov_b64 s[66:67], 0
	s_mov_b64 s[64:65], -1
.LBB23_623:                             ;   Parent Loop BB23_47 Depth=1
                                        ;     Parent Loop BB23_296 Depth=2
                                        ;       Parent Loop BB23_585 Depth=3
                                        ; =>      This Inner Loop Header: Depth=4
	s_cmp_eq_u32 s66, 1
	s_cselect_b64 vcc, -1, 0
	v_cndmask_b32_e32 v5, v19, v21, vcc
	v_cndmask_b32_e32 v4, v18, v20, vcc
	global_load_dwordx4 v[8:11], v[4:5], off nt
	s_cmp_eq_u32 s66, 0
	v_lshl_add_u64 v[4:5], v[4:5], 0, s[90:91]
	s_cselect_b64 s[40:41], -1, 0
	s_and_b64 s[42:43], exec, s[64:65]
	s_mov_b64 s[66:67], 1
	s_mov_b64 s[64:65], 0
	v_cndmask_b32_e64 v19, v19, v5, s[40:41]
	v_cndmask_b32_e64 v18, v18, v4, s[40:41]
	v_cndmask_b32_e32 v21, v21, v5, vcc
	v_cndmask_b32_e32 v20, v20, v4, vcc
	s_mov_b64 vcc, s[42:43]
	s_waitcnt vmcnt(0)
	scratch_store_dwordx4 off, v[8:11], s83
	s_mov_b32 s83, s72
	s_cbranch_vccnz .LBB23_623
.LBB23_624:                             ;   in Loop: Header=BB23_585 Depth=3
	s_or_b64 exec, exec, s[54:55]
	scratch_load_dwordx4 v[8:11], off, s33 offset:192
	scratch_load_dwordx4 v[12:15], off, s33 offset:208
                                        ; implicit-def: $vgpr32
	s_waitcnt vmcnt(1)
	v_lshlrev_b32_e32 v4, 16, v8
	s_waitcnt vmcnt(0)
	v_lshlrev_b32_e32 v5, 16, v12
	v_max_f32_e32 v5, v5, v5
	v_max_f32_e32 v4, v4, v4
	v_min_f32_e32 v28, v4, v5
	v_max_f32_e32 v4, v4, v5
	v_cndmask_b32_e64 v28, v4, v28, s[28:29]
	v_and_b32_e32 v4, 0x7f800000, v28
	v_cmp_ne_u32_e32 vcc, s97, v4
	s_and_saveexec_b64 s[40:41], vcc
	s_xor_b64 s[40:41], exec, s[40:41]
; %bb.625:                              ;   in Loop: Header=BB23_585 Depth=3
	v_bfe_u32 v4, v28, 16, 1
	v_add3_u32 v32, v28, v4, s74
                                        ; implicit-def: $vgpr28
; %bb.626:                              ;   in Loop: Header=BB23_585 Depth=3
	s_andn2_saveexec_b64 s[40:41], s[40:41]
; %bb.627:                              ;   in Loop: Header=BB23_585 Depth=3
	v_or_b32_e32 v4, 0x10000, v28
	v_cmp_eq_u32_sdwa vcc, v28, v3 src0_sel:WORD_0 src1_sel:DWORD
	s_nop 1
	v_cndmask_b32_e32 v32, v4, v28, vcc
; %bb.628:                              ;   in Loop: Header=BB23_585 Depth=3
	s_or_b64 exec, exec, s[40:41]
	v_and_b32_e32 v4, 0xffff0000, v8
	v_and_b32_e32 v5, 0xffff0000, v12
	v_max_f32_e32 v5, v5, v5
	v_max_f32_e32 v4, v4, v4
	v_min_f32_e32 v8, v4, v5
	v_max_f32_e32 v4, v4, v5
	v_cndmask_b32_e64 v12, v4, v8, s[28:29]
	v_and_b32_e32 v4, 0x7f800000, v12
	v_cmp_ne_u32_e32 vcc, s97, v4
                                        ; implicit-def: $vgpr8
	s_and_saveexec_b64 s[40:41], vcc
	s_xor_b64 s[40:41], exec, s[40:41]
; %bb.629:                              ;   in Loop: Header=BB23_585 Depth=3
	v_bfe_u32 v4, v12, 16, 1
	v_add3_u32 v8, v12, v4, s74
                                        ; implicit-def: $vgpr12
; %bb.630:                              ;   in Loop: Header=BB23_585 Depth=3
	s_andn2_saveexec_b64 s[40:41], s[40:41]
; %bb.631:                              ;   in Loop: Header=BB23_585 Depth=3
	v_or_b32_e32 v4, 0x10000, v12
	v_cmp_eq_u32_sdwa vcc, v12, v3 src0_sel:WORD_0 src1_sel:DWORD
	s_nop 1
	v_cndmask_b32_e32 v8, v4, v12, vcc
; %bb.632:                              ;   in Loop: Header=BB23_585 Depth=3
	s_or_b64 exec, exec, s[40:41]
	v_lshlrev_b32_e32 v4, 16, v9
	v_lshlrev_b32_e32 v5, 16, v13
	v_max_f32_e32 v5, v5, v5
	v_max_f32_e32 v4, v4, v4
	v_min_f32_e32 v12, v4, v5
	v_max_f32_e32 v4, v4, v5
	v_cndmask_b32_e64 v28, v4, v12, s[28:29]
	v_and_b32_e32 v4, 0x7f800000, v28
	v_cmp_ne_u32_e32 vcc, s97, v4
                                        ; implicit-def: $vgpr12
	s_and_saveexec_b64 s[40:41], vcc
	s_xor_b64 s[40:41], exec, s[40:41]
; %bb.633:                              ;   in Loop: Header=BB23_585 Depth=3
	v_bfe_u32 v4, v28, 16, 1
	v_add3_u32 v12, v28, v4, s74
                                        ; implicit-def: $vgpr28
; %bb.634:                              ;   in Loop: Header=BB23_585 Depth=3
	s_andn2_saveexec_b64 s[40:41], s[40:41]
; %bb.635:                              ;   in Loop: Header=BB23_585 Depth=3
	v_or_b32_e32 v4, 0x10000, v28
	v_cmp_eq_u32_sdwa vcc, v28, v3 src0_sel:WORD_0 src1_sel:DWORD
	s_nop 1
	v_cndmask_b32_e32 v12, v4, v28, vcc
; %bb.636:                              ;   in Loop: Header=BB23_585 Depth=3
	s_or_b64 exec, exec, s[40:41]
	v_and_b32_e32 v4, 0xffff0000, v9
	v_and_b32_e32 v5, 0xffff0000, v13
	v_max_f32_e32 v5, v5, v5
	v_max_f32_e32 v4, v4, v4
	v_min_f32_e32 v9, v4, v5
	v_max_f32_e32 v4, v4, v5
	v_cndmask_b32_e64 v13, v4, v9, s[28:29]
	v_and_b32_e32 v4, 0x7f800000, v13
	v_cmp_ne_u32_e32 vcc, s97, v4
                                        ; implicit-def: $vgpr9
	s_and_saveexec_b64 s[40:41], vcc
	s_xor_b64 s[40:41], exec, s[40:41]
; %bb.637:                              ;   in Loop: Header=BB23_585 Depth=3
	v_bfe_u32 v4, v13, 16, 1
	v_add3_u32 v9, v13, v4, s74
                                        ; implicit-def: $vgpr13
; %bb.638:                              ;   in Loop: Header=BB23_585 Depth=3
	s_andn2_saveexec_b64 s[40:41], s[40:41]
; %bb.639:                              ;   in Loop: Header=BB23_585 Depth=3
	v_or_b32_e32 v4, 0x10000, v13
	v_cmp_eq_u32_sdwa vcc, v13, v3 src0_sel:WORD_0 src1_sel:DWORD
	s_nop 1
	v_cndmask_b32_e32 v9, v4, v13, vcc
; %bb.640:                              ;   in Loop: Header=BB23_585 Depth=3
	s_or_b64 exec, exec, s[40:41]
	v_lshlrev_b32_e32 v4, 16, v10
	v_lshlrev_b32_e32 v5, 16, v14
	v_max_f32_e32 v5, v5, v5
	v_max_f32_e32 v4, v4, v4
	v_min_f32_e32 v13, v4, v5
	v_max_f32_e32 v4, v4, v5
	v_cndmask_b32_e64 v28, v4, v13, s[28:29]
	v_and_b32_e32 v4, 0x7f800000, v28
	v_cmp_ne_u32_e32 vcc, s97, v4
                                        ; implicit-def: $vgpr13
	s_and_saveexec_b64 s[40:41], vcc
	s_xor_b64 s[40:41], exec, s[40:41]
; %bb.641:                              ;   in Loop: Header=BB23_585 Depth=3
	v_bfe_u32 v4, v28, 16, 1
	v_add3_u32 v13, v28, v4, s74
                                        ; implicit-def: $vgpr28
; %bb.642:                              ;   in Loop: Header=BB23_585 Depth=3
	s_andn2_saveexec_b64 s[40:41], s[40:41]
; %bb.643:                              ;   in Loop: Header=BB23_585 Depth=3
	v_or_b32_e32 v4, 0x10000, v28
	v_cmp_eq_u32_sdwa vcc, v28, v3 src0_sel:WORD_0 src1_sel:DWORD
	s_nop 1
	v_cndmask_b32_e32 v13, v4, v28, vcc
; %bb.644:                              ;   in Loop: Header=BB23_585 Depth=3
	s_or_b64 exec, exec, s[40:41]
	v_and_b32_e32 v4, 0xffff0000, v10
	v_and_b32_e32 v5, 0xffff0000, v14
	v_max_f32_e32 v5, v5, v5
	v_max_f32_e32 v4, v4, v4
	v_min_f32_e32 v10, v4, v5
	v_max_f32_e32 v4, v4, v5
	v_cndmask_b32_e64 v14, v4, v10, s[28:29]
	v_and_b32_e32 v4, 0x7f800000, v14
	v_cmp_ne_u32_e32 vcc, s97, v4
                                        ; implicit-def: $vgpr10
	s_and_saveexec_b64 s[40:41], vcc
	s_xor_b64 s[40:41], exec, s[40:41]
; %bb.645:                              ;   in Loop: Header=BB23_585 Depth=3
	v_bfe_u32 v4, v14, 16, 1
	v_add3_u32 v10, v14, v4, s74
                                        ; implicit-def: $vgpr14
; %bb.646:                              ;   in Loop: Header=BB23_585 Depth=3
	s_andn2_saveexec_b64 s[40:41], s[40:41]
; %bb.647:                              ;   in Loop: Header=BB23_585 Depth=3
	v_or_b32_e32 v4, 0x10000, v14
	v_cmp_eq_u32_sdwa vcc, v14, v3 src0_sel:WORD_0 src1_sel:DWORD
	s_nop 1
	v_cndmask_b32_e32 v10, v4, v14, vcc
; %bb.648:                              ;   in Loop: Header=BB23_585 Depth=3
	s_or_b64 exec, exec, s[40:41]
	v_lshlrev_b32_e32 v4, 16, v11
	v_lshlrev_b32_e32 v5, 16, v15
	v_max_f32_e32 v5, v5, v5
	v_max_f32_e32 v4, v4, v4
	v_min_f32_e32 v14, v4, v5
	v_max_f32_e32 v4, v4, v5
	v_cndmask_b32_e64 v28, v4, v14, s[28:29]
	v_and_b32_e32 v4, 0x7f800000, v28
	v_cmp_ne_u32_e32 vcc, s97, v4
                                        ; implicit-def: $vgpr14
	s_and_saveexec_b64 s[40:41], vcc
	s_xor_b64 s[40:41], exec, s[40:41]
; %bb.649:                              ;   in Loop: Header=BB23_585 Depth=3
	v_bfe_u32 v4, v28, 16, 1
	v_add3_u32 v14, v28, v4, s74
                                        ; implicit-def: $vgpr28
; %bb.650:                              ;   in Loop: Header=BB23_585 Depth=3
	s_andn2_saveexec_b64 s[40:41], s[40:41]
; %bb.651:                              ;   in Loop: Header=BB23_585 Depth=3
	v_or_b32_e32 v4, 0x10000, v28
	v_cmp_eq_u32_sdwa vcc, v28, v3 src0_sel:WORD_0 src1_sel:DWORD
	s_nop 1
	v_cndmask_b32_e32 v14, v4, v28, vcc
; %bb.652:                              ;   in Loop: Header=BB23_585 Depth=3
	s_or_b64 exec, exec, s[40:41]
	v_and_b32_e32 v4, 0xffff0000, v11
	v_and_b32_e32 v5, 0xffff0000, v15
	v_max_f32_e32 v5, v5, v5
	v_max_f32_e32 v4, v4, v4
	v_min_f32_e32 v11, v4, v5
	v_max_f32_e32 v4, v4, v5
	v_cndmask_b32_e64 v15, v4, v11, s[28:29]
	v_and_b32_e32 v4, 0x7f800000, v15
	v_cmp_ne_u32_e32 vcc, s97, v4
                                        ; implicit-def: $vgpr11
	s_and_saveexec_b64 s[40:41], vcc
	s_xor_b64 s[40:41], exec, s[40:41]
; %bb.653:                              ;   in Loop: Header=BB23_585 Depth=3
	v_bfe_u32 v4, v15, 16, 1
	v_add3_u32 v11, v15, v4, s74
                                        ; implicit-def: $vgpr15
; %bb.654:                              ;   in Loop: Header=BB23_585 Depth=3
	s_andn2_saveexec_b64 s[40:41], s[40:41]
; %bb.655:                              ;   in Loop: Header=BB23_585 Depth=3
	v_or_b32_e32 v4, 0x10000, v15
	v_cmp_eq_u32_sdwa vcc, v15, v3 src0_sel:WORD_0 src1_sel:DWORD
	s_nop 1
	v_cndmask_b32_e32 v11, v4, v15, vcc
; %bb.656:                              ;   in Loop: Header=BB23_585 Depth=3
	s_or_b64 exec, exec, s[40:41]
	v_lshrrev_b32_e32 v4, 16, v12
	v_and_or_b32 v9, v9, s75, v4
	v_lshrrev_b32_e32 v4, 16, v32
	v_and_or_b32 v8, v8, s75, v4
	v_lshrrev_b32_e32 v4, 16, v13
	v_and_or_b32 v10, v10, s75, v4
	v_lshrrev_b32_e32 v4, 16, v14
	v_and_or_b32 v11, v11, s75, v4
	v_sub_u32_e32 v26, v26, v84
	scratch_store_dwordx4 off, v[8:11], s33 offset:192
	global_store_dwordx4 v[16:17], v[8:11], off
	v_lshl_add_u64 v[16:17], v[16:17], 0, s[90:91]
	s_and_saveexec_b64 s[40:41], s[52:53]
	s_cbranch_execz .LBB23_584
; %bb.657:                              ;   in Loop: Header=BB23_585 Depth=3
	v_lshl_add_u64 v[18:19], v[18:19], 0, v[116:117]
	v_lshl_add_u64 v[20:21], v[20:21], 0, v[116:117]
	;; [unrolled: 1-line block ×3, first 2 shown]
	v_sub_u32_e32 v27, v27, v100
	v_sub_u32_e32 v26, v26, v84
	s_branch .LBB23_584
.LBB23_658:                             ;   in Loop: Header=BB23_296 Depth=2
	s_or_b64 exec, exec, s[62:63]
	s_and_b64 s[28:29], s[50:51], exec
.LBB23_659:                             ;   in Loop: Header=BB23_296 Depth=2
	s_or_b64 exec, exec, s[60:61]
	s_and_saveexec_b64 s[40:41], s[28:29]
	s_cbranch_execz .LBB23_693
; %bb.660:                              ;   in Loop: Header=BB23_296 Depth=2
	scratch_load_dwordx4 v[8:11], off, s33 offset:224
	scratch_load_dwordx4 v[12:15], off, s33 offset:240
	s_and_b32 s28, 0xffff, s49
	s_cmp_eq_u32 s28, 0
	s_cselect_b64 vcc, -1, 0
	s_waitcnt vmcnt(0)
	v_lshlrev_b32_e32 v4, 16, v8
	v_lshlrev_b32_e32 v5, 16, v12
	v_max_f32_e32 v5, v5, v5
	v_max_f32_e32 v4, v4, v4
	v_min_f32_e32 v18, v4, v5
	v_max_f32_e32 v4, v4, v5
	v_cndmask_b32_e32 v19, v4, v18, vcc
	v_and_b32_e32 v4, 0x7f800000, v19
	v_cmp_ne_u32_e64 s[28:29], s97, v4
                                        ; implicit-def: $vgpr18
	s_and_saveexec_b64 s[42:43], s[28:29]
	s_xor_b64 s[28:29], exec, s[42:43]
; %bb.661:                              ;   in Loop: Header=BB23_296 Depth=2
	v_bfe_u32 v4, v19, 16, 1
	v_add3_u32 v18, v19, v4, s74
                                        ; implicit-def: $vgpr19
; %bb.662:                              ;   in Loop: Header=BB23_296 Depth=2
	s_andn2_saveexec_b64 s[42:43], s[28:29]
; %bb.663:                              ;   in Loop: Header=BB23_296 Depth=2
	v_or_b32_e32 v4, 0x10000, v19
	v_cmp_eq_u32_sdwa s[28:29], v19, v3 src0_sel:WORD_0 src1_sel:DWORD
	s_nop 1
	v_cndmask_b32_e64 v18, v4, v19, s[28:29]
; %bb.664:                              ;   in Loop: Header=BB23_296 Depth=2
	s_or_b64 exec, exec, s[42:43]
	v_and_b32_e32 v4, 0xffff0000, v8
	v_and_b32_e32 v5, 0xffff0000, v12
	v_max_f32_e32 v5, v5, v5
	v_max_f32_e32 v4, v4, v4
	v_min_f32_e32 v8, v4, v5
	v_max_f32_e32 v4, v4, v5
	v_cndmask_b32_e32 v12, v4, v8, vcc
	v_and_b32_e32 v4, 0x7f800000, v12
	v_cmp_ne_u32_e64 s[28:29], s97, v4
                                        ; implicit-def: $vgpr8
	s_and_saveexec_b64 s[42:43], s[28:29]
	s_xor_b64 s[28:29], exec, s[42:43]
; %bb.665:                              ;   in Loop: Header=BB23_296 Depth=2
	v_bfe_u32 v4, v12, 16, 1
	v_add3_u32 v8, v12, v4, s74
                                        ; implicit-def: $vgpr12
; %bb.666:                              ;   in Loop: Header=BB23_296 Depth=2
	s_andn2_saveexec_b64 s[42:43], s[28:29]
; %bb.667:                              ;   in Loop: Header=BB23_296 Depth=2
	v_or_b32_e32 v4, 0x10000, v12
	v_cmp_eq_u32_sdwa s[28:29], v12, v3 src0_sel:WORD_0 src1_sel:DWORD
	s_nop 1
	v_cndmask_b32_e64 v8, v4, v12, s[28:29]
; %bb.668:                              ;   in Loop: Header=BB23_296 Depth=2
	s_or_b64 exec, exec, s[42:43]
	v_lshlrev_b32_e32 v4, 16, v9
	v_lshlrev_b32_e32 v5, 16, v13
	v_max_f32_e32 v5, v5, v5
	v_max_f32_e32 v4, v4, v4
	v_min_f32_e32 v12, v4, v5
	v_max_f32_e32 v4, v4, v5
	v_cndmask_b32_e32 v19, v4, v12, vcc
	v_and_b32_e32 v4, 0x7f800000, v19
	v_cmp_ne_u32_e64 s[28:29], s97, v4
                                        ; implicit-def: $vgpr12
	s_and_saveexec_b64 s[42:43], s[28:29]
	s_xor_b64 s[28:29], exec, s[42:43]
; %bb.669:                              ;   in Loop: Header=BB23_296 Depth=2
	v_bfe_u32 v4, v19, 16, 1
	v_add3_u32 v12, v19, v4, s74
                                        ; implicit-def: $vgpr19
; %bb.670:                              ;   in Loop: Header=BB23_296 Depth=2
	s_andn2_saveexec_b64 s[42:43], s[28:29]
; %bb.671:                              ;   in Loop: Header=BB23_296 Depth=2
	v_or_b32_e32 v4, 0x10000, v19
	v_cmp_eq_u32_sdwa s[28:29], v19, v3 src0_sel:WORD_0 src1_sel:DWORD
	s_nop 1
	v_cndmask_b32_e64 v12, v4, v19, s[28:29]
; %bb.672:                              ;   in Loop: Header=BB23_296 Depth=2
	s_or_b64 exec, exec, s[42:43]
	v_and_b32_e32 v4, 0xffff0000, v9
	v_and_b32_e32 v5, 0xffff0000, v13
	v_max_f32_e32 v5, v5, v5
	v_max_f32_e32 v4, v4, v4
	v_min_f32_e32 v9, v4, v5
	v_max_f32_e32 v4, v4, v5
	v_cndmask_b32_e32 v13, v4, v9, vcc
	v_and_b32_e32 v4, 0x7f800000, v13
	v_cmp_ne_u32_e64 s[28:29], s97, v4
                                        ; implicit-def: $vgpr9
	s_and_saveexec_b64 s[42:43], s[28:29]
	s_xor_b64 s[28:29], exec, s[42:43]
; %bb.673:                              ;   in Loop: Header=BB23_296 Depth=2
	v_bfe_u32 v4, v13, 16, 1
	v_add3_u32 v9, v13, v4, s74
                                        ; implicit-def: $vgpr13
; %bb.674:                              ;   in Loop: Header=BB23_296 Depth=2
	s_andn2_saveexec_b64 s[42:43], s[28:29]
; %bb.675:                              ;   in Loop: Header=BB23_296 Depth=2
	v_or_b32_e32 v4, 0x10000, v13
	v_cmp_eq_u32_sdwa s[28:29], v13, v3 src0_sel:WORD_0 src1_sel:DWORD
	s_nop 1
	v_cndmask_b32_e64 v9, v4, v13, s[28:29]
; %bb.676:                              ;   in Loop: Header=BB23_296 Depth=2
	s_or_b64 exec, exec, s[42:43]
	v_lshlrev_b32_e32 v4, 16, v10
	v_lshlrev_b32_e32 v5, 16, v14
	v_max_f32_e32 v5, v5, v5
	v_max_f32_e32 v4, v4, v4
	v_min_f32_e32 v13, v4, v5
	v_max_f32_e32 v4, v4, v5
	v_cndmask_b32_e32 v19, v4, v13, vcc
	v_and_b32_e32 v4, 0x7f800000, v19
	v_cmp_ne_u32_e64 s[28:29], s97, v4
                                        ; implicit-def: $vgpr13
	s_and_saveexec_b64 s[42:43], s[28:29]
	s_xor_b64 s[28:29], exec, s[42:43]
; %bb.677:                              ;   in Loop: Header=BB23_296 Depth=2
	v_bfe_u32 v4, v19, 16, 1
	v_add3_u32 v13, v19, v4, s74
                                        ; implicit-def: $vgpr19
; %bb.678:                              ;   in Loop: Header=BB23_296 Depth=2
	s_andn2_saveexec_b64 s[42:43], s[28:29]
; %bb.679:                              ;   in Loop: Header=BB23_296 Depth=2
	v_or_b32_e32 v4, 0x10000, v19
	v_cmp_eq_u32_sdwa s[28:29], v19, v3 src0_sel:WORD_0 src1_sel:DWORD
	s_nop 1
	v_cndmask_b32_e64 v13, v4, v19, s[28:29]
; %bb.680:                              ;   in Loop: Header=BB23_296 Depth=2
	s_or_b64 exec, exec, s[42:43]
	v_and_b32_e32 v4, 0xffff0000, v10
	v_and_b32_e32 v5, 0xffff0000, v14
	v_max_f32_e32 v5, v5, v5
	v_max_f32_e32 v4, v4, v4
	v_min_f32_e32 v10, v4, v5
	v_max_f32_e32 v4, v4, v5
	v_cndmask_b32_e32 v14, v4, v10, vcc
	v_and_b32_e32 v4, 0x7f800000, v14
	v_cmp_ne_u32_e64 s[28:29], s97, v4
                                        ; implicit-def: $vgpr10
	s_and_saveexec_b64 s[42:43], s[28:29]
	s_xor_b64 s[28:29], exec, s[42:43]
; %bb.681:                              ;   in Loop: Header=BB23_296 Depth=2
	v_bfe_u32 v4, v14, 16, 1
	v_add3_u32 v10, v14, v4, s74
                                        ; implicit-def: $vgpr14
; %bb.682:                              ;   in Loop: Header=BB23_296 Depth=2
	s_andn2_saveexec_b64 s[42:43], s[28:29]
; %bb.683:                              ;   in Loop: Header=BB23_296 Depth=2
	v_or_b32_e32 v4, 0x10000, v14
	v_cmp_eq_u32_sdwa s[28:29], v14, v3 src0_sel:WORD_0 src1_sel:DWORD
	s_nop 1
	v_cndmask_b32_e64 v10, v4, v14, s[28:29]
; %bb.684:                              ;   in Loop: Header=BB23_296 Depth=2
	s_or_b64 exec, exec, s[42:43]
	v_lshlrev_b32_e32 v4, 16, v11
	v_lshlrev_b32_e32 v5, 16, v15
	v_max_f32_e32 v5, v5, v5
	v_max_f32_e32 v4, v4, v4
	v_min_f32_e32 v14, v4, v5
	v_max_f32_e32 v4, v4, v5
	v_cndmask_b32_e32 v19, v4, v14, vcc
	v_and_b32_e32 v4, 0x7f800000, v19
	v_cmp_ne_u32_e64 s[28:29], s97, v4
                                        ; implicit-def: $vgpr14
	s_and_saveexec_b64 s[42:43], s[28:29]
	s_xor_b64 s[28:29], exec, s[42:43]
; %bb.685:                              ;   in Loop: Header=BB23_296 Depth=2
	v_bfe_u32 v4, v19, 16, 1
	v_add3_u32 v14, v19, v4, s74
                                        ; implicit-def: $vgpr19
; %bb.686:                              ;   in Loop: Header=BB23_296 Depth=2
	s_andn2_saveexec_b64 s[42:43], s[28:29]
; %bb.687:                              ;   in Loop: Header=BB23_296 Depth=2
	v_or_b32_e32 v4, 0x10000, v19
	v_cmp_eq_u32_sdwa s[28:29], v19, v3 src0_sel:WORD_0 src1_sel:DWORD
	s_nop 1
	v_cndmask_b32_e64 v14, v4, v19, s[28:29]
; %bb.688:                              ;   in Loop: Header=BB23_296 Depth=2
	s_or_b64 exec, exec, s[42:43]
	v_and_b32_e32 v4, 0xffff0000, v11
	v_and_b32_e32 v5, 0xffff0000, v15
	v_max_f32_e32 v5, v5, v5
	v_max_f32_e32 v4, v4, v4
	v_min_f32_e32 v11, v4, v5
	v_max_f32_e32 v4, v4, v5
	v_cndmask_b32_e32 v15, v4, v11, vcc
	v_and_b32_e32 v4, 0x7f800000, v15
	v_cmp_ne_u32_e32 vcc, s97, v4
                                        ; implicit-def: $vgpr11
	s_and_saveexec_b64 s[28:29], vcc
	s_xor_b64 s[28:29], exec, s[28:29]
; %bb.689:                              ;   in Loop: Header=BB23_296 Depth=2
	v_bfe_u32 v4, v15, 16, 1
	v_add3_u32 v11, v15, v4, s74
                                        ; implicit-def: $vgpr15
; %bb.690:                              ;   in Loop: Header=BB23_296 Depth=2
	s_andn2_saveexec_b64 s[28:29], s[28:29]
; %bb.691:                              ;   in Loop: Header=BB23_296 Depth=2
	v_or_b32_e32 v4, 0x10000, v15
	v_cmp_eq_u32_sdwa vcc, v15, v3 src0_sel:WORD_0 src1_sel:DWORD
	s_nop 1
	v_cndmask_b32_e32 v11, v4, v15, vcc
; %bb.692:                              ;   in Loop: Header=BB23_296 Depth=2
	s_or_b64 exec, exec, s[28:29]
	v_lshrrev_b32_e32 v4, 16, v12
	v_and_or_b32 v9, v9, s75, v4
	v_lshrrev_b32_e32 v4, 16, v18
	v_and_or_b32 v8, v8, s75, v4
	;; [unrolled: 2-line block ×4, first 2 shown]
	global_store_dwordx4 v[16:17], v[8:11], off
.LBB23_693:                             ;   in Loop: Header=BB23_296 Depth=2
	s_or_b64 exec, exec, s[40:41]
	s_nop 0
	v_and_b32_e32 v9, 14, v91
	v_cndmask_b32_e64 v91, v25, v9, s[26:27]
	v_cmp_ne_u32_e32 vcc, 0, v91
	s_mov_b64 s[40:41], s[56:57]
                                        ; implicit-def: $vgpr14
                                        ; implicit-def: $vgpr8
                                        ; implicit-def: $vgpr15
	s_and_saveexec_b64 s[28:29], vcc
	s_cbranch_execz .LBB23_695
; %bb.694:                              ;   in Loop: Header=BB23_296 Depth=2
	v_sub_u32_e32 v4, v25, v9
	v_cndmask_b32_e64 v4, 0, v4, s[26:27]
	v_cmp_lt_i32_e32 vcc, 0, v26
	v_add3_u32 v14, v24, v22, v4
	s_or_b64 s[40:41], s[56:57], exec
	v_cndmask_b32_e32 v4, 0, v84, vcc
	v_sub_u32_e32 v4, v4, v26
	v_lshl_add_u32 v8, v4, 6, v23
	v_ashrrev_i32_e32 v4, 31, v8
	v_lshrrev_b32_e32 v4, 26, v4
	v_add_u32_e32 v4, v8, v4
	v_and_b32_e32 v4, 0xffffffc0, v4
	v_sub_u32_e32 v15, v8, v4
.LBB23_695:                             ;   in Loop: Header=BB23_296 Depth=2
	s_or_b64 exec, exec, s[28:29]
	s_andn2_b64 s[26:27], s[56:57], exec
	s_and_b64 s[28:29], s[40:41], exec
	s_or_b64 s[56:57], s[26:27], s[28:29]
.LBB23_696:                             ;   in Loop: Header=BB23_296 Depth=2
	s_or_b64 exec, exec, s[58:59]
	s_and_saveexec_b64 s[42:43], s[56:57]
	s_cbranch_execz .LBB23_828
.LBB23_697:                             ;   in Loop: Header=BB23_296 Depth=2
	v_ashrrev_i32_e32 v4, 31, v8
	v_lshrrev_b32_e32 v4, 26, v4
	v_add_u32_e32 v4, v8, v4
	v_ashrrev_i32_e32 v4, 6, v4
	v_lshlrev_b32_e32 v5, 10, v4
	v_lshlrev_b32_e32 v8, 1, v15
	v_add3_u32 v12, v14, v8, v5
	v_ashrrev_i32_e32 v5, 31, v91
	v_lshrrev_b32_e32 v5, 22, v5
	v_add_u32_e32 v5, v91, v5
	v_ashrrev_i32_e32 v16, 10, v5
	v_ashrrev_i32_e32 v13, 31, v12
	v_sub_u32_e32 v17, v16, v4
	v_lshl_add_u64 v[8:9], v[94:95], 0, v[12:13]
	v_cmp_lt_i32_e32 vcc, 0, v17
	v_mov_b32_e32 v48, 0
	s_mov_b64 s[26:27], 0
	v_mov_b32_e32 v37, 0
	v_mov_b32_e32 v34, 0
	v_mov_b32_e32 v29, 0
	v_mov_b32_e32 v28, 0
	v_mov_b32_e32 v20, 0
	v_mov_b32_e32 v18, 0
	v_mov_b32_e32 v10, 0
	v_mov_b32_e32 v50, 0
	v_mov_b32_e32 v39, 0
	v_mov_b32_e32 v36, 0
	v_mov_b32_e32 v33, 0
	v_mov_b32_e32 v22, 0
	v_mov_b32_e32 v21, 0
	v_mov_b32_e32 v19, 0
	v_mov_b32_e32 v11, 0
	s_and_saveexec_b64 s[28:29], vcc
	s_cbranch_execz .LBB23_769
; %bb.698:                              ;   in Loop: Header=BB23_296 Depth=2
	s_trap 2
	ds_read_b64 v[4:5], v0
	s_and_b32 s26, s49, 0xff
	s_cmp_eq_u32 s26, 0
	v_lshl_add_u64 v[10:11], v[12:13], 0, v[92:93]
	s_mov_b64 s[58:59], 0
	s_waitcnt lgkmcnt(0)
	v_lshl_add_u64 v[12:13], v[4:5], 0, v[12:13]
	s_mov_b64 s[56:57], 0
	s_cselect_b64 vcc, -1, 0
                                        ; implicit-def: $sgpr40_sgpr41
                                        ; implicit-def: $vgpr104
                                        ; implicit-def: $vgpr54
                                        ; implicit-def: $vgpr49
                                        ; implicit-def: $vgpr38
                                        ; implicit-def: $vgpr35
                                        ; implicit-def: $vgpr32
                                        ; implicit-def: $vgpr27
                                        ; implicit-def: $vgpr26
                                        ; implicit-def: $vgpr18
                                        ; implicit-def: $vgpr19
                                        ; implicit-def: $vgpr20
                                        ; implicit-def: $vgpr21
                                        ; implicit-def: $vgpr22
                                        ; implicit-def: $vgpr23
                                        ; implicit-def: $vgpr24
                                        ; implicit-def: $vgpr25
	s_branch .LBB23_700
.LBB23_699:                             ;   in Loop: Header=BB23_700 Depth=3
	s_or_b64 exec, exec, s[60:61]
	v_lshl_add_u64 v[4:5], v[10:11], 0, v[116:117]
	v_cndmask_b32_e64 v10, v10, v4, s[58:59]
	v_cndmask_b32_e64 v4, 0, v84, s[58:59]
	v_sub_u32_e32 v17, v17, v4
	v_cmp_gt_i32_e64 s[26:27], 1, v17
	v_mov_b32_e32 v31, 0x400
	s_or_b64 s[56:57], s[26:27], s[56:57]
	flat_store_short_d16_hi v[8:9], v98 nt
	flat_store_short_d16_hi v[8:9], v99 offset:128 nt
	flat_store_short_d16_hi v[8:9], v28 offset:256 nt
	;; [unrolled: 1-line block ×7, first 2 shown]
	v_lshl_add_u64 v[28:29], v[12:13], 0, v[116:117]
	v_cndmask_b32_e64 v37, 0, v47, s[58:59]
	v_cndmask_b32_e64 v36, v31, v46, s[58:59]
	s_andn2_b64 s[26:27], s[40:41], exec
	s_and_b64 s[40:41], s[58:59], exec
	v_lshl_add_u64 v[8:9], v[8:9], 0, v[36:37]
	v_cndmask_b32_e64 v11, v11, v5, s[58:59]
	v_cndmask_b32_e64 v13, v13, v29, s[58:59]
	;; [unrolled: 1-line block ×3, first 2 shown]
	s_or_b64 s[40:41], s[26:27], s[40:41]
	s_andn2_b64 exec, exec, s[56:57]
	s_cbranch_execz .LBB23_768
.LBB23_700:                             ;   Parent Loop BB23_47 Depth=1
                                        ;     Parent Loop BB23_296 Depth=2
                                        ; =>    This Inner Loop Header: Depth=3
	flat_load_ushort v107, v[10:11] nt
	flat_load_ushort v62, v[10:11] offset:128 nt
	flat_load_ushort v105, v[10:11] offset:256 nt
	;; [unrolled: 1-line block ×7, first 2 shown]
	flat_load_ushort v108, v[12:13] nt
	flat_load_ushort v63, v[12:13] offset:128 nt
	flat_load_ushort v106, v[12:13] offset:256 nt
	;; [unrolled: 1-line block ×7, first 2 shown]
	s_and_saveexec_b64 s[60:61], s[58:59]
	s_cbranch_execz .LBB23_734
; %bb.701:                              ;   in Loop: Header=BB23_700 Depth=3
	v_lshlrev_b32_e32 v4, 16, v104
	v_lshlrev_b32_e32 v5, 16, v18
	v_max_f32_e32 v5, v5, v5
	v_max_f32_e32 v4, v4, v4
	v_min_f32_e32 v28, v4, v5
	v_max_f32_e32 v4, v4, v5
	v_cndmask_b32_e32 v28, v4, v28, vcc
	v_and_b32_e32 v4, 0x7f800000, v28
	v_cmp_ne_u32_e64 s[26:27], s97, v4
                                        ; implicit-def: $vgpr98
	s_and_saveexec_b64 s[58:59], s[26:27]
	s_xor_b64 s[26:27], exec, s[58:59]
; %bb.702:                              ;   in Loop: Header=BB23_700 Depth=3
	v_bfe_u32 v4, v28, 16, 1
	v_add3_u32 v98, v28, v4, s74
                                        ; implicit-def: $vgpr28
; %bb.703:                              ;   in Loop: Header=BB23_700 Depth=3
	s_andn2_saveexec_b64 s[58:59], s[26:27]
; %bb.704:                              ;   in Loop: Header=BB23_700 Depth=3
	v_or_b32_e32 v4, 0x10000, v28
	v_cmp_eq_u32_sdwa s[26:27], v28, v3 src0_sel:WORD_0 src1_sel:DWORD
	s_nop 1
	v_cndmask_b32_e64 v98, v4, v28, s[26:27]
; %bb.705:                              ;   in Loop: Header=BB23_700 Depth=3
	s_or_b64 exec, exec, s[58:59]
	v_lshlrev_b32_e32 v4, 16, v54
	v_lshlrev_b32_e32 v5, 16, v19
	v_max_f32_e32 v5, v5, v5
	v_max_f32_e32 v4, v4, v4
	v_min_f32_e32 v28, v4, v5
	v_max_f32_e32 v4, v4, v5
	v_cndmask_b32_e32 v28, v4, v28, vcc
	v_and_b32_e32 v4, 0x7f800000, v28
	v_cmp_ne_u32_e64 s[26:27], s97, v4
                                        ; implicit-def: $vgpr54
	s_and_saveexec_b64 s[58:59], s[26:27]
	s_xor_b64 s[26:27], exec, s[58:59]
; %bb.706:                              ;   in Loop: Header=BB23_700 Depth=3
	v_bfe_u32 v4, v28, 16, 1
	v_add3_u32 v54, v28, v4, s74
                                        ; implicit-def: $vgpr28
; %bb.707:                              ;   in Loop: Header=BB23_700 Depth=3
	s_andn2_saveexec_b64 s[58:59], s[26:27]
; %bb.708:                              ;   in Loop: Header=BB23_700 Depth=3
	v_or_b32_e32 v4, 0x10000, v28
	v_cmp_eq_u32_sdwa s[26:27], v28, v3 src0_sel:WORD_0 src1_sel:DWORD
	s_nop 1
	v_cndmask_b32_e64 v54, v4, v28, s[26:27]
; %bb.709:                              ;   in Loop: Header=BB23_700 Depth=3
	s_or_b64 exec, exec, s[58:59]
	v_lshlrev_b32_e32 v4, 16, v49
	v_lshlrev_b32_e32 v5, 16, v20
	v_max_f32_e32 v5, v5, v5
	v_max_f32_e32 v4, v4, v4
	v_min_f32_e32 v28, v4, v5
	v_max_f32_e32 v4, v4, v5
	v_cndmask_b32_e32 v29, v4, v28, vcc
	v_and_b32_e32 v4, 0x7f800000, v29
	v_cmp_ne_u32_e64 s[26:27], s97, v4
                                        ; implicit-def: $vgpr28
	s_and_saveexec_b64 s[58:59], s[26:27]
	s_xor_b64 s[26:27], exec, s[58:59]
; %bb.710:                              ;   in Loop: Header=BB23_700 Depth=3
	v_bfe_u32 v4, v29, 16, 1
	v_add3_u32 v28, v29, v4, s74
                                        ; implicit-def: $vgpr29
; %bb.711:                              ;   in Loop: Header=BB23_700 Depth=3
	s_andn2_saveexec_b64 s[58:59], s[26:27]
; %bb.712:                              ;   in Loop: Header=BB23_700 Depth=3
	v_or_b32_e32 v4, 0x10000, v29
	v_cmp_eq_u32_sdwa s[26:27], v29, v3 src0_sel:WORD_0 src1_sel:DWORD
	s_nop 1
	v_cndmask_b32_e64 v28, v4, v29, s[26:27]
; %bb.713:                              ;   in Loop: Header=BB23_700 Depth=3
	s_or_b64 exec, exec, s[58:59]
	v_lshlrev_b32_e32 v4, 16, v38
	v_lshlrev_b32_e32 v5, 16, v21
	v_max_f32_e32 v5, v5, v5
	v_max_f32_e32 v4, v4, v4
	v_min_f32_e32 v29, v4, v5
	v_max_f32_e32 v4, v4, v5
	v_cndmask_b32_e32 v31, v4, v29, vcc
	v_and_b32_e32 v4, 0x7f800000, v31
	v_cmp_ne_u32_e64 s[26:27], s97, v4
                                        ; implicit-def: $vgpr29
	s_and_saveexec_b64 s[58:59], s[26:27]
	s_xor_b64 s[26:27], exec, s[58:59]
; %bb.714:                              ;   in Loop: Header=BB23_700 Depth=3
	v_bfe_u32 v4, v31, 16, 1
	v_add3_u32 v29, v31, v4, s74
                                        ; implicit-def: $vgpr31
; %bb.715:                              ;   in Loop: Header=BB23_700 Depth=3
	s_andn2_saveexec_b64 s[58:59], s[26:27]
; %bb.716:                              ;   in Loop: Header=BB23_700 Depth=3
	v_or_b32_e32 v4, 0x10000, v31
	v_cmp_eq_u32_sdwa s[26:27], v31, v3 src0_sel:WORD_0 src1_sel:DWORD
	s_nop 1
	v_cndmask_b32_e64 v29, v4, v31, s[26:27]
; %bb.717:                              ;   in Loop: Header=BB23_700 Depth=3
	s_or_b64 exec, exec, s[58:59]
	v_lshlrev_b32_e32 v4, 16, v35
	v_lshlrev_b32_e32 v5, 16, v22
	v_max_f32_e32 v5, v5, v5
	v_max_f32_e32 v4, v4, v4
	v_min_f32_e32 v31, v4, v5
	v_max_f32_e32 v4, v4, v5
	v_cndmask_b32_e32 v31, v4, v31, vcc
	v_and_b32_e32 v4, 0x7f800000, v31
	v_cmp_ne_u32_e64 s[26:27], s97, v4
                                        ; implicit-def: $vgpr35
	s_and_saveexec_b64 s[58:59], s[26:27]
	s_xor_b64 s[26:27], exec, s[58:59]
; %bb.718:                              ;   in Loop: Header=BB23_700 Depth=3
	v_bfe_u32 v4, v31, 16, 1
	v_add3_u32 v35, v31, v4, s74
                                        ; implicit-def: $vgpr31
; %bb.719:                              ;   in Loop: Header=BB23_700 Depth=3
	s_andn2_saveexec_b64 s[58:59], s[26:27]
; %bb.720:                              ;   in Loop: Header=BB23_700 Depth=3
	v_or_b32_e32 v4, 0x10000, v31
	v_cmp_eq_u32_sdwa s[26:27], v31, v3 src0_sel:WORD_0 src1_sel:DWORD
	s_nop 1
	v_cndmask_b32_e64 v35, v4, v31, s[26:27]
; %bb.721:                              ;   in Loop: Header=BB23_700 Depth=3
	s_or_b64 exec, exec, s[58:59]
	v_lshlrev_b32_e32 v4, 16, v32
	v_lshlrev_b32_e32 v5, 16, v23
	v_max_f32_e32 v5, v5, v5
	v_max_f32_e32 v4, v4, v4
	v_min_f32_e32 v31, v4, v5
	v_max_f32_e32 v4, v4, v5
	v_cndmask_b32_e32 v31, v4, v31, vcc
	v_and_b32_e32 v4, 0x7f800000, v31
	v_cmp_ne_u32_e64 s[26:27], s97, v4
                                        ; implicit-def: $vgpr32
	s_and_saveexec_b64 s[58:59], s[26:27]
	s_xor_b64 s[26:27], exec, s[58:59]
; %bb.722:                              ;   in Loop: Header=BB23_700 Depth=3
	v_bfe_u32 v4, v31, 16, 1
	v_add3_u32 v32, v31, v4, s74
                                        ; implicit-def: $vgpr31
; %bb.723:                              ;   in Loop: Header=BB23_700 Depth=3
	s_andn2_saveexec_b64 s[58:59], s[26:27]
; %bb.724:                              ;   in Loop: Header=BB23_700 Depth=3
	v_or_b32_e32 v4, 0x10000, v31
	v_cmp_eq_u32_sdwa s[26:27], v31, v3 src0_sel:WORD_0 src1_sel:DWORD
	s_nop 1
	v_cndmask_b32_e64 v32, v4, v31, s[26:27]
; %bb.725:                              ;   in Loop: Header=BB23_700 Depth=3
	s_or_b64 exec, exec, s[58:59]
	v_lshlrev_b32_e32 v4, 16, v27
	v_lshlrev_b32_e32 v5, 16, v24
	v_max_f32_e32 v5, v5, v5
	v_max_f32_e32 v4, v4, v4
	v_min_f32_e32 v27, v4, v5
	v_max_f32_e32 v4, v4, v5
	v_cndmask_b32_e32 v31, v4, v27, vcc
	v_and_b32_e32 v4, 0x7f800000, v31
	v_cmp_ne_u32_e64 s[26:27], s97, v4
                                        ; implicit-def: $vgpr27
	s_and_saveexec_b64 s[58:59], s[26:27]
	s_xor_b64 s[26:27], exec, s[58:59]
; %bb.726:                              ;   in Loop: Header=BB23_700 Depth=3
	v_bfe_u32 v4, v31, 16, 1
	v_add3_u32 v27, v31, v4, s74
                                        ; implicit-def: $vgpr31
; %bb.727:                              ;   in Loop: Header=BB23_700 Depth=3
	s_andn2_saveexec_b64 s[58:59], s[26:27]
; %bb.728:                              ;   in Loop: Header=BB23_700 Depth=3
	v_or_b32_e32 v4, 0x10000, v31
	v_cmp_eq_u32_sdwa s[26:27], v31, v3 src0_sel:WORD_0 src1_sel:DWORD
	s_nop 1
	v_cndmask_b32_e64 v27, v4, v31, s[26:27]
; %bb.729:                              ;   in Loop: Header=BB23_700 Depth=3
	s_or_b64 exec, exec, s[58:59]
	v_lshlrev_b32_e32 v4, 16, v26
	v_lshlrev_b32_e32 v5, 16, v25
	v_max_f32_e32 v5, v5, v5
	v_max_f32_e32 v4, v4, v4
	v_min_f32_e32 v26, v4, v5
	v_max_f32_e32 v4, v4, v5
	v_cndmask_b32_e32 v31, v4, v26, vcc
	v_and_b32_e32 v4, 0x7f800000, v31
	v_cmp_ne_u32_e64 s[26:27], s97, v4
                                        ; implicit-def: $vgpr26
	s_and_saveexec_b64 s[58:59], s[26:27]
	s_xor_b64 s[26:27], exec, s[58:59]
; %bb.730:                              ;   in Loop: Header=BB23_700 Depth=3
	v_bfe_u32 v4, v31, 16, 1
	v_add3_u32 v26, v31, v4, s74
                                        ; implicit-def: $vgpr31
; %bb.731:                              ;   in Loop: Header=BB23_700 Depth=3
	s_andn2_saveexec_b64 s[58:59], s[26:27]
; %bb.732:                              ;   in Loop: Header=BB23_700 Depth=3
	v_or_b32_e32 v4, 0x10000, v31
	v_cmp_eq_u32_sdwa s[26:27], v31, v3 src0_sel:WORD_0 src1_sel:DWORD
	s_nop 1
	v_cndmask_b32_e64 v26, v4, v31, s[26:27]
; %bb.733:                              ;   in Loop: Header=BB23_700 Depth=3
	s_or_b64 exec, exec, s[58:59]
	v_lshrrev_b32_e32 v104, 16, v98
	v_lshrrev_b32_e32 v27, 16, v27
	;; [unrolled: 1-line block ×8, first 2 shown]
	flat_store_short v[8:9], v104 nt
	flat_store_short v[8:9], v54 offset:128 nt
	flat_store_short v[8:9], v49 offset:256 nt
	;; [unrolled: 1-line block ×7, first 2 shown]
	v_lshl_add_u64 v[8:9], v[8:9], 0, v[46:47]
.LBB23_734:                             ;   in Loop: Header=BB23_700 Depth=3
	s_or_b64 exec, exec, s[60:61]
	v_sub_u32_e32 v17, v17, v84
	v_lshl_add_u64 v[10:11], v[10:11], 0, v[46:47]
	v_lshl_add_u64 v[12:13], v[12:13], 0, v[46:47]
	v_cmp_lt_i32_e64 s[58:59], 0, v17
	s_and_saveexec_b64 s[26:27], s[58:59]
	s_cbranch_execz .LBB23_736
; %bb.735:                              ;   in Loop: Header=BB23_700 Depth=3
	flat_load_ushort v104, v[10:11] nt
	flat_load_ushort v54, v[10:11] offset:128 nt
	flat_load_ushort v49, v[10:11] offset:256 nt
	;; [unrolled: 1-line block ×7, first 2 shown]
	flat_load_ushort v18, v[12:13] nt
	flat_load_ushort v19, v[12:13] offset:128 nt
	flat_load_ushort v20, v[12:13] offset:256 nt
	;; [unrolled: 1-line block ×7, first 2 shown]
	v_lshl_add_u64 v[10:11], v[10:11], 0, s[90:91]
	v_lshl_add_u64 v[12:13], v[12:13], 0, s[90:91]
.LBB23_736:                             ;   in Loop: Header=BB23_700 Depth=3
	s_or_b64 exec, exec, s[26:27]
	s_waitcnt vmcnt(0) lgkmcnt(0)
	v_lshlrev_b32_e32 v4, 16, v107
	v_lshlrev_b32_e32 v5, 16, v108
	v_max_f32_e32 v5, v5, v5
	v_max_f32_e32 v4, v4, v4
	v_min_f32_e32 v28, v4, v5
	v_max_f32_e32 v4, v4, v5
	v_cndmask_b32_e32 v28, v4, v28, vcc
	v_and_b32_e32 v4, 0x7f800000, v28
	v_cmp_ne_u32_e64 s[26:27], s97, v4
                                        ; implicit-def: $vgpr98
	s_and_saveexec_b64 s[60:61], s[26:27]
	s_xor_b64 s[26:27], exec, s[60:61]
; %bb.737:                              ;   in Loop: Header=BB23_700 Depth=3
	v_bfe_u32 v4, v28, 16, 1
	v_add3_u32 v98, v28, v4, s74
                                        ; implicit-def: $vgpr28
; %bb.738:                              ;   in Loop: Header=BB23_700 Depth=3
	s_andn2_saveexec_b64 s[60:61], s[26:27]
; %bb.739:                              ;   in Loop: Header=BB23_700 Depth=3
	v_or_b32_e32 v4, 0x10000, v28
	v_cmp_eq_u32_sdwa s[26:27], v28, v3 src0_sel:WORD_0 src1_sel:DWORD
	s_nop 1
	v_cndmask_b32_e64 v98, v4, v28, s[26:27]
; %bb.740:                              ;   in Loop: Header=BB23_700 Depth=3
	s_or_b64 exec, exec, s[60:61]
	v_lshlrev_b32_e32 v4, 16, v62
	v_lshlrev_b32_e32 v5, 16, v63
	v_max_f32_e32 v5, v5, v5
	v_max_f32_e32 v4, v4, v4
	v_min_f32_e32 v28, v4, v5
	v_max_f32_e32 v4, v4, v5
	v_cndmask_b32_e32 v28, v4, v28, vcc
	v_and_b32_e32 v4, 0x7f800000, v28
	v_cmp_ne_u32_e64 s[26:27], s97, v4
                                        ; implicit-def: $vgpr99
	s_and_saveexec_b64 s[60:61], s[26:27]
	s_xor_b64 s[26:27], exec, s[60:61]
; %bb.741:                              ;   in Loop: Header=BB23_700 Depth=3
	v_bfe_u32 v4, v28, 16, 1
	v_add3_u32 v99, v28, v4, s74
                                        ; implicit-def: $vgpr28
; %bb.742:                              ;   in Loop: Header=BB23_700 Depth=3
	s_andn2_saveexec_b64 s[60:61], s[26:27]
; %bb.743:                              ;   in Loop: Header=BB23_700 Depth=3
	v_or_b32_e32 v4, 0x10000, v28
	v_cmp_eq_u32_sdwa s[26:27], v28, v3 src0_sel:WORD_0 src1_sel:DWORD
	s_nop 1
	v_cndmask_b32_e64 v99, v4, v28, s[26:27]
; %bb.744:                              ;   in Loop: Header=BB23_700 Depth=3
	s_or_b64 exec, exec, s[60:61]
	v_lshlrev_b32_e32 v4, 16, v105
	v_lshlrev_b32_e32 v5, 16, v106
	v_max_f32_e32 v5, v5, v5
	v_max_f32_e32 v4, v4, v4
	v_min_f32_e32 v28, v4, v5
	v_max_f32_e32 v4, v4, v5
	v_cndmask_b32_e32 v29, v4, v28, vcc
	v_and_b32_e32 v4, 0x7f800000, v29
	v_cmp_ne_u32_e64 s[26:27], s97, v4
                                        ; implicit-def: $vgpr28
	s_and_saveexec_b64 s[60:61], s[26:27]
	s_xor_b64 s[26:27], exec, s[60:61]
; %bb.745:                              ;   in Loop: Header=BB23_700 Depth=3
	v_bfe_u32 v4, v29, 16, 1
	v_add3_u32 v28, v29, v4, s74
                                        ; implicit-def: $vgpr29
; %bb.746:                              ;   in Loop: Header=BB23_700 Depth=3
	s_andn2_saveexec_b64 s[60:61], s[26:27]
; %bb.747:                              ;   in Loop: Header=BB23_700 Depth=3
	v_or_b32_e32 v4, 0x10000, v29
	v_cmp_eq_u32_sdwa s[26:27], v29, v3 src0_sel:WORD_0 src1_sel:DWORD
	s_nop 1
	v_cndmask_b32_e64 v28, v4, v29, s[26:27]
; %bb.748:                              ;   in Loop: Header=BB23_700 Depth=3
	s_or_b64 exec, exec, s[60:61]
	v_lshlrev_b32_e32 v4, 16, v55
	v_lshlrev_b32_e32 v5, 16, v82
	v_max_f32_e32 v5, v5, v5
	v_max_f32_e32 v4, v4, v4
	v_min_f32_e32 v29, v4, v5
	v_max_f32_e32 v4, v4, v5
	v_cndmask_b32_e32 v31, v4, v29, vcc
	v_and_b32_e32 v4, 0x7f800000, v31
	v_cmp_ne_u32_e64 s[26:27], s97, v4
                                        ; implicit-def: $vgpr29
	s_and_saveexec_b64 s[60:61], s[26:27]
	s_xor_b64 s[26:27], exec, s[60:61]
; %bb.749:                              ;   in Loop: Header=BB23_700 Depth=3
	v_bfe_u32 v4, v31, 16, 1
	v_add3_u32 v29, v31, v4, s74
                                        ; implicit-def: $vgpr31
; %bb.750:                              ;   in Loop: Header=BB23_700 Depth=3
	s_andn2_saveexec_b64 s[60:61], s[26:27]
; %bb.751:                              ;   in Loop: Header=BB23_700 Depth=3
	v_or_b32_e32 v4, 0x10000, v31
	v_cmp_eq_u32_sdwa s[26:27], v31, v3 src0_sel:WORD_0 src1_sel:DWORD
	s_nop 1
	v_cndmask_b32_e64 v29, v4, v31, s[26:27]
; %bb.752:                              ;   in Loop: Header=BB23_700 Depth=3
	s_or_b64 exec, exec, s[60:61]
	v_lshlrev_b32_e32 v4, 16, v50
	v_lshlrev_b32_e32 v5, 16, v51
	v_max_f32_e32 v5, v5, v5
	v_max_f32_e32 v4, v4, v4
	v_min_f32_e32 v31, v4, v5
	v_max_f32_e32 v4, v4, v5
	v_cndmask_b32_e32 v31, v4, v31, vcc
	v_and_b32_e32 v4, 0x7f800000, v31
	v_cmp_ne_u32_e64 s[26:27], s97, v4
                                        ; implicit-def: $vgpr50
	s_and_saveexec_b64 s[60:61], s[26:27]
	s_xor_b64 s[26:27], exec, s[60:61]
; %bb.753:                              ;   in Loop: Header=BB23_700 Depth=3
	v_bfe_u32 v4, v31, 16, 1
	v_add3_u32 v50, v31, v4, s74
                                        ; implicit-def: $vgpr31
; %bb.754:                              ;   in Loop: Header=BB23_700 Depth=3
	s_andn2_saveexec_b64 s[60:61], s[26:27]
; %bb.755:                              ;   in Loop: Header=BB23_700 Depth=3
	v_or_b32_e32 v4, 0x10000, v31
	v_cmp_eq_u32_sdwa s[26:27], v31, v3 src0_sel:WORD_0 src1_sel:DWORD
	s_nop 1
	v_cndmask_b32_e64 v50, v4, v31, s[26:27]
; %bb.756:                              ;   in Loop: Header=BB23_700 Depth=3
	s_or_b64 exec, exec, s[60:61]
	v_lshlrev_b32_e32 v4, 16, v39
	v_lshlrev_b32_e32 v5, 16, v48
	v_max_f32_e32 v5, v5, v5
	v_max_f32_e32 v4, v4, v4
	v_min_f32_e32 v31, v4, v5
	v_max_f32_e32 v4, v4, v5
	v_cndmask_b32_e32 v31, v4, v31, vcc
	v_and_b32_e32 v4, 0x7f800000, v31
	v_cmp_ne_u32_e64 s[26:27], s97, v4
                                        ; implicit-def: $vgpr39
	s_and_saveexec_b64 s[60:61], s[26:27]
	s_xor_b64 s[26:27], exec, s[60:61]
; %bb.757:                              ;   in Loop: Header=BB23_700 Depth=3
	v_bfe_u32 v4, v31, 16, 1
	v_add3_u32 v39, v31, v4, s74
                                        ; implicit-def: $vgpr31
; %bb.758:                              ;   in Loop: Header=BB23_700 Depth=3
	s_andn2_saveexec_b64 s[60:61], s[26:27]
; %bb.759:                              ;   in Loop: Header=BB23_700 Depth=3
	v_or_b32_e32 v4, 0x10000, v31
	v_cmp_eq_u32_sdwa s[26:27], v31, v3 src0_sel:WORD_0 src1_sel:DWORD
	s_nop 1
	v_cndmask_b32_e64 v39, v4, v31, s[26:27]
; %bb.760:                              ;   in Loop: Header=BB23_700 Depth=3
	s_or_b64 exec, exec, s[60:61]
	v_lshlrev_b32_e32 v4, 16, v36
	v_lshlrev_b32_e32 v5, 16, v37
	v_max_f32_e32 v5, v5, v5
	v_max_f32_e32 v4, v4, v4
	v_min_f32_e32 v31, v4, v5
	v_max_f32_e32 v4, v4, v5
	v_cndmask_b32_e32 v31, v4, v31, vcc
	v_and_b32_e32 v4, 0x7f800000, v31
	v_cmp_ne_u32_e64 s[26:27], s97, v4
                                        ; implicit-def: $vgpr36
	s_and_saveexec_b64 s[60:61], s[26:27]
	s_xor_b64 s[26:27], exec, s[60:61]
; %bb.761:                              ;   in Loop: Header=BB23_700 Depth=3
	v_bfe_u32 v4, v31, 16, 1
	v_add3_u32 v36, v31, v4, s74
                                        ; implicit-def: $vgpr31
; %bb.762:                              ;   in Loop: Header=BB23_700 Depth=3
	s_andn2_saveexec_b64 s[60:61], s[26:27]
; %bb.763:                              ;   in Loop: Header=BB23_700 Depth=3
	v_or_b32_e32 v4, 0x10000, v31
	v_cmp_eq_u32_sdwa s[26:27], v31, v3 src0_sel:WORD_0 src1_sel:DWORD
	s_nop 1
	v_cndmask_b32_e64 v36, v4, v31, s[26:27]
; %bb.764:                              ;   in Loop: Header=BB23_700 Depth=3
	s_or_b64 exec, exec, s[60:61]
	v_lshlrev_b32_e32 v4, 16, v33
	v_lshlrev_b32_e32 v5, 16, v34
	v_max_f32_e32 v5, v5, v5
	v_max_f32_e32 v4, v4, v4
	v_min_f32_e32 v31, v4, v5
	v_max_f32_e32 v4, v4, v5
	v_cndmask_b32_e32 v31, v4, v31, vcc
	v_and_b32_e32 v4, 0x7f800000, v31
	v_cmp_ne_u32_e64 s[26:27], s97, v4
                                        ; implicit-def: $vgpr33
	s_and_saveexec_b64 s[60:61], s[26:27]
	s_xor_b64 s[26:27], exec, s[60:61]
; %bb.765:                              ;   in Loop: Header=BB23_700 Depth=3
	v_bfe_u32 v4, v31, 16, 1
	v_add3_u32 v33, v31, v4, s74
                                        ; implicit-def: $vgpr31
; %bb.766:                              ;   in Loop: Header=BB23_700 Depth=3
	s_andn2_saveexec_b64 s[60:61], s[26:27]
	s_cbranch_execz .LBB23_699
; %bb.767:                              ;   in Loop: Header=BB23_700 Depth=3
	v_or_b32_e32 v4, 0x10000, v31
	v_cmp_eq_u32_sdwa s[26:27], v31, v3 src0_sel:WORD_0 src1_sel:DWORD
	s_nop 1
	v_cndmask_b32_e64 v33, v4, v31, s[26:27]
	s_branch .LBB23_699
.LBB23_768:                             ;   in Loop: Header=BB23_296 Depth=2
	s_or_b64 exec, exec, s[56:57]
	v_lshlrev_b32_e32 v48, 16, v104
	v_lshlrev_b32_e32 v50, 16, v18
	;; [unrolled: 1-line block ×16, first 2 shown]
	s_and_b64 s[26:27], s[40:41], exec
.LBB23_769:                             ;   in Loop: Header=BB23_296 Depth=2
	s_or_b64 exec, exec, s[28:29]
	s_and_saveexec_b64 s[28:29], s[26:27]
	s_cbranch_execz .LBB23_803
; %bb.770:                              ;   in Loop: Header=BB23_296 Depth=2
	s_and_b32 s26, s49, 0xff
	s_cmp_eq_u32 s26, 0
	v_max_f32_e32 v4, v50, v50
	v_max_f32_e32 v5, v48, v48
	v_min_f32_e32 v12, v5, v4
	v_max_f32_e32 v4, v5, v4
	s_cselect_b64 vcc, -1, 0
	v_cndmask_b32_e32 v13, v4, v12, vcc
	v_and_b32_e32 v4, 0x7f800000, v13
	v_cmp_ne_u32_e64 s[26:27], s97, v4
                                        ; implicit-def: $vgpr12
	s_and_saveexec_b64 s[40:41], s[26:27]
	s_xor_b64 s[26:27], exec, s[40:41]
; %bb.771:                              ;   in Loop: Header=BB23_296 Depth=2
	v_bfe_u32 v4, v13, 16, 1
	v_add3_u32 v12, v13, v4, s74
                                        ; implicit-def: $vgpr13
; %bb.772:                              ;   in Loop: Header=BB23_296 Depth=2
	s_andn2_saveexec_b64 s[40:41], s[26:27]
; %bb.773:                              ;   in Loop: Header=BB23_296 Depth=2
	v_or_b32_e32 v4, 0x10000, v13
	v_cmp_eq_u32_sdwa s[26:27], v13, v3 src0_sel:WORD_0 src1_sel:DWORD
	s_nop 1
	v_cndmask_b32_e64 v12, v4, v13, s[26:27]
; %bb.774:                              ;   in Loop: Header=BB23_296 Depth=2
	s_or_b64 exec, exec, s[40:41]
	v_max_f32_e32 v4, v39, v39
	v_max_f32_e32 v5, v37, v37
	v_min_f32_e32 v13, v5, v4
	v_max_f32_e32 v4, v5, v4
	v_cndmask_b32_e32 v23, v4, v13, vcc
	v_and_b32_e32 v4, 0x7f800000, v23
	v_cmp_ne_u32_e64 s[26:27], s97, v4
                                        ; implicit-def: $vgpr13
	s_and_saveexec_b64 s[40:41], s[26:27]
	s_xor_b64 s[26:27], exec, s[40:41]
; %bb.775:                              ;   in Loop: Header=BB23_296 Depth=2
	v_bfe_u32 v4, v23, 16, 1
	v_add3_u32 v13, v23, v4, s74
                                        ; implicit-def: $vgpr23
; %bb.776:                              ;   in Loop: Header=BB23_296 Depth=2
	s_andn2_saveexec_b64 s[40:41], s[26:27]
; %bb.777:                              ;   in Loop: Header=BB23_296 Depth=2
	v_or_b32_e32 v4, 0x10000, v23
	v_cmp_eq_u32_sdwa s[26:27], v23, v3 src0_sel:WORD_0 src1_sel:DWORD
	s_nop 1
	v_cndmask_b32_e64 v13, v4, v23, s[26:27]
; %bb.778:                              ;   in Loop: Header=BB23_296 Depth=2
	s_or_b64 exec, exec, s[40:41]
	v_max_f32_e32 v4, v36, v36
	v_max_f32_e32 v5, v34, v34
	v_min_f32_e32 v23, v5, v4
	v_max_f32_e32 v4, v5, v4
	v_cndmask_b32_e32 v24, v4, v23, vcc
	v_and_b32_e32 v4, 0x7f800000, v24
	v_cmp_ne_u32_e64 s[26:27], s97, v4
                                        ; implicit-def: $vgpr23
	s_and_saveexec_b64 s[40:41], s[26:27]
	s_xor_b64 s[26:27], exec, s[40:41]
; %bb.779:                              ;   in Loop: Header=BB23_296 Depth=2
	v_bfe_u32 v4, v24, 16, 1
	v_add3_u32 v23, v24, v4, s74
                                        ; implicit-def: $vgpr24
; %bb.780:                              ;   in Loop: Header=BB23_296 Depth=2
	s_andn2_saveexec_b64 s[40:41], s[26:27]
; %bb.781:                              ;   in Loop: Header=BB23_296 Depth=2
	v_or_b32_e32 v4, 0x10000, v24
	v_cmp_eq_u32_sdwa s[26:27], v24, v3 src0_sel:WORD_0 src1_sel:DWORD
	s_nop 1
	v_cndmask_b32_e64 v23, v4, v24, s[26:27]
; %bb.782:                              ;   in Loop: Header=BB23_296 Depth=2
	s_or_b64 exec, exec, s[40:41]
	v_max_f32_e32 v4, v33, v33
	v_max_f32_e32 v5, v29, v29
	v_min_f32_e32 v24, v5, v4
	v_max_f32_e32 v4, v5, v4
	v_cndmask_b32_e32 v25, v4, v24, vcc
	v_and_b32_e32 v4, 0x7f800000, v25
	v_cmp_ne_u32_e64 s[26:27], s97, v4
                                        ; implicit-def: $vgpr24
	s_and_saveexec_b64 s[40:41], s[26:27]
	s_xor_b64 s[26:27], exec, s[40:41]
; %bb.783:                              ;   in Loop: Header=BB23_296 Depth=2
	v_bfe_u32 v4, v25, 16, 1
	v_add3_u32 v24, v25, v4, s74
                                        ; implicit-def: $vgpr25
; %bb.784:                              ;   in Loop: Header=BB23_296 Depth=2
	s_andn2_saveexec_b64 s[40:41], s[26:27]
; %bb.785:                              ;   in Loop: Header=BB23_296 Depth=2
	v_or_b32_e32 v4, 0x10000, v25
	v_cmp_eq_u32_sdwa s[26:27], v25, v3 src0_sel:WORD_0 src1_sel:DWORD
	s_nop 1
	v_cndmask_b32_e64 v24, v4, v25, s[26:27]
; %bb.786:                              ;   in Loop: Header=BB23_296 Depth=2
	s_or_b64 exec, exec, s[40:41]
	v_max_f32_e32 v4, v22, v22
	v_max_f32_e32 v5, v28, v28
	v_min_f32_e32 v22, v5, v4
	v_max_f32_e32 v4, v5, v4
	v_cndmask_b32_e32 v25, v4, v22, vcc
	v_and_b32_e32 v4, 0x7f800000, v25
	v_cmp_ne_u32_e64 s[26:27], s97, v4
                                        ; implicit-def: $vgpr22
	s_and_saveexec_b64 s[40:41], s[26:27]
	s_xor_b64 s[26:27], exec, s[40:41]
; %bb.787:                              ;   in Loop: Header=BB23_296 Depth=2
	v_bfe_u32 v4, v25, 16, 1
	v_add3_u32 v22, v25, v4, s74
                                        ; implicit-def: $vgpr25
; %bb.788:                              ;   in Loop: Header=BB23_296 Depth=2
	s_andn2_saveexec_b64 s[40:41], s[26:27]
; %bb.789:                              ;   in Loop: Header=BB23_296 Depth=2
	v_or_b32_e32 v4, 0x10000, v25
	v_cmp_eq_u32_sdwa s[26:27], v25, v3 src0_sel:WORD_0 src1_sel:DWORD
	s_nop 1
	v_cndmask_b32_e64 v22, v4, v25, s[26:27]
; %bb.790:                              ;   in Loop: Header=BB23_296 Depth=2
	s_or_b64 exec, exec, s[40:41]
	v_max_f32_e32 v4, v21, v21
	v_max_f32_e32 v5, v20, v20
	v_min_f32_e32 v20, v5, v4
	v_max_f32_e32 v4, v5, v4
	v_cndmask_b32_e32 v21, v4, v20, vcc
	v_and_b32_e32 v4, 0x7f800000, v21
	v_cmp_ne_u32_e64 s[26:27], s97, v4
                                        ; implicit-def: $vgpr20
	s_and_saveexec_b64 s[40:41], s[26:27]
	s_xor_b64 s[26:27], exec, s[40:41]
; %bb.791:                              ;   in Loop: Header=BB23_296 Depth=2
	v_bfe_u32 v4, v21, 16, 1
	v_add3_u32 v20, v21, v4, s74
                                        ; implicit-def: $vgpr21
; %bb.792:                              ;   in Loop: Header=BB23_296 Depth=2
	s_andn2_saveexec_b64 s[40:41], s[26:27]
; %bb.793:                              ;   in Loop: Header=BB23_296 Depth=2
	v_or_b32_e32 v4, 0x10000, v21
	v_cmp_eq_u32_sdwa s[26:27], v21, v3 src0_sel:WORD_0 src1_sel:DWORD
	s_nop 1
	v_cndmask_b32_e64 v20, v4, v21, s[26:27]
; %bb.794:                              ;   in Loop: Header=BB23_296 Depth=2
	s_or_b64 exec, exec, s[40:41]
	v_max_f32_e32 v4, v19, v19
	v_max_f32_e32 v5, v18, v18
	v_min_f32_e32 v18, v5, v4
	v_max_f32_e32 v4, v5, v4
	v_cndmask_b32_e32 v19, v4, v18, vcc
	v_and_b32_e32 v4, 0x7f800000, v19
	v_cmp_ne_u32_e64 s[26:27], s97, v4
                                        ; implicit-def: $vgpr18
	s_and_saveexec_b64 s[40:41], s[26:27]
	s_xor_b64 s[26:27], exec, s[40:41]
; %bb.795:                              ;   in Loop: Header=BB23_296 Depth=2
	v_bfe_u32 v4, v19, 16, 1
	v_add3_u32 v18, v19, v4, s74
                                        ; implicit-def: $vgpr19
; %bb.796:                              ;   in Loop: Header=BB23_296 Depth=2
	s_andn2_saveexec_b64 s[40:41], s[26:27]
; %bb.797:                              ;   in Loop: Header=BB23_296 Depth=2
	v_or_b32_e32 v4, 0x10000, v19
	v_cmp_eq_u32_sdwa s[26:27], v19, v3 src0_sel:WORD_0 src1_sel:DWORD
	s_nop 1
	v_cndmask_b32_e64 v18, v4, v19, s[26:27]
; %bb.798:                              ;   in Loop: Header=BB23_296 Depth=2
	s_or_b64 exec, exec, s[40:41]
	v_max_f32_e32 v4, v11, v11
	v_max_f32_e32 v5, v10, v10
	v_min_f32_e32 v10, v5, v4
	v_max_f32_e32 v4, v5, v4
	v_cndmask_b32_e32 v11, v4, v10, vcc
	v_and_b32_e32 v4, 0x7f800000, v11
	v_cmp_ne_u32_e32 vcc, s97, v4
                                        ; implicit-def: $vgpr10
	s_and_saveexec_b64 s[26:27], vcc
	s_xor_b64 s[26:27], exec, s[26:27]
; %bb.799:                              ;   in Loop: Header=BB23_296 Depth=2
	v_bfe_u32 v4, v11, 16, 1
	v_add3_u32 v10, v11, v4, s74
                                        ; implicit-def: $vgpr11
; %bb.800:                              ;   in Loop: Header=BB23_296 Depth=2
	s_andn2_saveexec_b64 s[26:27], s[26:27]
; %bb.801:                              ;   in Loop: Header=BB23_296 Depth=2
	v_or_b32_e32 v4, 0x10000, v11
	v_cmp_eq_u32_sdwa vcc, v11, v3 src0_sel:WORD_0 src1_sel:DWORD
	s_nop 1
	v_cndmask_b32_e32 v10, v4, v11, vcc
; %bb.802:                              ;   in Loop: Header=BB23_296 Depth=2
	s_or_b64 exec, exec, s[26:27]
	flat_store_short_d16_hi v[8:9], v12 nt
	flat_store_short_d16_hi v[8:9], v13 offset:128 nt
	flat_store_short_d16_hi v[8:9], v23 offset:256 nt
	;; [unrolled: 1-line block ×7, first 2 shown]
.LBB23_803:                             ;   in Loop: Header=BB23_296 Depth=2
	s_or_b64 exec, exec, s[28:29]
	v_lshlrev_b32_e32 v8, 10, v16
	v_cmp_ne_u32_e32 vcc, v91, v8
	s_and_b64 exec, exec, vcc
	s_cbranch_execz .LBB23_828
; %bb.804:                              ;   in Loop: Header=BB23_296 Depth=2
	v_lshlrev_b32_e32 v4, 6, v17
	v_sub_u32_e32 v4, v15, v4
	v_ashrrev_i32_e32 v5, 31, v4
	v_lshrrev_b32_e32 v5, 26, v5
	v_add_u32_e32 v5, v4, v5
	v_and_b32_e32 v9, 0x7fffffc0, v5
	v_sub_u32_e32 v4, v4, v9
	v_lshlrev_b32_e32 v5, 1, v5
	v_and_b32_e32 v5, 0xffffff80, v5
	v_lshlrev_b32_e32 v4, 1, v4
	v_add3_u32 v8, v5, v4, v8
	v_sub_u32_e32 v15, v91, v8
	v_cmp_lt_i32_e32 vcc, 1, v15
	s_and_b64 exec, exec, vcc
	s_cbranch_execz .LBB23_828
; %bb.805:                              ;   in Loop: Header=BB23_296 Depth=2
	s_trap 2
	ds_read_b64 v[4:5], v0
	v_add_u32_e32 v10, v8, v14
	s_and_b32 s26, s49, 0xff
	v_ashrrev_i32_e32 v11, 31, v10
	s_cmp_eq_u32 s26, 0
	v_lshl_add_u64 v[8:9], v[94:95], 0, v[10:11]
	v_lshl_add_u64 v[12:13], v[10:11], 0, v[92:93]
	s_waitcnt lgkmcnt(0)
	v_lshl_add_u64 v[10:11], v[4:5], 0, v[10:11]
	s_mov_b64 s[60:61], 0
	s_mov_b64 s[56:57], 0
	s_cselect_b64 s[26:27], -1, 0
                                        ; implicit-def: $sgpr58_sgpr59
	s_branch .LBB23_807
.LBB23_806:                             ;   in Loop: Header=BB23_807 Depth=3
	s_or_b64 exec, exec, s[28:29]
	v_lshrrev_b32_e32 v4, 16, v16
	scratch_store_short off, v4, s33 offset:192
	flat_store_short v[8:9], v4 nt
	v_lshl_add_u64 v[4:5], v[12:13], 0, v[118:119]
	v_mov_b32_e32 v15, 0x80
	v_cndmask_b32_e64 v12, v12, v4, s[60:61]
	v_cndmask_b32_e64 v4, 0, v121, s[60:61]
	v_cndmask_b32_e64 v18, v15, v56, s[60:61]
	v_sub_u32_e32 v15, v14, v4
	v_cmp_gt_i32_e32 vcc, 2, v15
	s_or_b64 s[56:57], vcc, s[56:57]
	v_lshl_add_u64 v[16:17], v[10:11], 0, v[118:119]
	v_cndmask_b32_e64 v19, 0, v57, s[60:61]
	s_andn2_b64 s[28:29], s[58:59], exec
	s_and_b64 s[40:41], s[60:61], exec
	v_lshl_add_u64 v[8:9], v[8:9], 0, v[18:19]
	v_cndmask_b32_e64 v11, v11, v17, s[60:61]
	v_cndmask_b32_e64 v10, v10, v16, s[60:61]
	;; [unrolled: 1-line block ×3, first 2 shown]
	s_or_b64 s[58:59], s[28:29], s[40:41]
	s_andn2_b64 exec, exec, s[56:57]
	s_cbranch_execz .LBB23_822
.LBB23_807:                             ;   Parent Loop BB23_47 Depth=1
                                        ;     Parent Loop BB23_296 Depth=2
                                        ; =>    This Loop Header: Depth=3
                                        ;         Child Loop BB23_808 Depth 4
                                        ;         Child Loop BB23_817 Depth 4
	s_add_i32 s28, s33, 0xc0
	s_mov_b32 s73, s28
	s_mov_b64 s[62:63], -1
	s_mov_b64 s[50:51], 0
.LBB23_808:                             ;   Parent Loop BB23_47 Depth=1
                                        ;     Parent Loop BB23_296 Depth=2
                                        ;       Parent Loop BB23_807 Depth=3
                                        ; =>      This Inner Loop Header: Depth=4
	s_cmp_eq_u32 s50, 1
	s_cselect_b64 vcc, -1, 0
	v_cndmask_b32_e32 v5, v13, v11, vcc
	v_cndmask_b32_e32 v4, v12, v10, vcc
	flat_load_ushort v14, v[4:5] nt
	s_cmp_eq_u32 s50, 0
	v_lshl_add_u64 v[4:5], v[4:5], 0, s[92:93]
	s_cselect_b64 s[28:29], -1, 0
	s_and_b64 s[40:41], exec, s[62:63]
	v_cndmask_b32_e64 v13, v13, v5, s[28:29]
	v_cndmask_b32_e64 v12, v12, v4, s[28:29]
	s_add_i32 s28, s33, 0xe0
	s_mov_b64 s[50:51], 1
	s_mov_b64 s[62:63], 0
	v_cndmask_b32_e32 v11, v11, v5, vcc
	v_cndmask_b32_e32 v10, v10, v4, vcc
	s_mov_b64 vcc, s[40:41]
	s_waitcnt vmcnt(0) lgkmcnt(0)
	scratch_store_short off, v14, s73
	s_mov_b32 s73, s28
	s_cbranch_vccnz .LBB23_808
; %bb.809:                              ;   in Loop: Header=BB23_807 Depth=3
	s_and_saveexec_b64 s[28:29], s[60:61]
	s_cbranch_execz .LBB23_815
; %bb.810:                              ;   in Loop: Header=BB23_807 Depth=3
	scratch_load_ushort v4, off, s33 offset:184
	scratch_load_ushort v5, off, s33 offset:186
                                        ; implicit-def: $vgpr16
	s_waitcnt vmcnt(1)
	v_lshlrev_b32_e32 v4, 16, v4
	s_waitcnt vmcnt(0)
	v_lshlrev_b32_e32 v5, 16, v5
	v_max_f32_e32 v5, v5, v5
	v_max_f32_e32 v4, v4, v4
	v_min_f32_e32 v14, v4, v5
	v_max_f32_e32 v4, v4, v5
	v_cndmask_b32_e64 v14, v4, v14, s[26:27]
	v_and_b32_e32 v4, 0x7f800000, v14
	v_cmp_ne_u32_e32 vcc, s97, v4
	s_and_saveexec_b64 s[40:41], vcc
	s_xor_b64 s[40:41], exec, s[40:41]
; %bb.811:                              ;   in Loop: Header=BB23_807 Depth=3
	v_bfe_u32 v4, v14, 16, 1
	v_add3_u32 v16, v14, v4, s74
                                        ; implicit-def: $vgpr14
; %bb.812:                              ;   in Loop: Header=BB23_807 Depth=3
	s_andn2_saveexec_b64 s[40:41], s[40:41]
; %bb.813:                              ;   in Loop: Header=BB23_807 Depth=3
	v_or_b32_e32 v4, 0x10000, v14
	v_cmp_eq_u32_sdwa vcc, v14, v3 src0_sel:WORD_0 src1_sel:DWORD
	s_nop 1
	v_cndmask_b32_e32 v16, v4, v14, vcc
; %bb.814:                              ;   in Loop: Header=BB23_807 Depth=3
	s_or_b64 exec, exec, s[40:41]
	v_lshrrev_b32_e32 v4, 16, v16
	scratch_store_short off, v4, s33 offset:184
	flat_store_short v[8:9], v4 nt
	v_lshl_add_u64 v[8:9], v[8:9], 0, v[56:57]
.LBB23_815:                             ;   in Loop: Header=BB23_807 Depth=3
	s_or_b64 exec, exec, s[28:29]
	v_sub_u32_e32 v14, v15, v121
	v_lshl_add_u64 v[12:13], v[12:13], 0, v[118:119]
	v_lshl_add_u64 v[10:11], v[10:11], 0, v[118:119]
	v_cmp_lt_i32_e64 s[60:61], 1, v14
	s_and_saveexec_b64 s[62:63], s[60:61]
	s_cbranch_execz .LBB23_818
; %bb.816:                              ;   in Loop: Header=BB23_807 Depth=3
	s_add_i32 s28, s33, 0xb8
	s_mov_b32 s49, s28
	s_mov_b64 s[52:53], 0
	s_mov_b64 s[50:51], -1
.LBB23_817:                             ;   Parent Loop BB23_47 Depth=1
                                        ;     Parent Loop BB23_296 Depth=2
                                        ;       Parent Loop BB23_807 Depth=3
                                        ; =>      This Inner Loop Header: Depth=4
	s_cmp_eq_u32 s52, 1
	s_cselect_b64 vcc, -1, 0
	v_cndmask_b32_e32 v5, v13, v11, vcc
	v_cndmask_b32_e32 v4, v12, v10, vcc
	flat_load_ushort v15, v[4:5] nt
	s_cmp_eq_u32 s52, 0
	v_lshl_add_u64 v[4:5], v[4:5], 0, s[92:93]
	s_cselect_b64 s[28:29], -1, 0
	s_and_b64 s[40:41], exec, s[50:51]
	v_cndmask_b32_e64 v13, v13, v5, s[28:29]
	v_cndmask_b32_e64 v12, v12, v4, s[28:29]
	s_add_i32 s28, s33, 0xba
	s_mov_b64 s[52:53], 1
	s_mov_b64 s[50:51], 0
	v_cndmask_b32_e32 v11, v11, v5, vcc
	v_cndmask_b32_e32 v10, v10, v4, vcc
	s_mov_b64 vcc, s[40:41]
	s_waitcnt vmcnt(0) lgkmcnt(0)
	scratch_store_short off, v15, s49
	s_mov_b32 s49, s28
	s_cbranch_vccnz .LBB23_817
.LBB23_818:                             ;   in Loop: Header=BB23_807 Depth=3
	s_or_b64 exec, exec, s[62:63]
	scratch_load_ushort v4, off, s33 offset:192
	scratch_load_ushort v5, off, s33 offset:224
                                        ; implicit-def: $vgpr16
	s_waitcnt vmcnt(0)
	v_lshlrev_b32_e32 v4, 16, v4
	v_lshlrev_b32_e32 v5, 16, v5
	v_max_f32_e32 v5, v5, v5
	v_max_f32_e32 v4, v4, v4
	v_min_f32_e32 v15, v4, v5
	v_max_f32_e32 v4, v4, v5
	v_cndmask_b32_e64 v15, v4, v15, s[26:27]
	v_and_b32_e32 v4, 0x7f800000, v15
	v_cmp_ne_u32_e32 vcc, s97, v4
	s_and_saveexec_b64 s[28:29], vcc
	s_xor_b64 s[28:29], exec, s[28:29]
; %bb.819:                              ;   in Loop: Header=BB23_807 Depth=3
	v_bfe_u32 v4, v15, 16, 1
	v_add3_u32 v16, v15, v4, s74
                                        ; implicit-def: $vgpr15
; %bb.820:                              ;   in Loop: Header=BB23_807 Depth=3
	s_andn2_saveexec_b64 s[28:29], s[28:29]
	s_cbranch_execz .LBB23_806
; %bb.821:                              ;   in Loop: Header=BB23_807 Depth=3
	v_or_b32_e32 v4, 0x10000, v15
	v_cmp_eq_u32_sdwa vcc, v15, v3 src0_sel:WORD_0 src1_sel:DWORD
	s_nop 1
	v_cndmask_b32_e32 v16, v4, v15, vcc
	s_branch .LBB23_806
.LBB23_822:                             ;   in Loop: Header=BB23_296 Depth=2
	s_or_b64 exec, exec, s[56:57]
	s_and_b64 exec, exec, s[58:59]
	s_cbranch_execz .LBB23_828
; %bb.823:                              ;   in Loop: Header=BB23_296 Depth=2
	scratch_load_ushort v4, off, s33 offset:184
	scratch_load_ushort v5, off, s33 offset:186
                                        ; implicit-def: $vgpr11
	s_waitcnt vmcnt(0)
	v_lshlrev_b32_e32 v4, 16, v4
	v_lshlrev_b32_e32 v5, 16, v5
	v_max_f32_e32 v5, v5, v5
	v_max_f32_e32 v4, v4, v4
	v_min_f32_e32 v10, v4, v5
	v_max_f32_e32 v4, v4, v5
	v_cndmask_b32_e64 v10, v4, v10, s[26:27]
	v_and_b32_e32 v4, 0x7f800000, v10
	v_cmp_ne_u32_e32 vcc, s97, v4
	s_and_saveexec_b64 s[26:27], vcc
	s_xor_b64 s[26:27], exec, s[26:27]
; %bb.824:                              ;   in Loop: Header=BB23_296 Depth=2
	v_bfe_u32 v4, v10, 16, 1
	v_add3_u32 v11, v10, v4, s74
                                        ; implicit-def: $vgpr10
; %bb.825:                              ;   in Loop: Header=BB23_296 Depth=2
	s_andn2_saveexec_b64 s[26:27], s[26:27]
; %bb.826:                              ;   in Loop: Header=BB23_296 Depth=2
	v_or_b32_e32 v4, 0x10000, v10
	v_cmp_eq_u32_sdwa vcc, v10, v3 src0_sel:WORD_0 src1_sel:DWORD
	s_nop 1
	v_cndmask_b32_e32 v11, v4, v10, vcc
; %bb.827:                              ;   in Loop: Header=BB23_296 Depth=2
	s_or_b64 exec, exec, s[26:27]
	flat_store_short_d16_hi v[8:9], v11 nt
.LBB23_828:                             ;   in Loop: Header=BB23_296 Depth=2
	s_or_b64 exec, exec, s[42:43]
	v_cmp_lt_i32_e64 s[26:27], 0, v2
	s_and_saveexec_b64 s[28:29], s[6:7]
	s_cbranch_execz .LBB23_372
.LBB23_829:                             ;   in Loop: Header=BB23_296 Depth=2
	s_and_saveexec_b64 s[40:41], s[78:79]
	s_xor_b64 s[40:41], exec, s[40:41]
	s_cbranch_execz .LBB23_844
; %bb.830:                              ;   in Loop: Header=BB23_296 Depth=2
	s_and_saveexec_b64 s[42:43], s[14:15]
	s_cbranch_execz .LBB23_843
; %bb.831:                              ;   in Loop: Header=BB23_296 Depth=2
	s_mov_b64 s[58:59], exec
	v_mbcnt_lo_u32_b32 v2, s58, 0
	v_mbcnt_hi_u32_b32 v2, s59, v2
	v_cmp_eq_u32_e32 vcc, 0, v2
	s_waitcnt lgkmcnt(0)
	s_and_saveexec_b64 s[56:57], vcc
	s_cbranch_execz .LBB23_833
; %bb.832:                              ;   in Loop: Header=BB23_296 Depth=2
	s_bcnt1_i32_b64 s58, s[58:59]
	v_mov_b32_e32 v2, s58
	ds_add_u64 v0, v[2:3]
	s_trap 2
.LBB23_833:                             ;   in Loop: Header=BB23_296 Depth=2
	s_or_b64 exec, exec, s[56:57]
	s_trap 2
	ds_read_b64 v[4:5], v0
	s_waitcnt lgkmcnt(0)
	v_lshl_add_u64 v[80:81], v[80:81], 0, v[84:85]
	v_cmp_lt_u64_e32 vcc, v[4:5], v[80:81]
	s_and_saveexec_b64 s[56:57], vcc
	s_cbranch_execz .LBB23_842
; %bb.834:                              ;   in Loop: Header=BB23_296 Depth=2
	s_mov_b32 s49, 0
	s_mov_b64 s[58:59], 0
                                        ; implicit-def: $sgpr60_sgpr61
                                        ; implicit-def: $sgpr62_sgpr63
	s_branch .LBB23_836
.LBB23_835:                             ;   in Loop: Header=BB23_836 Depth=3
	s_or_b64 exec, exec, s[52:53]
	s_and_b64 vcc, exec, vcc
	s_or_b64 s[58:59], vcc, s[58:59]
	s_andn2_b64 s[60:61], s[60:61], exec
	s_and_b64 vcc, s[62:63], exec
	s_or_b64 s[60:61], s[60:61], vcc
	s_andn2_b64 exec, exec, s[58:59]
	s_cbranch_execz .LBB23_840
.LBB23_836:                             ;   Parent Loop BB23_47 Depth=1
                                        ;     Parent Loop BB23_296 Depth=2
                                        ; =>    This Inner Loop Header: Depth=3
	s_add_i32 s49, s49, 1
	s_cmpk_lg_i32 s49, 0x2710
	s_cselect_b64 s[50:51], -1, 0
	s_and_b64 vcc, exec, s[50:51]
	s_cbranch_vccz .LBB23_838
; %bb.837:                              ;   in Loop: Header=BB23_836 Depth=3
	s_mov_b64 vcc, -1
	s_or_b64 s[62:63], s[62:63], exec
	s_and_saveexec_b64 s[52:53], s[50:51]
	s_cbranch_execz .LBB23_835
	s_branch .LBB23_839
.LBB23_838:                             ;   in Loop: Header=BB23_836 Depth=3
	s_trap 2
	ds_read_b64 v[4:5], v0
	s_andn2_b64 s[50:51], s[50:51], exec
	s_mov_b32 s49, 0
	s_waitcnt vmcnt(0) lgkmcnt(0)
	flat_load_dword v2, v[4:5] sc0 sc1
	s_waitcnt vmcnt(0) lgkmcnt(0)
	buffer_inv sc0 sc1
	v_cmp_eq_u32_e32 vcc, 0, v2
	s_and_b64 vcc, vcc, exec
	s_or_b64 s[50:51], s[50:51], vcc
	s_mov_b64 vcc, -1
	s_or_b64 s[62:63], s[62:63], exec
	s_and_saveexec_b64 s[52:53], s[50:51]
	s_cbranch_execz .LBB23_835
.LBB23_839:                             ;   in Loop: Header=BB23_836 Depth=3
	s_sleep 1
	s_trap 2
	ds_read_b64 v[4:5], v0
	s_waitcnt lgkmcnt(0)
	s_andn2_b64 s[62:63], s[62:63], exec
	v_cmp_ge_u64_e32 vcc, v[4:5], v[80:81]
	s_orn2_b64 vcc, vcc, exec
	s_branch .LBB23_835
.LBB23_840:                             ;   in Loop: Header=BB23_296 Depth=2
	s_or_b64 exec, exec, s[58:59]
	s_and_saveexec_b64 s[58:59], s[60:61]
	s_xor_b64 s[58:59], exec, s[58:59]
	s_cbranch_execz .LBB23_842
; %bb.841:                              ;   in Loop: Header=BB23_296 Depth=2
	ds_write_b32 v0, v1
	s_trap 2
.LBB23_842:                             ;   in Loop: Header=BB23_296 Depth=2
	s_or_b64 exec, exec, s[56:57]
	;;#ASMSTART
	s_wakeup
	;;#ASMEND
.LBB23_843:                             ;   in Loop: Header=BB23_296 Depth=2
	s_or_b64 exec, exec, s[42:43]
.LBB23_844:                             ;   in Loop: Header=BB23_296 Depth=2
	s_andn2_saveexec_b64 s[40:41], s[40:41]
	s_cbranch_execz .LBB23_846
; %bb.845:                              ;   in Loop: Header=BB23_296 Depth=2
	s_waitcnt lgkmcnt(0)
	s_barrier
.LBB23_846:                             ;   in Loop: Header=BB23_296 Depth=2
	s_or_b64 exec, exec, s[40:41]
	s_or_b64 exec, exec, s[28:29]
                                        ; implicit-def: $vgpr2
	s_and_saveexec_b64 s[28:29], s[22:23]
	s_xor_b64 s[28:29], exec, s[28:29]
	s_cbranch_execnz .LBB23_373
.LBB23_847:                             ;   in Loop: Header=BB23_296 Depth=2
	s_andn2_saveexec_b64 s[26:27], s[28:29]
	s_cbranch_execz .LBB23_866
.LBB23_848:                             ;   in Loop: Header=BB23_296 Depth=2
	s_and_saveexec_b64 s[28:29], s[78:79]
	s_xor_b64 s[28:29], exec, s[28:29]
	s_cbranch_execz .LBB23_863
; %bb.849:                              ;   in Loop: Header=BB23_296 Depth=2
	s_and_saveexec_b64 s[40:41], s[14:15]
	s_cbranch_execz .LBB23_862
; %bb.850:                              ;   in Loop: Header=BB23_296 Depth=2
	s_mov_b64 s[56:57], exec
	v_mbcnt_lo_u32_b32 v2, s56, 0
	v_mbcnt_hi_u32_b32 v2, s57, v2
	v_cmp_eq_u32_e32 vcc, 0, v2
	;;#ASMSTART
	s_waitcnt lgkmcnt(0) vmcnt(0)
	;;#ASMEND
	s_and_saveexec_b64 s[42:43], vcc
	s_cbranch_execz .LBB23_852
; %bb.851:                              ;   in Loop: Header=BB23_296 Depth=2
	s_bcnt1_i32_b64 s56, s[56:57]
	v_mov_b32_e32 v2, s56
	s_waitcnt lgkmcnt(0)
	ds_add_u64 v0, v[2:3]
	s_trap 2
.LBB23_852:                             ;   in Loop: Header=BB23_296 Depth=2
	s_or_b64 exec, exec, s[42:43]
	s_trap 2
	ds_read_b64 v[4:5], v0
	s_waitcnt lgkmcnt(0)
	v_lshl_add_u64 v[80:81], v[80:81], 0, v[84:85]
	v_cmp_lt_u64_e32 vcc, v[4:5], v[80:81]
	s_and_saveexec_b64 s[42:43], vcc
	s_cbranch_execz .LBB23_861
; %bb.853:                              ;   in Loop: Header=BB23_296 Depth=2
	s_mov_b32 s49, 0
	s_mov_b64 s[56:57], 0
                                        ; implicit-def: $sgpr58_sgpr59
                                        ; implicit-def: $sgpr60_sgpr61
	s_branch .LBB23_855
.LBB23_854:                             ;   in Loop: Header=BB23_855 Depth=3
	s_or_b64 exec, exec, s[50:51]
	s_and_b64 s[62:63], exec, vcc
	s_or_b64 s[56:57], s[62:63], s[56:57]
	s_andn2_b64 s[58:59], s[58:59], exec
	s_and_b64 s[62:63], s[60:61], exec
	s_or_b64 s[58:59], s[58:59], s[62:63]
	s_andn2_b64 exec, exec, s[56:57]
	s_cbranch_execz .LBB23_859
.LBB23_855:                             ;   Parent Loop BB23_47 Depth=1
                                        ;     Parent Loop BB23_296 Depth=2
                                        ; =>    This Inner Loop Header: Depth=3
	s_add_i32 s49, s49, 1
	s_cmpk_lg_i32 s49, 0x2710
	s_cselect_b64 s[62:63], -1, 0
	s_and_b64 vcc, exec, s[62:63]
	s_cbranch_vccz .LBB23_857
; %bb.856:                              ;   in Loop: Header=BB23_855 Depth=3
	s_mov_b64 vcc, -1
	s_or_b64 s[60:61], s[60:61], exec
	s_and_saveexec_b64 s[50:51], s[62:63]
	s_cbranch_execz .LBB23_854
	s_branch .LBB23_858
.LBB23_857:                             ;   in Loop: Header=BB23_855 Depth=3
	s_trap 2
	ds_read_b64 v[4:5], v0
	s_andn2_b64 s[62:63], s[62:63], exec
	s_mov_b32 s49, 0
	s_waitcnt vmcnt(0) lgkmcnt(0)
	flat_load_dword v2, v[4:5] sc0 sc1
	s_waitcnt vmcnt(0) lgkmcnt(0)
	buffer_inv sc0 sc1
	v_cmp_eq_u32_e32 vcc, 0, v2
	s_and_b64 vcc, vcc, exec
	s_or_b64 s[62:63], s[62:63], vcc
	s_mov_b64 vcc, -1
	s_or_b64 s[60:61], s[60:61], exec
	s_and_saveexec_b64 s[50:51], s[62:63]
	s_cbranch_execz .LBB23_854
.LBB23_858:                             ;   in Loop: Header=BB23_855 Depth=3
	s_sleep 1
	s_trap 2
	ds_read_b64 v[4:5], v0
	s_waitcnt lgkmcnt(0)
	s_andn2_b64 s[60:61], s[60:61], exec
	v_cmp_ge_u64_e32 vcc, v[4:5], v[80:81]
	s_orn2_b64 vcc, vcc, exec
	s_branch .LBB23_854
.LBB23_859:                             ;   in Loop: Header=BB23_296 Depth=2
	s_or_b64 exec, exec, s[56:57]
	s_and_saveexec_b64 s[56:57], s[58:59]
	s_xor_b64 s[56:57], exec, s[56:57]
	s_cbranch_execz .LBB23_861
; %bb.860:                              ;   in Loop: Header=BB23_296 Depth=2
	ds_write_b32 v0, v1
	s_trap 2
.LBB23_861:                             ;   in Loop: Header=BB23_296 Depth=2
	s_or_b64 exec, exec, s[42:43]
	;;#ASMSTART
	s_wakeup
	;;#ASMEND
.LBB23_862:                             ;   in Loop: Header=BB23_296 Depth=2
	s_or_b64 exec, exec, s[40:41]
.LBB23_863:                             ;   in Loop: Header=BB23_296 Depth=2
	s_andn2_saveexec_b64 s[28:29], s[28:29]
	s_cbranch_execz .LBB23_865
; %bb.864:                              ;   in Loop: Header=BB23_296 Depth=2
	;;#ASMSTART
	s_waitcnt lgkmcnt(0) vmcnt(0)
	;;#ASMEND
	s_barrier
.LBB23_865:                             ;   in Loop: Header=BB23_296 Depth=2
	s_or_b64 exec, exec, s[28:29]
	v_and_b32_e32 v2, 16, v110
.LBB23_866:                             ;   in Loop: Header=BB23_296 Depth=2
	s_or_b64 exec, exec, s[26:27]
	v_cmp_ne_u32_e32 vcc, 0, v2
	s_xor_b64 s[26:27], s[10:11], -1
	s_and_b64 s[28:29], vcc, s[26:27]
	s_and_saveexec_b64 s[26:27], s[28:29]
	s_cbranch_execz .LBB23_868
; %bb.867:                              ;   in Loop: Header=BB23_296 Depth=2
	flat_store_dword v[68:69], v1 sc0 sc1
.LBB23_868:                             ;   in Loop: Header=BB23_296 Depth=2
	s_or_b64 exec, exec, s[26:27]
	v_and_b32_e32 v2, 48, v110
	v_cmp_ne_u32_e32 vcc, 0, v2
	s_and_saveexec_b64 s[26:27], vcc
	s_cbranch_execz .LBB23_870
; %bb.869:                              ;   in Loop: Header=BB23_296 Depth=2
	v_lshl_add_u64 v[76:77], v[76:77], 0, 4
	flat_store_dwordx2 v[64:65], v[76:77] sc0 sc1
.LBB23_870:                             ;   in Loop: Header=BB23_296 Depth=2
	s_or_b64 exec, exec, s[26:27]
	v_mov_b32_e32 v2, v90
.LBB23_871:                             ;   in Loop: Header=BB23_296 Depth=2
	s_or_b64 exec, exec, s[46:47]
	s_and_saveexec_b64 s[28:29], s[44:45]
	s_cbranch_execz .LBB23_295
; %bb.872:                              ;   in Loop: Header=BB23_296 Depth=2
	v_sub_u32_e32 v2, v53, v2
	v_min_i32_e32 v8, v90, v2
	v_and_b32_e32 v2, 12, v110
	v_cmp_ne_u32_e32 vcc, 0, v2
	s_and_saveexec_b64 s[40:41], vcc
	s_cbranch_execz .LBB23_882
; %bb.873:                              ;   in Loop: Header=BB23_296 Depth=2
	v_and_b32_e32 v2, 8, v110
	s_waitcnt vmcnt(0) lgkmcnt(0)
	v_lshl_add_u64 v[4:5], v[70:71], 0, v[2:3]
	v_lshl_add_u64 v[10:11], v[76:77], 0, 4
	v_cmp_lt_u64_e32 vcc, v[4:5], v[10:11]
	s_and_saveexec_b64 s[42:43], vcc
	s_cbranch_execz .LBB23_898
; %bb.874:                              ;   in Loop: Header=BB23_296 Depth=2
	v_and_b32_e32 v4, 64, v110
	s_mov_b32 s49, 0
	v_cmp_eq_u32_e32 vcc, 0, v4
	s_mov_b64 s[44:45], 0
                                        ; implicit-def: $sgpr46_sgpr47
                                        ; implicit-def: $sgpr56_sgpr57
                                        ; implicit-def: $sgpr58_sgpr59
	s_branch .LBB23_878
.LBB23_875:                             ;   in Loop: Header=BB23_878 Depth=3
	s_waitcnt vmcnt(0) lgkmcnt(0)
	v_lshl_add_u64 v[4:5], v[70:71], 0, v[2:3]
	v_cmp_ge_u64_e64 s[26:27], v[4:5], v[10:11]
	s_or_b64 s[50:51], s[50:51], exec
	s_orn2_b64 s[62:63], s[26:27], exec
.LBB23_876:                             ;   in Loop: Header=BB23_878 Depth=3
	s_or_b64 exec, exec, s[54:55]
	s_andn2_b64 s[26:27], s[58:59], exec
	s_and_b64 s[58:59], s[50:51], exec
	s_or_b64 s[58:59], s[26:27], s[58:59]
	s_andn2_b64 s[26:27], s[56:57], exec
	s_and_b64 s[56:57], s[62:63], exec
	s_or_b64 s[56:57], s[26:27], s[56:57]
.LBB23_877:                             ;   in Loop: Header=BB23_878 Depth=3
	s_or_b64 exec, exec, s[60:61]
	s_and_b64 s[26:27], exec, s[56:57]
	s_or_b64 s[44:45], s[26:27], s[44:45]
	s_andn2_b64 s[26:27], s[46:47], exec
	s_and_b64 s[46:47], s[58:59], exec
	s_or_b64 s[46:47], s[26:27], s[46:47]
	s_andn2_b64 exec, exec, s[44:45]
	s_cbranch_execz .LBB23_895
.LBB23_878:                             ;   Parent Loop BB23_47 Depth=1
                                        ;     Parent Loop BB23_296 Depth=2
                                        ; =>    This Inner Loop Header: Depth=3
	s_sleep 1
	s_waitcnt vmcnt(0) lgkmcnt(0)
	flat_load_dwordx2 v[70:71], v[64:65] sc0 sc1
	s_or_b64 s[58:59], s[58:59], exec
	s_or_b64 s[56:57], s[56:57], exec
                                        ; implicit-def: $vgpr9
	s_and_saveexec_b64 s[60:61], vcc
	s_cbranch_execz .LBB23_877
; %bb.879:                              ;   in Loop: Header=BB23_878 Depth=3
	s_cmpk_lt_i32 s49, 0x270f
	s_cselect_b64 s[52:53], -1, 0
	s_cmpk_gt_i32 s49, 0x270e
	s_mov_b64 s[62:63], -1
	s_cbranch_scc0 .LBB23_881
; %bb.880:                              ;   in Loop: Header=BB23_878 Depth=3
	s_trap 2
	ds_read_b64 v[4:5], v0
	s_andn2_b64 s[52:53], s[52:53], exec
	s_mov_b32 s49, 0
	s_mov_b64 s[50:51], 0
	s_waitcnt vmcnt(0) lgkmcnt(0)
	flat_load_dword v9, v[4:5] sc0 sc1
	s_waitcnt vmcnt(0) lgkmcnt(0)
	buffer_inv sc0 sc1
	v_cmp_eq_u32_e64 s[26:27], 0, v9
	s_and_b64 s[26:27], s[26:27], exec
	s_or_b64 s[52:53], s[52:53], s[26:27]
	s_and_saveexec_b64 s[54:55], s[52:53]
	s_cbranch_execz .LBB23_876
	s_branch .LBB23_875
.LBB23_881:                             ;   in Loop: Header=BB23_878 Depth=3
	s_add_i32 s49, s49, 1
	s_mov_b64 s[50:51], -1
                                        ; implicit-def: $vgpr9
	s_and_saveexec_b64 s[54:55], s[52:53]
	s_cbranch_execz .LBB23_876
	s_branch .LBB23_875
.LBB23_882:                             ;   in Loop: Header=BB23_296 Depth=2
	s_or_b64 exec, exec, s[40:41]
	s_and_saveexec_b64 s[26:27], s[6:7]
	s_cbranch_execnz .LBB23_911
.LBB23_883:                             ;   in Loop: Header=BB23_296 Depth=2
	s_or_b64 exec, exec, s[26:27]
                                        ; implicit-def: $vgpr2
	s_and_saveexec_b64 s[26:27], s[38:39]
	s_xor_b64 s[26:27], exec, s[26:27]
	s_cbranch_execz .LBB23_936
.LBB23_884:                             ;   in Loop: Header=BB23_296 Depth=2
	s_and_saveexec_b64 s[40:41], s[78:79]
	s_xor_b64 s[40:41], exec, s[40:41]
	s_cbranch_execz .LBB23_926
; %bb.885:                              ;   in Loop: Header=BB23_296 Depth=2
	s_and_saveexec_b64 s[42:43], s[14:15]
	s_cbranch_execz .LBB23_925
; %bb.886:                              ;   in Loop: Header=BB23_296 Depth=2
	s_mov_b64 s[46:47], exec
	v_mbcnt_lo_u32_b32 v2, s46, 0
	v_mbcnt_hi_u32_b32 v2, s47, v2
	v_cmp_eq_u32_e32 vcc, 0, v2
	;;#ASMSTART
	s_waitcnt lgkmcnt(0) vmcnt(0)
	;;#ASMEND
	s_and_saveexec_b64 s[44:45], vcc
	s_cbranch_execz .LBB23_888
; %bb.887:                              ;   in Loop: Header=BB23_296 Depth=2
	s_bcnt1_i32_b64 s46, s[46:47]
	v_mov_b32_e32 v2, s46
	s_waitcnt lgkmcnt(0)
	ds_add_u64 v0, v[2:3]
	s_trap 2
.LBB23_888:                             ;   in Loop: Header=BB23_296 Depth=2
	s_or_b64 exec, exec, s[44:45]
	s_trap 2
	ds_read_b64 v[4:5], v0
	s_waitcnt lgkmcnt(0)
	v_lshl_add_u64 v[80:81], v[80:81], 0, v[84:85]
	v_cmp_lt_u64_e32 vcc, v[4:5], v[80:81]
	s_and_saveexec_b64 s[44:45], vcc
	s_cbranch_execz .LBB23_924
; %bb.889:                              ;   in Loop: Header=BB23_296 Depth=2
	s_mov_b32 s49, 0
	s_mov_b64 s[46:47], 0
                                        ; implicit-def: $sgpr56_sgpr57
                                        ; implicit-def: $sgpr58_sgpr59
	s_branch .LBB23_891
.LBB23_890:                             ;   in Loop: Header=BB23_891 Depth=3
	s_or_b64 exec, exec, s[62:63]
	s_and_b64 s[60:61], exec, vcc
	s_or_b64 s[46:47], s[60:61], s[46:47]
	s_andn2_b64 s[56:57], s[56:57], exec
	s_and_b64 s[60:61], s[58:59], exec
	s_or_b64 s[56:57], s[56:57], s[60:61]
	s_andn2_b64 exec, exec, s[46:47]
	s_cbranch_execz .LBB23_922
.LBB23_891:                             ;   Parent Loop BB23_47 Depth=1
                                        ;     Parent Loop BB23_296 Depth=2
                                        ; =>    This Inner Loop Header: Depth=3
	s_add_i32 s49, s49, 1
	s_cmpk_lg_i32 s49, 0x2710
	s_cselect_b64 s[60:61], -1, 0
	s_and_b64 vcc, exec, s[60:61]
	s_cbranch_vccz .LBB23_893
; %bb.892:                              ;   in Loop: Header=BB23_891 Depth=3
	s_mov_b64 vcc, -1
	s_or_b64 s[58:59], s[58:59], exec
	s_and_saveexec_b64 s[62:63], s[60:61]
	s_cbranch_execz .LBB23_890
	s_branch .LBB23_894
.LBB23_893:                             ;   in Loop: Header=BB23_891 Depth=3
	s_trap 2
	ds_read_b64 v[4:5], v0
	s_andn2_b64 s[60:61], s[60:61], exec
	s_mov_b32 s49, 0
	s_waitcnt vmcnt(0) lgkmcnt(0)
	flat_load_dword v2, v[4:5] sc0 sc1
	s_waitcnt vmcnt(0) lgkmcnt(0)
	buffer_inv sc0 sc1
	v_cmp_eq_u32_e32 vcc, 0, v2
	s_and_b64 s[62:63], vcc, exec
	s_or_b64 s[60:61], s[60:61], s[62:63]
	s_mov_b64 vcc, -1
	s_or_b64 s[58:59], s[58:59], exec
	s_and_saveexec_b64 s[62:63], s[60:61]
	s_cbranch_execz .LBB23_890
.LBB23_894:                             ;   in Loop: Header=BB23_891 Depth=3
	s_sleep 1
	s_trap 2
	ds_read_b64 v[4:5], v0
	s_waitcnt lgkmcnt(0)
	s_andn2_b64 s[58:59], s[58:59], exec
	v_cmp_ge_u64_e32 vcc, v[4:5], v[80:81]
	s_orn2_b64 vcc, vcc, exec
	s_branch .LBB23_890
.LBB23_895:                             ;   in Loop: Header=BB23_296 Depth=2
	s_or_b64 exec, exec, s[44:45]
	s_xor_b64 s[26:27], s[46:47], -1
	s_and_saveexec_b64 s[44:45], s[26:27]
	s_xor_b64 s[26:27], exec, s[44:45]
	s_cbranch_execz .LBB23_897
; %bb.896:                              ;   in Loop: Header=BB23_296 Depth=2
	v_or_b32_e32 v110, 64, v110
	s_waitcnt lgkmcnt(0)
	ds_write_b32 v0, v9
	s_trap 2
.LBB23_897:                             ;   in Loop: Header=BB23_296 Depth=2
	s_or_b64 exec, exec, s[26:27]
.LBB23_898:                             ;   in Loop: Header=BB23_296 Depth=2
	s_or_b64 exec, exec, s[42:43]
	v_and_b32_e32 v4, 0x108, v110
	v_cmp_ne_u32_e32 vcc, s96, v4
	;;#ASMSTART
	s_wakeup
	;;#ASMEND
                                        ; implicit-def: $vgpr12_vgpr13
	s_and_saveexec_b64 s[26:27], vcc
	s_xor_b64 s[26:27], exec, s[26:27]
; %bb.899:                              ;   in Loop: Header=BB23_296 Depth=2
	v_and_b32_e32 v12, 7, v76
	v_mov_b32_e32 v13, v3
                                        ; implicit-def: $vgpr76_vgpr77
; %bb.900:                              ;   in Loop: Header=BB23_296 Depth=2
	s_andn2_saveexec_b64 s[26:27], s[26:27]
	s_cbranch_execz .LBB23_902
; %bb.901:                              ;   in Loop: Header=BB23_296 Depth=2
	v_and_b32_e32 v12, 7, v76
	v_ashrrev_i32_e32 v9, 31, v8
	v_mov_b32_e32 v13, v3
	v_mad_u64_u32 v[4:5], s[42:43], v12, 24, v[6:7]
	v_lshlrev_b64 v[14:15], 1, v[8:9]
	flat_store_dwordx2 v[4:5], v[14:15] offset:8
.LBB23_902:                             ;   in Loop: Header=BB23_296 Depth=2
	s_or_b64 exec, exec, s[26:27]
	v_and_b32_e32 v4, 0x100, v110
	v_cmp_ne_u32_e32 vcc, 0, v4
	s_mov_b64 s[26:27], -1
                                        ; implicit-def: $vgpr14_vgpr15
	s_and_saveexec_b64 s[42:43], vcc
	s_cbranch_execz .LBB23_906
; %bb.903:                              ;   in Loop: Header=BB23_296 Depth=2
	v_mad_u64_u32 v[16:17], s[26:27], v12, 24, v[6:7]
	v_mov_b32_e32 v4, v17
	v_mad_u64_u32 v[4:5], s[26:27], v13, 24, v[4:5]
	v_mov_b32_e32 v17, v4
	flat_load_dword v4, v[16:17]
                                        ; implicit-def: $vgpr14_vgpr15
	s_waitcnt vmcnt(0) lgkmcnt(0)
	v_cmp_ne_u32_e32 vcc, 1, v4
	v_cmp_eq_u32_e64 s[26:27], 1, v4
	s_and_saveexec_b64 s[44:45], s[26:27]
	s_cbranch_execz .LBB23_905
; %bb.904:                              ;   in Loop: Header=BB23_296 Depth=2
	flat_load_dword v4, v[16:17] offset:4 sc0 sc1
	s_waitcnt vmcnt(0) lgkmcnt(0)
	v_ashrrev_i32_e32 v5, 31, v4
	v_lshrrev_b64 v[14:15], 1, v[4:5]
.LBB23_905:                             ;   in Loop: Header=BB23_296 Depth=2
	s_or_b64 exec, exec, s[44:45]
	s_orn2_b64 s[26:27], vcc, exec
.LBB23_906:                             ;   in Loop: Header=BB23_296 Depth=2
	s_or_b64 exec, exec, s[42:43]
	s_and_saveexec_b64 s[42:43], s[26:27]
; %bb.907:                              ;   in Loop: Header=BB23_296 Depth=2
	v_mul_lo_u32 v4, v13, v30
	v_mul_lo_u32 v5, v12, v83
	v_mad_u64_u32 v[14:15], s[26:27], v12, v30, 0
	v_add3_u32 v15, v15, v5, v4
; %bb.908:                              ;   in Loop: Header=BB23_296 Depth=2
	s_or_b64 exec, exec, s[42:43]
	v_cmp_eq_u32_e32 vcc, 0, v2
	v_lshl_add_u64 v[4:5], v[14:15], 1, v[66:67]
	s_nop 0
	v_cndmask_b32_e32 v2, v111, v96, vcc
	v_add_u32_e32 v2, v0, v2
	ds_write_b64 v2, v[4:5] offset:584
	v_and_b32_e32 v2, 0x2000, v110
	v_cmp_ne_u32_e32 vcc, 0, v2
	s_and_saveexec_b64 s[26:27], vcc
	s_cbranch_execz .LBB23_910
; %bb.909:                              ;   in Loop: Header=BB23_296 Depth=2
	ds_read_b64 v[4:5], v0 offset:872
	s_waitcnt lgkmcnt(0)
	v_lshl_add_u64 v[4:5], v[4:5], 0, 1
	ds_write_b64 v0, v[4:5] offset:872
.LBB23_910:                             ;   in Loop: Header=BB23_296 Depth=2
	s_or_b64 exec, exec, s[26:27]
	v_mov_b64_e32 v[76:77], v[10:11]
	s_or_b64 exec, exec, s[40:41]
	s_and_saveexec_b64 s[26:27], s[6:7]
	s_cbranch_execz .LBB23_883
.LBB23_911:                             ;   in Loop: Header=BB23_296 Depth=2
	s_and_saveexec_b64 s[40:41], s[78:79]
	s_xor_b64 s[40:41], exec, s[40:41]
	s_cbranch_execz .LBB23_933
; %bb.912:                              ;   in Loop: Header=BB23_296 Depth=2
	s_and_saveexec_b64 s[42:43], s[14:15]
	s_cbranch_execz .LBB23_932
; %bb.913:                              ;   in Loop: Header=BB23_296 Depth=2
	s_mov_b64 s[46:47], exec
	v_mbcnt_lo_u32_b32 v2, s46, 0
	v_mbcnt_hi_u32_b32 v2, s47, v2
	v_cmp_eq_u32_e32 vcc, 0, v2
	s_waitcnt lgkmcnt(0)
	s_and_saveexec_b64 s[44:45], vcc
	s_cbranch_execz .LBB23_915
; %bb.914:                              ;   in Loop: Header=BB23_296 Depth=2
	s_bcnt1_i32_b64 s46, s[46:47]
	v_mov_b32_e32 v2, s46
	ds_add_u64 v0, v[2:3]
	s_trap 2
.LBB23_915:                             ;   in Loop: Header=BB23_296 Depth=2
	s_or_b64 exec, exec, s[44:45]
	s_trap 2
	ds_read_b64 v[4:5], v0
	s_waitcnt lgkmcnt(0)
	v_lshl_add_u64 v[80:81], v[80:81], 0, v[84:85]
	v_cmp_lt_u64_e32 vcc, v[4:5], v[80:81]
	s_and_saveexec_b64 s[44:45], vcc
	s_cbranch_execz .LBB23_931
; %bb.916:                              ;   in Loop: Header=BB23_296 Depth=2
	s_mov_b32 s49, 0
	s_mov_b64 s[46:47], 0
                                        ; implicit-def: $sgpr56_sgpr57
                                        ; implicit-def: $sgpr58_sgpr59
	s_branch .LBB23_918
.LBB23_917:                             ;   in Loop: Header=BB23_918 Depth=3
	s_or_b64 exec, exec, s[62:63]
	s_and_b64 s[60:61], exec, vcc
	s_or_b64 s[46:47], s[60:61], s[46:47]
	s_andn2_b64 s[56:57], s[56:57], exec
	s_and_b64 s[60:61], s[58:59], exec
	s_or_b64 s[56:57], s[56:57], s[60:61]
	s_andn2_b64 exec, exec, s[46:47]
	s_cbranch_execz .LBB23_929
.LBB23_918:                             ;   Parent Loop BB23_47 Depth=1
                                        ;     Parent Loop BB23_296 Depth=2
                                        ; =>    This Inner Loop Header: Depth=3
	s_add_i32 s49, s49, 1
	s_cmpk_lg_i32 s49, 0x2710
	s_cselect_b64 s[60:61], -1, 0
	s_and_b64 vcc, exec, s[60:61]
	s_cbranch_vccz .LBB23_920
; %bb.919:                              ;   in Loop: Header=BB23_918 Depth=3
	s_mov_b64 vcc, -1
	s_or_b64 s[58:59], s[58:59], exec
	s_and_saveexec_b64 s[62:63], s[60:61]
	s_cbranch_execz .LBB23_917
	s_branch .LBB23_921
.LBB23_920:                             ;   in Loop: Header=BB23_918 Depth=3
	s_trap 2
	ds_read_b64 v[4:5], v0
	s_andn2_b64 s[60:61], s[60:61], exec
	s_mov_b32 s49, 0
	s_waitcnt vmcnt(0) lgkmcnt(0)
	flat_load_dword v2, v[4:5] sc0 sc1
	s_waitcnt vmcnt(0) lgkmcnt(0)
	buffer_inv sc0 sc1
	v_cmp_eq_u32_e32 vcc, 0, v2
	s_and_b64 s[62:63], vcc, exec
	s_or_b64 s[60:61], s[60:61], s[62:63]
	s_mov_b64 vcc, -1
	s_or_b64 s[58:59], s[58:59], exec
	s_and_saveexec_b64 s[62:63], s[60:61]
	s_cbranch_execz .LBB23_917
.LBB23_921:                             ;   in Loop: Header=BB23_918 Depth=3
	s_sleep 1
	s_trap 2
	ds_read_b64 v[4:5], v0
	s_waitcnt lgkmcnt(0)
	s_andn2_b64 s[58:59], s[58:59], exec
	v_cmp_ge_u64_e32 vcc, v[4:5], v[80:81]
	s_orn2_b64 vcc, vcc, exec
	s_branch .LBB23_917
.LBB23_922:                             ;   in Loop: Header=BB23_296 Depth=2
	s_or_b64 exec, exec, s[46:47]
	s_and_saveexec_b64 s[46:47], s[56:57]
	s_xor_b64 s[46:47], exec, s[46:47]
	s_cbranch_execz .LBB23_924
; %bb.923:                              ;   in Loop: Header=BB23_296 Depth=2
	ds_write_b32 v0, v1
	s_trap 2
.LBB23_924:                             ;   in Loop: Header=BB23_296 Depth=2
	s_or_b64 exec, exec, s[44:45]
	;;#ASMSTART
	s_wakeup
	;;#ASMEND
.LBB23_925:                             ;   in Loop: Header=BB23_296 Depth=2
	s_or_b64 exec, exec, s[42:43]
.LBB23_926:                             ;   in Loop: Header=BB23_296 Depth=2
	s_andn2_saveexec_b64 s[40:41], s[40:41]
	s_cbranch_execz .LBB23_928
; %bb.927:                              ;   in Loop: Header=BB23_296 Depth=2
	;;#ASMSTART
	s_waitcnt lgkmcnt(0) vmcnt(0)
	;;#ASMEND
	s_barrier
.LBB23_928:                             ;   in Loop: Header=BB23_296 Depth=2
	s_or_b64 exec, exec, s[40:41]
	v_and_b32_e32 v2, 16, v110
                                        ; implicit-def: $vgpr8
	s_andn2_saveexec_b64 s[26:27], s[26:27]
	s_cbranch_execz .LBB23_940
	s_branch .LBB23_937
.LBB23_929:                             ;   in Loop: Header=BB23_296 Depth=2
	s_or_b64 exec, exec, s[46:47]
	s_and_saveexec_b64 s[46:47], s[56:57]
	s_xor_b64 s[46:47], exec, s[46:47]
	s_cbranch_execz .LBB23_931
; %bb.930:                              ;   in Loop: Header=BB23_296 Depth=2
	ds_write_b32 v0, v1
	s_trap 2
.LBB23_931:                             ;   in Loop: Header=BB23_296 Depth=2
	s_or_b64 exec, exec, s[44:45]
	;;#ASMSTART
	s_wakeup
	;;#ASMEND
.LBB23_932:                             ;   in Loop: Header=BB23_296 Depth=2
	s_or_b64 exec, exec, s[42:43]
.LBB23_933:                             ;   in Loop: Header=BB23_296 Depth=2
	s_andn2_saveexec_b64 s[40:41], s[40:41]
	s_cbranch_execz .LBB23_935
; %bb.934:                              ;   in Loop: Header=BB23_296 Depth=2
	s_waitcnt lgkmcnt(0)
	s_barrier
.LBB23_935:                             ;   in Loop: Header=BB23_296 Depth=2
	s_or_b64 exec, exec, s[40:41]
	s_or_b64 exec, exec, s[26:27]
                                        ; implicit-def: $vgpr2
	s_and_saveexec_b64 s[26:27], s[38:39]
	s_xor_b64 s[26:27], exec, s[26:27]
	s_cbranch_execnz .LBB23_884
.LBB23_936:                             ;   in Loop: Header=BB23_296 Depth=2
	s_andn2_saveexec_b64 s[26:27], s[26:27]
	s_cbranch_execz .LBB23_940
.LBB23_937:                             ;   in Loop: Header=BB23_296 Depth=2
	s_trap 2
	ds_read_b32 v4, v0
	v_cmp_lt_i32_e32 vcc, 0, v8
	v_and_b32_e32 v5, 16, v110
	v_and_b32_e32 v2, 16, v110
	s_waitcnt lgkmcnt(0)
	v_readfirstlane_b32 s40, v4
	s_cmp_eq_u32 s40, 0
	s_cselect_b64 s[40:41], -1, 0
	s_and_b64 s[40:41], vcc, s[40:41]
	v_cmp_ne_u32_e32 vcc, 0, v5
	s_and_b64 s[42:43], vcc, s[40:41]
	s_and_saveexec_b64 s[40:41], s[42:43]
	s_cbranch_execz .LBB23_939
; %bb.938:                              ;   in Loop: Header=BB23_296 Depth=2
	v_mov_b32_e32 v2, 1
	buffer_wbl2 sc1
	s_waitcnt vmcnt(0)
	buffer_inv sc1
.LBB23_939:                             ;   in Loop: Header=BB23_296 Depth=2
	s_or_b64 exec, exec, s[40:41]
.LBB23_940:                             ;   in Loop: Header=BB23_296 Depth=2
	s_or_b64 exec, exec, s[26:27]
	v_cmp_ne_u32_e32 vcc, 0, v2
	s_xor_b64 s[26:27], s[10:11], -1
	s_and_b64 s[40:41], vcc, s[26:27]
	s_and_saveexec_b64 s[26:27], s[40:41]
	s_cbranch_execz .LBB23_942
; %bb.941:                              ;   in Loop: Header=BB23_296 Depth=2
	flat_store_dword v[68:69], v1 sc0 sc1
.LBB23_942:                             ;   in Loop: Header=BB23_296 Depth=2
	s_or_b64 exec, exec, s[26:27]
	v_and_b32_e32 v2, 48, v110
	v_cmp_ne_u32_e32 vcc, 0, v2
	s_and_saveexec_b64 s[26:27], vcc
	s_cbranch_execz .LBB23_294
; %bb.943:                              ;   in Loop: Header=BB23_296 Depth=2
	v_lshl_add_u64 v[76:77], v[76:77], 0, 4
	flat_store_dwordx2 v[64:65], v[76:77] sc0 sc1
	s_branch .LBB23_294
.LBB23_944:                             ;   in Loop: Header=BB23_47 Depth=1
	v_mul_lo_u32 v2, v75, s68
	v_mul_lo_u32 v4, v74, s69
	v_mad_u64_u32 v[8:9], s[26:27], v74, s68, 0
	v_add3_u32 v9, v9, v4, v2
	v_sub_co_u32_e32 v4, vcc, v78, v8
	v_mov_b32_e32 v2, 0
	s_nop 0
	v_subb_co_u32_e32 v5, vcc, v79, v9, vcc
	v_cmp_lt_i64_e32 vcc, v[74:75], v[4:5]
	s_nop 1
	v_cndmask_b32_e32 v4, v4, v74, vcc
	v_max_i32_e32 v53, 0, v4
	v_add_u32_e32 v5, 15, v53
	v_ashrrev_i32_e32 v10, 31, v5
	v_lshrrev_b32_e32 v10, 28, v10
	v_add_u32_e32 v5, v5, v10
	v_cmp_gt_i32_e32 vcc, 1, v4
	v_and_b32_e32 v5, -16, v5
	s_or_b64 s[50:51], s[2:3], vcc
	v_max_i32_e32 v36, s82, v5
	s_xor_b64 s[26:27], s[50:51], -1
	s_and_saveexec_b64 s[52:53], s[26:27]
	s_cbranch_execz .LBB23_950
; %bb.945:                              ;   in Loop: Header=BB23_47 Depth=1
	s_and_saveexec_b64 s[26:27], s[0:1]
	s_cbranch_execz .LBB23_947
; %bb.946:                              ;   in Loop: Header=BB23_47 Depth=1
	s_trap 2
	ds_read2_b64 v[10:13], v0 offset1:1
	v_lshl_add_u64 v[4:5], v[8:9], 0, v[88:89]
	ds_read_b64 v[8:9], v0
	v_lshlrev_b64 v[4:5], 1, v[4:5]
	s_waitcnt lgkmcnt(0)
	v_lshl_add_u64 v[10:11], v[10:11], 0, v[4:5]
	ds_write_b64 v0, v[10:11]
	v_lshl_add_u64 v[10:11], v[12:13], 0, v[4:5]
	v_lshl_add_u64 v[4:5], v[8:9], 0, v[4:5]
	v_cmp_ne_u64_e32 vcc, 0, v[8:9]
	ds_write_b64 v0, v[10:11]
	s_nop 0
	v_cndmask_b32_e32 v5, 0, v5, vcc
	v_cndmask_b32_e32 v4, 0, v4, vcc
	ds_write_b64 v0, v[4:5]
.LBB23_947:                             ;   in Loop: Header=BB23_47 Depth=1
	s_or_b64 exec, exec, s[26:27]
	v_and_b32_e32 v2, 12, v110
	v_min_i32_e32 v36, v36, v53
	v_cmp_ne_u32_e32 vcc, 0, v2
	s_and_saveexec_b64 s[28:29], vcc
	s_cbranch_execz .LBB23_984
; %bb.948:                              ;   in Loop: Header=BB23_47 Depth=1
	v_and_b32_e32 v2, 8, v110
	s_waitcnt vmcnt(0) lgkmcnt(0)
	v_lshl_add_u64 v[4:5], v[70:71], 0, v[2:3]
	v_lshl_add_u64 v[8:9], v[76:77], 0, 4
	v_cmp_lt_u64_e32 vcc, v[4:5], v[8:9]
	s_and_saveexec_b64 s[40:41], vcc
	s_cbranch_execz .LBB23_971
; %bb.949:                              ;   in Loop: Header=BB23_47 Depth=1
	v_and_b32_e32 v4, 64, v110
	s_mov_b32 s76, 0
	v_cmp_eq_u32_e32 vcc, 0, v4
	s_mov_b64 s[42:43], 0
                                        ; implicit-def: $sgpr44_sgpr45
                                        ; implicit-def: $sgpr46_sgpr47
                                        ; implicit-def: $sgpr56_sgpr57
	s_branch .LBB23_957
.LBB23_950:                             ;   in Loop: Header=BB23_47 Depth=1
	s_or_b64 exec, exec, s[52:53]
	s_and_saveexec_b64 s[28:29], s[50:51]
	s_cbranch_execz .LBB23_1649
.LBB23_951:                             ;   in Loop: Header=BB23_47 Depth=1
	v_sub_u32_e32 v2, v53, v2
	v_min_i32_e32 v8, v36, v2
	v_and_b32_e32 v2, 12, v110
	v_cmp_ne_u32_e32 vcc, 0, v2
	s_and_saveexec_b64 s[40:41], vcc
	s_cbranch_execz .LBB23_1012
; %bb.952:                              ;   in Loop: Header=BB23_47 Depth=1
	v_and_b32_e32 v2, 8, v110
	s_waitcnt vmcnt(0) lgkmcnt(0)
	v_lshl_add_u64 v[4:5], v[70:71], 0, v[2:3]
	v_lshl_add_u64 v[10:11], v[76:77], 0, 4
	v_cmp_lt_u64_e32 vcc, v[4:5], v[10:11]
	s_and_saveexec_b64 s[42:43], vcc
	s_cbranch_execz .LBB23_999
; %bb.953:                              ;   in Loop: Header=BB23_47 Depth=1
	v_and_b32_e32 v4, 64, v110
	s_mov_b32 s76, 0
	v_cmp_eq_u32_e32 vcc, 0, v4
	s_mov_b64 s[44:45], 0
                                        ; implicit-def: $sgpr46_sgpr47
                                        ; implicit-def: $sgpr56_sgpr57
                                        ; implicit-def: $sgpr58_sgpr59
	s_branch .LBB23_964
.LBB23_954:                             ;   in Loop: Header=BB23_957 Depth=2
	s_waitcnt vmcnt(0) lgkmcnt(0)
	v_lshl_add_u64 v[4:5], v[70:71], 0, v[2:3]
	v_cmp_ge_u64_e64 s[26:27], v[4:5], v[8:9]
	s_or_b64 s[62:63], s[62:63], exec
	s_orn2_b64 s[60:61], s[26:27], exec
.LBB23_955:                             ;   in Loop: Header=BB23_957 Depth=2
	s_or_b64 exec, exec, s[64:65]
	s_andn2_b64 s[26:27], s[56:57], exec
	s_and_b64 s[56:57], s[62:63], exec
	s_or_b64 s[56:57], s[26:27], s[56:57]
	s_andn2_b64 s[26:27], s[46:47], exec
	s_and_b64 s[46:47], s[60:61], exec
	s_or_b64 s[46:47], s[26:27], s[46:47]
.LBB23_956:                             ;   in Loop: Header=BB23_957 Depth=2
	s_or_b64 exec, exec, s[58:59]
	s_and_b64 s[26:27], exec, s[46:47]
	s_or_b64 s[42:43], s[26:27], s[42:43]
	s_andn2_b64 s[26:27], s[44:45], exec
	s_and_b64 s[44:45], s[56:57], exec
	s_or_b64 s[44:45], s[26:27], s[44:45]
	s_andn2_b64 exec, exec, s[42:43]
	s_cbranch_execz .LBB23_968
.LBB23_957:                             ;   Parent Loop BB23_47 Depth=1
                                        ; =>  This Inner Loop Header: Depth=2
	s_sleep 1
	s_waitcnt vmcnt(0) lgkmcnt(0)
	flat_load_dwordx2 v[70:71], v[64:65] sc0 sc1
	s_or_b64 s[56:57], s[56:57], exec
	s_or_b64 s[46:47], s[46:47], exec
                                        ; implicit-def: $vgpr10
	s_and_saveexec_b64 s[58:59], vcc
	s_cbranch_execz .LBB23_956
; %bb.958:                              ;   in Loop: Header=BB23_957 Depth=2
	s_cmpk_lt_i32 s76, 0x270f
	s_cselect_b64 s[54:55], -1, 0
	s_cmpk_gt_i32 s76, 0x270e
	s_mov_b64 s[60:61], -1
	s_cbranch_scc0 .LBB23_960
; %bb.959:                              ;   in Loop: Header=BB23_957 Depth=2
	s_trap 2
	ds_read_b64 v[4:5], v0
	s_andn2_b64 s[54:55], s[54:55], exec
	s_mov_b32 s76, 0
	s_mov_b64 s[62:63], 0
	s_waitcnt vmcnt(0) lgkmcnt(0)
	flat_load_dword v10, v[4:5] sc0 sc1
	s_waitcnt vmcnt(0) lgkmcnt(0)
	buffer_inv sc0 sc1
	v_cmp_eq_u32_e64 s[26:27], 0, v10
	s_and_b64 s[26:27], s[26:27], exec
	s_or_b64 s[54:55], s[54:55], s[26:27]
	s_and_saveexec_b64 s[64:65], s[54:55]
	s_cbranch_execz .LBB23_955
	s_branch .LBB23_954
.LBB23_960:                             ;   in Loop: Header=BB23_957 Depth=2
	s_add_i32 s76, s76, 1
	s_mov_b64 s[62:63], -1
                                        ; implicit-def: $vgpr10
	s_and_saveexec_b64 s[64:65], s[54:55]
	s_cbranch_execz .LBB23_955
	s_branch .LBB23_954
.LBB23_961:                             ;   in Loop: Header=BB23_964 Depth=2
	s_waitcnt vmcnt(0) lgkmcnt(0)
	v_lshl_add_u64 v[4:5], v[70:71], 0, v[2:3]
	v_cmp_ge_u64_e64 s[26:27], v[4:5], v[10:11]
	s_or_b64 s[50:51], s[50:51], exec
	s_orn2_b64 s[62:63], s[26:27], exec
.LBB23_962:                             ;   in Loop: Header=BB23_964 Depth=2
	s_or_b64 exec, exec, s[54:55]
	s_andn2_b64 s[26:27], s[58:59], exec
	s_and_b64 s[58:59], s[50:51], exec
	s_or_b64 s[58:59], s[26:27], s[58:59]
	s_andn2_b64 s[26:27], s[56:57], exec
	s_and_b64 s[56:57], s[62:63], exec
	s_or_b64 s[56:57], s[26:27], s[56:57]
.LBB23_963:                             ;   in Loop: Header=BB23_964 Depth=2
	s_or_b64 exec, exec, s[60:61]
	s_and_b64 s[26:27], exec, s[56:57]
	s_or_b64 s[44:45], s[26:27], s[44:45]
	s_andn2_b64 s[26:27], s[46:47], exec
	s_and_b64 s[46:47], s[58:59], exec
	s_or_b64 s[46:47], s[26:27], s[46:47]
	s_andn2_b64 exec, exec, s[44:45]
	s_cbranch_execz .LBB23_996
.LBB23_964:                             ;   Parent Loop BB23_47 Depth=1
                                        ; =>  This Inner Loop Header: Depth=2
	s_sleep 1
	s_waitcnt vmcnt(0) lgkmcnt(0)
	flat_load_dwordx2 v[70:71], v[64:65] sc0 sc1
	s_or_b64 s[58:59], s[58:59], exec
	s_or_b64 s[56:57], s[56:57], exec
                                        ; implicit-def: $vgpr9
	s_and_saveexec_b64 s[60:61], vcc
	s_cbranch_execz .LBB23_963
; %bb.965:                              ;   in Loop: Header=BB23_964 Depth=2
	s_cmpk_lt_i32 s76, 0x270f
	s_cselect_b64 s[52:53], -1, 0
	s_cmpk_gt_i32 s76, 0x270e
	s_mov_b64 s[62:63], -1
	s_cbranch_scc0 .LBB23_967
; %bb.966:                              ;   in Loop: Header=BB23_964 Depth=2
	s_trap 2
	ds_read_b64 v[4:5], v0
	s_andn2_b64 s[52:53], s[52:53], exec
	s_mov_b32 s76, 0
	s_mov_b64 s[50:51], 0
	s_waitcnt vmcnt(0) lgkmcnt(0)
	flat_load_dword v9, v[4:5] sc0 sc1
	s_waitcnt vmcnt(0) lgkmcnt(0)
	buffer_inv sc0 sc1
	v_cmp_eq_u32_e64 s[26:27], 0, v9
	s_and_b64 s[26:27], s[26:27], exec
	s_or_b64 s[52:53], s[52:53], s[26:27]
	s_and_saveexec_b64 s[54:55], s[52:53]
	s_cbranch_execz .LBB23_962
	s_branch .LBB23_961
.LBB23_967:                             ;   in Loop: Header=BB23_964 Depth=2
	s_add_i32 s76, s76, 1
	s_mov_b64 s[50:51], -1
                                        ; implicit-def: $vgpr9
	s_and_saveexec_b64 s[54:55], s[52:53]
	s_cbranch_execz .LBB23_962
	s_branch .LBB23_961
.LBB23_968:                             ;   in Loop: Header=BB23_47 Depth=1
	s_or_b64 exec, exec, s[42:43]
	s_xor_b64 s[26:27], s[44:45], -1
	s_and_saveexec_b64 s[42:43], s[26:27]
	s_xor_b64 s[26:27], exec, s[42:43]
	s_cbranch_execz .LBB23_970
; %bb.969:                              ;   in Loop: Header=BB23_47 Depth=1
	v_or_b32_e32 v110, 64, v110
	s_waitcnt lgkmcnt(0)
	ds_write_b32 v0, v10
	s_trap 2
.LBB23_970:                             ;   in Loop: Header=BB23_47 Depth=1
	s_or_b64 exec, exec, s[26:27]
.LBB23_971:                             ;   in Loop: Header=BB23_47 Depth=1
	s_or_b64 exec, exec, s[40:41]
	v_and_b32_e32 v4, 0x108, v110
	v_cmp_ne_u32_e32 vcc, s96, v4
	v_and_b32_e32 v10, 7, v76
	;;#ASMSTART
	s_wakeup
	;;#ASMEND
	s_and_saveexec_b64 s[26:27], vcc
	s_xor_b64 s[26:27], exec, s[26:27]
                                        ; implicit-def: $vgpr11
; %bb.972:                              ;   in Loop: Header=BB23_47 Depth=1
	v_mov_b32_e32 v11, v3
; %bb.973:                              ;   in Loop: Header=BB23_47 Depth=1
	s_andn2_saveexec_b64 s[26:27], s[26:27]
	s_cbranch_execz .LBB23_975
; %bb.974:                              ;   in Loop: Header=BB23_47 Depth=1
	v_ashrrev_i32_e32 v37, 31, v36
	v_mov_b32_e32 v11, v3
	v_mad_u64_u32 v[4:5], s[40:41], v10, 24, v[6:7]
	v_lshlrev_b64 v[12:13], 1, v[36:37]
	flat_store_dwordx2 v[4:5], v[12:13] offset:8
.LBB23_975:                             ;   in Loop: Header=BB23_47 Depth=1
	s_or_b64 exec, exec, s[26:27]
	v_and_b32_e32 v4, 0x100, v110
	v_cmp_ne_u32_e32 vcc, 0, v4
	s_mov_b64 s[26:27], -1
                                        ; implicit-def: $vgpr12_vgpr13
	s_and_saveexec_b64 s[40:41], vcc
	s_cbranch_execz .LBB23_979
; %bb.976:                              ;   in Loop: Header=BB23_47 Depth=1
	v_mad_u64_u32 v[14:15], s[26:27], v10, 24, v[6:7]
	v_mov_b32_e32 v4, v15
	v_mad_u64_u32 v[4:5], s[26:27], v11, 24, v[4:5]
	v_mov_b32_e32 v15, v4
	flat_load_dword v4, v[14:15]
                                        ; implicit-def: $vgpr12_vgpr13
	s_waitcnt vmcnt(0) lgkmcnt(0)
	v_cmp_ne_u32_e32 vcc, 1, v4
	v_cmp_eq_u32_e64 s[26:27], 1, v4
	s_and_saveexec_b64 s[42:43], s[26:27]
	s_cbranch_execz .LBB23_978
; %bb.977:                              ;   in Loop: Header=BB23_47 Depth=1
	flat_load_dword v4, v[14:15] offset:4 sc0 sc1
	s_waitcnt vmcnt(0) lgkmcnt(0)
	v_ashrrev_i32_e32 v5, 31, v4
	v_lshrrev_b64 v[12:13], 1, v[4:5]
.LBB23_978:                             ;   in Loop: Header=BB23_47 Depth=1
	s_or_b64 exec, exec, s[42:43]
	s_orn2_b64 s[26:27], vcc, exec
.LBB23_979:                             ;   in Loop: Header=BB23_47 Depth=1
	s_or_b64 exec, exec, s[40:41]
	s_and_saveexec_b64 s[40:41], s[26:27]
; %bb.980:                              ;   in Loop: Header=BB23_47 Depth=1
	v_mul_lo_u32 v4, v11, v30
	v_mul_lo_u32 v5, v10, v83
	v_mad_u64_u32 v[12:13], s[26:27], v10, v30, 0
	v_add3_u32 v13, v13, v5, v4
; %bb.981:                              ;   in Loop: Header=BB23_47 Depth=1
	s_or_b64 exec, exec, s[40:41]
	v_cmp_eq_u32_e32 vcc, 0, v2
	v_lshl_add_u64 v[4:5], v[12:13], 1, v[66:67]
	s_nop 0
	v_cndmask_b32_e32 v2, v97, v96, vcc
	v_add_u32_e32 v2, v0, v2
	ds_write_b64 v2, v[4:5] offset:584
	v_and_b32_e32 v2, 0x2000, v110
	v_cmp_ne_u32_e32 vcc, 0, v2
	s_and_saveexec_b64 s[26:27], vcc
	s_cbranch_execz .LBB23_983
; %bb.982:                              ;   in Loop: Header=BB23_47 Depth=1
	ds_read_b64 v[4:5], v0 offset:872
	s_waitcnt lgkmcnt(0)
	v_lshl_add_u64 v[4:5], v[4:5], 0, 1
	ds_write_b64 v0, v[4:5] offset:872
.LBB23_983:                             ;   in Loop: Header=BB23_47 Depth=1
	s_or_b64 exec, exec, s[26:27]
	v_mov_b64_e32 v[76:77], v[8:9]
.LBB23_984:                             ;   in Loop: Header=BB23_47 Depth=1
	s_or_b64 exec, exec, s[28:29]
	s_and_saveexec_b64 s[26:27], s[6:7]
	s_cbranch_execz .LBB23_1031
; %bb.985:                              ;   in Loop: Header=BB23_47 Depth=1
	s_and_saveexec_b64 s[28:29], s[78:79]
	s_xor_b64 s[28:29], exec, s[28:29]
	s_cbranch_execz .LBB23_1028
; %bb.986:                              ;   in Loop: Header=BB23_47 Depth=1
	s_and_saveexec_b64 s[40:41], s[14:15]
	s_cbranch_execz .LBB23_1027
; %bb.987:                              ;   in Loop: Header=BB23_47 Depth=1
	s_mov_b64 s[44:45], exec
	v_mbcnt_lo_u32_b32 v2, s44, 0
	v_mbcnt_hi_u32_b32 v2, s45, v2
	v_cmp_eq_u32_e32 vcc, 0, v2
	s_waitcnt lgkmcnt(0)
	s_and_saveexec_b64 s[42:43], vcc
	s_cbranch_execz .LBB23_989
; %bb.988:                              ;   in Loop: Header=BB23_47 Depth=1
	s_bcnt1_i32_b64 s44, s[44:45]
	v_mov_b32_e32 v2, s44
	ds_add_u64 v0, v[2:3]
	s_trap 2
.LBB23_989:                             ;   in Loop: Header=BB23_47 Depth=1
	s_or_b64 exec, exec, s[42:43]
	s_trap 2
	ds_read_b64 v[4:5], v0
	s_waitcnt lgkmcnt(0)
	v_lshl_add_u64 v[80:81], v[80:81], 0, v[84:85]
	v_cmp_lt_u64_e32 vcc, v[4:5], v[80:81]
	s_and_saveexec_b64 s[42:43], vcc
	s_cbranch_execz .LBB23_1026
; %bb.990:                              ;   in Loop: Header=BB23_47 Depth=1
	s_mov_b32 s76, 0
	s_mov_b64 s[44:45], 0
                                        ; implicit-def: $sgpr46_sgpr47
                                        ; implicit-def: $sgpr56_sgpr57
	s_branch .LBB23_992
.LBB23_991:                             ;   in Loop: Header=BB23_992 Depth=2
	s_or_b64 exec, exec, s[60:61]
	s_and_b64 s[58:59], exec, s[62:63]
	s_or_b64 s[44:45], s[58:59], s[44:45]
	s_andn2_b64 s[46:47], s[46:47], exec
	s_and_b64 s[58:59], s[56:57], exec
	s_or_b64 s[46:47], s[46:47], s[58:59]
	s_andn2_b64 exec, exec, s[44:45]
	s_cbranch_execz .LBB23_1024
.LBB23_992:                             ;   Parent Loop BB23_47 Depth=1
                                        ; =>  This Inner Loop Header: Depth=2
	s_add_i32 s76, s76, 1
	s_cmpk_lg_i32 s76, 0x2710
	s_cselect_b64 s[58:59], -1, 0
	s_and_b64 vcc, exec, s[58:59]
	s_cbranch_vccz .LBB23_994
; %bb.993:                              ;   in Loop: Header=BB23_992 Depth=2
	s_mov_b64 s[62:63], -1
	s_or_b64 s[56:57], s[56:57], exec
	s_and_saveexec_b64 s[60:61], s[58:59]
	s_cbranch_execz .LBB23_991
	s_branch .LBB23_995
.LBB23_994:                             ;   in Loop: Header=BB23_992 Depth=2
	s_trap 2
	ds_read_b64 v[4:5], v0
	s_andn2_b64 s[58:59], s[58:59], exec
	s_mov_b32 s76, 0
	s_waitcnt vmcnt(0) lgkmcnt(0)
	flat_load_dword v2, v[4:5] sc0 sc1
	s_waitcnt vmcnt(0) lgkmcnt(0)
	buffer_inv sc0 sc1
	v_cmp_eq_u32_e32 vcc, 0, v2
	s_and_b64 s[60:61], vcc, exec
	s_or_b64 s[58:59], s[58:59], s[60:61]
	s_mov_b64 s[62:63], -1
	s_or_b64 s[56:57], s[56:57], exec
	s_and_saveexec_b64 s[60:61], s[58:59]
	s_cbranch_execz .LBB23_991
.LBB23_995:                             ;   in Loop: Header=BB23_992 Depth=2
	s_sleep 1
	s_trap 2
	ds_read_b64 v[4:5], v0
	s_waitcnt lgkmcnt(0)
	s_andn2_b64 s[56:57], s[56:57], exec
	v_cmp_ge_u64_e32 vcc, v[4:5], v[80:81]
	s_orn2_b64 s[62:63], vcc, exec
	s_branch .LBB23_991
.LBB23_996:                             ;   in Loop: Header=BB23_47 Depth=1
	s_or_b64 exec, exec, s[44:45]
	s_xor_b64 s[26:27], s[46:47], -1
	s_and_saveexec_b64 s[44:45], s[26:27]
	s_xor_b64 s[26:27], exec, s[44:45]
	s_cbranch_execz .LBB23_998
; %bb.997:                              ;   in Loop: Header=BB23_47 Depth=1
	v_or_b32_e32 v110, 64, v110
	s_waitcnt lgkmcnt(0)
	ds_write_b32 v0, v9
	s_trap 2
.LBB23_998:                             ;   in Loop: Header=BB23_47 Depth=1
	s_or_b64 exec, exec, s[26:27]
.LBB23_999:                             ;   in Loop: Header=BB23_47 Depth=1
	s_or_b64 exec, exec, s[42:43]
	v_and_b32_e32 v4, 0x108, v110
	v_cmp_ne_u32_e32 vcc, s96, v4
	v_and_b32_e32 v12, 7, v76
	;;#ASMSTART
	s_wakeup
	;;#ASMEND
	s_and_saveexec_b64 s[26:27], vcc
	s_xor_b64 s[26:27], exec, s[26:27]
                                        ; implicit-def: $vgpr13
; %bb.1000:                             ;   in Loop: Header=BB23_47 Depth=1
	v_mov_b32_e32 v13, v3
; %bb.1001:                             ;   in Loop: Header=BB23_47 Depth=1
	s_andn2_saveexec_b64 s[26:27], s[26:27]
	s_cbranch_execz .LBB23_1003
; %bb.1002:                             ;   in Loop: Header=BB23_47 Depth=1
	v_ashrrev_i32_e32 v9, 31, v8
	v_mov_b32_e32 v13, v3
	v_mad_u64_u32 v[4:5], s[42:43], v12, 24, v[6:7]
	v_lshlrev_b64 v[14:15], 1, v[8:9]
	flat_store_dwordx2 v[4:5], v[14:15] offset:8
.LBB23_1003:                            ;   in Loop: Header=BB23_47 Depth=1
	s_or_b64 exec, exec, s[26:27]
	v_and_b32_e32 v4, 0x100, v110
	v_cmp_ne_u32_e32 vcc, 0, v4
	s_mov_b64 s[26:27], -1
                                        ; implicit-def: $vgpr14_vgpr15
	s_and_saveexec_b64 s[42:43], vcc
	s_cbranch_execz .LBB23_1007
; %bb.1004:                             ;   in Loop: Header=BB23_47 Depth=1
	v_mad_u64_u32 v[16:17], s[26:27], v12, 24, v[6:7]
	v_mov_b32_e32 v4, v17
	v_mad_u64_u32 v[4:5], s[26:27], v13, 24, v[4:5]
	v_mov_b32_e32 v17, v4
	flat_load_dword v4, v[16:17]
                                        ; implicit-def: $vgpr14_vgpr15
	s_waitcnt vmcnt(0) lgkmcnt(0)
	v_cmp_ne_u32_e32 vcc, 1, v4
	v_cmp_eq_u32_e64 s[26:27], 1, v4
	s_and_saveexec_b64 s[44:45], s[26:27]
	s_cbranch_execz .LBB23_1006
; %bb.1005:                             ;   in Loop: Header=BB23_47 Depth=1
	flat_load_dword v4, v[16:17] offset:4 sc0 sc1
	s_waitcnt vmcnt(0) lgkmcnt(0)
	v_ashrrev_i32_e32 v5, 31, v4
	v_lshrrev_b64 v[14:15], 1, v[4:5]
.LBB23_1006:                            ;   in Loop: Header=BB23_47 Depth=1
	s_or_b64 exec, exec, s[44:45]
	s_orn2_b64 s[26:27], vcc, exec
.LBB23_1007:                            ;   in Loop: Header=BB23_47 Depth=1
	s_or_b64 exec, exec, s[42:43]
	s_and_saveexec_b64 s[42:43], s[26:27]
; %bb.1008:                             ;   in Loop: Header=BB23_47 Depth=1
	v_mul_lo_u32 v4, v13, v30
	v_mul_lo_u32 v5, v12, v83
	v_mad_u64_u32 v[14:15], s[26:27], v12, v30, 0
	v_add3_u32 v15, v15, v5, v4
; %bb.1009:                             ;   in Loop: Header=BB23_47 Depth=1
	s_or_b64 exec, exec, s[42:43]
	v_cmp_eq_u32_e32 vcc, 0, v2
	v_lshl_add_u64 v[4:5], v[14:15], 1, v[66:67]
	s_nop 0
	v_cndmask_b32_e32 v2, v97, v96, vcc
	v_add_u32_e32 v2, v0, v2
	ds_write_b64 v2, v[4:5] offset:584
	v_and_b32_e32 v2, 0x2000, v110
	v_cmp_ne_u32_e32 vcc, 0, v2
	s_and_saveexec_b64 s[26:27], vcc
	s_cbranch_execz .LBB23_1011
; %bb.1010:                             ;   in Loop: Header=BB23_47 Depth=1
	ds_read_b64 v[4:5], v0 offset:872
	s_waitcnt lgkmcnt(0)
	v_lshl_add_u64 v[4:5], v[4:5], 0, 1
	ds_write_b64 v0, v[4:5] offset:872
.LBB23_1011:                            ;   in Loop: Header=BB23_47 Depth=1
	s_or_b64 exec, exec, s[26:27]
	v_mov_b64_e32 v[76:77], v[10:11]
.LBB23_1012:                            ;   in Loop: Header=BB23_47 Depth=1
	s_or_b64 exec, exec, s[40:41]
	s_and_saveexec_b64 s[26:27], s[6:7]
	s_cbranch_execz .LBB23_1050
; %bb.1013:                             ;   in Loop: Header=BB23_47 Depth=1
	s_and_saveexec_b64 s[40:41], s[78:79]
	s_xor_b64 s[40:41], exec, s[40:41]
	s_cbranch_execz .LBB23_1047
; %bb.1014:                             ;   in Loop: Header=BB23_47 Depth=1
	s_and_saveexec_b64 s[42:43], s[14:15]
	s_cbranch_execz .LBB23_1046
; %bb.1015:                             ;   in Loop: Header=BB23_47 Depth=1
	s_mov_b64 s[46:47], exec
	v_mbcnt_lo_u32_b32 v2, s46, 0
	v_mbcnt_hi_u32_b32 v2, s47, v2
	v_cmp_eq_u32_e32 vcc, 0, v2
	s_waitcnt lgkmcnt(0)
	s_and_saveexec_b64 s[44:45], vcc
	s_cbranch_execz .LBB23_1017
; %bb.1016:                             ;   in Loop: Header=BB23_47 Depth=1
	s_bcnt1_i32_b64 s46, s[46:47]
	v_mov_b32_e32 v2, s46
	ds_add_u64 v0, v[2:3]
	s_trap 2
.LBB23_1017:                            ;   in Loop: Header=BB23_47 Depth=1
	s_or_b64 exec, exec, s[44:45]
	s_trap 2
	ds_read_b64 v[4:5], v0
	s_waitcnt lgkmcnt(0)
	v_lshl_add_u64 v[80:81], v[80:81], 0, v[84:85]
	v_cmp_lt_u64_e32 vcc, v[4:5], v[80:81]
	s_and_saveexec_b64 s[44:45], vcc
	s_cbranch_execz .LBB23_1045
; %bb.1018:                             ;   in Loop: Header=BB23_47 Depth=1
	s_mov_b32 s76, 0
	s_mov_b64 s[46:47], 0
                                        ; implicit-def: $sgpr56_sgpr57
                                        ; implicit-def: $sgpr58_sgpr59
	s_branch .LBB23_1020
.LBB23_1019:                            ;   in Loop: Header=BB23_1020 Depth=2
	s_or_b64 exec, exec, s[62:63]
	s_and_b64 s[60:61], exec, vcc
	s_or_b64 s[46:47], s[60:61], s[46:47]
	s_andn2_b64 s[56:57], s[56:57], exec
	s_and_b64 s[60:61], s[58:59], exec
	s_or_b64 s[56:57], s[56:57], s[60:61]
	s_andn2_b64 exec, exec, s[46:47]
	s_cbranch_execz .LBB23_1043
.LBB23_1020:                            ;   Parent Loop BB23_47 Depth=1
                                        ; =>  This Inner Loop Header: Depth=2
	s_add_i32 s76, s76, 1
	s_cmpk_lg_i32 s76, 0x2710
	s_cselect_b64 s[60:61], -1, 0
	s_and_b64 vcc, exec, s[60:61]
	s_cbranch_vccz .LBB23_1022
; %bb.1021:                             ;   in Loop: Header=BB23_1020 Depth=2
	s_mov_b64 vcc, -1
	s_or_b64 s[58:59], s[58:59], exec
	s_and_saveexec_b64 s[62:63], s[60:61]
	s_cbranch_execz .LBB23_1019
	s_branch .LBB23_1023
.LBB23_1022:                            ;   in Loop: Header=BB23_1020 Depth=2
	s_trap 2
	ds_read_b64 v[4:5], v0
	s_andn2_b64 s[60:61], s[60:61], exec
	s_mov_b32 s76, 0
	s_waitcnt vmcnt(0) lgkmcnt(0)
	flat_load_dword v2, v[4:5] sc0 sc1
	s_waitcnt vmcnt(0) lgkmcnt(0)
	buffer_inv sc0 sc1
	v_cmp_eq_u32_e32 vcc, 0, v2
	s_and_b64 s[62:63], vcc, exec
	s_or_b64 s[60:61], s[60:61], s[62:63]
	s_mov_b64 vcc, -1
	s_or_b64 s[58:59], s[58:59], exec
	s_and_saveexec_b64 s[62:63], s[60:61]
	s_cbranch_execz .LBB23_1019
.LBB23_1023:                            ;   in Loop: Header=BB23_1020 Depth=2
	s_sleep 1
	s_trap 2
	ds_read_b64 v[4:5], v0
	s_waitcnt lgkmcnt(0)
	s_andn2_b64 s[58:59], s[58:59], exec
	v_cmp_ge_u64_e32 vcc, v[4:5], v[80:81]
	s_orn2_b64 vcc, vcc, exec
	s_branch .LBB23_1019
.LBB23_1024:                            ;   in Loop: Header=BB23_47 Depth=1
	s_or_b64 exec, exec, s[44:45]
	s_and_saveexec_b64 s[44:45], s[46:47]
	s_xor_b64 s[44:45], exec, s[44:45]
	s_cbranch_execz .LBB23_1026
; %bb.1025:                             ;   in Loop: Header=BB23_47 Depth=1
	ds_write_b32 v0, v1
	s_trap 2
.LBB23_1026:                            ;   in Loop: Header=BB23_47 Depth=1
	s_or_b64 exec, exec, s[42:43]
	;;#ASMSTART
	s_wakeup
	;;#ASMEND
.LBB23_1027:                            ;   in Loop: Header=BB23_47 Depth=1
	s_or_b64 exec, exec, s[40:41]
.LBB23_1028:                            ;   in Loop: Header=BB23_47 Depth=1
	s_andn2_saveexec_b64 s[28:29], s[28:29]
	s_cbranch_execz .LBB23_1030
; %bb.1029:                             ;   in Loop: Header=BB23_47 Depth=1
	s_waitcnt lgkmcnt(0)
	s_barrier
.LBB23_1030:                            ;   in Loop: Header=BB23_47 Depth=1
	s_or_b64 exec, exec, s[28:29]
.LBB23_1031:                            ;   in Loop: Header=BB23_47 Depth=1
	s_or_b64 exec, exec, s[26:27]
	s_trap 2
	ds_read_b32 v8, v0
	v_and_b32_e32 v2, 0x4000, v110
	v_cmp_ne_u32_e32 vcc, 0, v2
	s_xor_b64 s[26:27], s[4:5], -1
	s_and_b64 s[28:29], s[26:27], vcc
	s_and_saveexec_b64 s[26:27], s[28:29]
	s_cbranch_execz .LBB23_1073
; %bb.1032:                             ;   in Loop: Header=BB23_47 Depth=1
	s_and_saveexec_b64 s[28:29], s[78:79]
	s_xor_b64 s[28:29], exec, s[28:29]
	s_cbranch_execz .LBB23_1070
; %bb.1033:                             ;   in Loop: Header=BB23_47 Depth=1
	s_and_saveexec_b64 s[40:41], s[14:15]
	s_cbranch_execz .LBB23_1069
; %bb.1034:                             ;   in Loop: Header=BB23_47 Depth=1
	s_mov_b64 s[44:45], exec
	v_mbcnt_lo_u32_b32 v2, s44, 0
	v_mbcnt_hi_u32_b32 v2, s45, v2
	v_cmp_eq_u32_e32 vcc, 0, v2
	s_waitcnt lgkmcnt(0)
	s_and_saveexec_b64 s[42:43], vcc
	s_cbranch_execz .LBB23_1036
; %bb.1035:                             ;   in Loop: Header=BB23_47 Depth=1
	s_bcnt1_i32_b64 s44, s[44:45]
	v_mov_b32_e32 v2, s44
	ds_add_u64 v0, v[2:3]
	s_trap 2
.LBB23_1036:                            ;   in Loop: Header=BB23_47 Depth=1
	s_or_b64 exec, exec, s[42:43]
	s_trap 2
	ds_read_b64 v[4:5], v0
	s_waitcnt lgkmcnt(0)
	v_lshl_add_u64 v[80:81], v[80:81], 0, v[84:85]
	v_cmp_lt_u64_e32 vcc, v[4:5], v[80:81]
	s_and_saveexec_b64 s[42:43], vcc
	s_cbranch_execz .LBB23_1068
; %bb.1037:                             ;   in Loop: Header=BB23_47 Depth=1
	s_mov_b32 s76, 0
	s_mov_b64 s[44:45], 0
                                        ; implicit-def: $sgpr46_sgpr47
                                        ; implicit-def: $sgpr56_sgpr57
	s_branch .LBB23_1039
.LBB23_1038:                            ;   in Loop: Header=BB23_1039 Depth=2
	s_or_b64 exec, exec, s[60:61]
	s_and_b64 s[58:59], exec, s[62:63]
	s_or_b64 s[44:45], s[58:59], s[44:45]
	s_andn2_b64 s[46:47], s[46:47], exec
	s_and_b64 s[58:59], s[56:57], exec
	s_or_b64 s[46:47], s[46:47], s[58:59]
	s_andn2_b64 exec, exec, s[44:45]
	s_cbranch_execz .LBB23_1066
.LBB23_1039:                            ;   Parent Loop BB23_47 Depth=1
                                        ; =>  This Inner Loop Header: Depth=2
	s_add_i32 s76, s76, 1
	s_cmpk_lg_i32 s76, 0x2710
	s_cselect_b64 s[58:59], -1, 0
	s_and_b64 vcc, exec, s[58:59]
	s_cbranch_vccz .LBB23_1041
; %bb.1040:                             ;   in Loop: Header=BB23_1039 Depth=2
	s_mov_b64 s[62:63], -1
	s_or_b64 s[56:57], s[56:57], exec
	s_and_saveexec_b64 s[60:61], s[58:59]
	s_cbranch_execz .LBB23_1038
	s_branch .LBB23_1042
.LBB23_1041:                            ;   in Loop: Header=BB23_1039 Depth=2
	s_trap 2
	ds_read_b64 v[4:5], v0
	s_andn2_b64 s[58:59], s[58:59], exec
	s_mov_b32 s76, 0
	s_waitcnt vmcnt(0) lgkmcnt(0)
	flat_load_dword v2, v[4:5] sc0 sc1
	s_waitcnt vmcnt(0) lgkmcnt(0)
	buffer_inv sc0 sc1
	v_cmp_eq_u32_e32 vcc, 0, v2
	s_and_b64 s[60:61], vcc, exec
	s_or_b64 s[58:59], s[58:59], s[60:61]
	s_mov_b64 s[62:63], -1
	s_or_b64 s[56:57], s[56:57], exec
	s_and_saveexec_b64 s[60:61], s[58:59]
	s_cbranch_execz .LBB23_1038
.LBB23_1042:                            ;   in Loop: Header=BB23_1039 Depth=2
	s_sleep 1
	s_trap 2
	ds_read_b64 v[4:5], v0
	s_waitcnt lgkmcnt(0)
	s_andn2_b64 s[56:57], s[56:57], exec
	v_cmp_ge_u64_e32 vcc, v[4:5], v[80:81]
	s_orn2_b64 s[62:63], vcc, exec
	s_branch .LBB23_1038
.LBB23_1043:                            ;   in Loop: Header=BB23_47 Depth=1
	s_or_b64 exec, exec, s[46:47]
	s_and_saveexec_b64 s[46:47], s[56:57]
	s_xor_b64 s[46:47], exec, s[46:47]
	s_cbranch_execz .LBB23_1045
; %bb.1044:                             ;   in Loop: Header=BB23_47 Depth=1
	ds_write_b32 v0, v1
	s_trap 2
.LBB23_1045:                            ;   in Loop: Header=BB23_47 Depth=1
	s_or_b64 exec, exec, s[44:45]
	;;#ASMSTART
	s_wakeup
	;;#ASMEND
.LBB23_1046:                            ;   in Loop: Header=BB23_47 Depth=1
	s_or_b64 exec, exec, s[42:43]
.LBB23_1047:                            ;   in Loop: Header=BB23_47 Depth=1
	s_andn2_saveexec_b64 s[40:41], s[40:41]
	s_cbranch_execz .LBB23_1049
; %bb.1048:                             ;   in Loop: Header=BB23_47 Depth=1
	s_waitcnt lgkmcnt(0)
	s_barrier
.LBB23_1049:                            ;   in Loop: Header=BB23_47 Depth=1
	s_or_b64 exec, exec, s[40:41]
.LBB23_1050:                            ;   in Loop: Header=BB23_47 Depth=1
	s_or_b64 exec, exec, s[26:27]
	v_and_b32_e32 v9, 16, v110
	s_and_saveexec_b64 s[26:27], s[22:23]
	s_xor_b64 s[26:27], exec, s[26:27]
	s_cbranch_execz .LBB23_1054
; %bb.1051:                             ;   in Loop: Header=BB23_47 Depth=1
	s_trap 2
	ds_read_b32 v2, v0
	v_cmp_lt_i32_e32 vcc, 0, v8
	v_and_b32_e32 v4, 16, v110
	v_and_b32_e32 v9, 16, v110
	s_waitcnt lgkmcnt(0)
	v_readfirstlane_b32 s40, v2
	s_cmp_eq_u32 s40, 0
	s_cselect_b64 s[40:41], -1, 0
	s_and_b64 s[40:41], vcc, s[40:41]
	v_cmp_ne_u32_e32 vcc, 0, v4
	s_and_b64 s[42:43], vcc, s[40:41]
	s_and_saveexec_b64 s[40:41], s[42:43]
	s_cbranch_execz .LBB23_1053
; %bb.1052:                             ;   in Loop: Header=BB23_47 Depth=1
	v_mov_b32_e32 v9, 1
	buffer_wbl2 sc1
	s_waitcnt vmcnt(0)
	buffer_inv sc1
.LBB23_1053:                            ;   in Loop: Header=BB23_47 Depth=1
	s_or_b64 exec, exec, s[40:41]
.LBB23_1054:                            ;   in Loop: Header=BB23_47 Depth=1
	s_andn2_saveexec_b64 s[26:27], s[26:27]
	s_cbranch_execz .LBB23_1223
; %bb.1055:                             ;   in Loop: Header=BB23_47 Depth=1
	s_and_saveexec_b64 s[40:41], s[78:79]
	s_xor_b64 s[40:41], exec, s[40:41]
	s_cbranch_execz .LBB23_1220
; %bb.1056:                             ;   in Loop: Header=BB23_47 Depth=1
	s_and_saveexec_b64 s[42:43], s[14:15]
	s_cbranch_execz .LBB23_1219
; %bb.1057:                             ;   in Loop: Header=BB23_47 Depth=1
	s_mov_b64 s[46:47], exec
	v_mbcnt_lo_u32_b32 v2, s46, 0
	v_mbcnt_hi_u32_b32 v2, s47, v2
	v_cmp_eq_u32_e32 vcc, 0, v2
	;;#ASMSTART
	s_waitcnt lgkmcnt(0) vmcnt(0)
	;;#ASMEND
	s_and_saveexec_b64 s[44:45], vcc
	s_cbranch_execz .LBB23_1059
; %bb.1058:                             ;   in Loop: Header=BB23_47 Depth=1
	s_bcnt1_i32_b64 s46, s[46:47]
	v_mov_b32_e32 v2, s46
	s_waitcnt lgkmcnt(0)
	ds_add_u64 v0, v[2:3]
	s_trap 2
.LBB23_1059:                            ;   in Loop: Header=BB23_47 Depth=1
	s_or_b64 exec, exec, s[44:45]
	s_trap 2
	ds_read_b64 v[4:5], v0
	s_waitcnt lgkmcnt(0)
	v_lshl_add_u64 v[80:81], v[80:81], 0, v[84:85]
	v_cmp_lt_u64_e32 vcc, v[4:5], v[80:81]
	s_and_saveexec_b64 s[44:45], vcc
	s_cbranch_execz .LBB23_1218
; %bb.1060:                             ;   in Loop: Header=BB23_47 Depth=1
	s_mov_b32 s76, 0
	s_mov_b64 s[46:47], 0
                                        ; implicit-def: $sgpr56_sgpr57
                                        ; implicit-def: $sgpr58_sgpr59
	s_branch .LBB23_1062
.LBB23_1061:                            ;   in Loop: Header=BB23_1062 Depth=2
	s_or_b64 exec, exec, s[62:63]
	s_and_b64 s[60:61], exec, vcc
	s_or_b64 s[46:47], s[60:61], s[46:47]
	s_andn2_b64 s[56:57], s[56:57], exec
	s_and_b64 s[60:61], s[58:59], exec
	s_or_b64 s[56:57], s[56:57], s[60:61]
	s_andn2_b64 exec, exec, s[46:47]
	s_cbranch_execz .LBB23_1216
.LBB23_1062:                            ;   Parent Loop BB23_47 Depth=1
                                        ; =>  This Inner Loop Header: Depth=2
	s_add_i32 s76, s76, 1
	s_cmpk_lg_i32 s76, 0x2710
	s_cselect_b64 s[60:61], -1, 0
	s_and_b64 vcc, exec, s[60:61]
	s_cbranch_vccz .LBB23_1064
; %bb.1063:                             ;   in Loop: Header=BB23_1062 Depth=2
	s_mov_b64 vcc, -1
	s_or_b64 s[58:59], s[58:59], exec
	s_and_saveexec_b64 s[62:63], s[60:61]
	s_cbranch_execz .LBB23_1061
	s_branch .LBB23_1065
.LBB23_1064:                            ;   in Loop: Header=BB23_1062 Depth=2
	s_trap 2
	ds_read_b64 v[4:5], v0
	s_andn2_b64 s[60:61], s[60:61], exec
	s_mov_b32 s76, 0
	s_waitcnt vmcnt(0) lgkmcnt(0)
	flat_load_dword v2, v[4:5] sc0 sc1
	s_waitcnt vmcnt(0) lgkmcnt(0)
	buffer_inv sc0 sc1
	v_cmp_eq_u32_e32 vcc, 0, v2
	s_and_b64 s[62:63], vcc, exec
	s_or_b64 s[60:61], s[60:61], s[62:63]
	s_mov_b64 vcc, -1
	s_or_b64 s[58:59], s[58:59], exec
	s_and_saveexec_b64 s[62:63], s[60:61]
	s_cbranch_execz .LBB23_1061
.LBB23_1065:                            ;   in Loop: Header=BB23_1062 Depth=2
	s_sleep 1
	s_trap 2
	ds_read_b64 v[4:5], v0
	s_waitcnt lgkmcnt(0)
	s_andn2_b64 s[58:59], s[58:59], exec
	v_cmp_ge_u64_e32 vcc, v[4:5], v[80:81]
	s_orn2_b64 vcc, vcc, exec
	s_branch .LBB23_1061
.LBB23_1066:                            ;   in Loop: Header=BB23_47 Depth=1
	s_or_b64 exec, exec, s[44:45]
	s_and_saveexec_b64 s[44:45], s[46:47]
	s_xor_b64 s[44:45], exec, s[44:45]
	s_cbranch_execz .LBB23_1068
; %bb.1067:                             ;   in Loop: Header=BB23_47 Depth=1
	ds_write_b32 v0, v1
	s_trap 2
.LBB23_1068:                            ;   in Loop: Header=BB23_47 Depth=1
	s_or_b64 exec, exec, s[42:43]
	;;#ASMSTART
	s_wakeup
	;;#ASMEND
.LBB23_1069:                            ;   in Loop: Header=BB23_47 Depth=1
	s_or_b64 exec, exec, s[40:41]
.LBB23_1070:                            ;   in Loop: Header=BB23_47 Depth=1
	s_andn2_saveexec_b64 s[28:29], s[28:29]
	s_cbranch_execz .LBB23_1072
; %bb.1071:                             ;   in Loop: Header=BB23_47 Depth=1
	s_waitcnt lgkmcnt(0)
	s_barrier
.LBB23_1072:                            ;   in Loop: Header=BB23_47 Depth=1
	s_or_b64 exec, exec, s[28:29]
.LBB23_1073:                            ;   in Loop: Header=BB23_47 Depth=1
	s_or_b64 exec, exec, s[26:27]
	s_trap 2
	ds_read_b64 v[4:5], v0
	s_waitcnt lgkmcnt(0)
	v_cmp_eq_u64_e32 vcc, 0, v[4:5]
	s_cbranch_vccnz .LBB23_1082
; %bb.1074:                             ;   in Loop: Header=BB23_47 Depth=1
	s_trap 2
	ds_read_b64 v[38:39], v0
	s_waitcnt lgkmcnt(0)
	v_cmp_eq_u64_e32 vcc, 0, v[38:39]
	s_cbranch_vccnz .LBB23_1082
; %bb.1075:                             ;   in Loop: Header=BB23_47 Depth=1
	s_trap 2
	ds_read_b64 v[90:91], v0
	v_cmp_eq_u32_e32 vcc, 0, v8
	s_waitcnt lgkmcnt(0)
	v_readfirstlane_b32 s49, v90
	v_cndmask_b32_e32 v37, 0, v36, vcc
	v_cmp_ne_u64_e32 vcc, 0, v[90:91]
	s_cbranch_vccz .LBB23_1083
; %bb.1076:                             ;   in Loop: Header=BB23_47 Depth=1
	s_trap 2
	ds_read_b64 v[124:125], v0
	s_mov_b64 s[28:29], -1
	s_and_saveexec_b64 s[26:27], s[20:21]
	s_cbranch_execz .LBB23_1078
; %bb.1077:                             ;   in Loop: Header=BB23_47 Depth=1
	ds_read_b32 v2, v0 offset:720
	s_waitcnt lgkmcnt(0)
	v_and_b32_e32 v2, 15, v2
	v_cmp_eq_u32_e32 vcc, 0, v2
	s_orn2_b64 s[28:29], vcc, exec
.LBB23_1078:                            ;   in Loop: Header=BB23_47 Depth=1
	s_or_b64 exec, exec, s[26:27]
	s_and_saveexec_b64 s[26:27], s[20:21]
	s_cbranch_execz .LBB23_1080
; %bb.1079:                             ;   in Loop: Header=BB23_47 Depth=1
	ds_read_b32 v2, v0 offset:784
	s_waitcnt lgkmcnt(0)
	v_and_b32_e32 v2, 15, v2
	v_cmp_eq_u32_e32 vcc, 0, v2
	s_and_b64 s[40:41], s[28:29], vcc
	s_andn2_b64 s[28:29], s[28:29], exec
	s_and_b64 s[40:41], s[40:41], exec
	s_or_b64 s[28:29], s[28:29], s[40:41]
.LBB23_1080:                            ;   in Loop: Header=BB23_47 Depth=1
	s_or_b64 exec, exec, s[26:27]
	s_xor_b64 s[28:29], s[28:29], -1
	v_cndmask_b32_e64 v2, 0, 1, s[28:29]
	v_lshlrev_b32_e32 v82, 1, v37
	s_mov_b64 s[26:27], -1
	v_mov_b32_e32 v18, 0
	v_cmp_ne_u32_e32 vcc, 0, v2
	s_cbranch_vccz .LBB23_1085
; %bb.1081:                             ;   in Loop: Header=BB23_47 Depth=1
	v_mov_b32_e32 v19, v0
	s_and_saveexec_b64 s[42:43], s[26:27]
	s_cbranch_execnz .LBB23_1270
	s_branch .LBB23_1348
.LBB23_1082:                            ;   in Loop: Header=BB23_47 Depth=1
	s_mov_b64 s[26:27], 0
	s_and_saveexec_b64 s[28:29], s[6:7]
	s_cbranch_execz .LBB23_1621
	s_branch .LBB23_1603
.LBB23_1083:                            ;   in Loop: Header=BB23_47 Depth=1
	s_cbranch_execnz .LBB23_1349
.LBB23_1084:                            ;   in Loop: Header=BB23_47 Depth=1
	v_cmp_lt_i32_e64 s[26:27], 0, v37
	s_and_saveexec_b64 s[28:29], s[6:7]
	s_cbranch_execnz .LBB23_1603
	s_branch .LBB23_1621
.LBB23_1085:                            ;   in Loop: Header=BB23_47 Depth=1
	v_ashrrev_i32_e32 v2, 31, v82
	v_lshrrev_b32_e32 v2, 21, v2
	v_add_u32_e32 v2, v82, v2
	v_ashrrev_i32_e32 v54, 11, v2
	v_lshrrev_b32_e32 v2, 6, v0
	v_sub_u32_e32 v2, v54, v2
	v_cmp_lt_i32_e32 vcc, 0, v2
	s_and_saveexec_b64 s[28:29], vcc
	s_cbranch_execz .LBB23_1229
; %bb.1086:                             ;   in Loop: Header=BB23_47 Depth=1
	s_trap 2
	ds_read_b64 v[8:9], v0
	s_and_b32 s76, s49, 1
	s_cmp_eq_u64 s[76:77], 0
	s_waitcnt lgkmcnt(0)
	v_lshl_add_u64 v[92:93], v[124:125], 0, v[102:103]
	v_lshl_add_u64 v[94:95], v[38:39], 0, v[102:103]
	;; [unrolled: 1-line block ×5, first 2 shown]
	s_mov_b64 s[40:41], 0
	s_cselect_b64 vcc, -1, 0
	s_branch .LBB23_1088
.LBB23_1087:                            ;   in Loop: Header=BB23_1088 Depth=2
	s_or_b64 exec, exec, s[42:43]
	v_or_b32_sdwa v9, v9, v16 dst_sel:DWORD dst_unused:UNUSED_PAD src0_sel:DWORD src1_sel:WORD_1
	v_lshrrev_b32_e32 v16, 16, v28
	v_or_b32_sdwa v10, v10, v17 dst_sel:DWORD dst_unused:UNUSED_PAD src0_sel:DWORD src1_sel:WORD_1
	v_and_or_b32 v17, v21, s75, v16
	v_lshrrev_b32_e32 v16, 16, v23
	v_or_b32_sdwa v11, v11, v18 dst_sel:DWORD dst_unused:UNUSED_PAD src0_sel:DWORD src1_sel:WORD_1
	v_and_or_b32 v16, v20, s75, v16
	v_lshrrev_b32_e32 v18, 16, v29
	v_lshrrev_b32_e32 v20, 16, v32
	v_sub_u32_e32 v2, v2, v84
	v_and_or_b32 v18, v22, s75, v18
	v_and_or_b32 v19, v19, s75, v20
	v_cmp_gt_i32_e64 s[26:27], 1, v2
	v_or_b32_sdwa v8, v8, v27 dst_sel:DWORD dst_unused:UNUSED_PAD src0_sel:DWORD src1_sel:WORD_1
	v_or_b32_sdwa v13, v13, v24 dst_sel:DWORD dst_unused:UNUSED_PAD src0_sel:DWORD src1_sel:WORD_1
	;; [unrolled: 1-line block ×5, first 2 shown]
	global_store_dwordx4 v[94:95], v[16:19], off offset:1024
	global_store_dwordx4 v[104:105], v[12:15], off
	global_store_dwordx4 v[104:105], v[8:11], off offset:1024
	v_lshl_add_u64 v[106:107], v[106:107], 0, v[112:113]
	v_lshl_add_u64 v[108:109], v[108:109], 0, v[112:113]
	;; [unrolled: 1-line block ×4, first 2 shown]
	s_or_b64 s[40:41], s[26:27], s[40:41]
	v_lshl_add_u64 v[92:93], v[92:93], 0, v[112:113]
	s_andn2_b64 exec, exec, s[40:41]
	s_cbranch_execz .LBB23_1228
.LBB23_1088:                            ;   Parent Loop BB23_47 Depth=1
                                        ; =>  This Inner Loop Header: Depth=2
	global_load_dwordx4 v[24:27], v[106:107], off nt
	global_load_dwordx4 v[32:35], v[108:109], off nt
	global_load_dwordx4 v[16:19], v[106:107], off offset:1024 nt
	global_load_dwordx4 v[12:15], v[92:93], off nt
	global_load_dwordx4 v[8:11], v[92:93], off offset:1024 nt
	global_load_dwordx4 v[20:23], v[108:109], off offset:1024 nt
                                        ; implicit-def: $vgpr55
	s_waitcnt vmcnt(0)
	v_lshlrev_b32_e32 v28, 16, v24
	v_lshlrev_b32_e32 v29, 16, v32
	v_max_f32_e32 v29, v29, v29
	v_max_f32_e32 v28, v28, v28
	v_min_f32_e32 v31, v28, v29
	v_max_f32_e32 v28, v28, v29
	v_cndmask_b32_e32 v28, v28, v31, vcc
	v_and_b32_e32 v29, 0x7f800000, v28
	v_cmp_ne_u32_e64 s[26:27], s97, v29
	s_and_saveexec_b64 s[42:43], s[26:27]
	s_xor_b64 s[26:27], exec, s[42:43]
; %bb.1089:                             ;   in Loop: Header=BB23_1088 Depth=2
	v_bfe_u32 v29, v28, 16, 1
	v_add3_u32 v55, v28, v29, s74
                                        ; implicit-def: $vgpr28
; %bb.1090:                             ;   in Loop: Header=BB23_1088 Depth=2
	s_andn2_saveexec_b64 s[42:43], s[26:27]
; %bb.1091:                             ;   in Loop: Header=BB23_1088 Depth=2
	v_or_b32_e32 v29, 0x10000, v28
	v_cmp_eq_u32_sdwa s[26:27], v28, v3 src0_sel:WORD_0 src1_sel:DWORD
	s_nop 1
	v_cndmask_b32_e64 v55, v29, v28, s[26:27]
; %bb.1092:                             ;   in Loop: Header=BB23_1088 Depth=2
	s_or_b64 exec, exec, s[42:43]
	v_and_b32_e32 v24, 0xffff0000, v24
	v_and_b32_e32 v28, 0xffff0000, v32
	v_max_f32_e32 v28, v28, v28
	v_max_f32_e32 v24, v24, v24
	v_min_f32_e32 v29, v24, v28
	v_max_f32_e32 v24, v24, v28
	v_cndmask_b32_e32 v24, v24, v29, vcc
	v_and_b32_e32 v28, 0x7f800000, v24
	v_cmp_ne_u32_e64 s[26:27], s97, v28
                                        ; implicit-def: $vgpr32
	s_and_saveexec_b64 s[42:43], s[26:27]
	s_xor_b64 s[26:27], exec, s[42:43]
; %bb.1093:                             ;   in Loop: Header=BB23_1088 Depth=2
	v_bfe_u32 v28, v24, 16, 1
	v_add3_u32 v32, v24, v28, s74
                                        ; implicit-def: $vgpr24
; %bb.1094:                             ;   in Loop: Header=BB23_1088 Depth=2
	s_andn2_saveexec_b64 s[42:43], s[26:27]
; %bb.1095:                             ;   in Loop: Header=BB23_1088 Depth=2
	v_or_b32_e32 v28, 0x10000, v24
	v_cmp_eq_u32_sdwa s[26:27], v24, v3 src0_sel:WORD_0 src1_sel:DWORD
	s_nop 1
	v_cndmask_b32_e64 v32, v28, v24, s[26:27]
; %bb.1096:                             ;   in Loop: Header=BB23_1088 Depth=2
	s_or_b64 exec, exec, s[42:43]
	v_lshlrev_b32_e32 v24, 16, v25
	v_lshlrev_b32_e32 v28, 16, v33
	v_max_f32_e32 v28, v28, v28
	v_max_f32_e32 v24, v24, v24
	v_min_f32_e32 v29, v24, v28
	v_max_f32_e32 v24, v24, v28
	v_cndmask_b32_e32 v28, v24, v29, vcc
	v_and_b32_e32 v24, 0x7f800000, v28
	v_cmp_ne_u32_e64 s[26:27], s97, v24
                                        ; implicit-def: $vgpr24
	s_and_saveexec_b64 s[42:43], s[26:27]
	s_xor_b64 s[26:27], exec, s[42:43]
; %bb.1097:                             ;   in Loop: Header=BB23_1088 Depth=2
	v_bfe_u32 v24, v28, 16, 1
	v_add3_u32 v24, v28, v24, s74
                                        ; implicit-def: $vgpr28
; %bb.1098:                             ;   in Loop: Header=BB23_1088 Depth=2
	s_andn2_saveexec_b64 s[42:43], s[26:27]
; %bb.1099:                             ;   in Loop: Header=BB23_1088 Depth=2
	v_or_b32_e32 v24, 0x10000, v28
	v_cmp_eq_u32_sdwa s[26:27], v28, v3 src0_sel:WORD_0 src1_sel:DWORD
	s_nop 1
	v_cndmask_b32_e64 v24, v24, v28, s[26:27]
; %bb.1100:                             ;   in Loop: Header=BB23_1088 Depth=2
	s_or_b64 exec, exec, s[42:43]
	v_and_b32_e32 v25, 0xffff0000, v25
	v_and_b32_e32 v28, 0xffff0000, v33
	v_max_f32_e32 v28, v28, v28
	v_max_f32_e32 v25, v25, v25
	v_min_f32_e32 v29, v25, v28
	v_max_f32_e32 v25, v25, v28
	v_cndmask_b32_e32 v25, v25, v29, vcc
	v_and_b32_e32 v28, 0x7f800000, v25
	v_cmp_ne_u32_e64 s[26:27], s97, v28
                                        ; implicit-def: $vgpr33
	s_and_saveexec_b64 s[42:43], s[26:27]
	s_xor_b64 s[26:27], exec, s[42:43]
; %bb.1101:                             ;   in Loop: Header=BB23_1088 Depth=2
	v_bfe_u32 v28, v25, 16, 1
	v_add3_u32 v33, v25, v28, s74
                                        ; implicit-def: $vgpr25
; %bb.1102:                             ;   in Loop: Header=BB23_1088 Depth=2
	s_andn2_saveexec_b64 s[42:43], s[26:27]
; %bb.1103:                             ;   in Loop: Header=BB23_1088 Depth=2
	v_or_b32_e32 v28, 0x10000, v25
	v_cmp_eq_u32_sdwa s[26:27], v25, v3 src0_sel:WORD_0 src1_sel:DWORD
	s_nop 1
	v_cndmask_b32_e64 v33, v28, v25, s[26:27]
; %bb.1104:                             ;   in Loop: Header=BB23_1088 Depth=2
	s_or_b64 exec, exec, s[42:43]
	v_lshlrev_b32_e32 v25, 16, v26
	v_lshlrev_b32_e32 v28, 16, v34
	v_max_f32_e32 v28, v28, v28
	v_max_f32_e32 v25, v25, v25
	v_min_f32_e32 v29, v25, v28
	v_max_f32_e32 v25, v25, v28
	v_cndmask_b32_e32 v28, v25, v29, vcc
	v_and_b32_e32 v25, 0x7f800000, v28
	v_cmp_ne_u32_e64 s[26:27], s97, v25
                                        ; implicit-def: $vgpr25
	s_and_saveexec_b64 s[42:43], s[26:27]
	s_xor_b64 s[26:27], exec, s[42:43]
; %bb.1105:                             ;   in Loop: Header=BB23_1088 Depth=2
	v_bfe_u32 v25, v28, 16, 1
	v_add3_u32 v25, v28, v25, s74
                                        ; implicit-def: $vgpr28
; %bb.1106:                             ;   in Loop: Header=BB23_1088 Depth=2
	s_andn2_saveexec_b64 s[42:43], s[26:27]
; %bb.1107:                             ;   in Loop: Header=BB23_1088 Depth=2
	v_or_b32_e32 v25, 0x10000, v28
	v_cmp_eq_u32_sdwa s[26:27], v28, v3 src0_sel:WORD_0 src1_sel:DWORD
	s_nop 1
	v_cndmask_b32_e64 v25, v25, v28, s[26:27]
; %bb.1108:                             ;   in Loop: Header=BB23_1088 Depth=2
	s_or_b64 exec, exec, s[42:43]
	v_and_b32_e32 v26, 0xffff0000, v26
	v_and_b32_e32 v28, 0xffff0000, v34
	v_max_f32_e32 v28, v28, v28
	v_max_f32_e32 v26, v26, v26
	v_min_f32_e32 v29, v26, v28
	v_max_f32_e32 v26, v26, v28
	v_cndmask_b32_e32 v26, v26, v29, vcc
	v_and_b32_e32 v28, 0x7f800000, v26
	v_cmp_ne_u32_e64 s[26:27], s97, v28
                                        ; implicit-def: $vgpr34
	s_and_saveexec_b64 s[42:43], s[26:27]
	s_xor_b64 s[26:27], exec, s[42:43]
; %bb.1109:                             ;   in Loop: Header=BB23_1088 Depth=2
	v_bfe_u32 v28, v26, 16, 1
	v_add3_u32 v34, v26, v28, s74
                                        ; implicit-def: $vgpr26
; %bb.1110:                             ;   in Loop: Header=BB23_1088 Depth=2
	s_andn2_saveexec_b64 s[42:43], s[26:27]
; %bb.1111:                             ;   in Loop: Header=BB23_1088 Depth=2
	v_or_b32_e32 v28, 0x10000, v26
	v_cmp_eq_u32_sdwa s[26:27], v26, v3 src0_sel:WORD_0 src1_sel:DWORD
	s_nop 1
	v_cndmask_b32_e64 v34, v28, v26, s[26:27]
; %bb.1112:                             ;   in Loop: Header=BB23_1088 Depth=2
	s_or_b64 exec, exec, s[42:43]
	v_lshlrev_b32_e32 v26, 16, v27
	v_lshlrev_b32_e32 v28, 16, v35
	v_max_f32_e32 v28, v28, v28
	v_max_f32_e32 v26, v26, v26
	v_min_f32_e32 v29, v26, v28
	v_max_f32_e32 v26, v26, v28
	v_cndmask_b32_e32 v28, v26, v29, vcc
	v_and_b32_e32 v26, 0x7f800000, v28
	v_cmp_ne_u32_e64 s[26:27], s97, v26
                                        ; implicit-def: $vgpr26
	s_and_saveexec_b64 s[42:43], s[26:27]
	s_xor_b64 s[26:27], exec, s[42:43]
; %bb.1113:                             ;   in Loop: Header=BB23_1088 Depth=2
	v_bfe_u32 v26, v28, 16, 1
	v_add3_u32 v26, v28, v26, s74
                                        ; implicit-def: $vgpr28
; %bb.1114:                             ;   in Loop: Header=BB23_1088 Depth=2
	s_andn2_saveexec_b64 s[42:43], s[26:27]
; %bb.1115:                             ;   in Loop: Header=BB23_1088 Depth=2
	v_or_b32_e32 v26, 0x10000, v28
	v_cmp_eq_u32_sdwa s[26:27], v28, v3 src0_sel:WORD_0 src1_sel:DWORD
	s_nop 1
	v_cndmask_b32_e64 v26, v26, v28, s[26:27]
; %bb.1116:                             ;   in Loop: Header=BB23_1088 Depth=2
	s_or_b64 exec, exec, s[42:43]
	v_and_b32_e32 v27, 0xffff0000, v27
	v_and_b32_e32 v28, 0xffff0000, v35
	v_max_f32_e32 v28, v28, v28
	v_max_f32_e32 v27, v27, v27
	v_min_f32_e32 v29, v27, v28
	v_max_f32_e32 v27, v27, v28
	v_cndmask_b32_e32 v27, v27, v29, vcc
	v_and_b32_e32 v28, 0x7f800000, v27
	v_cmp_ne_u32_e64 s[26:27], s97, v28
                                        ; implicit-def: $vgpr35
	s_and_saveexec_b64 s[42:43], s[26:27]
	s_xor_b64 s[26:27], exec, s[42:43]
; %bb.1117:                             ;   in Loop: Header=BB23_1088 Depth=2
	v_bfe_u32 v28, v27, 16, 1
	v_add3_u32 v35, v27, v28, s74
                                        ; implicit-def: $vgpr27
; %bb.1118:                             ;   in Loop: Header=BB23_1088 Depth=2
	s_andn2_saveexec_b64 s[42:43], s[26:27]
; %bb.1119:                             ;   in Loop: Header=BB23_1088 Depth=2
	v_or_b32_e32 v28, 0x10000, v27
	v_cmp_eq_u32_sdwa s[26:27], v27, v3 src0_sel:WORD_0 src1_sel:DWORD
	s_nop 1
	v_cndmask_b32_e64 v35, v28, v27, s[26:27]
; %bb.1120:                             ;   in Loop: Header=BB23_1088 Depth=2
	s_or_b64 exec, exec, s[42:43]
	v_lshlrev_b32_e32 v27, 16, v16
	v_lshlrev_b32_e32 v28, 16, v20
	v_max_f32_e32 v28, v28, v28
	v_max_f32_e32 v27, v27, v27
	v_min_f32_e32 v29, v27, v28
	v_max_f32_e32 v27, v27, v28
	v_cndmask_b32_e32 v28, v27, v29, vcc
	v_and_b32_e32 v27, 0x7f800000, v28
	v_cmp_ne_u32_e64 s[26:27], s97, v27
                                        ; implicit-def: $vgpr27
	s_and_saveexec_b64 s[42:43], s[26:27]
	s_xor_b64 s[26:27], exec, s[42:43]
; %bb.1121:                             ;   in Loop: Header=BB23_1088 Depth=2
	v_bfe_u32 v27, v28, 16, 1
	v_add3_u32 v27, v28, v27, s74
                                        ; implicit-def: $vgpr28
; %bb.1122:                             ;   in Loop: Header=BB23_1088 Depth=2
	s_andn2_saveexec_b64 s[42:43], s[26:27]
; %bb.1123:                             ;   in Loop: Header=BB23_1088 Depth=2
	v_or_b32_e32 v27, 0x10000, v28
	v_cmp_eq_u32_sdwa s[26:27], v28, v3 src0_sel:WORD_0 src1_sel:DWORD
	s_nop 1
	v_cndmask_b32_e64 v27, v27, v28, s[26:27]
; %bb.1124:                             ;   in Loop: Header=BB23_1088 Depth=2
	s_or_b64 exec, exec, s[42:43]
	v_and_b32_e32 v16, 0xffff0000, v16
	v_and_b32_e32 v20, 0xffff0000, v20
	v_max_f32_e32 v20, v20, v20
	v_max_f32_e32 v16, v16, v16
	v_min_f32_e32 v28, v16, v20
	v_max_f32_e32 v16, v16, v20
	v_cndmask_b32_e32 v16, v16, v28, vcc
	v_and_b32_e32 v20, 0x7f800000, v16
	v_cmp_ne_u32_e64 s[26:27], s97, v20
                                        ; implicit-def: $vgpr20
	s_and_saveexec_b64 s[42:43], s[26:27]
	s_xor_b64 s[26:27], exec, s[42:43]
; %bb.1125:                             ;   in Loop: Header=BB23_1088 Depth=2
	v_bfe_u32 v20, v16, 16, 1
	v_add3_u32 v20, v16, v20, s74
                                        ; implicit-def: $vgpr16
; %bb.1126:                             ;   in Loop: Header=BB23_1088 Depth=2
	s_andn2_saveexec_b64 s[42:43], s[26:27]
; %bb.1127:                             ;   in Loop: Header=BB23_1088 Depth=2
	v_or_b32_e32 v20, 0x10000, v16
	v_cmp_eq_u32_sdwa s[26:27], v16, v3 src0_sel:WORD_0 src1_sel:DWORD
	s_nop 1
	v_cndmask_b32_e64 v20, v20, v16, s[26:27]
; %bb.1128:                             ;   in Loop: Header=BB23_1088 Depth=2
	s_or_b64 exec, exec, s[42:43]
	v_lshlrev_b32_e32 v16, 16, v17
	v_lshlrev_b32_e32 v28, 16, v21
	v_max_f32_e32 v28, v28, v28
	v_max_f32_e32 v16, v16, v16
	v_min_f32_e32 v29, v16, v28
	v_max_f32_e32 v16, v16, v28
	v_cndmask_b32_e32 v28, v16, v29, vcc
	v_and_b32_e32 v16, 0x7f800000, v28
	v_cmp_ne_u32_e64 s[26:27], s97, v16
                                        ; implicit-def: $vgpr16
	s_and_saveexec_b64 s[42:43], s[26:27]
	s_xor_b64 s[26:27], exec, s[42:43]
; %bb.1129:                             ;   in Loop: Header=BB23_1088 Depth=2
	v_bfe_u32 v16, v28, 16, 1
	v_add3_u32 v16, v28, v16, s74
                                        ; implicit-def: $vgpr28
; %bb.1130:                             ;   in Loop: Header=BB23_1088 Depth=2
	s_andn2_saveexec_b64 s[42:43], s[26:27]
; %bb.1131:                             ;   in Loop: Header=BB23_1088 Depth=2
	v_or_b32_e32 v16, 0x10000, v28
	v_cmp_eq_u32_sdwa s[26:27], v28, v3 src0_sel:WORD_0 src1_sel:DWORD
	s_nop 1
	v_cndmask_b32_e64 v16, v16, v28, s[26:27]
; %bb.1132:                             ;   in Loop: Header=BB23_1088 Depth=2
	s_or_b64 exec, exec, s[42:43]
	v_and_b32_e32 v17, 0xffff0000, v17
	v_and_b32_e32 v21, 0xffff0000, v21
	v_max_f32_e32 v21, v21, v21
	v_max_f32_e32 v17, v17, v17
	v_min_f32_e32 v28, v17, v21
	v_max_f32_e32 v17, v17, v21
	v_cndmask_b32_e32 v17, v17, v28, vcc
	v_and_b32_e32 v21, 0x7f800000, v17
	v_cmp_ne_u32_e64 s[26:27], s97, v21
                                        ; implicit-def: $vgpr21
	s_and_saveexec_b64 s[42:43], s[26:27]
	s_xor_b64 s[26:27], exec, s[42:43]
; %bb.1133:                             ;   in Loop: Header=BB23_1088 Depth=2
	v_bfe_u32 v21, v17, 16, 1
	v_add3_u32 v21, v17, v21, s74
                                        ; implicit-def: $vgpr17
; %bb.1134:                             ;   in Loop: Header=BB23_1088 Depth=2
	s_andn2_saveexec_b64 s[42:43], s[26:27]
; %bb.1135:                             ;   in Loop: Header=BB23_1088 Depth=2
	v_or_b32_e32 v21, 0x10000, v17
	v_cmp_eq_u32_sdwa s[26:27], v17, v3 src0_sel:WORD_0 src1_sel:DWORD
	s_nop 1
	v_cndmask_b32_e64 v21, v21, v17, s[26:27]
; %bb.1136:                             ;   in Loop: Header=BB23_1088 Depth=2
	s_or_b64 exec, exec, s[42:43]
	v_lshlrev_b32_e32 v17, 16, v18
	v_lshlrev_b32_e32 v28, 16, v22
	v_max_f32_e32 v28, v28, v28
	v_max_f32_e32 v17, v17, v17
	v_min_f32_e32 v29, v17, v28
	v_max_f32_e32 v17, v17, v28
	v_cndmask_b32_e32 v28, v17, v29, vcc
	v_and_b32_e32 v17, 0x7f800000, v28
	v_cmp_ne_u32_e64 s[26:27], s97, v17
                                        ; implicit-def: $vgpr17
	s_and_saveexec_b64 s[42:43], s[26:27]
	s_xor_b64 s[26:27], exec, s[42:43]
; %bb.1137:                             ;   in Loop: Header=BB23_1088 Depth=2
	v_bfe_u32 v17, v28, 16, 1
	v_add3_u32 v17, v28, v17, s74
                                        ; implicit-def: $vgpr28
; %bb.1138:                             ;   in Loop: Header=BB23_1088 Depth=2
	s_andn2_saveexec_b64 s[42:43], s[26:27]
; %bb.1139:                             ;   in Loop: Header=BB23_1088 Depth=2
	v_or_b32_e32 v17, 0x10000, v28
	v_cmp_eq_u32_sdwa s[26:27], v28, v3 src0_sel:WORD_0 src1_sel:DWORD
	s_nop 1
	v_cndmask_b32_e64 v17, v17, v28, s[26:27]
; %bb.1140:                             ;   in Loop: Header=BB23_1088 Depth=2
	s_or_b64 exec, exec, s[42:43]
	v_and_b32_e32 v18, 0xffff0000, v18
	v_and_b32_e32 v22, 0xffff0000, v22
	v_max_f32_e32 v22, v22, v22
	v_max_f32_e32 v18, v18, v18
	v_min_f32_e32 v28, v18, v22
	v_max_f32_e32 v18, v18, v22
	v_cndmask_b32_e32 v18, v18, v28, vcc
	v_and_b32_e32 v22, 0x7f800000, v18
	v_cmp_ne_u32_e64 s[26:27], s97, v22
                                        ; implicit-def: $vgpr22
	s_and_saveexec_b64 s[42:43], s[26:27]
	s_xor_b64 s[26:27], exec, s[42:43]
; %bb.1141:                             ;   in Loop: Header=BB23_1088 Depth=2
	v_bfe_u32 v22, v18, 16, 1
	v_add3_u32 v22, v18, v22, s74
                                        ; implicit-def: $vgpr18
; %bb.1142:                             ;   in Loop: Header=BB23_1088 Depth=2
	s_andn2_saveexec_b64 s[42:43], s[26:27]
; %bb.1143:                             ;   in Loop: Header=BB23_1088 Depth=2
	v_or_b32_e32 v22, 0x10000, v18
	v_cmp_eq_u32_sdwa s[26:27], v18, v3 src0_sel:WORD_0 src1_sel:DWORD
	s_nop 1
	v_cndmask_b32_e64 v22, v22, v18, s[26:27]
; %bb.1144:                             ;   in Loop: Header=BB23_1088 Depth=2
	s_or_b64 exec, exec, s[42:43]
	v_lshlrev_b32_e32 v18, 16, v19
	v_lshlrev_b32_e32 v28, 16, v23
	v_max_f32_e32 v28, v28, v28
	v_max_f32_e32 v18, v18, v18
	v_min_f32_e32 v29, v18, v28
	v_max_f32_e32 v18, v18, v28
	v_cndmask_b32_e32 v28, v18, v29, vcc
	v_and_b32_e32 v18, 0x7f800000, v28
	v_cmp_ne_u32_e64 s[26:27], s97, v18
                                        ; implicit-def: $vgpr18
	s_and_saveexec_b64 s[42:43], s[26:27]
	s_xor_b64 s[26:27], exec, s[42:43]
; %bb.1145:                             ;   in Loop: Header=BB23_1088 Depth=2
	v_bfe_u32 v18, v28, 16, 1
	v_add3_u32 v18, v28, v18, s74
                                        ; implicit-def: $vgpr28
; %bb.1146:                             ;   in Loop: Header=BB23_1088 Depth=2
	s_andn2_saveexec_b64 s[42:43], s[26:27]
; %bb.1147:                             ;   in Loop: Header=BB23_1088 Depth=2
	v_or_b32_e32 v18, 0x10000, v28
	v_cmp_eq_u32_sdwa s[26:27], v28, v3 src0_sel:WORD_0 src1_sel:DWORD
	s_nop 1
	v_cndmask_b32_e64 v18, v18, v28, s[26:27]
; %bb.1148:                             ;   in Loop: Header=BB23_1088 Depth=2
	s_or_b64 exec, exec, s[42:43]
	v_and_b32_e32 v19, 0xffff0000, v19
	v_and_b32_e32 v23, 0xffff0000, v23
	v_max_f32_e32 v23, v23, v23
	v_max_f32_e32 v19, v19, v19
	v_min_f32_e32 v28, v19, v23
	v_max_f32_e32 v19, v19, v23
	v_cndmask_b32_e32 v23, v19, v28, vcc
	v_and_b32_e32 v19, 0x7f800000, v23
	v_cmp_ne_u32_e64 s[26:27], s97, v19
                                        ; implicit-def: $vgpr19
	s_and_saveexec_b64 s[42:43], s[26:27]
	s_xor_b64 s[26:27], exec, s[42:43]
; %bb.1149:                             ;   in Loop: Header=BB23_1088 Depth=2
	v_bfe_u32 v19, v23, 16, 1
	v_add3_u32 v19, v23, v19, s74
                                        ; implicit-def: $vgpr23
; %bb.1150:                             ;   in Loop: Header=BB23_1088 Depth=2
	s_andn2_saveexec_b64 s[42:43], s[26:27]
; %bb.1151:                             ;   in Loop: Header=BB23_1088 Depth=2
	v_or_b32_e32 v19, 0x10000, v23
	v_cmp_eq_u32_sdwa s[26:27], v23, v3 src0_sel:WORD_0 src1_sel:DWORD
	s_nop 1
	v_cndmask_b32_e64 v19, v19, v23, s[26:27]
; %bb.1152:                             ;   in Loop: Header=BB23_1088 Depth=2
	s_or_b64 exec, exec, s[42:43]
	v_and_b32_e32 v23, 0xffff0000, v55
	v_lshlrev_b32_e32 v28, 16, v12
	v_max_f32_e32 v23, v23, v23
	v_max_f32_e32 v28, v28, v28
	v_min_f32_e32 v29, v23, v28
	v_max_f32_e32 v23, v23, v28
	v_cndmask_b32_e32 v28, v23, v29, vcc
	v_and_b32_e32 v23, 0x7f800000, v28
	v_cmp_ne_u32_e64 s[26:27], s97, v23
                                        ; implicit-def: $vgpr23
	s_and_saveexec_b64 s[42:43], s[26:27]
	s_xor_b64 s[26:27], exec, s[42:43]
; %bb.1153:                             ;   in Loop: Header=BB23_1088 Depth=2
	v_bfe_u32 v23, v28, 16, 1
	v_add3_u32 v23, v28, v23, s74
                                        ; implicit-def: $vgpr28
; %bb.1154:                             ;   in Loop: Header=BB23_1088 Depth=2
	s_andn2_saveexec_b64 s[42:43], s[26:27]
; %bb.1155:                             ;   in Loop: Header=BB23_1088 Depth=2
	v_or_b32_e32 v23, 0x10000, v28
	v_cmp_eq_u32_sdwa s[26:27], v28, v3 src0_sel:WORD_0 src1_sel:DWORD
	s_nop 1
	v_cndmask_b32_e64 v23, v23, v28, s[26:27]
; %bb.1156:                             ;   in Loop: Header=BB23_1088 Depth=2
	s_or_b64 exec, exec, s[42:43]
	v_and_b32_e32 v28, 0xffff0000, v12
	v_and_b32_e32 v12, 0xffff0000, v32
	v_max_f32_e32 v28, v28, v28
	v_max_f32_e32 v29, v12, v12
	v_min_f32_e32 v31, v29, v28
	v_max_f32_e32 v28, v29, v28
	v_cndmask_b32_e32 v28, v28, v31, vcc
	v_and_b32_e32 v29, 0x7f800000, v28
	v_cmp_ne_u32_e64 s[26:27], s97, v29
                                        ; implicit-def: $vgpr32
	s_and_saveexec_b64 s[42:43], s[26:27]
	s_xor_b64 s[26:27], exec, s[42:43]
; %bb.1157:                             ;   in Loop: Header=BB23_1088 Depth=2
	v_bfe_u32 v29, v28, 16, 1
	v_add3_u32 v32, v28, v29, s74
                                        ; implicit-def: $vgpr28
; %bb.1158:                             ;   in Loop: Header=BB23_1088 Depth=2
	s_andn2_saveexec_b64 s[42:43], s[26:27]
; %bb.1159:                             ;   in Loop: Header=BB23_1088 Depth=2
	v_or_b32_e32 v29, 0x10000, v28
	v_cmp_eq_u32_sdwa s[26:27], v28, v3 src0_sel:WORD_0 src1_sel:DWORD
	s_nop 1
	v_cndmask_b32_e64 v32, v29, v28, s[26:27]
; %bb.1160:                             ;   in Loop: Header=BB23_1088 Depth=2
	s_or_b64 exec, exec, s[42:43]
	v_and_b32_e32 v28, 0xffff0000, v24
	v_lshlrev_b32_e32 v29, 16, v13
	v_max_f32_e32 v28, v28, v28
	v_max_f32_e32 v29, v29, v29
	v_min_f32_e32 v31, v28, v29
	v_max_f32_e32 v28, v28, v29
	v_cndmask_b32_e32 v29, v28, v31, vcc
	v_and_b32_e32 v28, 0x7f800000, v29
	v_cmp_ne_u32_e64 s[26:27], s97, v28
                                        ; implicit-def: $vgpr28
	s_and_saveexec_b64 s[42:43], s[26:27]
	s_xor_b64 s[26:27], exec, s[42:43]
; %bb.1161:                             ;   in Loop: Header=BB23_1088 Depth=2
	v_bfe_u32 v28, v29, 16, 1
	v_add3_u32 v28, v29, v28, s74
                                        ; implicit-def: $vgpr29
; %bb.1162:                             ;   in Loop: Header=BB23_1088 Depth=2
	s_andn2_saveexec_b64 s[42:43], s[26:27]
; %bb.1163:                             ;   in Loop: Header=BB23_1088 Depth=2
	v_or_b32_e32 v28, 0x10000, v29
	v_cmp_eq_u32_sdwa s[26:27], v29, v3 src0_sel:WORD_0 src1_sel:DWORD
	s_nop 1
	v_cndmask_b32_e64 v28, v28, v29, s[26:27]
; %bb.1164:                             ;   in Loop: Header=BB23_1088 Depth=2
	s_or_b64 exec, exec, s[42:43]
	v_and_b32_e32 v29, 0xffff0000, v13
	v_and_b32_e32 v13, 0xffff0000, v33
	v_max_f32_e32 v29, v29, v29
	v_max_f32_e32 v31, v13, v13
	v_min_f32_e32 v33, v31, v29
	v_max_f32_e32 v29, v31, v29
	v_cndmask_b32_e32 v33, v29, v33, vcc
	v_and_b32_e32 v29, 0x7f800000, v33
	v_cmp_ne_u32_e64 s[26:27], s97, v29
                                        ; implicit-def: $vgpr29
	s_and_saveexec_b64 s[42:43], s[26:27]
	s_xor_b64 s[26:27], exec, s[42:43]
; %bb.1165:                             ;   in Loop: Header=BB23_1088 Depth=2
	v_bfe_u32 v29, v33, 16, 1
	v_add3_u32 v29, v33, v29, s74
                                        ; implicit-def: $vgpr33
; %bb.1166:                             ;   in Loop: Header=BB23_1088 Depth=2
	s_andn2_saveexec_b64 s[42:43], s[26:27]
; %bb.1167:                             ;   in Loop: Header=BB23_1088 Depth=2
	v_or_b32_e32 v29, 0x10000, v33
	v_cmp_eq_u32_sdwa s[26:27], v33, v3 src0_sel:WORD_0 src1_sel:DWORD
	s_nop 1
	v_cndmask_b32_e64 v29, v29, v33, s[26:27]
; %bb.1168:                             ;   in Loop: Header=BB23_1088 Depth=2
	s_or_b64 exec, exec, s[42:43]
	v_and_b32_e32 v31, 0xffff0000, v25
	v_lshlrev_b32_e32 v33, 16, v14
	v_max_f32_e32 v31, v31, v31
	v_max_f32_e32 v33, v33, v33
	v_min_f32_e32 v48, v31, v33
	v_max_f32_e32 v31, v31, v33
	v_cndmask_b32_e32 v98, v31, v48, vcc
	v_and_b32_e32 v31, 0x7f800000, v98
	v_cmp_ne_u32_e64 s[26:27], s97, v31
                                        ; implicit-def: $vgpr33
	s_and_saveexec_b64 s[42:43], s[26:27]
	s_xor_b64 s[26:27], exec, s[42:43]
; %bb.1169:                             ;   in Loop: Header=BB23_1088 Depth=2
	v_bfe_u32 v31, v98, 16, 1
	v_add3_u32 v33, v98, v31, s74
                                        ; implicit-def: $vgpr98
; %bb.1170:                             ;   in Loop: Header=BB23_1088 Depth=2
	s_andn2_saveexec_b64 s[42:43], s[26:27]
; %bb.1171:                             ;   in Loop: Header=BB23_1088 Depth=2
	v_or_b32_e32 v31, 0x10000, v98
	v_cmp_eq_u32_sdwa s[26:27], v98, v3 src0_sel:WORD_0 src1_sel:DWORD
	s_nop 1
	v_cndmask_b32_e64 v33, v31, v98, s[26:27]
; %bb.1172:                             ;   in Loop: Header=BB23_1088 Depth=2
	s_or_b64 exec, exec, s[42:43]
	v_and_b32_e32 v31, 0xffff0000, v14
	v_and_b32_e32 v14, 0xffff0000, v34
	v_max_f32_e32 v31, v31, v31
	v_max_f32_e32 v34, v14, v14
	v_min_f32_e32 v48, v34, v31
	v_max_f32_e32 v31, v34, v31
	v_cndmask_b32_e32 v98, v31, v48, vcc
	v_and_b32_e32 v31, 0x7f800000, v98
	v_cmp_ne_u32_e64 s[26:27], s97, v31
                                        ; implicit-def: $vgpr34
	s_and_saveexec_b64 s[42:43], s[26:27]
	s_xor_b64 s[26:27], exec, s[42:43]
; %bb.1173:                             ;   in Loop: Header=BB23_1088 Depth=2
	v_bfe_u32 v31, v98, 16, 1
	v_add3_u32 v34, v98, v31, s74
                                        ; implicit-def: $vgpr98
; %bb.1174:                             ;   in Loop: Header=BB23_1088 Depth=2
	s_andn2_saveexec_b64 s[42:43], s[26:27]
; %bb.1175:                             ;   in Loop: Header=BB23_1088 Depth=2
	v_or_b32_e32 v31, 0x10000, v98
	v_cmp_eq_u32_sdwa s[26:27], v98, v3 src0_sel:WORD_0 src1_sel:DWORD
	s_nop 1
	v_cndmask_b32_e64 v34, v31, v98, s[26:27]
; %bb.1176:                             ;   in Loop: Header=BB23_1088 Depth=2
	s_or_b64 exec, exec, s[42:43]
	v_and_b32_e32 v31, 0xffff0000, v26
	v_lshlrev_b32_e32 v48, 16, v15
	v_max_f32_e32 v31, v31, v31
	v_max_f32_e32 v48, v48, v48
	v_min_f32_e32 v49, v31, v48
	v_max_f32_e32 v31, v31, v48
	v_cndmask_b32_e32 v99, v31, v49, vcc
	v_and_b32_e32 v31, 0x7f800000, v99
	v_cmp_ne_u32_e64 s[26:27], s97, v31
                                        ; implicit-def: $vgpr98
	s_and_saveexec_b64 s[42:43], s[26:27]
	s_xor_b64 s[26:27], exec, s[42:43]
; %bb.1177:                             ;   in Loop: Header=BB23_1088 Depth=2
	v_bfe_u32 v31, v99, 16, 1
	v_add3_u32 v98, v99, v31, s74
                                        ; implicit-def: $vgpr99
; %bb.1178:                             ;   in Loop: Header=BB23_1088 Depth=2
	s_andn2_saveexec_b64 s[42:43], s[26:27]
; %bb.1179:                             ;   in Loop: Header=BB23_1088 Depth=2
	v_or_b32_e32 v31, 0x10000, v99
	v_cmp_eq_u32_sdwa s[26:27], v99, v3 src0_sel:WORD_0 src1_sel:DWORD
	s_nop 1
	v_cndmask_b32_e64 v98, v31, v99, s[26:27]
; %bb.1180:                             ;   in Loop: Header=BB23_1088 Depth=2
	s_or_b64 exec, exec, s[42:43]
	v_and_b32_e32 v31, 0xffff0000, v15
	v_and_b32_e32 v15, 0xffff0000, v35
	v_max_f32_e32 v31, v31, v31
	v_max_f32_e32 v35, v15, v15
	v_min_f32_e32 v48, v35, v31
	v_max_f32_e32 v31, v35, v31
	v_cndmask_b32_e32 v99, v31, v48, vcc
	v_and_b32_e32 v31, 0x7f800000, v99
	v_cmp_ne_u32_e64 s[26:27], s97, v31
                                        ; implicit-def: $vgpr35
	s_and_saveexec_b64 s[42:43], s[26:27]
	s_xor_b64 s[26:27], exec, s[42:43]
; %bb.1181:                             ;   in Loop: Header=BB23_1088 Depth=2
	v_bfe_u32 v31, v99, 16, 1
	v_add3_u32 v35, v99, v31, s74
                                        ; implicit-def: $vgpr99
; %bb.1182:                             ;   in Loop: Header=BB23_1088 Depth=2
	s_andn2_saveexec_b64 s[42:43], s[26:27]
; %bb.1183:                             ;   in Loop: Header=BB23_1088 Depth=2
	v_or_b32_e32 v31, 0x10000, v99
	v_cmp_eq_u32_sdwa s[26:27], v99, v3 src0_sel:WORD_0 src1_sel:DWORD
	s_nop 1
	v_cndmask_b32_e64 v35, v31, v99, s[26:27]
; %bb.1184:                             ;   in Loop: Header=BB23_1088 Depth=2
	s_or_b64 exec, exec, s[42:43]
	v_lshrrev_b32_e32 v23, 16, v23
	v_and_or_b32 v48, v32, s75, v23
	v_lshrrev_b32_e32 v23, 16, v33
	v_lshrrev_b32_e32 v28, 16, v28
	v_and_or_b32 v50, v34, s75, v23
	v_lshrrev_b32_e32 v23, 16, v98
	v_and_or_b32 v49, v29, s75, v28
	v_and_or_b32 v51, v35, s75, v23
	v_and_b32_e32 v23, 0xffff0000, v27
	v_lshlrev_b32_e32 v28, 16, v8
	v_max_f32_e32 v23, v23, v23
	v_max_f32_e32 v28, v28, v28
	v_min_f32_e32 v29, v23, v28
	v_max_f32_e32 v23, v23, v28
	v_cndmask_b32_e32 v28, v23, v29, vcc
	v_and_b32_e32 v23, 0x7f800000, v28
	v_cmp_ne_u32_e64 s[26:27], s97, v23
	global_store_dwordx4 v[94:95], v[48:51], off
                                        ; implicit-def: $vgpr23
	s_and_saveexec_b64 s[42:43], s[26:27]
	s_xor_b64 s[26:27], exec, s[42:43]
; %bb.1185:                             ;   in Loop: Header=BB23_1088 Depth=2
	v_bfe_u32 v23, v28, 16, 1
	v_add3_u32 v23, v28, v23, s74
                                        ; implicit-def: $vgpr28
; %bb.1186:                             ;   in Loop: Header=BB23_1088 Depth=2
	s_andn2_saveexec_b64 s[42:43], s[26:27]
; %bb.1187:                             ;   in Loop: Header=BB23_1088 Depth=2
	v_or_b32_e32 v23, 0x10000, v28
	v_cmp_eq_u32_sdwa s[26:27], v28, v3 src0_sel:WORD_0 src1_sel:DWORD
	s_nop 1
	v_cndmask_b32_e64 v23, v23, v28, s[26:27]
; %bb.1188:                             ;   in Loop: Header=BB23_1088 Depth=2
	s_or_b64 exec, exec, s[42:43]
	v_and_b32_e32 v28, 0xffff0000, v8
	v_and_b32_e32 v8, 0xffff0000, v20
	v_max_f32_e32 v20, v28, v28
	v_max_f32_e32 v28, v8, v8
	v_min_f32_e32 v29, v28, v20
	v_max_f32_e32 v20, v28, v20
	v_cndmask_b32_e32 v28, v20, v29, vcc
	v_and_b32_e32 v20, 0x7f800000, v28
	v_cmp_ne_u32_e64 s[26:27], s97, v20
                                        ; implicit-def: $vgpr20
	s_and_saveexec_b64 s[42:43], s[26:27]
	s_xor_b64 s[26:27], exec, s[42:43]
; %bb.1189:                             ;   in Loop: Header=BB23_1088 Depth=2
	v_bfe_u32 v20, v28, 16, 1
	v_add3_u32 v20, v28, v20, s74
                                        ; implicit-def: $vgpr28
; %bb.1190:                             ;   in Loop: Header=BB23_1088 Depth=2
	s_andn2_saveexec_b64 s[42:43], s[26:27]
; %bb.1191:                             ;   in Loop: Header=BB23_1088 Depth=2
	v_or_b32_e32 v20, 0x10000, v28
	v_cmp_eq_u32_sdwa s[26:27], v28, v3 src0_sel:WORD_0 src1_sel:DWORD
	s_nop 1
	v_cndmask_b32_e64 v20, v20, v28, s[26:27]
; %bb.1192:                             ;   in Loop: Header=BB23_1088 Depth=2
	s_or_b64 exec, exec, s[42:43]
	v_and_b32_e32 v28, 0xffff0000, v16
	v_lshlrev_b32_e32 v29, 16, v9
	v_max_f32_e32 v28, v28, v28
	v_max_f32_e32 v29, v29, v29
	v_min_f32_e32 v31, v28, v29
	v_max_f32_e32 v28, v28, v29
	v_cndmask_b32_e32 v29, v28, v31, vcc
	v_and_b32_e32 v28, 0x7f800000, v29
	v_cmp_ne_u32_e64 s[26:27], s97, v28
                                        ; implicit-def: $vgpr28
	s_and_saveexec_b64 s[42:43], s[26:27]
	s_xor_b64 s[26:27], exec, s[42:43]
; %bb.1193:                             ;   in Loop: Header=BB23_1088 Depth=2
	v_bfe_u32 v28, v29, 16, 1
	v_add3_u32 v28, v29, v28, s74
                                        ; implicit-def: $vgpr29
; %bb.1194:                             ;   in Loop: Header=BB23_1088 Depth=2
	s_andn2_saveexec_b64 s[42:43], s[26:27]
; %bb.1195:                             ;   in Loop: Header=BB23_1088 Depth=2
	v_or_b32_e32 v28, 0x10000, v29
	v_cmp_eq_u32_sdwa s[26:27], v29, v3 src0_sel:WORD_0 src1_sel:DWORD
	s_nop 1
	v_cndmask_b32_e64 v28, v28, v29, s[26:27]
; %bb.1196:                             ;   in Loop: Header=BB23_1088 Depth=2
	s_or_b64 exec, exec, s[42:43]
	v_and_b32_e32 v29, 0xffff0000, v9
	v_and_b32_e32 v9, 0xffff0000, v21
	v_max_f32_e32 v21, v29, v29
	v_max_f32_e32 v29, v9, v9
	v_min_f32_e32 v31, v29, v21
	v_max_f32_e32 v21, v29, v21
	v_cndmask_b32_e32 v29, v21, v31, vcc
	v_and_b32_e32 v21, 0x7f800000, v29
	v_cmp_ne_u32_e64 s[26:27], s97, v21
                                        ; implicit-def: $vgpr21
	s_and_saveexec_b64 s[42:43], s[26:27]
	s_xor_b64 s[26:27], exec, s[42:43]
; %bb.1197:                             ;   in Loop: Header=BB23_1088 Depth=2
	v_bfe_u32 v21, v29, 16, 1
	v_add3_u32 v21, v29, v21, s74
                                        ; implicit-def: $vgpr29
; %bb.1198:                             ;   in Loop: Header=BB23_1088 Depth=2
	s_andn2_saveexec_b64 s[42:43], s[26:27]
; %bb.1199:                             ;   in Loop: Header=BB23_1088 Depth=2
	v_or_b32_e32 v21, 0x10000, v29
	v_cmp_eq_u32_sdwa s[26:27], v29, v3 src0_sel:WORD_0 src1_sel:DWORD
	s_nop 1
	v_cndmask_b32_e64 v21, v21, v29, s[26:27]
; %bb.1200:                             ;   in Loop: Header=BB23_1088 Depth=2
	s_or_b64 exec, exec, s[42:43]
	v_and_b32_e32 v29, 0xffff0000, v17
	v_lshlrev_b32_e32 v31, 16, v10
	v_max_f32_e32 v29, v29, v29
	v_max_f32_e32 v31, v31, v31
	v_min_f32_e32 v32, v29, v31
	v_max_f32_e32 v29, v29, v31
	v_cndmask_b32_e32 v32, v29, v32, vcc
	v_and_b32_e32 v29, 0x7f800000, v32
	v_cmp_ne_u32_e64 s[26:27], s97, v29
                                        ; implicit-def: $vgpr29
	s_and_saveexec_b64 s[42:43], s[26:27]
	s_xor_b64 s[26:27], exec, s[42:43]
; %bb.1201:                             ;   in Loop: Header=BB23_1088 Depth=2
	v_bfe_u32 v29, v32, 16, 1
	v_add3_u32 v29, v32, v29, s74
                                        ; implicit-def: $vgpr32
; %bb.1202:                             ;   in Loop: Header=BB23_1088 Depth=2
	s_andn2_saveexec_b64 s[42:43], s[26:27]
; %bb.1203:                             ;   in Loop: Header=BB23_1088 Depth=2
	v_or_b32_e32 v29, 0x10000, v32
	v_cmp_eq_u32_sdwa s[26:27], v32, v3 src0_sel:WORD_0 src1_sel:DWORD
	s_nop 1
	v_cndmask_b32_e64 v29, v29, v32, s[26:27]
; %bb.1204:                             ;   in Loop: Header=BB23_1088 Depth=2
	s_or_b64 exec, exec, s[42:43]
	v_and_b32_e32 v31, 0xffff0000, v10
	v_and_b32_e32 v10, 0xffff0000, v22
	v_max_f32_e32 v22, v31, v31
	v_max_f32_e32 v31, v10, v10
	v_min_f32_e32 v32, v31, v22
	v_max_f32_e32 v22, v31, v22
	v_cndmask_b32_e32 v32, v22, v32, vcc
	v_and_b32_e32 v22, 0x7f800000, v32
	v_cmp_ne_u32_e64 s[26:27], s97, v22
                                        ; implicit-def: $vgpr22
	s_and_saveexec_b64 s[42:43], s[26:27]
	s_xor_b64 s[26:27], exec, s[42:43]
; %bb.1205:                             ;   in Loop: Header=BB23_1088 Depth=2
	v_bfe_u32 v22, v32, 16, 1
	v_add3_u32 v22, v32, v22, s74
                                        ; implicit-def: $vgpr32
; %bb.1206:                             ;   in Loop: Header=BB23_1088 Depth=2
	s_andn2_saveexec_b64 s[42:43], s[26:27]
; %bb.1207:                             ;   in Loop: Header=BB23_1088 Depth=2
	v_or_b32_e32 v22, 0x10000, v32
	v_cmp_eq_u32_sdwa s[26:27], v32, v3 src0_sel:WORD_0 src1_sel:DWORD
	s_nop 1
	v_cndmask_b32_e64 v22, v22, v32, s[26:27]
; %bb.1208:                             ;   in Loop: Header=BB23_1088 Depth=2
	s_or_b64 exec, exec, s[42:43]
	v_and_b32_e32 v31, 0xffff0000, v18
	v_lshlrev_b32_e32 v32, 16, v11
	v_max_f32_e32 v31, v31, v31
	v_max_f32_e32 v32, v32, v32
	v_min_f32_e32 v33, v31, v32
	v_max_f32_e32 v31, v31, v32
	v_cndmask_b32_e32 v33, v31, v33, vcc
	v_and_b32_e32 v31, 0x7f800000, v33
	v_cmp_ne_u32_e64 s[26:27], s97, v31
                                        ; implicit-def: $vgpr32
	s_and_saveexec_b64 s[42:43], s[26:27]
	s_xor_b64 s[26:27], exec, s[42:43]
; %bb.1209:                             ;   in Loop: Header=BB23_1088 Depth=2
	v_bfe_u32 v31, v33, 16, 1
	v_add3_u32 v32, v33, v31, s74
                                        ; implicit-def: $vgpr33
; %bb.1210:                             ;   in Loop: Header=BB23_1088 Depth=2
	s_andn2_saveexec_b64 s[42:43], s[26:27]
; %bb.1211:                             ;   in Loop: Header=BB23_1088 Depth=2
	v_or_b32_e32 v31, 0x10000, v33
	v_cmp_eq_u32_sdwa s[26:27], v33, v3 src0_sel:WORD_0 src1_sel:DWORD
	s_nop 1
	v_cndmask_b32_e64 v32, v31, v33, s[26:27]
; %bb.1212:                             ;   in Loop: Header=BB23_1088 Depth=2
	s_or_b64 exec, exec, s[42:43]
	v_and_b32_e32 v31, 0xffff0000, v11
	v_and_b32_e32 v11, 0xffff0000, v19
	v_max_f32_e32 v19, v31, v31
	v_max_f32_e32 v31, v11, v11
	v_min_f32_e32 v33, v31, v19
	v_max_f32_e32 v19, v31, v19
	v_cndmask_b32_e32 v33, v19, v33, vcc
	v_and_b32_e32 v19, 0x7f800000, v33
	v_cmp_ne_u32_e64 s[26:27], s97, v19
                                        ; implicit-def: $vgpr19
	s_and_saveexec_b64 s[42:43], s[26:27]
	s_xor_b64 s[26:27], exec, s[42:43]
; %bb.1213:                             ;   in Loop: Header=BB23_1088 Depth=2
	v_bfe_u32 v19, v33, 16, 1
	v_add3_u32 v19, v33, v19, s74
                                        ; implicit-def: $vgpr33
; %bb.1214:                             ;   in Loop: Header=BB23_1088 Depth=2
	s_andn2_saveexec_b64 s[42:43], s[26:27]
	s_cbranch_execz .LBB23_1087
; %bb.1215:                             ;   in Loop: Header=BB23_1088 Depth=2
	v_or_b32_e32 v19, 0x10000, v33
	v_cmp_eq_u32_sdwa s[26:27], v33, v3 src0_sel:WORD_0 src1_sel:DWORD
	s_nop 1
	v_cndmask_b32_e64 v19, v19, v33, s[26:27]
	s_branch .LBB23_1087
.LBB23_1216:                            ;   in Loop: Header=BB23_47 Depth=1
	s_or_b64 exec, exec, s[46:47]
	s_and_saveexec_b64 s[46:47], s[56:57]
	s_xor_b64 s[46:47], exec, s[46:47]
	s_cbranch_execz .LBB23_1218
; %bb.1217:                             ;   in Loop: Header=BB23_47 Depth=1
	ds_write_b32 v0, v1
	s_trap 2
.LBB23_1218:                            ;   in Loop: Header=BB23_47 Depth=1
	s_or_b64 exec, exec, s[44:45]
	;;#ASMSTART
	s_wakeup
	;;#ASMEND
.LBB23_1219:                            ;   in Loop: Header=BB23_47 Depth=1
	s_or_b64 exec, exec, s[42:43]
.LBB23_1220:                            ;   in Loop: Header=BB23_47 Depth=1
	s_andn2_saveexec_b64 s[40:41], s[40:41]
	s_cbranch_execz .LBB23_1222
; %bb.1221:                             ;   in Loop: Header=BB23_47 Depth=1
	;;#ASMSTART
	s_waitcnt lgkmcnt(0) vmcnt(0)
	;;#ASMEND
	s_barrier
.LBB23_1222:                            ;   in Loop: Header=BB23_47 Depth=1
	s_or_b64 exec, exec, s[40:41]
.LBB23_1223:                            ;   in Loop: Header=BB23_47 Depth=1
	s_or_b64 exec, exec, s[26:27]
	v_cmp_ne_u32_e32 vcc, 0, v9
	s_xor_b64 s[26:27], s[10:11], -1
	s_and_b64 s[40:41], vcc, s[26:27]
	s_and_saveexec_b64 s[26:27], s[40:41]
	s_cbranch_execz .LBB23_1225
; %bb.1224:                             ;   in Loop: Header=BB23_47 Depth=1
	flat_store_dword v[68:69], v1 sc0 sc1
.LBB23_1225:                            ;   in Loop: Header=BB23_47 Depth=1
	s_or_b64 exec, exec, s[26:27]
	v_and_b32_e32 v2, 48, v110
	v_cmp_ne_u32_e32 vcc, 0, v2
	s_and_saveexec_b64 s[26:27], vcc
	s_cbranch_execz .LBB23_1227
; %bb.1226:                             ;   in Loop: Header=BB23_47 Depth=1
	v_lshl_add_u64 v[76:77], v[76:77], 0, 4
	flat_store_dwordx2 v[64:65], v[76:77] sc0 sc1
.LBB23_1227:                            ;   in Loop: Header=BB23_47 Depth=1
	s_or_b64 exec, exec, s[26:27]
	s_or_b64 exec, exec, s[28:29]
	s_and_b64 vcc, exec, s[24:25]
	s_cbranch_vccnz .LBB23_2158
	s_branch .LBB23_1650
.LBB23_1228:                            ;   in Loop: Header=BB23_47 Depth=1
	s_or_b64 exec, exec, s[40:41]
.LBB23_1229:                            ;   in Loop: Header=BB23_47 Depth=1
	s_or_b64 exec, exec, s[28:29]
	v_lshlrev_b32_e32 v34, 11, v54
	v_cmp_ne_u32_e32 vcc, v82, v34
	s_mov_b64 s[26:27], 0
	v_mov_b32_e32 v18, 0
                                        ; implicit-def: $vgpr19
	s_and_saveexec_b64 s[54:55], vcc
	s_cbranch_execz .LBB23_1269
; %bb.1230:                             ;   in Loop: Header=BB23_47 Depth=1
	v_lshlrev_b32_e32 v2, 6, v2
	v_and_b32_e32 v9, 63, v0
	v_sub_u32_e32 v2, v9, v2
	v_ashrrev_i32_e32 v9, 31, v2
	v_lshrrev_b32_e32 v9, 26, v9
	v_add_u32_e32 v9, v2, v9
	v_sub_u32_e32 v8, v82, v34
	v_ashrrev_i32_e32 v10, 6, v9
	v_and_b32_e32 v9, 0xffffffc0, v9
	v_sub_u32_e32 v35, v2, v9
	v_ashrrev_i32_e32 v9, 31, v8
	v_lshrrev_b32_e32 v9, 22, v9
	v_add_u32_e32 v9, v8, v9
	v_and_b32_e32 v54, 0xfffffc00, v9
	v_lshlrev_b32_e32 v2, 4, v35
	v_sub_u32_e32 v55, v8, v54
	v_lshl_add_u32 v2, v10, 10, v2
	v_ashrrev_i32_e32 v11, 10, v9
	v_cmp_lt_i32_e64 s[26:27], 15, v55
	v_sub_u32_e32 v93, v8, v2
	s_nop 0
	v_addc_co_u32_e64 v8, vcc, 0, v11, s[26:27]
	v_sub_u32_e32 v92, v8, v10
	v_cmp_lt_i32_e32 vcc, 15, v93
	s_and_saveexec_b64 s[64:65], vcc
	s_cbranch_execz .LBB23_1268
; %bb.1231:                             ;   in Loop: Header=BB23_47 Depth=1
	s_trap 2
	ds_read_b64 v[10:11], v0
	v_add_u32_e32 v8, v2, v34
	s_and_b32 s76, s49, 1
	v_ashrrev_i32_e32 v9, 31, v8
	s_cmp_eq_u64 s[76:77], 0
	s_waitcnt lgkmcnt(0)
	v_lshl_add_u64 v[20:21], v[8:9], 0, v[124:125]
	v_lshl_add_u64 v[22:23], v[8:9], 0, v[38:39]
	;; [unrolled: 1-line block ×5, first 2 shown]
	s_mov_b64 s[66:67], 0
	s_cselect_b64 s[28:29], -1, 0
.LBB23_1232:                            ;   Parent Loop BB23_47 Depth=1
                                        ; =>  This Loop Header: Depth=2
                                        ;       Child Loop BB23_1265 Depth 3
	global_load_dwordx4 v[12:15], v[32:33], off nt
	global_load_dwordx4 v[16:19], v[26:27], off nt
	;; [unrolled: 1-line block ×3, first 2 shown]
                                        ; implicit-def: $vgpr98
	s_waitcnt vmcnt(0)
	v_lshlrev_b32_e32 v2, 16, v12
	v_lshlrev_b32_e32 v28, 16, v16
	v_max_f32_e32 v2, v2, v2
	v_max_f32_e32 v28, v28, v28
	v_min_f32_e32 v29, v28, v2
	v_max_f32_e32 v2, v28, v2
	v_cndmask_b32_e64 v2, v2, v29, s[28:29]
	v_and_b32_e32 v28, 0x7f800000, v2
	v_cmp_ne_u32_e32 vcc, s97, v28
	s_and_saveexec_b64 s[40:41], vcc
	s_xor_b64 s[40:41], exec, s[40:41]
; %bb.1233:                             ;   in Loop: Header=BB23_1232 Depth=2
	v_bfe_u32 v28, v2, 16, 1
	v_add3_u32 v98, v2, v28, s74
                                        ; implicit-def: $vgpr2
; %bb.1234:                             ;   in Loop: Header=BB23_1232 Depth=2
	s_andn2_saveexec_b64 s[40:41], s[40:41]
; %bb.1235:                             ;   in Loop: Header=BB23_1232 Depth=2
	v_or_b32_e32 v28, 0x10000, v2
	v_cmp_eq_u32_sdwa vcc, v2, v3 src0_sel:WORD_0 src1_sel:DWORD
	s_nop 1
	v_cndmask_b32_e32 v98, v28, v2, vcc
; %bb.1236:                             ;   in Loop: Header=BB23_1232 Depth=2
	s_or_b64 exec, exec, s[40:41]
	v_and_b32_e32 v2, 0xffff0000, v12
	v_and_b32_e32 v12, 0xffff0000, v16
	v_max_f32_e32 v2, v2, v2
	v_max_f32_e32 v12, v12, v12
	v_min_f32_e32 v16, v12, v2
	v_max_f32_e32 v2, v12, v2
	v_cndmask_b32_e64 v12, v2, v16, s[28:29]
	v_and_b32_e32 v2, 0x7f800000, v12
	v_cmp_ne_u32_e32 vcc, s97, v2
                                        ; implicit-def: $vgpr2
	s_and_saveexec_b64 s[40:41], vcc
	s_xor_b64 s[40:41], exec, s[40:41]
; %bb.1237:                             ;   in Loop: Header=BB23_1232 Depth=2
	v_bfe_u32 v2, v12, 16, 1
	v_add3_u32 v2, v12, v2, s74
                                        ; implicit-def: $vgpr12
; %bb.1238:                             ;   in Loop: Header=BB23_1232 Depth=2
	s_andn2_saveexec_b64 s[40:41], s[40:41]
; %bb.1239:                             ;   in Loop: Header=BB23_1232 Depth=2
	v_or_b32_e32 v2, 0x10000, v12
	v_cmp_eq_u32_sdwa vcc, v12, v3 src0_sel:WORD_0 src1_sel:DWORD
	s_nop 1
	v_cndmask_b32_e32 v2, v2, v12, vcc
; %bb.1240:                             ;   in Loop: Header=BB23_1232 Depth=2
	s_or_b64 exec, exec, s[40:41]
	v_lshlrev_b32_e32 v12, 16, v13
	v_lshlrev_b32_e32 v16, 16, v17
	v_max_f32_e32 v12, v12, v12
	v_max_f32_e32 v16, v16, v16
	v_min_f32_e32 v28, v16, v12
	v_max_f32_e32 v12, v16, v12
	v_cndmask_b32_e64 v12, v12, v28, s[28:29]
	v_and_b32_e32 v16, 0x7f800000, v12
	v_cmp_ne_u32_e32 vcc, s97, v16
                                        ; implicit-def: $vgpr16
	s_and_saveexec_b64 s[40:41], vcc
	s_xor_b64 s[40:41], exec, s[40:41]
; %bb.1241:                             ;   in Loop: Header=BB23_1232 Depth=2
	v_bfe_u32 v16, v12, 16, 1
	v_add3_u32 v16, v12, v16, s74
                                        ; implicit-def: $vgpr12
; %bb.1242:                             ;   in Loop: Header=BB23_1232 Depth=2
	s_andn2_saveexec_b64 s[40:41], s[40:41]
; %bb.1243:                             ;   in Loop: Header=BB23_1232 Depth=2
	v_or_b32_e32 v16, 0x10000, v12
	v_cmp_eq_u32_sdwa vcc, v12, v3 src0_sel:WORD_0 src1_sel:DWORD
	s_nop 1
	v_cndmask_b32_e32 v16, v16, v12, vcc
; %bb.1244:                             ;   in Loop: Header=BB23_1232 Depth=2
	s_or_b64 exec, exec, s[40:41]
	v_and_b32_e32 v12, 0xffff0000, v17
	v_and_b32_e32 v13, 0xffff0000, v13
	v_max_f32_e32 v13, v13, v13
	v_max_f32_e32 v12, v12, v12
	v_min_f32_e32 v17, v12, v13
	v_max_f32_e32 v12, v12, v13
	v_cndmask_b32_e64 v13, v12, v17, s[28:29]
	v_and_b32_e32 v12, 0x7f800000, v13
	v_cmp_ne_u32_e32 vcc, s97, v12
                                        ; implicit-def: $vgpr12
	s_and_saveexec_b64 s[40:41], vcc
	s_xor_b64 s[40:41], exec, s[40:41]
; %bb.1245:                             ;   in Loop: Header=BB23_1232 Depth=2
	v_bfe_u32 v12, v13, 16, 1
	v_add3_u32 v12, v13, v12, s74
                                        ; implicit-def: $vgpr13
; %bb.1246:                             ;   in Loop: Header=BB23_1232 Depth=2
	s_andn2_saveexec_b64 s[40:41], s[40:41]
; %bb.1247:                             ;   in Loop: Header=BB23_1232 Depth=2
	v_or_b32_e32 v12, 0x10000, v13
	v_cmp_eq_u32_sdwa vcc, v13, v3 src0_sel:WORD_0 src1_sel:DWORD
	s_nop 1
	v_cndmask_b32_e32 v12, v12, v13, vcc
; %bb.1248:                             ;   in Loop: Header=BB23_1232 Depth=2
	s_or_b64 exec, exec, s[40:41]
	v_lshlrev_b32_e32 v13, 16, v14
	v_lshlrev_b32_e32 v17, 16, v18
	v_max_f32_e32 v13, v13, v13
	v_max_f32_e32 v17, v17, v17
	v_min_f32_e32 v28, v17, v13
	v_max_f32_e32 v13, v17, v13
	v_cndmask_b32_e64 v13, v13, v28, s[28:29]
	v_and_b32_e32 v17, 0x7f800000, v13
	v_cmp_ne_u32_e32 vcc, s97, v17
                                        ; implicit-def: $vgpr17
	s_and_saveexec_b64 s[40:41], vcc
	s_xor_b64 s[40:41], exec, s[40:41]
; %bb.1249:                             ;   in Loop: Header=BB23_1232 Depth=2
	v_bfe_u32 v17, v13, 16, 1
	v_add3_u32 v17, v13, v17, s74
                                        ; implicit-def: $vgpr13
; %bb.1250:                             ;   in Loop: Header=BB23_1232 Depth=2
	s_andn2_saveexec_b64 s[40:41], s[40:41]
; %bb.1251:                             ;   in Loop: Header=BB23_1232 Depth=2
	v_or_b32_e32 v17, 0x10000, v13
	v_cmp_eq_u32_sdwa vcc, v13, v3 src0_sel:WORD_0 src1_sel:DWORD
	s_nop 1
	v_cndmask_b32_e32 v17, v17, v13, vcc
; %bb.1252:                             ;   in Loop: Header=BB23_1232 Depth=2
	s_or_b64 exec, exec, s[40:41]
	v_and_b32_e32 v13, 0xffff0000, v18
	v_and_b32_e32 v14, 0xffff0000, v14
	v_max_f32_e32 v14, v14, v14
	v_max_f32_e32 v13, v13, v13
	v_min_f32_e32 v18, v13, v14
	v_max_f32_e32 v13, v13, v14
	v_cndmask_b32_e64 v13, v13, v18, s[28:29]
	v_and_b32_e32 v14, 0x7f800000, v13
	v_cmp_ne_u32_e32 vcc, s97, v14
                                        ; implicit-def: $vgpr18
	s_and_saveexec_b64 s[40:41], vcc
	s_xor_b64 s[40:41], exec, s[40:41]
; %bb.1253:                             ;   in Loop: Header=BB23_1232 Depth=2
	v_bfe_u32 v14, v13, 16, 1
	v_add3_u32 v18, v13, v14, s74
                                        ; implicit-def: $vgpr13
; %bb.1254:                             ;   in Loop: Header=BB23_1232 Depth=2
	s_andn2_saveexec_b64 s[40:41], s[40:41]
; %bb.1255:                             ;   in Loop: Header=BB23_1232 Depth=2
	v_or_b32_e32 v14, 0x10000, v13
	v_cmp_eq_u32_sdwa vcc, v13, v3 src0_sel:WORD_0 src1_sel:DWORD
	s_nop 1
	v_cndmask_b32_e32 v18, v14, v13, vcc
; %bb.1256:                             ;   in Loop: Header=BB23_1232 Depth=2
	s_or_b64 exec, exec, s[40:41]
	v_lshlrev_b32_e32 v13, 16, v15
	v_lshlrev_b32_e32 v14, 16, v19
	v_max_f32_e32 v13, v13, v13
	v_max_f32_e32 v14, v14, v14
	v_min_f32_e32 v28, v14, v13
	v_max_f32_e32 v13, v14, v13
	v_cndmask_b32_e64 v13, v13, v28, s[28:29]
	v_and_b32_e32 v14, 0x7f800000, v13
	v_cmp_ne_u32_e32 vcc, s97, v14
                                        ; implicit-def: $vgpr14
	s_and_saveexec_b64 s[40:41], vcc
	s_xor_b64 s[40:41], exec, s[40:41]
; %bb.1257:                             ;   in Loop: Header=BB23_1232 Depth=2
	v_bfe_u32 v14, v13, 16, 1
	v_add3_u32 v14, v13, v14, s74
                                        ; implicit-def: $vgpr13
; %bb.1258:                             ;   in Loop: Header=BB23_1232 Depth=2
	s_andn2_saveexec_b64 s[40:41], s[40:41]
; %bb.1259:                             ;   in Loop: Header=BB23_1232 Depth=2
	v_or_b32_e32 v14, 0x10000, v13
	v_cmp_eq_u32_sdwa vcc, v13, v3 src0_sel:WORD_0 src1_sel:DWORD
	s_nop 1
	v_cndmask_b32_e32 v14, v14, v13, vcc
; %bb.1260:                             ;   in Loop: Header=BB23_1232 Depth=2
	s_or_b64 exec, exec, s[40:41]
	v_and_b32_e32 v13, 0xffff0000, v19
	v_and_b32_e32 v15, 0xffff0000, v15
	v_max_f32_e32 v15, v15, v15
	v_max_f32_e32 v13, v13, v13
	v_min_f32_e32 v19, v13, v15
	v_max_f32_e32 v13, v13, v15
	v_cndmask_b32_e64 v13, v13, v19, s[28:29]
	v_and_b32_e32 v15, 0x7f800000, v13
	v_cmp_ne_u32_e32 vcc, s97, v15
                                        ; implicit-def: $vgpr15
	s_and_saveexec_b64 s[40:41], vcc
	s_xor_b64 s[40:41], exec, s[40:41]
; %bb.1261:                             ;   in Loop: Header=BB23_1232 Depth=2
	v_bfe_u32 v15, v13, 16, 1
	v_add3_u32 v15, v13, v15, s74
                                        ; implicit-def: $vgpr13
; %bb.1262:                             ;   in Loop: Header=BB23_1232 Depth=2
	s_andn2_saveexec_b64 s[40:41], s[40:41]
; %bb.1263:                             ;   in Loop: Header=BB23_1232 Depth=2
	v_or_b32_e32 v15, 0x10000, v13
	v_cmp_eq_u32_sdwa vcc, v13, v3 src0_sel:WORD_0 src1_sel:DWORD
	s_nop 1
	v_cndmask_b32_e32 v15, v15, v13, vcc
; %bb.1264:                             ;   in Loop: Header=BB23_1232 Depth=2
	s_or_b64 exec, exec, s[40:41]
	v_and_b32_e32 v31, 0xffff0000, v8
	v_and_b32_e32 v48, 0xffff0000, v98
	v_lshlrev_b32_e32 v8, 16, v8
	v_max_f32_e32 v48, v48, v48
	v_max_f32_e32 v8, v8, v8
	v_min_f32_e32 v49, v48, v8
	v_max_f32_e32 v8, v48, v8
	v_cndmask_b32_e64 v8, v8, v49, s[28:29]
	v_and_b32_e32 v28, 0xffff0000, v2
	v_and_b32_e32 v48, 0x7f800000, v8
	v_or_b32_sdwa v2, v28, v98 dst_sel:DWORD dst_unused:UNUSED_PAD src0_sel:DWORD src1_sel:WORD_1
	v_cmp_eq_u32_e32 vcc, s97, v48
	v_bfe_u32 v48, v8, 16, 1
	v_cmp_eq_u32_sdwa s[40:41], v8, v3 src0_sel:WORD_0 src1_sel:DWORD
	v_or_b32_e32 v49, 0x10000, v8
	v_max_f32_e32 v28, v28, v28
	v_max_f32_e32 v31, v31, v31
	v_add3_u32 v48, v8, v48, s74
	v_cndmask_b32_e64 v8, v49, v8, s[40:41]
	v_min_f32_e32 v49, v28, v31
	v_max_f32_e32 v28, v28, v31
	v_cndmask_b32_e64 v28, v28, v49, s[28:29]
	v_and_b32_e32 v31, 0x7f800000, v28
	v_and_b32_e32 v19, 0xffff0000, v12
	v_cmp_eq_u32_e64 s[40:41], s97, v31
	v_bfe_u32 v31, v28, 16, 1
	v_cmp_eq_u32_sdwa s[42:43], v28, v3 src0_sel:WORD_0 src1_sel:DWORD
	v_or_b32_e32 v49, 0x10000, v28
	v_or_b32_sdwa v13, v19, v16 dst_sel:DWORD dst_unused:UNUSED_PAD src0_sel:DWORD src1_sel:WORD_1
	v_add3_u32 v31, v28, v31, s74
	v_cndmask_b32_e64 v28, v49, v28, s[42:43]
	v_and_b32_e32 v49, 0xffff0000, v9
	v_and_b32_e32 v16, 0xffff0000, v16
	v_lshlrev_b32_e32 v9, 16, v9
	v_max_f32_e32 v16, v16, v16
	v_max_f32_e32 v9, v9, v9
	v_min_f32_e32 v50, v16, v9
	v_max_f32_e32 v9, v16, v9
	v_cndmask_b32_e64 v9, v9, v50, s[28:29]
	v_and_b32_e32 v16, 0x7f800000, v9
	v_cmp_eq_u32_e64 s[42:43], s97, v16
	v_bfe_u32 v16, v9, 16, 1
	v_cmp_eq_u32_sdwa s[44:45], v9, v3 src0_sel:WORD_0 src1_sel:DWORD
	v_or_b32_e32 v50, 0x10000, v9
	v_max_f32_e32 v19, v19, v19
	v_max_f32_e32 v49, v49, v49
	v_add3_u32 v16, v9, v16, s74
	v_cndmask_b32_e64 v9, v50, v9, s[44:45]
	v_min_f32_e32 v50, v19, v49
	v_max_f32_e32 v19, v19, v49
	v_cndmask_b32_e64 v19, v19, v50, s[28:29]
	v_and_b32_e32 v49, 0x7f800000, v19
	v_and_b32_e32 v18, 0xffff0000, v18
	v_cmp_eq_u32_e64 s[44:45], s97, v49
	v_bfe_u32 v49, v19, 16, 1
	v_cmp_eq_u32_sdwa s[46:47], v19, v3 src0_sel:WORD_0 src1_sel:DWORD
	v_or_b32_e32 v50, 0x10000, v19
	v_or_b32_sdwa v12, v18, v17 dst_sel:DWORD dst_unused:UNUSED_PAD src0_sel:DWORD src1_sel:WORD_1
	v_add3_u32 v49, v19, v49, s74
	v_cndmask_b32_e64 v19, v50, v19, s[46:47]
	v_and_b32_e32 v50, 0xffff0000, v10
	v_and_b32_e32 v17, 0xffff0000, v17
	v_lshlrev_b32_e32 v10, 16, v10
	v_max_f32_e32 v17, v17, v17
	v_max_f32_e32 v10, v10, v10
	v_min_f32_e32 v51, v17, v10
	v_max_f32_e32 v10, v17, v10
	v_cndmask_b32_e64 v10, v10, v51, s[28:29]
	v_and_b32_e32 v17, 0x7f800000, v10
	v_cmp_eq_u32_e64 s[46:47], s97, v17
	;; [unrolled: 29-line block ×3, first 2 shown]
	v_bfe_u32 v14, v11, 16, 1
	v_cmp_eq_u32_sdwa s[60:61], v11, v3 src0_sel:WORD_0 src1_sel:DWORD
	v_or_b32_e32 v98, 0x10000, v11
	v_max_f32_e32 v29, v29, v29
	v_max_f32_e32 v51, v51, v51
	v_add3_u32 v14, v11, v14, s74
	v_cndmask_b32_e64 v11, v98, v11, s[60:61]
	v_min_f32_e32 v98, v29, v51
	v_max_f32_e32 v29, v29, v51
	v_cndmask_b32_e64 v29, v29, v98, s[28:29]
	v_and_b32_e32 v51, 0x7f800000, v29
	v_cmp_eq_u32_e64 s[60:61], s97, v51
	v_bfe_u32 v51, v29, 16, 1
	v_cmp_eq_u32_sdwa s[62:63], v29, v3 src0_sel:WORD_0 src1_sel:DWORD
	v_or_b32_e32 v98, 0x10000, v29
	v_add3_u32 v51, v29, v51, s74
	v_cndmask_b32_e64 v29, v98, v29, s[62:63]
	v_cndmask_b32_e32 v8, v48, v8, vcc
	v_cndmask_b32_e64 v9, v16, v9, s[42:43]
	v_cndmask_b32_e64 v10, v17, v10, s[46:47]
	;; [unrolled: 1-line block ×7, first 2 shown]
	v_lshrrev_b32_e32 v9, 16, v9
	v_lshrrev_b32_e32 v8, 16, v8
	;; [unrolled: 1-line block ×4, first 2 shown]
	v_and_or_b32 v9, v16, s75, v9
	v_and_or_b32 v8, v28, s75, v8
	;; [unrolled: 1-line block ×4, first 2 shown]
	s_mov_b64 s[42:43], 0
	s_mov_b64 s[40:41], -1
.LBB23_1265:                            ;   Parent Loop BB23_47 Depth=1
                                        ;     Parent Loop BB23_1232 Depth=2
                                        ; =>    This Inner Loop Header: Depth=3
	v_cndmask_b32_e64 v14, 0, 1, s[40:41]
	v_cmp_ne_u32_e32 vcc, 1, v14
	s_cmp_eq_u32 s42, 1
	v_cndmask_b32_e64 v17, v13, v9, s[40:41]
	v_cndmask_b32_e64 v16, v2, v8, s[40:41]
	;; [unrolled: 1-line block ×4, first 2 shown]
	v_cndmask_b32_e32 v29, v23, v25, vcc
	v_cndmask_b32_e32 v28, v22, v24, vcc
	s_cselect_b64 vcc, -1, 0
	global_store_dwordx4 v[28:29], v[16:19], off
	s_cmp_eq_u32 s42, 0
	s_mov_b64 s[42:43], 1
	v_cndmask_b32_e32 v17, v23, v25, vcc
	v_cndmask_b32_e32 v16, v22, v24, vcc
	v_lshl_add_u64 v[16:17], v[16:17], 0, s[90:91]
	v_cndmask_b32_e32 v25, v25, v17, vcc
	v_cndmask_b32_e32 v24, v24, v16, vcc
	s_cselect_b64 vcc, -1, 0
	v_cndmask_b32_e32 v23, v23, v17, vcc
	v_cndmask_b32_e32 v22, v22, v16, vcc
	s_and_b64 vcc, exec, s[40:41]
	s_mov_b64 s[40:41], 0
	s_cbranch_vccnz .LBB23_1265
; %bb.1266:                             ;   in Loop: Header=BB23_1232 Depth=2
	v_sub_u32_e32 v93, v93, v100
	v_cmp_gt_i32_e32 vcc, 16, v93
	v_lshl_add_u64 v[26:27], v[26:27], 0, v[46:47]
	v_lshl_add_u64 v[32:33], v[32:33], 0, v[46:47]
	;; [unrolled: 1-line block ×5, first 2 shown]
	s_or_b64 s[66:67], vcc, s[66:67]
	v_sub_u32_e32 v92, v92, v84
	s_andn2_b64 exec, exec, s[66:67]
	s_cbranch_execnz .LBB23_1232
; %bb.1267:                             ;   in Loop: Header=BB23_47 Depth=1
	s_or_b64 exec, exec, s[66:67]
.LBB23_1268:                            ;   in Loop: Header=BB23_47 Depth=1
	s_or_b64 exec, exec, s[64:65]
	v_and_b32_e32 v2, 14, v82
	v_cmp_lt_i32_e32 vcc, 0, v92
	v_sub_u32_e32 v8, v55, v2
	v_cndmask_b32_e64 v82, v55, v2, s[26:27]
	v_cndmask_b32_e32 v2, 0, v84, vcc
	v_cndmask_b32_e64 v8, 0, v8, s[26:27]
	v_sub_u32_e32 v2, v2, v92
	v_cmp_ne_u32_e32 vcc, 0, v82
	v_add3_u32 v18, v54, v34, v8
	v_lshl_add_u32 v19, v2, 6, v35
	s_and_b64 s[26:27], vcc, exec
.LBB23_1269:                            ;   in Loop: Header=BB23_47 Depth=1
	s_or_b64 exec, exec, s[54:55]
	s_and_saveexec_b64 s[42:43], s[26:27]
	s_cbranch_execz .LBB23_1348
.LBB23_1270:                            ;   in Loop: Header=BB23_47 Depth=1
	v_ashrrev_i32_e32 v2, 31, v19
	v_ashrrev_i32_e32 v9, 31, v82
	v_lshrrev_b32_e32 v2, 26, v2
	v_lshrrev_b32_e32 v9, 22, v9
	v_add_u32_e32 v8, v19, v2
	v_add_u32_e32 v9, v82, v9
	v_ashrrev_i32_e32 v2, 6, v8
	v_ashrrev_i32_e32 v21, 10, v9
	v_sub_u32_e32 v20, v21, v2
	v_cmp_lt_i32_e32 vcc, 0, v20
	s_and_saveexec_b64 s[28:29], vcc
	s_cbranch_execz .LBB23_1338
; %bb.1271:                             ;   in Loop: Header=BB23_47 Depth=1
	v_and_b32_e32 v8, 0x7fffffc0, v8
	s_trap 2
	ds_read_b64 v[14:15], v0
	v_sub_u32_e32 v8, v19, v8
	v_lshlrev_b32_e32 v8, 1, v8
	v_lshlrev_b32_e32 v9, 10, v2
	v_add3_u32 v16, v8, v18, v9
	s_and_b32 s76, s49, 1
	s_mov_b64 s[44:45], 0x380
	v_ashrrev_i32_e32 v17, 31, v16
	s_cmp_eq_u64 s[76:77], 0
	s_waitcnt lgkmcnt(0)
	v_lshl_add_u64 v[22:23], v[124:125], 0, s[44:45]
	v_lshl_add_u64 v[8:9], v[16:17], 0, v[38:39]
	;; [unrolled: 1-line block ×5, first 2 shown]
	s_mov_b64 s[40:41], 0
	s_cselect_b64 s[26:27], -1, 0
	v_lshl_add_u64 v[16:17], v[22:23], 0, v[16:17]
	s_branch .LBB23_1273
.LBB23_1272:                            ;   in Loop: Header=BB23_1273 Depth=2
	s_or_b64 exec, exec, s[44:45]
	v_sub_u32_e32 v20, v20, v84
	v_cmp_gt_i32_e32 vcc, 1, v20
	flat_store_short_d16_hi v[8:9], v23 offset:896 nt
	flat_store_short_d16_hi v[10:11], v26 nt
	flat_store_short_d16_hi v[10:11], v32 offset:128 nt
	flat_store_short_d16_hi v[10:11], v35 offset:256 nt
	flat_store_short_d16_hi v[10:11], v55 offset:384 nt
	flat_store_short_d16_hi v[10:11], v62 offset:512 nt
	flat_store_short_d16_hi v[10:11], v63 offset:640 nt
	flat_store_short_d16_hi v[10:11], v92 offset:768 nt
	flat_store_short_d16_hi v[10:11], v98 offset:896 nt
	v_lshl_add_u64 v[12:13], v[12:13], 0, v[100:101]
	v_lshl_add_u64 v[14:15], v[14:15], 0, v[100:101]
	;; [unrolled: 1-line block ×4, first 2 shown]
	s_or_b64 s[40:41], vcc, s[40:41]
	v_lshl_add_u64 v[16:17], v[16:17], 0, v[46:47]
	s_andn2_b64 exec, exec, s[40:41]
	s_cbranch_execz .LBB23_1337
.LBB23_1273:                            ;   Parent Loop BB23_47 Depth=1
                                        ; =>  This Inner Loop Header: Depth=2
	v_add_co_u32_e32 v22, vcc, 0xfffffc80, v16
	s_nop 1
	v_addc_co_u32_e32 v23, vcc, -1, v17, vcc
	flat_load_ushort v54, v[22:23] nt
	flat_load_ushort v32, v[12:13] offset:128 nt
	v_add_co_u32_e32 v22, vcc, 0xfffffd00, v16
	s_nop 1
	v_addc_co_u32_e32 v23, vcc, -1, v17, vcc
	flat_load_ushort v34, v[22:23] nt
	flat_load_ushort v35, v[12:13] offset:256 nt
	;; [unrolled: 5-line block ×6, first 2 shown]
	v_add_co_u32_e32 v22, vcc, s70, v16
	s_nop 1
	v_addc_co_u32_e32 v23, vcc, -1, v17, vcc
	flat_load_ushort v23, v[22:23] nt
	s_nop 0
	flat_load_ushort v98, v[12:13] offset:896 nt
	flat_load_ushort v22, v[16:17] nt
	flat_load_ushort v104, v[14:15] offset:128 nt
	flat_load_ushort v29, v[14:15] offset:256 nt
	;; [unrolled: 1-line block ×7, first 2 shown]
	flat_load_ushort v26, v[12:13] nt
	flat_load_ushort v31, v[14:15] nt
	s_waitcnt vmcnt(0) lgkmcnt(0)
	v_lshlrev_b32_e32 v26, 16, v26
	v_lshlrev_b32_e32 v31, 16, v31
	v_max_f32_e32 v31, v31, v31
	v_max_f32_e32 v26, v26, v26
	v_min_f32_e32 v48, v26, v31
	v_max_f32_e32 v26, v26, v31
	v_cndmask_b32_e64 v105, v26, v48, s[26:27]
	v_and_b32_e32 v26, 0x7f800000, v105
	v_cmp_ne_u32_e32 vcc, s97, v26
                                        ; implicit-def: $vgpr26
	s_and_saveexec_b64 s[44:45], vcc
	s_xor_b64 s[44:45], exec, s[44:45]
; %bb.1274:                             ;   in Loop: Header=BB23_1273 Depth=2
	v_bfe_u32 v26, v105, 16, 1
	v_add3_u32 v26, v105, v26, s74
                                        ; implicit-def: $vgpr105
; %bb.1275:                             ;   in Loop: Header=BB23_1273 Depth=2
	s_andn2_saveexec_b64 s[44:45], s[44:45]
; %bb.1276:                             ;   in Loop: Header=BB23_1273 Depth=2
	v_or_b32_e32 v26, 0x10000, v105
	v_cmp_eq_u32_sdwa vcc, v105, v3 src0_sel:WORD_0 src1_sel:DWORD
	s_nop 1
	v_cndmask_b32_e32 v26, v26, v105, vcc
; %bb.1277:                             ;   in Loop: Header=BB23_1273 Depth=2
	s_or_b64 exec, exec, s[44:45]
	v_lshlrev_b32_e32 v31, 16, v32
	v_lshlrev_b32_e32 v32, 16, v104
	v_max_f32_e32 v32, v32, v32
	v_max_f32_e32 v31, v31, v31
	v_min_f32_e32 v48, v31, v32
	v_max_f32_e32 v31, v31, v32
	v_cndmask_b32_e64 v104, v31, v48, s[26:27]
	v_and_b32_e32 v31, 0x7f800000, v104
	v_cmp_ne_u32_e32 vcc, s97, v31
                                        ; implicit-def: $vgpr32
	s_and_saveexec_b64 s[44:45], vcc
	s_xor_b64 s[44:45], exec, s[44:45]
; %bb.1278:                             ;   in Loop: Header=BB23_1273 Depth=2
	v_bfe_u32 v31, v104, 16, 1
	v_add3_u32 v32, v104, v31, s74
                                        ; implicit-def: $vgpr104
; %bb.1279:                             ;   in Loop: Header=BB23_1273 Depth=2
	s_andn2_saveexec_b64 s[44:45], s[44:45]
; %bb.1280:                             ;   in Loop: Header=BB23_1273 Depth=2
	v_or_b32_e32 v31, 0x10000, v104
	v_cmp_eq_u32_sdwa vcc, v104, v3 src0_sel:WORD_0 src1_sel:DWORD
	s_nop 1
	v_cndmask_b32_e32 v32, v31, v104, vcc
; %bb.1281:                             ;   in Loop: Header=BB23_1273 Depth=2
	s_or_b64 exec, exec, s[44:45]
	v_lshlrev_b32_e32 v31, 16, v35
	v_lshlrev_b32_e32 v29, 16, v29
	v_max_f32_e32 v29, v29, v29
	v_max_f32_e32 v31, v31, v31
	v_min_f32_e32 v35, v31, v29
	v_max_f32_e32 v29, v31, v29
	v_cndmask_b32_e64 v29, v29, v35, s[26:27]
	v_and_b32_e32 v31, 0x7f800000, v29
	v_cmp_ne_u32_e32 vcc, s97, v31
                                        ; implicit-def: $vgpr35
	s_and_saveexec_b64 s[44:45], vcc
	s_xor_b64 s[44:45], exec, s[44:45]
; %bb.1282:                             ;   in Loop: Header=BB23_1273 Depth=2
	v_bfe_u32 v31, v29, 16, 1
	v_add3_u32 v35, v29, v31, s74
                                        ; implicit-def: $vgpr29
; %bb.1283:                             ;   in Loop: Header=BB23_1273 Depth=2
	s_andn2_saveexec_b64 s[44:45], s[44:45]
; %bb.1284:                             ;   in Loop: Header=BB23_1273 Depth=2
	v_or_b32_e32 v31, 0x10000, v29
	v_cmp_eq_u32_sdwa vcc, v29, v3 src0_sel:WORD_0 src1_sel:DWORD
	s_nop 1
	v_cndmask_b32_e32 v35, v31, v29, vcc
; %bb.1285:                             ;   in Loop: Header=BB23_1273 Depth=2
	s_or_b64 exec, exec, s[44:45]
	v_lshlrev_b32_e32 v29, 16, v55
	v_lshlrev_b32_e32 v28, 16, v28
	v_max_f32_e32 v28, v28, v28
	v_max_f32_e32 v29, v29, v29
	v_min_f32_e32 v31, v29, v28
	v_max_f32_e32 v28, v29, v28
	v_cndmask_b32_e64 v28, v28, v31, s[26:27]
	v_and_b32_e32 v29, 0x7f800000, v28
	v_cmp_ne_u32_e32 vcc, s97, v29
                                        ; implicit-def: $vgpr55
	s_and_saveexec_b64 s[44:45], vcc
	s_xor_b64 s[44:45], exec, s[44:45]
; %bb.1286:                             ;   in Loop: Header=BB23_1273 Depth=2
	v_bfe_u32 v29, v28, 16, 1
	v_add3_u32 v55, v28, v29, s74
                                        ; implicit-def: $vgpr28
; %bb.1287:                             ;   in Loop: Header=BB23_1273 Depth=2
	s_andn2_saveexec_b64 s[44:45], s[44:45]
; %bb.1288:                             ;   in Loop: Header=BB23_1273 Depth=2
	v_or_b32_e32 v29, 0x10000, v28
	v_cmp_eq_u32_sdwa vcc, v28, v3 src0_sel:WORD_0 src1_sel:DWORD
	s_nop 1
	v_cndmask_b32_e32 v55, v29, v28, vcc
; %bb.1289:                             ;   in Loop: Header=BB23_1273 Depth=2
	s_or_b64 exec, exec, s[44:45]
	v_lshlrev_b32_e32 v28, 16, v62
	v_lshlrev_b32_e32 v29, 16, v95
	v_max_f32_e32 v29, v29, v29
	v_max_f32_e32 v28, v28, v28
	v_min_f32_e32 v31, v28, v29
	v_max_f32_e32 v28, v28, v29
	v_cndmask_b32_e64 v28, v28, v31, s[26:27]
	v_and_b32_e32 v29, 0x7f800000, v28
	v_cmp_ne_u32_e32 vcc, s97, v29
                                        ; implicit-def: $vgpr62
	s_and_saveexec_b64 s[44:45], vcc
	s_xor_b64 s[44:45], exec, s[44:45]
; %bb.1290:                             ;   in Loop: Header=BB23_1273 Depth=2
	v_bfe_u32 v29, v28, 16, 1
	v_add3_u32 v62, v28, v29, s74
                                        ; implicit-def: $vgpr28
; %bb.1291:                             ;   in Loop: Header=BB23_1273 Depth=2
	s_andn2_saveexec_b64 s[44:45], s[44:45]
; %bb.1292:                             ;   in Loop: Header=BB23_1273 Depth=2
	v_or_b32_e32 v29, 0x10000, v28
	v_cmp_eq_u32_sdwa vcc, v28, v3 src0_sel:WORD_0 src1_sel:DWORD
	s_nop 1
	v_cndmask_b32_e32 v62, v29, v28, vcc
; %bb.1293:                             ;   in Loop: Header=BB23_1273 Depth=2
	s_or_b64 exec, exec, s[44:45]
	v_lshlrev_b32_e32 v28, 16, v63
	v_lshlrev_b32_e32 v29, 16, v94
	v_max_f32_e32 v29, v29, v29
	v_max_f32_e32 v28, v28, v28
	v_min_f32_e32 v31, v28, v29
	v_max_f32_e32 v28, v28, v29
	v_cndmask_b32_e64 v28, v28, v31, s[26:27]
	v_and_b32_e32 v29, 0x7f800000, v28
	v_cmp_ne_u32_e32 vcc, s97, v29
                                        ; implicit-def: $vgpr63
	s_and_saveexec_b64 s[44:45], vcc
	s_xor_b64 s[44:45], exec, s[44:45]
; %bb.1294:                             ;   in Loop: Header=BB23_1273 Depth=2
	v_bfe_u32 v29, v28, 16, 1
	v_add3_u32 v63, v28, v29, s74
                                        ; implicit-def: $vgpr28
; %bb.1295:                             ;   in Loop: Header=BB23_1273 Depth=2
	s_andn2_saveexec_b64 s[44:45], s[44:45]
; %bb.1296:                             ;   in Loop: Header=BB23_1273 Depth=2
	v_or_b32_e32 v29, 0x10000, v28
	v_cmp_eq_u32_sdwa vcc, v28, v3 src0_sel:WORD_0 src1_sel:DWORD
	s_nop 1
	v_cndmask_b32_e32 v63, v29, v28, vcc
; %bb.1297:                             ;   in Loop: Header=BB23_1273 Depth=2
	s_or_b64 exec, exec, s[44:45]
	v_lshlrev_b32_e32 v28, 16, v92
	v_lshlrev_b32_e32 v29, 16, v93
	v_max_f32_e32 v29, v29, v29
	v_max_f32_e32 v28, v28, v28
	v_min_f32_e32 v31, v28, v29
	v_max_f32_e32 v28, v28, v29
	v_cndmask_b32_e64 v28, v28, v31, s[26:27]
	v_and_b32_e32 v29, 0x7f800000, v28
	v_cmp_ne_u32_e32 vcc, s97, v29
                                        ; implicit-def: $vgpr92
	s_and_saveexec_b64 s[44:45], vcc
	s_xor_b64 s[44:45], exec, s[44:45]
; %bb.1298:                             ;   in Loop: Header=BB23_1273 Depth=2
	v_bfe_u32 v29, v28, 16, 1
	v_add3_u32 v92, v28, v29, s74
                                        ; implicit-def: $vgpr28
; %bb.1299:                             ;   in Loop: Header=BB23_1273 Depth=2
	s_andn2_saveexec_b64 s[44:45], s[44:45]
; %bb.1300:                             ;   in Loop: Header=BB23_1273 Depth=2
	v_or_b32_e32 v29, 0x10000, v28
	v_cmp_eq_u32_sdwa vcc, v28, v3 src0_sel:WORD_0 src1_sel:DWORD
	s_nop 1
	v_cndmask_b32_e32 v92, v29, v28, vcc
; %bb.1301:                             ;   in Loop: Header=BB23_1273 Depth=2
	s_or_b64 exec, exec, s[44:45]
	v_lshlrev_b32_e32 v28, 16, v98
	v_lshlrev_b32_e32 v29, 16, v99
	v_max_f32_e32 v29, v29, v29
	v_max_f32_e32 v28, v28, v28
	v_min_f32_e32 v31, v28, v29
	v_max_f32_e32 v28, v28, v29
	v_cndmask_b32_e64 v28, v28, v31, s[26:27]
	v_and_b32_e32 v29, 0x7f800000, v28
	v_cmp_ne_u32_e32 vcc, s97, v29
                                        ; implicit-def: $vgpr98
	s_and_saveexec_b64 s[44:45], vcc
	s_xor_b64 s[44:45], exec, s[44:45]
; %bb.1302:                             ;   in Loop: Header=BB23_1273 Depth=2
	v_bfe_u32 v29, v28, 16, 1
	v_add3_u32 v98, v28, v29, s74
                                        ; implicit-def: $vgpr28
; %bb.1303:                             ;   in Loop: Header=BB23_1273 Depth=2
	s_andn2_saveexec_b64 s[44:45], s[44:45]
; %bb.1304:                             ;   in Loop: Header=BB23_1273 Depth=2
	v_or_b32_e32 v29, 0x10000, v28
	v_cmp_eq_u32_sdwa vcc, v28, v3 src0_sel:WORD_0 src1_sel:DWORD
	s_nop 1
	v_cndmask_b32_e32 v98, v29, v28, vcc
; %bb.1305:                             ;   in Loop: Header=BB23_1273 Depth=2
	s_or_b64 exec, exec, s[44:45]
	v_and_b32_e32 v28, 0xffff0000, v26
	v_lshlrev_b32_e32 v29, 16, v54
	v_max_f32_e32 v28, v28, v28
	v_max_f32_e32 v29, v29, v29
	v_min_f32_e32 v31, v28, v29
	v_max_f32_e32 v28, v28, v29
	v_cndmask_b32_e64 v28, v28, v31, s[26:27]
	v_and_b32_e32 v29, 0x7f800000, v28
	v_cmp_ne_u32_e32 vcc, s97, v29
                                        ; implicit-def: $vgpr29
	s_and_saveexec_b64 s[44:45], vcc
	s_xor_b64 s[44:45], exec, s[44:45]
; %bb.1306:                             ;   in Loop: Header=BB23_1273 Depth=2
	v_bfe_u32 v29, v28, 16, 1
	v_add3_u32 v29, v28, v29, s74
                                        ; implicit-def: $vgpr28
; %bb.1307:                             ;   in Loop: Header=BB23_1273 Depth=2
	s_andn2_saveexec_b64 s[44:45], s[44:45]
; %bb.1308:                             ;   in Loop: Header=BB23_1273 Depth=2
	v_or_b32_e32 v29, 0x10000, v28
	v_cmp_eq_u32_sdwa vcc, v28, v3 src0_sel:WORD_0 src1_sel:DWORD
	s_nop 1
	v_cndmask_b32_e32 v29, v29, v28, vcc
; %bb.1309:                             ;   in Loop: Header=BB23_1273 Depth=2
	s_or_b64 exec, exec, s[44:45]
	flat_store_short_d16_hi v[8:9], v29 nt
	v_and_b32_e32 v28, 0xffff0000, v32
	v_lshlrev_b32_e32 v29, 16, v34
	v_max_f32_e32 v28, v28, v28
	v_max_f32_e32 v29, v29, v29
	v_min_f32_e32 v31, v28, v29
	v_max_f32_e32 v28, v28, v29
	v_cndmask_b32_e64 v28, v28, v31, s[26:27]
	v_and_b32_e32 v29, 0x7f800000, v28
	v_cmp_ne_u32_e32 vcc, s97, v29
                                        ; implicit-def: $vgpr29
	s_and_saveexec_b64 s[44:45], vcc
	s_xor_b64 s[44:45], exec, s[44:45]
; %bb.1310:                             ;   in Loop: Header=BB23_1273 Depth=2
	v_bfe_u32 v29, v28, 16, 1
	v_add3_u32 v29, v28, v29, s74
                                        ; implicit-def: $vgpr28
; %bb.1311:                             ;   in Loop: Header=BB23_1273 Depth=2
	s_andn2_saveexec_b64 s[44:45], s[44:45]
; %bb.1312:                             ;   in Loop: Header=BB23_1273 Depth=2
	v_or_b32_e32 v29, 0x10000, v28
	v_cmp_eq_u32_sdwa vcc, v28, v3 src0_sel:WORD_0 src1_sel:DWORD
	s_nop 1
	v_cndmask_b32_e32 v29, v29, v28, vcc
; %bb.1313:                             ;   in Loop: Header=BB23_1273 Depth=2
	s_or_b64 exec, exec, s[44:45]
	flat_store_short_d16_hi v[8:9], v29 offset:128 nt
	v_and_b32_e32 v28, 0xffff0000, v35
	v_lshlrev_b32_e32 v29, 16, v33
	v_max_f32_e32 v28, v28, v28
	v_max_f32_e32 v29, v29, v29
	v_min_f32_e32 v31, v28, v29
	v_max_f32_e32 v28, v28, v29
	v_cndmask_b32_e64 v28, v28, v31, s[26:27]
	v_and_b32_e32 v29, 0x7f800000, v28
	v_cmp_ne_u32_e32 vcc, s97, v29
                                        ; implicit-def: $vgpr29
	s_and_saveexec_b64 s[44:45], vcc
	s_xor_b64 s[44:45], exec, s[44:45]
; %bb.1314:                             ;   in Loop: Header=BB23_1273 Depth=2
	v_bfe_u32 v29, v28, 16, 1
	v_add3_u32 v29, v28, v29, s74
                                        ; implicit-def: $vgpr28
; %bb.1315:                             ;   in Loop: Header=BB23_1273 Depth=2
	s_andn2_saveexec_b64 s[44:45], s[44:45]
; %bb.1316:                             ;   in Loop: Header=BB23_1273 Depth=2
	v_or_b32_e32 v29, 0x10000, v28
	v_cmp_eq_u32_sdwa vcc, v28, v3 src0_sel:WORD_0 src1_sel:DWORD
	s_nop 1
	v_cndmask_b32_e32 v29, v29, v28, vcc
; %bb.1317:                             ;   in Loop: Header=BB23_1273 Depth=2
	s_or_b64 exec, exec, s[44:45]
	v_and_b32_e32 v28, 0xffff0000, v55
	v_lshlrev_b32_e32 v27, 16, v27
	v_max_f32_e32 v28, v28, v28
	v_max_f32_e32 v27, v27, v27
	flat_store_short_d16_hi v[8:9], v29 offset:256 nt
	v_min_f32_e32 v29, v28, v27
	v_max_f32_e32 v27, v28, v27
	v_cndmask_b32_e64 v27, v27, v29, s[26:27]
	v_and_b32_e32 v28, 0x7f800000, v27
	v_cmp_ne_u32_e32 vcc, s97, v28
                                        ; implicit-def: $vgpr28
	s_and_saveexec_b64 s[44:45], vcc
	s_xor_b64 s[44:45], exec, s[44:45]
; %bb.1318:                             ;   in Loop: Header=BB23_1273 Depth=2
	v_bfe_u32 v28, v27, 16, 1
	v_add3_u32 v28, v27, v28, s74
                                        ; implicit-def: $vgpr27
; %bb.1319:                             ;   in Loop: Header=BB23_1273 Depth=2
	s_andn2_saveexec_b64 s[44:45], s[44:45]
; %bb.1320:                             ;   in Loop: Header=BB23_1273 Depth=2
	v_or_b32_e32 v28, 0x10000, v27
	v_cmp_eq_u32_sdwa vcc, v27, v3 src0_sel:WORD_0 src1_sel:DWORD
	s_nop 1
	v_cndmask_b32_e32 v28, v28, v27, vcc
; %bb.1321:                             ;   in Loop: Header=BB23_1273 Depth=2
	s_or_b64 exec, exec, s[44:45]
	v_and_b32_e32 v27, 0xffff0000, v62
	v_lshlrev_b32_e32 v25, 16, v25
	v_max_f32_e32 v27, v27, v27
	v_max_f32_e32 v25, v25, v25
	flat_store_short_d16_hi v[8:9], v28 offset:384 nt
	v_min_f32_e32 v28, v27, v25
	v_max_f32_e32 v25, v27, v25
	v_cndmask_b32_e64 v25, v25, v28, s[26:27]
	v_and_b32_e32 v27, 0x7f800000, v25
	v_cmp_ne_u32_e32 vcc, s97, v27
                                        ; implicit-def: $vgpr27
	s_and_saveexec_b64 s[44:45], vcc
	s_xor_b64 s[44:45], exec, s[44:45]
; %bb.1322:                             ;   in Loop: Header=BB23_1273 Depth=2
	v_bfe_u32 v27, v25, 16, 1
	v_add3_u32 v27, v25, v27, s74
                                        ; implicit-def: $vgpr25
; %bb.1323:                             ;   in Loop: Header=BB23_1273 Depth=2
	s_andn2_saveexec_b64 s[44:45], s[44:45]
; %bb.1324:                             ;   in Loop: Header=BB23_1273 Depth=2
	v_or_b32_e32 v27, 0x10000, v25
	v_cmp_eq_u32_sdwa vcc, v25, v3 src0_sel:WORD_0 src1_sel:DWORD
	s_nop 1
	v_cndmask_b32_e32 v27, v27, v25, vcc
; %bb.1325:                             ;   in Loop: Header=BB23_1273 Depth=2
	s_or_b64 exec, exec, s[44:45]
	v_and_b32_e32 v25, 0xffff0000, v63
	v_lshlrev_b32_e32 v24, 16, v24
	v_max_f32_e32 v25, v25, v25
	v_max_f32_e32 v24, v24, v24
	flat_store_short_d16_hi v[8:9], v27 offset:512 nt
	v_min_f32_e32 v27, v25, v24
	v_max_f32_e32 v24, v25, v24
	v_cndmask_b32_e64 v24, v24, v27, s[26:27]
	v_and_b32_e32 v25, 0x7f800000, v24
	v_cmp_ne_u32_e32 vcc, s97, v25
                                        ; implicit-def: $vgpr25
	s_and_saveexec_b64 s[44:45], vcc
	s_xor_b64 s[44:45], exec, s[44:45]
; %bb.1326:                             ;   in Loop: Header=BB23_1273 Depth=2
	v_bfe_u32 v25, v24, 16, 1
	v_add3_u32 v25, v24, v25, s74
                                        ; implicit-def: $vgpr24
; %bb.1327:                             ;   in Loop: Header=BB23_1273 Depth=2
	s_andn2_saveexec_b64 s[44:45], s[44:45]
; %bb.1328:                             ;   in Loop: Header=BB23_1273 Depth=2
	v_or_b32_e32 v25, 0x10000, v24
	v_cmp_eq_u32_sdwa vcc, v24, v3 src0_sel:WORD_0 src1_sel:DWORD
	s_nop 1
	v_cndmask_b32_e32 v25, v25, v24, vcc
; %bb.1329:                             ;   in Loop: Header=BB23_1273 Depth=2
	s_or_b64 exec, exec, s[44:45]
	v_and_b32_e32 v24, 0xffff0000, v92
	v_lshlrev_b32_e32 v23, 16, v23
	v_max_f32_e32 v24, v24, v24
	v_max_f32_e32 v23, v23, v23
	flat_store_short_d16_hi v[8:9], v25 offset:640 nt
	v_min_f32_e32 v25, v24, v23
	v_max_f32_e32 v23, v24, v23
	v_cndmask_b32_e64 v23, v23, v25, s[26:27]
	v_and_b32_e32 v24, 0x7f800000, v23
	v_cmp_ne_u32_e32 vcc, s97, v24
                                        ; implicit-def: $vgpr24
	s_and_saveexec_b64 s[44:45], vcc
	s_xor_b64 s[44:45], exec, s[44:45]
; %bb.1330:                             ;   in Loop: Header=BB23_1273 Depth=2
	v_bfe_u32 v24, v23, 16, 1
	v_add3_u32 v24, v23, v24, s74
                                        ; implicit-def: $vgpr23
; %bb.1331:                             ;   in Loop: Header=BB23_1273 Depth=2
	s_andn2_saveexec_b64 s[44:45], s[44:45]
; %bb.1332:                             ;   in Loop: Header=BB23_1273 Depth=2
	v_or_b32_e32 v24, 0x10000, v23
	v_cmp_eq_u32_sdwa vcc, v23, v3 src0_sel:WORD_0 src1_sel:DWORD
	s_nop 1
	v_cndmask_b32_e32 v24, v24, v23, vcc
; %bb.1333:                             ;   in Loop: Header=BB23_1273 Depth=2
	s_or_b64 exec, exec, s[44:45]
	v_and_b32_e32 v23, 0xffff0000, v98
	v_lshlrev_b32_e32 v22, 16, v22
	v_max_f32_e32 v23, v23, v23
	v_max_f32_e32 v22, v22, v22
	flat_store_short_d16_hi v[8:9], v24 offset:768 nt
	v_min_f32_e32 v24, v23, v22
	v_max_f32_e32 v22, v23, v22
	v_cndmask_b32_e64 v22, v22, v24, s[26:27]
	v_and_b32_e32 v23, 0x7f800000, v22
	v_cmp_ne_u32_e32 vcc, s97, v23
                                        ; implicit-def: $vgpr23
	s_and_saveexec_b64 s[44:45], vcc
	s_xor_b64 s[44:45], exec, s[44:45]
; %bb.1334:                             ;   in Loop: Header=BB23_1273 Depth=2
	v_bfe_u32 v23, v22, 16, 1
	v_add3_u32 v23, v22, v23, s74
                                        ; implicit-def: $vgpr22
; %bb.1335:                             ;   in Loop: Header=BB23_1273 Depth=2
	s_andn2_saveexec_b64 s[44:45], s[44:45]
	s_cbranch_execz .LBB23_1272
; %bb.1336:                             ;   in Loop: Header=BB23_1273 Depth=2
	v_or_b32_e32 v23, 0x10000, v22
	v_cmp_eq_u32_sdwa vcc, v22, v3 src0_sel:WORD_0 src1_sel:DWORD
	s_nop 1
	v_cndmask_b32_e32 v23, v23, v22, vcc
	s_branch .LBB23_1272
.LBB23_1337:                            ;   in Loop: Header=BB23_47 Depth=1
	s_or_b64 exec, exec, s[40:41]
.LBB23_1338:                            ;   in Loop: Header=BB23_47 Depth=1
	s_or_b64 exec, exec, s[28:29]
	v_lshlrev_b32_e32 v8, 10, v21
	v_cmp_ne_u32_e32 vcc, v82, v8
	s_and_b64 exec, exec, vcc
	s_cbranch_execz .LBB23_1348
; %bb.1339:                             ;   in Loop: Header=BB23_47 Depth=1
	v_lshlrev_b32_e32 v2, 6, v2
	v_sub_u32_e32 v2, v19, v2
	v_lshlrev_b32_e32 v9, 6, v20
	v_sub_u32_e32 v2, v2, v9
	v_ashrrev_i32_e32 v9, 31, v2
	v_lshrrev_b32_e32 v9, 26, v9
	v_add_u32_e32 v9, v2, v9
	v_and_b32_e32 v10, 0x7fffffc0, v9
	v_sub_u32_e32 v2, v2, v10
	v_lshlrev_b32_e32 v9, 1, v9
	v_and_b32_e32 v9, 0xffffff80, v9
	v_lshlrev_b32_e32 v2, 1, v2
	v_add3_u32 v8, v9, v2, v8
	v_sub_u32_e32 v2, v82, v8
	v_cmp_lt_i32_e32 vcc, 1, v2
	s_and_b64 exec, exec, vcc
	s_cbranch_execz .LBB23_1348
; %bb.1340:                             ;   in Loop: Header=BB23_47 Depth=1
	v_add_u32_e32 v16, v8, v18
	s_trap 2
	ds_read_b64 v[18:19], v0
	s_and_b32 s76, s49, 1
	v_ashrrev_i32_e32 v17, 31, v16
	s_cmp_eq_u64 s[76:77], 0
	s_waitcnt lgkmcnt(0)
	v_lshl_add_u64 v[8:9], v[16:17], 0, v[124:125]
	v_lshl_add_u64 v[10:11], v[16:17], 0, v[38:39]
	;; [unrolled: 1-line block ×5, first 2 shown]
	s_mov_b64 s[44:45], 0
	s_cselect_b64 s[26:27], -1, 0
.LBB23_1341:                            ;   Parent Loop BB23_47 Depth=1
                                        ; =>  This Loop Header: Depth=2
                                        ;       Child Loop BB23_1346 Depth 3
	flat_load_ushort v18, v[16:17] nt
	flat_load_ushort v20, v[14:15] nt
	flat_load_ushort v19, v[8:9] nt
	s_waitcnt vmcnt(0) lgkmcnt(0)
	v_lshlrev_b32_e32 v18, 16, v18
	v_lshlrev_b32_e32 v20, 16, v20
	v_max_f32_e32 v18, v18, v18
	v_max_f32_e32 v20, v20, v20
	v_min_f32_e32 v21, v20, v18
	v_max_f32_e32 v18, v20, v18
	v_cndmask_b32_e64 v20, v18, v21, s[26:27]
	v_and_b32_e32 v18, 0x7f800000, v20
	v_cmp_ne_u32_e32 vcc, s97, v18
                                        ; implicit-def: $vgpr18
	s_and_saveexec_b64 s[28:29], vcc
	s_xor_b64 s[28:29], exec, s[28:29]
; %bb.1342:                             ;   in Loop: Header=BB23_1341 Depth=2
	v_bfe_u32 v18, v20, 16, 1
	v_add3_u32 v18, v20, v18, s74
                                        ; implicit-def: $vgpr20
; %bb.1343:                             ;   in Loop: Header=BB23_1341 Depth=2
	s_andn2_saveexec_b64 s[28:29], s[28:29]
; %bb.1344:                             ;   in Loop: Header=BB23_1341 Depth=2
	v_or_b32_e32 v18, 0x10000, v20
	v_cmp_eq_u32_sdwa vcc, v20, v3 src0_sel:WORD_0 src1_sel:DWORD
	s_nop 1
	v_cndmask_b32_e32 v18, v18, v20, vcc
; %bb.1345:                             ;   in Loop: Header=BB23_1341 Depth=2
	s_or_b64 exec, exec, s[28:29]
	v_and_b32_e32 v20, 0xffff0000, v18
	v_lshlrev_b32_e32 v19, 16, v19
	v_max_f32_e32 v20, v20, v20
	v_max_f32_e32 v19, v19, v19
	v_min_f32_e32 v21, v20, v19
	v_max_f32_e32 v19, v20, v19
	v_cndmask_b32_e64 v19, v19, v21, s[26:27]
	v_and_b32_e32 v20, 0x7f800000, v19
	v_bfe_u32 v21, v19, 16, 1
	v_or_b32_e32 v22, 0x10000, v19
	v_cmp_eq_u32_sdwa vcc, v19, v3 src0_sel:WORD_0 src1_sel:DWORD
	v_add3_u32 v21, v19, v21, s74
	s_mov_b64 s[56:57], 0
	v_cndmask_b32_e32 v19, v22, v19, vcc
	v_cmp_eq_u32_e32 vcc, s97, v20
	s_mov_b64 s[46:47], -1
	s_nop 0
	v_cndmask_b32_e32 v19, v21, v19, vcc
.LBB23_1346:                            ;   Parent Loop BB23_47 Depth=1
                                        ;     Parent Loop BB23_1341 Depth=2
                                        ; =>    This Inner Loop Header: Depth=3
	v_cndmask_b32_e64 v20, 0, 1, s[46:47]
	s_cmp_eq_u32 s56, 1
	v_cmp_ne_u32_e32 vcc, 1, v20
	s_cselect_b64 s[28:29], -1, 0
	v_cndmask_b32_e64 v24, v18, v19, s[46:47]
	v_cndmask_b32_e32 v21, v11, v13, vcc
	v_cndmask_b32_e64 v23, v11, v13, s[28:29]
	s_cmp_eq_u32 s56, 0
	v_cndmask_b32_e32 v20, v10, v12, vcc
	v_cndmask_b32_e64 v22, v10, v12, s[28:29]
	flat_store_short_d16_hi v[20:21], v24 nt
	v_lshl_add_u64 v[20:21], v[22:23], 0, s[92:93]
	s_cselect_b64 vcc, -1, 0
	s_and_b64 s[40:41], exec, s[46:47]
	s_mov_b64 s[56:57], 1
	s_mov_b64 s[46:47], 0
	v_cndmask_b32_e64 v13, v13, v21, s[28:29]
	v_cndmask_b32_e64 v12, v12, v20, s[28:29]
	v_cndmask_b32_e32 v11, v11, v21, vcc
	v_cndmask_b32_e32 v10, v10, v20, vcc
	s_mov_b64 vcc, s[40:41]
	s_cbranch_vccnz .LBB23_1346
; %bb.1347:                             ;   in Loop: Header=BB23_1341 Depth=2
	v_sub_u32_e32 v2, v2, v114
	v_cmp_gt_i32_e32 vcc, 2, v2
	v_lshl_add_u64 v[14:15], v[14:15], 0, v[60:61]
	v_lshl_add_u64 v[16:17], v[16:17], 0, v[60:61]
	v_lshl_add_u64 v[10:11], v[10:11], 0, v[42:43]
	v_lshl_add_u64 v[12:13], v[12:13], 0, v[42:43]
	s_or_b64 s[44:45], vcc, s[44:45]
	v_lshl_add_u64 v[8:9], v[8:9], 0, v[60:61]
	s_andn2_b64 exec, exec, s[44:45]
	s_cbranch_execnz .LBB23_1341
.LBB23_1348:                            ;   in Loop: Header=BB23_47 Depth=1
	s_or_b64 exec, exec, s[42:43]
	s_branch .LBB23_1084
.LBB23_1349:                            ;   in Loop: Header=BB23_47 Depth=1
	s_mov_b64 s[28:29], -1
	s_and_saveexec_b64 s[26:27], s[20:21]
	s_cbranch_execz .LBB23_1351
; %bb.1350:                             ;   in Loop: Header=BB23_47 Depth=1
	ds_read_b32 v2, v0 offset:720
	s_waitcnt lgkmcnt(0)
	v_and_b32_e32 v2, 15, v2
	v_cmp_eq_u32_e32 vcc, 0, v2
	s_orn2_b64 s[28:29], vcc, exec
.LBB23_1351:                            ;   in Loop: Header=BB23_47 Depth=1
	s_or_b64 exec, exec, s[26:27]
	s_and_saveexec_b64 s[26:27], s[16:17]
	s_cbranch_execz .LBB23_1353
; %bb.1352:                             ;   in Loop: Header=BB23_47 Depth=1
	ds_read_b32 v2, v0 offset:784
	s_waitcnt lgkmcnt(0)
	v_and_b32_e32 v2, 15, v2
	v_cmp_eq_u32_e32 vcc, 0, v2
	s_and_b64 s[40:41], s[28:29], vcc
	s_andn2_b64 s[28:29], s[28:29], exec
	s_and_b64 s[40:41], s[40:41], exec
	s_or_b64 s[28:29], s[28:29], s[40:41]
.LBB23_1353:                            ;   in Loop: Header=BB23_47 Depth=1
	s_or_b64 exec, exec, s[26:27]
	s_xor_b64 s[28:29], s[28:29], -1
	v_cndmask_b32_e64 v8, 0, 1, s[28:29]
	v_lshlrev_b32_e32 v2, 1, v37
	s_mov_b64 s[26:27], -1
	v_mov_b32_e32 v16, 0
	v_cmp_ne_u32_e32 vcc, 0, v8
	s_cbranch_vccz .LBB23_1355
; %bb.1354:                             ;   in Loop: Header=BB23_47 Depth=1
	v_mov_b32_e32 v17, v0
	s_and_saveexec_b64 s[28:29], s[26:27]
	s_cbranch_execnz .LBB23_1526
	s_branch .LBB23_1602
.LBB23_1355:                            ;   in Loop: Header=BB23_47 Depth=1
	v_ashrrev_i32_e32 v8, 31, v2
	v_lshrrev_b32_e32 v8, 21, v8
	v_add_u32_e32 v8, v2, v8
	v_ashrrev_i32_e32 v55, 11, v8
	v_lshrrev_b32_e32 v8, 6, v0
	v_sub_u32_e32 v54, v55, v8
	v_cmp_lt_i32_e32 vcc, 0, v54
	s_and_saveexec_b64 s[28:29], vcc
	s_cbranch_execz .LBB23_1487
; %bb.1356:                             ;   in Loop: Header=BB23_47 Depth=1
	s_trap 2
	ds_read_b64 v[8:9], v0
	s_and_b32 s76, s49, 1
	s_cmp_eq_u64 s[76:77], 0
	v_lshl_add_u64 v[50:51], v[4:5], 0, v[102:103]
	s_mov_b64 s[40:41], 0
	s_waitcnt lgkmcnt(0)
	v_lshl_add_u64 v[90:91], v[8:9], 0, v[102:103]
	s_cselect_b64 vcc, -1, 0
	v_mov_b64_e32 v[92:93], v[102:103]
	s_branch .LBB23_1358
.LBB23_1357:                            ;   in Loop: Header=BB23_1358 Depth=2
	s_or_b64 exec, exec, s[42:43]
	v_lshrrev_b32_e32 v14, 16, v14
	v_and_or_b32 v8, v8, s75, v14
	v_lshrrev_b32_e32 v14, 16, v16
	v_sub_u32_e32 v54, v54, v84
	v_lshrrev_b32_e32 v15, 16, v15
	v_and_or_b32 v10, v10, s75, v14
	v_lshrrev_b32_e32 v14, 16, v17
	v_cmp_gt_i32_e64 s[26:27], 1, v54
	v_and_or_b32 v9, v9, s75, v15
	v_and_or_b32 v11, v11, s75, v14
	v_lshl_add_u64 v[50:51], v[50:51], 0, v[112:113]
	v_lshl_add_u64 v[90:91], v[90:91], 0, v[112:113]
	s_or_b64 s[40:41], s[26:27], s[40:41]
	v_lshl_add_u64 v[92:93], v[92:93], 0, v[112:113]
	global_store_dwordx4 v[12:13], v[8:11], off offset:1024
	s_andn2_b64 exec, exec, s[40:41]
	s_cbranch_execz .LBB23_1486
.LBB23_1358:                            ;   Parent Loop BB23_47 Depth=1
                                        ; =>  This Inner Loop Header: Depth=2
	global_load_dwordx4 v[24:27], v[50:51], off nt
	global_load_dwordx4 v[32:35], v[90:91], off nt
	global_load_dwordx4 v[16:19], v[50:51], off offset:1024 nt
	global_load_dwordx4 v[12:15], v[92:93], off nt
	global_load_dwordx4 v[8:11], v[92:93], off offset:1024 nt
	global_load_dwordx4 v[20:23], v[90:91], off offset:1024 nt
                                        ; implicit-def: $vgpr82
	s_waitcnt vmcnt(0)
	v_lshlrev_b32_e32 v28, 16, v24
	v_lshlrev_b32_e32 v29, 16, v32
	v_max_f32_e32 v29, v29, v29
	v_max_f32_e32 v28, v28, v28
	v_min_f32_e32 v31, v28, v29
	v_max_f32_e32 v28, v28, v29
	v_cndmask_b32_e32 v28, v28, v31, vcc
	v_and_b32_e32 v29, 0x7f800000, v28
	v_cmp_ne_u32_e64 s[26:27], s97, v29
	s_and_saveexec_b64 s[42:43], s[26:27]
	s_xor_b64 s[26:27], exec, s[42:43]
; %bb.1359:                             ;   in Loop: Header=BB23_1358 Depth=2
	v_bfe_u32 v29, v28, 16, 1
	v_add3_u32 v82, v28, v29, s74
                                        ; implicit-def: $vgpr28
; %bb.1360:                             ;   in Loop: Header=BB23_1358 Depth=2
	s_andn2_saveexec_b64 s[42:43], s[26:27]
; %bb.1361:                             ;   in Loop: Header=BB23_1358 Depth=2
	v_or_b32_e32 v29, 0x10000, v28
	v_cmp_eq_u32_sdwa s[26:27], v28, v3 src0_sel:WORD_0 src1_sel:DWORD
	s_nop 1
	v_cndmask_b32_e64 v82, v29, v28, s[26:27]
; %bb.1362:                             ;   in Loop: Header=BB23_1358 Depth=2
	s_or_b64 exec, exec, s[42:43]
	v_and_b32_e32 v24, 0xffff0000, v24
	v_and_b32_e32 v28, 0xffff0000, v32
	v_max_f32_e32 v28, v28, v28
	v_max_f32_e32 v24, v24, v24
	v_min_f32_e32 v29, v24, v28
	v_max_f32_e32 v24, v24, v28
	v_cndmask_b32_e32 v28, v24, v29, vcc
	v_and_b32_e32 v24, 0x7f800000, v28
	v_cmp_ne_u32_e64 s[26:27], s97, v24
                                        ; implicit-def: $vgpr24
	s_and_saveexec_b64 s[42:43], s[26:27]
	s_xor_b64 s[26:27], exec, s[42:43]
; %bb.1363:                             ;   in Loop: Header=BB23_1358 Depth=2
	v_bfe_u32 v24, v28, 16, 1
	v_add3_u32 v24, v28, v24, s74
                                        ; implicit-def: $vgpr28
; %bb.1364:                             ;   in Loop: Header=BB23_1358 Depth=2
	s_andn2_saveexec_b64 s[42:43], s[26:27]
; %bb.1365:                             ;   in Loop: Header=BB23_1358 Depth=2
	v_or_b32_e32 v24, 0x10000, v28
	v_cmp_eq_u32_sdwa s[26:27], v28, v3 src0_sel:WORD_0 src1_sel:DWORD
	s_nop 1
	v_cndmask_b32_e64 v24, v24, v28, s[26:27]
; %bb.1366:                             ;   in Loop: Header=BB23_1358 Depth=2
	s_or_b64 exec, exec, s[42:43]
	v_lshlrev_b32_e32 v28, 16, v25
	v_lshlrev_b32_e32 v29, 16, v33
	v_max_f32_e32 v29, v29, v29
	v_max_f32_e32 v28, v28, v28
	v_min_f32_e32 v31, v28, v29
	v_max_f32_e32 v28, v28, v29
	v_cndmask_b32_e32 v28, v28, v31, vcc
	v_and_b32_e32 v29, 0x7f800000, v28
	v_cmp_ne_u32_e64 s[26:27], s97, v29
                                        ; implicit-def: $vgpr32
	s_and_saveexec_b64 s[42:43], s[26:27]
	s_xor_b64 s[26:27], exec, s[42:43]
; %bb.1367:                             ;   in Loop: Header=BB23_1358 Depth=2
	v_bfe_u32 v29, v28, 16, 1
	v_add3_u32 v32, v28, v29, s74
                                        ; implicit-def: $vgpr28
; %bb.1368:                             ;   in Loop: Header=BB23_1358 Depth=2
	s_andn2_saveexec_b64 s[42:43], s[26:27]
; %bb.1369:                             ;   in Loop: Header=BB23_1358 Depth=2
	v_or_b32_e32 v29, 0x10000, v28
	v_cmp_eq_u32_sdwa s[26:27], v28, v3 src0_sel:WORD_0 src1_sel:DWORD
	s_nop 1
	v_cndmask_b32_e64 v32, v29, v28, s[26:27]
; %bb.1370:                             ;   in Loop: Header=BB23_1358 Depth=2
	s_or_b64 exec, exec, s[42:43]
	v_and_b32_e32 v25, 0xffff0000, v25
	v_and_b32_e32 v28, 0xffff0000, v33
	v_max_f32_e32 v28, v28, v28
	v_max_f32_e32 v25, v25, v25
	v_min_f32_e32 v29, v25, v28
	v_max_f32_e32 v25, v25, v28
	v_cndmask_b32_e32 v28, v25, v29, vcc
	v_and_b32_e32 v25, 0x7f800000, v28
	v_cmp_ne_u32_e64 s[26:27], s97, v25
                                        ; implicit-def: $vgpr25
	s_and_saveexec_b64 s[42:43], s[26:27]
	s_xor_b64 s[26:27], exec, s[42:43]
; %bb.1371:                             ;   in Loop: Header=BB23_1358 Depth=2
	v_bfe_u32 v25, v28, 16, 1
	v_add3_u32 v25, v28, v25, s74
                                        ; implicit-def: $vgpr28
; %bb.1372:                             ;   in Loop: Header=BB23_1358 Depth=2
	s_andn2_saveexec_b64 s[42:43], s[26:27]
; %bb.1373:                             ;   in Loop: Header=BB23_1358 Depth=2
	v_or_b32_e32 v25, 0x10000, v28
	v_cmp_eq_u32_sdwa s[26:27], v28, v3 src0_sel:WORD_0 src1_sel:DWORD
	s_nop 1
	v_cndmask_b32_e64 v25, v25, v28, s[26:27]
; %bb.1374:                             ;   in Loop: Header=BB23_1358 Depth=2
	s_or_b64 exec, exec, s[42:43]
	v_lshlrev_b32_e32 v28, 16, v26
	v_lshlrev_b32_e32 v29, 16, v34
	v_max_f32_e32 v29, v29, v29
	v_max_f32_e32 v28, v28, v28
	v_min_f32_e32 v31, v28, v29
	v_max_f32_e32 v28, v28, v29
	v_cndmask_b32_e32 v28, v28, v31, vcc
	v_and_b32_e32 v29, 0x7f800000, v28
	v_cmp_ne_u32_e64 s[26:27], s97, v29
                                        ; implicit-def: $vgpr33
	s_and_saveexec_b64 s[42:43], s[26:27]
	s_xor_b64 s[26:27], exec, s[42:43]
; %bb.1375:                             ;   in Loop: Header=BB23_1358 Depth=2
	v_bfe_u32 v29, v28, 16, 1
	v_add3_u32 v33, v28, v29, s74
                                        ; implicit-def: $vgpr28
; %bb.1376:                             ;   in Loop: Header=BB23_1358 Depth=2
	s_andn2_saveexec_b64 s[42:43], s[26:27]
; %bb.1377:                             ;   in Loop: Header=BB23_1358 Depth=2
	v_or_b32_e32 v29, 0x10000, v28
	v_cmp_eq_u32_sdwa s[26:27], v28, v3 src0_sel:WORD_0 src1_sel:DWORD
	s_nop 1
	v_cndmask_b32_e64 v33, v29, v28, s[26:27]
; %bb.1378:                             ;   in Loop: Header=BB23_1358 Depth=2
	s_or_b64 exec, exec, s[42:43]
	v_and_b32_e32 v26, 0xffff0000, v26
	v_and_b32_e32 v28, 0xffff0000, v34
	v_max_f32_e32 v28, v28, v28
	v_max_f32_e32 v26, v26, v26
	v_min_f32_e32 v29, v26, v28
	v_max_f32_e32 v26, v26, v28
	v_cndmask_b32_e32 v28, v26, v29, vcc
	v_and_b32_e32 v26, 0x7f800000, v28
	v_cmp_ne_u32_e64 s[26:27], s97, v26
                                        ; implicit-def: $vgpr26
	s_and_saveexec_b64 s[42:43], s[26:27]
	s_xor_b64 s[26:27], exec, s[42:43]
; %bb.1379:                             ;   in Loop: Header=BB23_1358 Depth=2
	v_bfe_u32 v26, v28, 16, 1
	v_add3_u32 v26, v28, v26, s74
                                        ; implicit-def: $vgpr28
; %bb.1380:                             ;   in Loop: Header=BB23_1358 Depth=2
	s_andn2_saveexec_b64 s[42:43], s[26:27]
; %bb.1381:                             ;   in Loop: Header=BB23_1358 Depth=2
	v_or_b32_e32 v26, 0x10000, v28
	v_cmp_eq_u32_sdwa s[26:27], v28, v3 src0_sel:WORD_0 src1_sel:DWORD
	s_nop 1
	v_cndmask_b32_e64 v26, v26, v28, s[26:27]
; %bb.1382:                             ;   in Loop: Header=BB23_1358 Depth=2
	s_or_b64 exec, exec, s[42:43]
	v_lshlrev_b32_e32 v28, 16, v27
	v_lshlrev_b32_e32 v29, 16, v35
	v_max_f32_e32 v29, v29, v29
	v_max_f32_e32 v28, v28, v28
	v_min_f32_e32 v31, v28, v29
	v_max_f32_e32 v28, v28, v29
	v_cndmask_b32_e32 v28, v28, v31, vcc
	v_and_b32_e32 v29, 0x7f800000, v28
	v_cmp_ne_u32_e64 s[26:27], s97, v29
                                        ; implicit-def: $vgpr34
	s_and_saveexec_b64 s[42:43], s[26:27]
	s_xor_b64 s[26:27], exec, s[42:43]
; %bb.1383:                             ;   in Loop: Header=BB23_1358 Depth=2
	v_bfe_u32 v29, v28, 16, 1
	v_add3_u32 v34, v28, v29, s74
                                        ; implicit-def: $vgpr28
; %bb.1384:                             ;   in Loop: Header=BB23_1358 Depth=2
	s_andn2_saveexec_b64 s[42:43], s[26:27]
; %bb.1385:                             ;   in Loop: Header=BB23_1358 Depth=2
	v_or_b32_e32 v29, 0x10000, v28
	v_cmp_eq_u32_sdwa s[26:27], v28, v3 src0_sel:WORD_0 src1_sel:DWORD
	s_nop 1
	v_cndmask_b32_e64 v34, v29, v28, s[26:27]
; %bb.1386:                             ;   in Loop: Header=BB23_1358 Depth=2
	s_or_b64 exec, exec, s[42:43]
	v_and_b32_e32 v27, 0xffff0000, v27
	v_and_b32_e32 v28, 0xffff0000, v35
	v_max_f32_e32 v28, v28, v28
	v_max_f32_e32 v27, v27, v27
	v_min_f32_e32 v29, v27, v28
	v_max_f32_e32 v27, v27, v28
	v_cndmask_b32_e32 v28, v27, v29, vcc
	v_and_b32_e32 v27, 0x7f800000, v28
	v_cmp_ne_u32_e64 s[26:27], s97, v27
                                        ; implicit-def: $vgpr27
	s_and_saveexec_b64 s[42:43], s[26:27]
	s_xor_b64 s[26:27], exec, s[42:43]
; %bb.1387:                             ;   in Loop: Header=BB23_1358 Depth=2
	v_bfe_u32 v27, v28, 16, 1
	v_add3_u32 v27, v28, v27, s74
                                        ; implicit-def: $vgpr28
; %bb.1388:                             ;   in Loop: Header=BB23_1358 Depth=2
	s_andn2_saveexec_b64 s[42:43], s[26:27]
; %bb.1389:                             ;   in Loop: Header=BB23_1358 Depth=2
	v_or_b32_e32 v27, 0x10000, v28
	v_cmp_eq_u32_sdwa s[26:27], v28, v3 src0_sel:WORD_0 src1_sel:DWORD
	s_nop 1
	v_cndmask_b32_e64 v27, v27, v28, s[26:27]
; %bb.1390:                             ;   in Loop: Header=BB23_1358 Depth=2
	s_or_b64 exec, exec, s[42:43]
	v_lshlrev_b32_e32 v28, 16, v16
	v_lshlrev_b32_e32 v29, 16, v20
	v_max_f32_e32 v29, v29, v29
	v_max_f32_e32 v28, v28, v28
	v_min_f32_e32 v31, v28, v29
	v_max_f32_e32 v28, v28, v29
	v_cndmask_b32_e32 v28, v28, v31, vcc
	v_and_b32_e32 v29, 0x7f800000, v28
	v_cmp_ne_u32_e64 s[26:27], s97, v29
                                        ; implicit-def: $vgpr35
	s_and_saveexec_b64 s[42:43], s[26:27]
	s_xor_b64 s[26:27], exec, s[42:43]
; %bb.1391:                             ;   in Loop: Header=BB23_1358 Depth=2
	v_bfe_u32 v29, v28, 16, 1
	v_add3_u32 v35, v28, v29, s74
                                        ; implicit-def: $vgpr28
; %bb.1392:                             ;   in Loop: Header=BB23_1358 Depth=2
	s_andn2_saveexec_b64 s[42:43], s[26:27]
; %bb.1393:                             ;   in Loop: Header=BB23_1358 Depth=2
	v_or_b32_e32 v29, 0x10000, v28
	v_cmp_eq_u32_sdwa s[26:27], v28, v3 src0_sel:WORD_0 src1_sel:DWORD
	s_nop 1
	v_cndmask_b32_e64 v35, v29, v28, s[26:27]
; %bb.1394:                             ;   in Loop: Header=BB23_1358 Depth=2
	s_or_b64 exec, exec, s[42:43]
	v_and_b32_e32 v16, 0xffff0000, v16
	v_and_b32_e32 v20, 0xffff0000, v20
	v_max_f32_e32 v20, v20, v20
	v_max_f32_e32 v16, v16, v16
	v_min_f32_e32 v28, v16, v20
	v_max_f32_e32 v16, v16, v20
	v_cndmask_b32_e32 v20, v16, v28, vcc
	v_and_b32_e32 v16, 0x7f800000, v20
	v_cmp_ne_u32_e64 s[26:27], s97, v16
                                        ; implicit-def: $vgpr16
	s_and_saveexec_b64 s[42:43], s[26:27]
	s_xor_b64 s[26:27], exec, s[42:43]
; %bb.1395:                             ;   in Loop: Header=BB23_1358 Depth=2
	v_bfe_u32 v16, v20, 16, 1
	v_add3_u32 v16, v20, v16, s74
                                        ; implicit-def: $vgpr20
; %bb.1396:                             ;   in Loop: Header=BB23_1358 Depth=2
	s_andn2_saveexec_b64 s[42:43], s[26:27]
; %bb.1397:                             ;   in Loop: Header=BB23_1358 Depth=2
	v_or_b32_e32 v16, 0x10000, v20
	v_cmp_eq_u32_sdwa s[26:27], v20, v3 src0_sel:WORD_0 src1_sel:DWORD
	s_nop 1
	v_cndmask_b32_e64 v16, v16, v20, s[26:27]
; %bb.1398:                             ;   in Loop: Header=BB23_1358 Depth=2
	s_or_b64 exec, exec, s[42:43]
	v_lshlrev_b32_e32 v20, 16, v17
	v_lshlrev_b32_e32 v28, 16, v21
	v_max_f32_e32 v28, v28, v28
	v_max_f32_e32 v20, v20, v20
	v_min_f32_e32 v29, v20, v28
	v_max_f32_e32 v20, v20, v28
	v_cndmask_b32_e32 v28, v20, v29, vcc
	v_and_b32_e32 v20, 0x7f800000, v28
	v_cmp_ne_u32_e64 s[26:27], s97, v20
                                        ; implicit-def: $vgpr20
	s_and_saveexec_b64 s[42:43], s[26:27]
	s_xor_b64 s[26:27], exec, s[42:43]
; %bb.1399:                             ;   in Loop: Header=BB23_1358 Depth=2
	v_bfe_u32 v20, v28, 16, 1
	v_add3_u32 v20, v28, v20, s74
                                        ; implicit-def: $vgpr28
; %bb.1400:                             ;   in Loop: Header=BB23_1358 Depth=2
	s_andn2_saveexec_b64 s[42:43], s[26:27]
; %bb.1401:                             ;   in Loop: Header=BB23_1358 Depth=2
	v_or_b32_e32 v20, 0x10000, v28
	v_cmp_eq_u32_sdwa s[26:27], v28, v3 src0_sel:WORD_0 src1_sel:DWORD
	s_nop 1
	v_cndmask_b32_e64 v20, v20, v28, s[26:27]
; %bb.1402:                             ;   in Loop: Header=BB23_1358 Depth=2
	s_or_b64 exec, exec, s[42:43]
	v_and_b32_e32 v17, 0xffff0000, v17
	v_and_b32_e32 v21, 0xffff0000, v21
	v_max_f32_e32 v21, v21, v21
	v_max_f32_e32 v17, v17, v17
	v_min_f32_e32 v28, v17, v21
	v_max_f32_e32 v17, v17, v21
	v_cndmask_b32_e32 v21, v17, v28, vcc
	v_and_b32_e32 v17, 0x7f800000, v21
	v_cmp_ne_u32_e64 s[26:27], s97, v17
                                        ; implicit-def: $vgpr17
	s_and_saveexec_b64 s[42:43], s[26:27]
	s_xor_b64 s[26:27], exec, s[42:43]
; %bb.1403:                             ;   in Loop: Header=BB23_1358 Depth=2
	v_bfe_u32 v17, v21, 16, 1
	v_add3_u32 v17, v21, v17, s74
                                        ; implicit-def: $vgpr21
; %bb.1404:                             ;   in Loop: Header=BB23_1358 Depth=2
	s_andn2_saveexec_b64 s[42:43], s[26:27]
; %bb.1405:                             ;   in Loop: Header=BB23_1358 Depth=2
	v_or_b32_e32 v17, 0x10000, v21
	v_cmp_eq_u32_sdwa s[26:27], v21, v3 src0_sel:WORD_0 src1_sel:DWORD
	s_nop 1
	v_cndmask_b32_e64 v17, v17, v21, s[26:27]
; %bb.1406:                             ;   in Loop: Header=BB23_1358 Depth=2
	s_or_b64 exec, exec, s[42:43]
	v_lshlrev_b32_e32 v21, 16, v18
	v_lshlrev_b32_e32 v28, 16, v22
	v_max_f32_e32 v28, v28, v28
	v_max_f32_e32 v21, v21, v21
	v_min_f32_e32 v29, v21, v28
	v_max_f32_e32 v21, v21, v28
	v_cndmask_b32_e32 v28, v21, v29, vcc
	v_and_b32_e32 v21, 0x7f800000, v28
	v_cmp_ne_u32_e64 s[26:27], s97, v21
                                        ; implicit-def: $vgpr21
	s_and_saveexec_b64 s[42:43], s[26:27]
	s_xor_b64 s[26:27], exec, s[42:43]
; %bb.1407:                             ;   in Loop: Header=BB23_1358 Depth=2
	v_bfe_u32 v21, v28, 16, 1
	v_add3_u32 v21, v28, v21, s74
                                        ; implicit-def: $vgpr28
; %bb.1408:                             ;   in Loop: Header=BB23_1358 Depth=2
	s_andn2_saveexec_b64 s[42:43], s[26:27]
; %bb.1409:                             ;   in Loop: Header=BB23_1358 Depth=2
	v_or_b32_e32 v21, 0x10000, v28
	v_cmp_eq_u32_sdwa s[26:27], v28, v3 src0_sel:WORD_0 src1_sel:DWORD
	s_nop 1
	v_cndmask_b32_e64 v21, v21, v28, s[26:27]
; %bb.1410:                             ;   in Loop: Header=BB23_1358 Depth=2
	s_or_b64 exec, exec, s[42:43]
	v_and_b32_e32 v18, 0xffff0000, v18
	v_and_b32_e32 v22, 0xffff0000, v22
	v_max_f32_e32 v22, v22, v22
	v_max_f32_e32 v18, v18, v18
	v_min_f32_e32 v28, v18, v22
	v_max_f32_e32 v18, v18, v22
	v_cndmask_b32_e32 v22, v18, v28, vcc
	v_and_b32_e32 v18, 0x7f800000, v22
	v_cmp_ne_u32_e64 s[26:27], s97, v18
                                        ; implicit-def: $vgpr18
	s_and_saveexec_b64 s[42:43], s[26:27]
	s_xor_b64 s[26:27], exec, s[42:43]
; %bb.1411:                             ;   in Loop: Header=BB23_1358 Depth=2
	v_bfe_u32 v18, v22, 16, 1
	v_add3_u32 v18, v22, v18, s74
                                        ; implicit-def: $vgpr22
; %bb.1412:                             ;   in Loop: Header=BB23_1358 Depth=2
	s_andn2_saveexec_b64 s[42:43], s[26:27]
; %bb.1413:                             ;   in Loop: Header=BB23_1358 Depth=2
	v_or_b32_e32 v18, 0x10000, v22
	v_cmp_eq_u32_sdwa s[26:27], v22, v3 src0_sel:WORD_0 src1_sel:DWORD
	s_nop 1
	v_cndmask_b32_e64 v18, v18, v22, s[26:27]
; %bb.1414:                             ;   in Loop: Header=BB23_1358 Depth=2
	s_or_b64 exec, exec, s[42:43]
	v_lshlrev_b32_e32 v22, 16, v19
	v_lshlrev_b32_e32 v28, 16, v23
	v_max_f32_e32 v28, v28, v28
	v_max_f32_e32 v22, v22, v22
	v_min_f32_e32 v29, v22, v28
	v_max_f32_e32 v22, v22, v28
	v_cndmask_b32_e32 v28, v22, v29, vcc
	v_and_b32_e32 v22, 0x7f800000, v28
	v_cmp_ne_u32_e64 s[26:27], s97, v22
                                        ; implicit-def: $vgpr22
	s_and_saveexec_b64 s[42:43], s[26:27]
	s_xor_b64 s[26:27], exec, s[42:43]
; %bb.1415:                             ;   in Loop: Header=BB23_1358 Depth=2
	v_bfe_u32 v22, v28, 16, 1
	v_add3_u32 v22, v28, v22, s74
                                        ; implicit-def: $vgpr28
; %bb.1416:                             ;   in Loop: Header=BB23_1358 Depth=2
	s_andn2_saveexec_b64 s[42:43], s[26:27]
; %bb.1417:                             ;   in Loop: Header=BB23_1358 Depth=2
	v_or_b32_e32 v22, 0x10000, v28
	v_cmp_eq_u32_sdwa s[26:27], v28, v3 src0_sel:WORD_0 src1_sel:DWORD
	s_nop 1
	v_cndmask_b32_e64 v22, v22, v28, s[26:27]
; %bb.1418:                             ;   in Loop: Header=BB23_1358 Depth=2
	s_or_b64 exec, exec, s[42:43]
	v_and_b32_e32 v19, 0xffff0000, v19
	v_and_b32_e32 v23, 0xffff0000, v23
	v_max_f32_e32 v23, v23, v23
	v_max_f32_e32 v19, v19, v19
	v_min_f32_e32 v28, v19, v23
	v_max_f32_e32 v19, v19, v23
	v_cndmask_b32_e32 v23, v19, v28, vcc
	v_and_b32_e32 v19, 0x7f800000, v23
	v_cmp_ne_u32_e64 s[26:27], s97, v19
                                        ; implicit-def: $vgpr19
	s_and_saveexec_b64 s[42:43], s[26:27]
	s_xor_b64 s[26:27], exec, s[42:43]
; %bb.1419:                             ;   in Loop: Header=BB23_1358 Depth=2
	v_bfe_u32 v19, v23, 16, 1
	v_add3_u32 v19, v23, v19, s74
                                        ; implicit-def: $vgpr23
; %bb.1420:                             ;   in Loop: Header=BB23_1358 Depth=2
	s_andn2_saveexec_b64 s[42:43], s[26:27]
; %bb.1421:                             ;   in Loop: Header=BB23_1358 Depth=2
	v_or_b32_e32 v19, 0x10000, v23
	v_cmp_eq_u32_sdwa s[26:27], v23, v3 src0_sel:WORD_0 src1_sel:DWORD
	s_nop 1
	v_cndmask_b32_e64 v19, v19, v23, s[26:27]
; %bb.1422:                             ;   in Loop: Header=BB23_1358 Depth=2
	s_or_b64 exec, exec, s[42:43]
	v_and_b32_e32 v23, 0xffff0000, v82
	v_lshlrev_b32_e32 v28, 16, v12
	v_max_f32_e32 v23, v23, v23
	v_max_f32_e32 v28, v28, v28
	v_min_f32_e32 v29, v23, v28
	v_max_f32_e32 v23, v23, v28
	v_cndmask_b32_e32 v28, v23, v29, vcc
	v_and_b32_e32 v23, 0x7f800000, v28
	v_cmp_ne_u32_e64 s[26:27], s97, v23
                                        ; implicit-def: $vgpr23
	s_and_saveexec_b64 s[42:43], s[26:27]
	s_xor_b64 s[26:27], exec, s[42:43]
; %bb.1423:                             ;   in Loop: Header=BB23_1358 Depth=2
	v_bfe_u32 v23, v28, 16, 1
	v_add3_u32 v23, v28, v23, s74
                                        ; implicit-def: $vgpr28
; %bb.1424:                             ;   in Loop: Header=BB23_1358 Depth=2
	s_andn2_saveexec_b64 s[42:43], s[26:27]
; %bb.1425:                             ;   in Loop: Header=BB23_1358 Depth=2
	v_or_b32_e32 v23, 0x10000, v28
	v_cmp_eq_u32_sdwa s[26:27], v28, v3 src0_sel:WORD_0 src1_sel:DWORD
	s_nop 1
	v_cndmask_b32_e64 v23, v23, v28, s[26:27]
; %bb.1426:                             ;   in Loop: Header=BB23_1358 Depth=2
	s_or_b64 exec, exec, s[42:43]
	v_and_b32_e32 v12, 0xffff0000, v12
	v_and_b32_e32 v24, 0xffff0000, v24
	v_max_f32_e32 v12, v12, v12
	v_max_f32_e32 v24, v24, v24
	v_min_f32_e32 v28, v24, v12
	v_max_f32_e32 v12, v24, v12
	v_cndmask_b32_e32 v12, v12, v28, vcc
	v_and_b32_e32 v24, 0x7f800000, v12
	v_cmp_ne_u32_e64 s[26:27], s97, v24
                                        ; implicit-def: $vgpr24
	s_and_saveexec_b64 s[42:43], s[26:27]
	s_xor_b64 s[26:27], exec, s[42:43]
; %bb.1427:                             ;   in Loop: Header=BB23_1358 Depth=2
	v_bfe_u32 v24, v12, 16, 1
	v_add3_u32 v24, v12, v24, s74
                                        ; implicit-def: $vgpr12
; %bb.1428:                             ;   in Loop: Header=BB23_1358 Depth=2
	s_andn2_saveexec_b64 s[42:43], s[26:27]
; %bb.1429:                             ;   in Loop: Header=BB23_1358 Depth=2
	v_or_b32_e32 v24, 0x10000, v12
	v_cmp_eq_u32_sdwa s[26:27], v12, v3 src0_sel:WORD_0 src1_sel:DWORD
	s_nop 1
	v_cndmask_b32_e64 v24, v24, v12, s[26:27]
; %bb.1430:                             ;   in Loop: Header=BB23_1358 Depth=2
	s_or_b64 exec, exec, s[42:43]
	v_and_b32_e32 v12, 0xffff0000, v32
	v_lshlrev_b32_e32 v28, 16, v13
	v_max_f32_e32 v12, v12, v12
	v_max_f32_e32 v28, v28, v28
	v_min_f32_e32 v29, v12, v28
	v_max_f32_e32 v12, v12, v28
	v_cndmask_b32_e32 v12, v12, v29, vcc
	v_and_b32_e32 v28, 0x7f800000, v12
	v_cmp_ne_u32_e64 s[26:27], s97, v28
                                        ; implicit-def: $vgpr28
	s_and_saveexec_b64 s[42:43], s[26:27]
	s_xor_b64 s[26:27], exec, s[42:43]
; %bb.1431:                             ;   in Loop: Header=BB23_1358 Depth=2
	v_bfe_u32 v28, v12, 16, 1
	v_add3_u32 v28, v12, v28, s74
                                        ; implicit-def: $vgpr12
; %bb.1432:                             ;   in Loop: Header=BB23_1358 Depth=2
	s_andn2_saveexec_b64 s[42:43], s[26:27]
; %bb.1433:                             ;   in Loop: Header=BB23_1358 Depth=2
	v_or_b32_e32 v28, 0x10000, v12
	v_cmp_eq_u32_sdwa s[26:27], v12, v3 src0_sel:WORD_0 src1_sel:DWORD
	s_nop 1
	v_cndmask_b32_e64 v28, v28, v12, s[26:27]
; %bb.1434:                             ;   in Loop: Header=BB23_1358 Depth=2
	s_or_b64 exec, exec, s[42:43]
	v_and_b32_e32 v12, 0xffff0000, v13
	v_and_b32_e32 v13, 0xffff0000, v25
	v_max_f32_e32 v12, v12, v12
	v_max_f32_e32 v13, v13, v13
	v_min_f32_e32 v25, v13, v12
	v_max_f32_e32 v12, v13, v12
	v_cndmask_b32_e32 v12, v12, v25, vcc
	v_and_b32_e32 v13, 0x7f800000, v12
	v_cmp_ne_u32_e64 s[26:27], s97, v13
                                        ; implicit-def: $vgpr25
	s_and_saveexec_b64 s[42:43], s[26:27]
	s_xor_b64 s[26:27], exec, s[42:43]
; %bb.1435:                             ;   in Loop: Header=BB23_1358 Depth=2
	v_bfe_u32 v13, v12, 16, 1
	v_add3_u32 v25, v12, v13, s74
                                        ; implicit-def: $vgpr12
; %bb.1436:                             ;   in Loop: Header=BB23_1358 Depth=2
	s_andn2_saveexec_b64 s[42:43], s[26:27]
; %bb.1437:                             ;   in Loop: Header=BB23_1358 Depth=2
	v_or_b32_e32 v13, 0x10000, v12
	v_cmp_eq_u32_sdwa s[26:27], v12, v3 src0_sel:WORD_0 src1_sel:DWORD
	s_nop 1
	v_cndmask_b32_e64 v25, v13, v12, s[26:27]
; %bb.1438:                             ;   in Loop: Header=BB23_1358 Depth=2
	s_or_b64 exec, exec, s[42:43]
	v_and_b32_e32 v12, 0xffff0000, v33
	v_lshlrev_b32_e32 v13, 16, v14
	v_max_f32_e32 v12, v12, v12
	v_max_f32_e32 v13, v13, v13
	v_min_f32_e32 v29, v12, v13
	v_max_f32_e32 v12, v12, v13
	v_cndmask_b32_e32 v12, v12, v29, vcc
	v_and_b32_e32 v13, 0x7f800000, v12
	v_cmp_ne_u32_e64 s[26:27], s97, v13
                                        ; implicit-def: $vgpr29
	s_and_saveexec_b64 s[42:43], s[26:27]
	s_xor_b64 s[26:27], exec, s[42:43]
; %bb.1439:                             ;   in Loop: Header=BB23_1358 Depth=2
	v_bfe_u32 v13, v12, 16, 1
	v_add3_u32 v29, v12, v13, s74
                                        ; implicit-def: $vgpr12
; %bb.1440:                             ;   in Loop: Header=BB23_1358 Depth=2
	s_andn2_saveexec_b64 s[42:43], s[26:27]
; %bb.1441:                             ;   in Loop: Header=BB23_1358 Depth=2
	v_or_b32_e32 v13, 0x10000, v12
	v_cmp_eq_u32_sdwa s[26:27], v12, v3 src0_sel:WORD_0 src1_sel:DWORD
	s_nop 1
	v_cndmask_b32_e64 v29, v13, v12, s[26:27]
; %bb.1442:                             ;   in Loop: Header=BB23_1358 Depth=2
	s_or_b64 exec, exec, s[42:43]
	v_and_b32_e32 v12, 0xffff0000, v14
	v_and_b32_e32 v13, 0xffff0000, v26
	v_max_f32_e32 v12, v12, v12
	v_max_f32_e32 v13, v13, v13
	v_min_f32_e32 v14, v13, v12
	v_max_f32_e32 v12, v13, v12
	v_cndmask_b32_e32 v12, v12, v14, vcc
	v_and_b32_e32 v13, 0x7f800000, v12
	v_cmp_ne_u32_e64 s[26:27], s97, v13
                                        ; implicit-def: $vgpr14
	s_and_saveexec_b64 s[42:43], s[26:27]
	s_xor_b64 s[26:27], exec, s[42:43]
; %bb.1443:                             ;   in Loop: Header=BB23_1358 Depth=2
	v_bfe_u32 v13, v12, 16, 1
	v_add3_u32 v14, v12, v13, s74
                                        ; implicit-def: $vgpr12
; %bb.1444:                             ;   in Loop: Header=BB23_1358 Depth=2
	s_andn2_saveexec_b64 s[42:43], s[26:27]
; %bb.1445:                             ;   in Loop: Header=BB23_1358 Depth=2
	v_or_b32_e32 v13, 0x10000, v12
	v_cmp_eq_u32_sdwa s[26:27], v12, v3 src0_sel:WORD_0 src1_sel:DWORD
	s_nop 1
	v_cndmask_b32_e64 v14, v13, v12, s[26:27]
; %bb.1446:                             ;   in Loop: Header=BB23_1358 Depth=2
	s_or_b64 exec, exec, s[42:43]
	v_and_b32_e32 v12, 0xffff0000, v34
	v_lshlrev_b32_e32 v13, 16, v15
	v_max_f32_e32 v12, v12, v12
	v_max_f32_e32 v13, v13, v13
	v_min_f32_e32 v26, v12, v13
	v_max_f32_e32 v12, v12, v13
	v_cndmask_b32_e32 v12, v12, v26, vcc
	v_and_b32_e32 v13, 0x7f800000, v12
	v_cmp_ne_u32_e64 s[26:27], s97, v13
                                        ; implicit-def: $vgpr26
	s_and_saveexec_b64 s[42:43], s[26:27]
	s_xor_b64 s[26:27], exec, s[42:43]
; %bb.1447:                             ;   in Loop: Header=BB23_1358 Depth=2
	v_bfe_u32 v13, v12, 16, 1
	v_add3_u32 v26, v12, v13, s74
                                        ; implicit-def: $vgpr12
; %bb.1448:                             ;   in Loop: Header=BB23_1358 Depth=2
	s_andn2_saveexec_b64 s[42:43], s[26:27]
; %bb.1449:                             ;   in Loop: Header=BB23_1358 Depth=2
	v_or_b32_e32 v13, 0x10000, v12
	v_cmp_eq_u32_sdwa s[26:27], v12, v3 src0_sel:WORD_0 src1_sel:DWORD
	s_nop 1
	v_cndmask_b32_e64 v26, v13, v12, s[26:27]
; %bb.1450:                             ;   in Loop: Header=BB23_1358 Depth=2
	s_or_b64 exec, exec, s[42:43]
	v_and_b32_e32 v12, 0xffff0000, v15
	v_and_b32_e32 v13, 0xffff0000, v27
	v_max_f32_e32 v12, v12, v12
	v_max_f32_e32 v13, v13, v13
	v_min_f32_e32 v15, v13, v12
	v_max_f32_e32 v12, v13, v12
	v_cndmask_b32_e32 v12, v12, v15, vcc
	v_and_b32_e32 v13, 0x7f800000, v12
	v_cmp_ne_u32_e64 s[26:27], s97, v13
                                        ; implicit-def: $vgpr15
	s_and_saveexec_b64 s[42:43], s[26:27]
	s_xor_b64 s[26:27], exec, s[42:43]
; %bb.1451:                             ;   in Loop: Header=BB23_1358 Depth=2
	v_bfe_u32 v13, v12, 16, 1
	v_add3_u32 v15, v12, v13, s74
                                        ; implicit-def: $vgpr12
; %bb.1452:                             ;   in Loop: Header=BB23_1358 Depth=2
	s_andn2_saveexec_b64 s[42:43], s[26:27]
; %bb.1453:                             ;   in Loop: Header=BB23_1358 Depth=2
	v_or_b32_e32 v13, 0x10000, v12
	v_cmp_eq_u32_sdwa s[26:27], v12, v3 src0_sel:WORD_0 src1_sel:DWORD
	s_nop 1
	v_cndmask_b32_e64 v15, v13, v12, s[26:27]
; %bb.1454:                             ;   in Loop: Header=BB23_1358 Depth=2
	s_or_b64 exec, exec, s[42:43]
	v_lshrrev_b32_e32 v23, 16, v23
	v_and_or_b32 v32, v24, s75, v23
	v_lshrrev_b32_e32 v23, 16, v29
	v_and_or_b32 v34, v14, s75, v23
	v_lshrrev_b32_e32 v14, 16, v26
	v_and_b32_e32 v27, 0xffff0000, v35
	v_and_or_b32 v35, v15, s75, v14
	v_lshlrev_b32_e32 v14, 16, v8
	v_max_f32_e32 v15, v27, v27
	v_max_f32_e32 v14, v14, v14
	v_min_f32_e32 v23, v15, v14
	v_max_f32_e32 v14, v15, v14
	v_cndmask_b32_e32 v15, v14, v23, vcc
	v_lshrrev_b32_e32 v28, 16, v28
	v_and_b32_e32 v14, 0x7f800000, v15
	v_lshl_add_u64 v[12:13], v[38:39], 0, v[92:93]
	v_and_or_b32 v33, v25, s75, v28
	v_cmp_ne_u32_e64 s[26:27], s97, v14
	global_store_dwordx4 v[12:13], v[32:35], off
                                        ; implicit-def: $vgpr14
	s_and_saveexec_b64 s[42:43], s[26:27]
	s_xor_b64 s[26:27], exec, s[42:43]
; %bb.1455:                             ;   in Loop: Header=BB23_1358 Depth=2
	v_bfe_u32 v14, v15, 16, 1
	v_add3_u32 v14, v15, v14, s74
                                        ; implicit-def: $vgpr15
; %bb.1456:                             ;   in Loop: Header=BB23_1358 Depth=2
	s_andn2_saveexec_b64 s[42:43], s[26:27]
; %bb.1457:                             ;   in Loop: Header=BB23_1358 Depth=2
	v_or_b32_e32 v14, 0x10000, v15
	v_cmp_eq_u32_sdwa s[26:27], v15, v3 src0_sel:WORD_0 src1_sel:DWORD
	s_nop 1
	v_cndmask_b32_e64 v14, v14, v15, s[26:27]
; %bb.1458:                             ;   in Loop: Header=BB23_1358 Depth=2
	s_or_b64 exec, exec, s[42:43]
	v_and_b32_e32 v8, 0xffff0000, v8
	v_and_b32_e32 v15, 0xffff0000, v16
	v_max_f32_e32 v8, v8, v8
	v_max_f32_e32 v15, v15, v15
	v_min_f32_e32 v16, v15, v8
	v_max_f32_e32 v8, v15, v8
	v_cndmask_b32_e32 v15, v8, v16, vcc
	v_and_b32_e32 v8, 0x7f800000, v15
	v_cmp_ne_u32_e64 s[26:27], s97, v8
                                        ; implicit-def: $vgpr8
	s_and_saveexec_b64 s[42:43], s[26:27]
	s_xor_b64 s[26:27], exec, s[42:43]
; %bb.1459:                             ;   in Loop: Header=BB23_1358 Depth=2
	v_bfe_u32 v8, v15, 16, 1
	v_add3_u32 v8, v15, v8, s74
                                        ; implicit-def: $vgpr15
; %bb.1460:                             ;   in Loop: Header=BB23_1358 Depth=2
	s_andn2_saveexec_b64 s[42:43], s[26:27]
; %bb.1461:                             ;   in Loop: Header=BB23_1358 Depth=2
	v_or_b32_e32 v8, 0x10000, v15
	v_cmp_eq_u32_sdwa s[26:27], v15, v3 src0_sel:WORD_0 src1_sel:DWORD
	s_nop 1
	v_cndmask_b32_e64 v8, v8, v15, s[26:27]
; %bb.1462:                             ;   in Loop: Header=BB23_1358 Depth=2
	s_or_b64 exec, exec, s[42:43]
	v_and_b32_e32 v15, 0xffff0000, v20
	v_lshlrev_b32_e32 v16, 16, v9
	v_max_f32_e32 v15, v15, v15
	v_max_f32_e32 v16, v16, v16
	v_min_f32_e32 v20, v15, v16
	v_max_f32_e32 v15, v15, v16
	v_cndmask_b32_e32 v16, v15, v20, vcc
	v_and_b32_e32 v15, 0x7f800000, v16
	v_cmp_ne_u32_e64 s[26:27], s97, v15
                                        ; implicit-def: $vgpr15
	s_and_saveexec_b64 s[42:43], s[26:27]
	s_xor_b64 s[26:27], exec, s[42:43]
; %bb.1463:                             ;   in Loop: Header=BB23_1358 Depth=2
	v_bfe_u32 v15, v16, 16, 1
	v_add3_u32 v15, v16, v15, s74
                                        ; implicit-def: $vgpr16
; %bb.1464:                             ;   in Loop: Header=BB23_1358 Depth=2
	s_andn2_saveexec_b64 s[42:43], s[26:27]
; %bb.1465:                             ;   in Loop: Header=BB23_1358 Depth=2
	v_or_b32_e32 v15, 0x10000, v16
	v_cmp_eq_u32_sdwa s[26:27], v16, v3 src0_sel:WORD_0 src1_sel:DWORD
	s_nop 1
	v_cndmask_b32_e64 v15, v15, v16, s[26:27]
; %bb.1466:                             ;   in Loop: Header=BB23_1358 Depth=2
	s_or_b64 exec, exec, s[42:43]
	v_and_b32_e32 v9, 0xffff0000, v9
	v_and_b32_e32 v16, 0xffff0000, v17
	v_max_f32_e32 v9, v9, v9
	v_max_f32_e32 v16, v16, v16
	v_min_f32_e32 v17, v16, v9
	v_max_f32_e32 v9, v16, v9
	v_cndmask_b32_e32 v16, v9, v17, vcc
	v_and_b32_e32 v9, 0x7f800000, v16
	v_cmp_ne_u32_e64 s[26:27], s97, v9
                                        ; implicit-def: $vgpr9
	s_and_saveexec_b64 s[42:43], s[26:27]
	s_xor_b64 s[26:27], exec, s[42:43]
; %bb.1467:                             ;   in Loop: Header=BB23_1358 Depth=2
	v_bfe_u32 v9, v16, 16, 1
	v_add3_u32 v9, v16, v9, s74
                                        ; implicit-def: $vgpr16
; %bb.1468:                             ;   in Loop: Header=BB23_1358 Depth=2
	s_andn2_saveexec_b64 s[42:43], s[26:27]
; %bb.1469:                             ;   in Loop: Header=BB23_1358 Depth=2
	v_or_b32_e32 v9, 0x10000, v16
	v_cmp_eq_u32_sdwa s[26:27], v16, v3 src0_sel:WORD_0 src1_sel:DWORD
	s_nop 1
	v_cndmask_b32_e64 v9, v9, v16, s[26:27]
; %bb.1470:                             ;   in Loop: Header=BB23_1358 Depth=2
	s_or_b64 exec, exec, s[42:43]
	v_and_b32_e32 v16, 0xffff0000, v21
	v_lshlrev_b32_e32 v17, 16, v10
	v_max_f32_e32 v16, v16, v16
	v_max_f32_e32 v17, v17, v17
	v_min_f32_e32 v20, v16, v17
	v_max_f32_e32 v16, v16, v17
	v_cndmask_b32_e32 v17, v16, v20, vcc
	v_and_b32_e32 v16, 0x7f800000, v17
	v_cmp_ne_u32_e64 s[26:27], s97, v16
                                        ; implicit-def: $vgpr16
	s_and_saveexec_b64 s[42:43], s[26:27]
	s_xor_b64 s[26:27], exec, s[42:43]
; %bb.1471:                             ;   in Loop: Header=BB23_1358 Depth=2
	v_bfe_u32 v16, v17, 16, 1
	v_add3_u32 v16, v17, v16, s74
                                        ; implicit-def: $vgpr17
; %bb.1472:                             ;   in Loop: Header=BB23_1358 Depth=2
	s_andn2_saveexec_b64 s[42:43], s[26:27]
; %bb.1473:                             ;   in Loop: Header=BB23_1358 Depth=2
	v_or_b32_e32 v16, 0x10000, v17
	v_cmp_eq_u32_sdwa s[26:27], v17, v3 src0_sel:WORD_0 src1_sel:DWORD
	s_nop 1
	v_cndmask_b32_e64 v16, v16, v17, s[26:27]
; %bb.1474:                             ;   in Loop: Header=BB23_1358 Depth=2
	s_or_b64 exec, exec, s[42:43]
	v_and_b32_e32 v10, 0xffff0000, v10
	v_and_b32_e32 v17, 0xffff0000, v18
	v_max_f32_e32 v10, v10, v10
	v_max_f32_e32 v17, v17, v17
	v_min_f32_e32 v18, v17, v10
	v_max_f32_e32 v10, v17, v10
	v_cndmask_b32_e32 v17, v10, v18, vcc
	v_and_b32_e32 v10, 0x7f800000, v17
	v_cmp_ne_u32_e64 s[26:27], s97, v10
                                        ; implicit-def: $vgpr10
	s_and_saveexec_b64 s[42:43], s[26:27]
	s_xor_b64 s[26:27], exec, s[42:43]
; %bb.1475:                             ;   in Loop: Header=BB23_1358 Depth=2
	v_bfe_u32 v10, v17, 16, 1
	v_add3_u32 v10, v17, v10, s74
                                        ; implicit-def: $vgpr17
; %bb.1476:                             ;   in Loop: Header=BB23_1358 Depth=2
	s_andn2_saveexec_b64 s[42:43], s[26:27]
; %bb.1477:                             ;   in Loop: Header=BB23_1358 Depth=2
	v_or_b32_e32 v10, 0x10000, v17
	v_cmp_eq_u32_sdwa s[26:27], v17, v3 src0_sel:WORD_0 src1_sel:DWORD
	s_nop 1
	v_cndmask_b32_e64 v10, v10, v17, s[26:27]
; %bb.1478:                             ;   in Loop: Header=BB23_1358 Depth=2
	s_or_b64 exec, exec, s[42:43]
	v_and_b32_e32 v17, 0xffff0000, v22
	v_lshlrev_b32_e32 v18, 16, v11
	v_max_f32_e32 v17, v17, v17
	v_max_f32_e32 v18, v18, v18
	v_min_f32_e32 v20, v17, v18
	v_max_f32_e32 v17, v17, v18
	v_cndmask_b32_e32 v18, v17, v20, vcc
	v_and_b32_e32 v17, 0x7f800000, v18
	v_cmp_ne_u32_e64 s[26:27], s97, v17
                                        ; implicit-def: $vgpr17
	s_and_saveexec_b64 s[42:43], s[26:27]
	s_xor_b64 s[26:27], exec, s[42:43]
; %bb.1479:                             ;   in Loop: Header=BB23_1358 Depth=2
	v_bfe_u32 v17, v18, 16, 1
	v_add3_u32 v17, v18, v17, s74
                                        ; implicit-def: $vgpr18
; %bb.1480:                             ;   in Loop: Header=BB23_1358 Depth=2
	s_andn2_saveexec_b64 s[42:43], s[26:27]
; %bb.1481:                             ;   in Loop: Header=BB23_1358 Depth=2
	v_or_b32_e32 v17, 0x10000, v18
	v_cmp_eq_u32_sdwa s[26:27], v18, v3 src0_sel:WORD_0 src1_sel:DWORD
	s_nop 1
	v_cndmask_b32_e64 v17, v17, v18, s[26:27]
; %bb.1482:                             ;   in Loop: Header=BB23_1358 Depth=2
	s_or_b64 exec, exec, s[42:43]
	v_and_b32_e32 v11, 0xffff0000, v11
	v_and_b32_e32 v18, 0xffff0000, v19
	v_max_f32_e32 v11, v11, v11
	v_max_f32_e32 v18, v18, v18
	v_min_f32_e32 v19, v18, v11
	v_max_f32_e32 v11, v18, v11
	v_cndmask_b32_e32 v18, v11, v19, vcc
	v_and_b32_e32 v11, 0x7f800000, v18
	v_cmp_ne_u32_e64 s[26:27], s97, v11
                                        ; implicit-def: $vgpr11
	s_and_saveexec_b64 s[42:43], s[26:27]
	s_xor_b64 s[26:27], exec, s[42:43]
; %bb.1483:                             ;   in Loop: Header=BB23_1358 Depth=2
	v_bfe_u32 v11, v18, 16, 1
	v_add3_u32 v11, v18, v11, s74
                                        ; implicit-def: $vgpr18
; %bb.1484:                             ;   in Loop: Header=BB23_1358 Depth=2
	s_andn2_saveexec_b64 s[42:43], s[26:27]
	s_cbranch_execz .LBB23_1357
; %bb.1485:                             ;   in Loop: Header=BB23_1358 Depth=2
	v_or_b32_e32 v11, 0x10000, v18
	v_cmp_eq_u32_sdwa s[26:27], v18, v3 src0_sel:WORD_0 src1_sel:DWORD
	s_nop 1
	v_cndmask_b32_e64 v11, v11, v18, s[26:27]
	s_branch .LBB23_1357
.LBB23_1486:                            ;   in Loop: Header=BB23_47 Depth=1
	s_or_b64 exec, exec, s[40:41]
.LBB23_1487:                            ;   in Loop: Header=BB23_47 Depth=1
	s_or_b64 exec, exec, s[28:29]
	v_lshlrev_b32_e32 v26, 11, v55
	v_cmp_ne_u32_e32 vcc, v2, v26
	s_mov_b64 s[26:27], 0
	v_mov_b32_e32 v16, 0
                                        ; implicit-def: $vgpr17
	s_and_saveexec_b64 s[54:55], vcc
	s_cbranch_execz .LBB23_1525
; %bb.1488:                             ;   in Loop: Header=BB23_47 Depth=1
	v_lshlrev_b32_e32 v8, 6, v54
	v_and_b32_e32 v10, 63, v0
	v_sub_u32_e32 v8, v10, v8
	v_ashrrev_i32_e32 v10, 31, v8
	v_lshrrev_b32_e32 v10, 26, v10
	v_add_u32_e32 v10, v8, v10
	v_sub_u32_e32 v9, v2, v26
	v_ashrrev_i32_e32 v11, 6, v10
	v_and_b32_e32 v10, 0xffffffc0, v10
	v_sub_u32_e32 v27, v8, v10
	v_ashrrev_i32_e32 v10, 31, v9
	v_lshrrev_b32_e32 v10, 22, v10
	v_add_u32_e32 v10, v9, v10
	v_and_b32_e32 v32, 0xfffffc00, v10
	v_lshlrev_b32_e32 v8, 4, v27
	v_sub_u32_e32 v33, v9, v32
	v_lshl_add_u32 v8, v11, 10, v8
	v_ashrrev_i32_e32 v12, 10, v10
	v_cmp_lt_i32_e32 vcc, 15, v33
	v_sub_u32_e32 v35, v9, v8
	s_nop 0
	v_addc_co_u32_e64 v9, s[26:27], 0, v12, vcc
	v_sub_u32_e32 v34, v9, v11
	v_cmp_lt_i32_e64 s[26:27], 15, v35
	s_and_saveexec_b64 s[64:65], s[26:27]
	s_cbranch_execz .LBB23_1524
; %bb.1489:                             ;   in Loop: Header=BB23_47 Depth=1
	s_trap 2
	ds_read_b64 v[10:11], v0
	v_add_u32_e32 v20, v8, v26
	s_and_b32 s76, s49, 1
	v_ashrrev_i32_e32 v21, 31, v20
	s_cmp_eq_u64 s[76:77], 0
	v_lshl_add_u64 v[22:23], v[20:21], 0, v[4:5]
	s_waitcnt lgkmcnt(0)
	v_lshl_add_u64 v[24:25], v[10:11], 0, v[20:21]
	s_mov_b64 s[66:67], 0
	s_cselect_b64 s[26:27], -1, 0
	s_branch .LBB23_1491
.LBB23_1490:                            ;   in Loop: Header=BB23_1491 Depth=2
	s_or_b64 exec, exec, s[40:41]
	v_and_b32_e32 v19, 0xffff0000, v28
	v_and_b32_e32 v28, 0xffff0000, v50
	;; [unrolled: 1-line block ×3, first 2 shown]
	v_lshlrev_b32_e32 v8, 16, v8
	v_max_f32_e32 v28, v28, v28
	v_max_f32_e32 v8, v8, v8
	v_min_f32_e32 v48, v28, v8
	v_max_f32_e32 v8, v28, v8
	v_cndmask_b32_e64 v8, v8, v48, s[26:27]
	v_and_b32_e32 v16, 0xffff0000, v16
	v_and_b32_e32 v28, 0x7f800000, v8
	v_cmp_eq_u32_e64 s[28:29], s97, v28
	v_bfe_u32 v28, v8, 16, 1
	v_cmp_eq_u32_sdwa s[40:41], v8, v3 src0_sel:WORD_0 src1_sel:DWORD
	v_or_b32_e32 v48, 0x10000, v8
	v_max_f32_e32 v16, v16, v16
	v_max_f32_e32 v31, v31, v31
	v_add3_u32 v28, v8, v28, s74
	v_cndmask_b32_e64 v8, v48, v8, s[40:41]
	v_min_f32_e32 v48, v16, v31
	v_max_f32_e32 v16, v16, v31
	v_cndmask_b32_e64 v16, v16, v48, s[26:27]
	v_and_b32_e32 v31, 0x7f800000, v16
	v_cmp_eq_u32_e64 s[40:41], s97, v31
	v_bfe_u32 v31, v16, 16, 1
	v_cmp_eq_u32_sdwa s[42:43], v16, v3 src0_sel:WORD_0 src1_sel:DWORD
	v_or_b32_e32 v48, 0x10000, v16
	v_add3_u32 v31, v16, v31, s74
	v_cndmask_b32_e64 v16, v48, v16, s[42:43]
	v_and_b32_e32 v48, 0xffff0000, v9
	v_lshlrev_b32_e32 v9, 16, v9
	v_max_f32_e32 v19, v19, v19
	v_max_f32_e32 v9, v9, v9
	v_min_f32_e32 v49, v19, v9
	v_max_f32_e32 v9, v19, v9
	v_cndmask_b32_e64 v9, v9, v49, s[26:27]
	v_and_b32_e32 v17, 0xffff0000, v17
	v_and_b32_e32 v19, 0x7f800000, v9
	v_cmp_eq_u32_e64 s[42:43], s97, v19
	v_bfe_u32 v19, v9, 16, 1
	v_cmp_eq_u32_sdwa s[44:45], v9, v3 src0_sel:WORD_0 src1_sel:DWORD
	v_or_b32_e32 v49, 0x10000, v9
	v_max_f32_e32 v17, v17, v17
	v_max_f32_e32 v48, v48, v48
	v_add3_u32 v19, v9, v19, s74
	v_cndmask_b32_e64 v9, v49, v9, s[44:45]
	v_min_f32_e32 v49, v17, v48
	v_max_f32_e32 v17, v17, v48
	v_cndmask_b32_e64 v17, v17, v49, s[26:27]
	v_and_b32_e32 v48, 0x7f800000, v17
	v_cmp_eq_u32_e64 s[44:45], s97, v48
	v_bfe_u32 v48, v17, 16, 1
	v_cmp_eq_u32_sdwa s[46:47], v17, v3 src0_sel:WORD_0 src1_sel:DWORD
	v_or_b32_e32 v49, 0x10000, v17
	v_and_b32_e32 v29, 0xffff0000, v29
	v_add3_u32 v48, v17, v48, s74
	v_cndmask_b32_e64 v17, v49, v17, s[46:47]
	v_and_b32_e32 v49, 0xffff0000, v10
	v_lshlrev_b32_e32 v10, 16, v10
	v_max_f32_e32 v29, v29, v29
	v_max_f32_e32 v10, v10, v10
	v_min_f32_e32 v50, v29, v10
	v_max_f32_e32 v10, v29, v10
	v_cndmask_b32_e64 v10, v10, v50, s[26:27]
	v_and_b32_e32 v14, 0xffff0000, v14
	v_and_b32_e32 v29, 0x7f800000, v10
	v_cmp_eq_u32_e64 s[46:47], s97, v29
	v_bfe_u32 v29, v10, 16, 1
	v_cmp_eq_u32_sdwa s[56:57], v10, v3 src0_sel:WORD_0 src1_sel:DWORD
	v_or_b32_e32 v50, 0x10000, v10
	v_max_f32_e32 v14, v14, v14
	v_max_f32_e32 v49, v49, v49
	v_add3_u32 v29, v10, v29, s74
	v_cndmask_b32_e64 v10, v50, v10, s[56:57]
	v_min_f32_e32 v50, v14, v49
	v_max_f32_e32 v14, v14, v49
	v_cndmask_b32_e64 v14, v14, v50, s[26:27]
	v_and_b32_e32 v49, 0x7f800000, v14
	v_cmp_eq_u32_e64 s[56:57], s97, v49
	v_bfe_u32 v49, v14, 16, 1
	v_cmp_eq_u32_sdwa s[58:59], v14, v3 src0_sel:WORD_0 src1_sel:DWORD
	v_or_b32_e32 v50, 0x10000, v14
	v_and_b32_e32 v18, 0xffff0000, v18
	v_add3_u32 v49, v14, v49, s74
	v_cndmask_b32_e64 v14, v50, v14, s[58:59]
	v_and_b32_e32 v50, 0xffff0000, v11
	v_lshlrev_b32_e32 v11, 16, v11
	v_max_f32_e32 v18, v18, v18
	v_max_f32_e32 v11, v11, v11
	v_min_f32_e32 v51, v18, v11
	v_max_f32_e32 v11, v18, v11
	v_cndmask_b32_e64 v11, v11, v51, s[26:27]
	v_and_b32_e32 v15, 0xffff0000, v15
	v_and_b32_e32 v18, 0x7f800000, v11
	v_cmp_eq_u32_e64 s[58:59], s97, v18
	v_bfe_u32 v18, v11, 16, 1
	v_cmp_eq_u32_sdwa s[60:61], v11, v3 src0_sel:WORD_0 src1_sel:DWORD
	v_or_b32_e32 v51, 0x10000, v11
	v_max_f32_e32 v15, v15, v15
	v_max_f32_e32 v50, v50, v50
	v_add3_u32 v18, v11, v18, s74
	v_cndmask_b32_e64 v11, v51, v11, s[60:61]
	v_min_f32_e32 v51, v15, v50
	v_max_f32_e32 v15, v15, v50
	v_cndmask_b32_e64 v15, v15, v51, s[26:27]
	v_and_b32_e32 v50, 0x7f800000, v15
	v_cmp_eq_u32_e64 s[60:61], s97, v50
	v_bfe_u32 v50, v15, 16, 1
	v_cmp_eq_u32_sdwa s[62:63], v15, v3 src0_sel:WORD_0 src1_sel:DWORD
	v_or_b32_e32 v51, 0x10000, v15
	v_add3_u32 v50, v15, v50, s74
	v_cndmask_b32_e64 v15, v51, v15, s[62:63]
	v_cndmask_b32_e64 v8, v28, v8, s[28:29]
	;; [unrolled: 1-line block ×5, first 2 shown]
	v_sub_u32_e32 v35, v35, v100
	v_cndmask_b32_e64 v16, v31, v16, s[40:41]
	v_cndmask_b32_e64 v17, v48, v17, s[44:45]
	;; [unrolled: 1-line block ×4, first 2 shown]
	v_lshrrev_b32_e32 v9, 16, v9
	v_lshrrev_b32_e32 v8, 16, v8
	;; [unrolled: 1-line block ×4, first 2 shown]
	v_cmp_gt_i32_e64 s[28:29], 16, v35
	v_lshl_add_u64 v[12:13], v[38:39], 0, v[20:21]
	v_and_or_b32 v9, v17, s75, v9
	v_and_or_b32 v8, v16, s75, v8
	;; [unrolled: 1-line block ×4, first 2 shown]
	v_lshl_add_u64 v[22:23], v[22:23], 0, v[100:101]
	v_lshl_add_u64 v[24:25], v[24:25], 0, v[100:101]
	;; [unrolled: 1-line block ×3, first 2 shown]
	v_sub_u32_e32 v34, v34, v84
	s_or_b64 s[66:67], s[28:29], s[66:67]
	global_store_dwordx4 v[12:13], v[8:11], off
	s_andn2_b64 exec, exec, s[66:67]
	s_cbranch_execz .LBB23_1523
.LBB23_1491:                            ;   Parent Loop BB23_47 Depth=1
                                        ; =>  This Inner Loop Header: Depth=2
	global_load_dwordx4 v[12:15], v[24:25], off nt
	global_load_dwordx4 v[16:19], v[22:23], off nt
	;; [unrolled: 1-line block ×3, first 2 shown]
                                        ; implicit-def: $vgpr50
	s_waitcnt vmcnt(0)
	v_lshlrev_b32_e32 v28, 16, v12
	v_lshlrev_b32_e32 v29, 16, v16
	v_max_f32_e32 v28, v28, v28
	v_max_f32_e32 v29, v29, v29
	v_min_f32_e32 v31, v29, v28
	v_max_f32_e32 v28, v29, v28
	v_cndmask_b32_e64 v28, v28, v31, s[26:27]
	v_and_b32_e32 v29, 0x7f800000, v28
	v_cmp_ne_u32_e64 s[28:29], s97, v29
	s_and_saveexec_b64 s[40:41], s[28:29]
	s_xor_b64 s[28:29], exec, s[40:41]
; %bb.1492:                             ;   in Loop: Header=BB23_1491 Depth=2
	v_bfe_u32 v29, v28, 16, 1
	v_add3_u32 v50, v28, v29, s74
                                        ; implicit-def: $vgpr28
; %bb.1493:                             ;   in Loop: Header=BB23_1491 Depth=2
	s_andn2_saveexec_b64 s[40:41], s[28:29]
; %bb.1494:                             ;   in Loop: Header=BB23_1491 Depth=2
	v_or_b32_e32 v29, 0x10000, v28
	v_cmp_eq_u32_sdwa s[28:29], v28, v3 src0_sel:WORD_0 src1_sel:DWORD
	s_nop 1
	v_cndmask_b32_e64 v50, v29, v28, s[28:29]
; %bb.1495:                             ;   in Loop: Header=BB23_1491 Depth=2
	s_or_b64 exec, exec, s[40:41]
	v_and_b32_e32 v12, 0xffff0000, v12
	v_and_b32_e32 v16, 0xffff0000, v16
	v_max_f32_e32 v12, v12, v12
	v_max_f32_e32 v16, v16, v16
	v_min_f32_e32 v28, v16, v12
	v_max_f32_e32 v12, v16, v12
	v_cndmask_b32_e64 v12, v12, v28, s[26:27]
	v_and_b32_e32 v16, 0x7f800000, v12
	v_cmp_ne_u32_e64 s[28:29], s97, v16
                                        ; implicit-def: $vgpr16
	s_and_saveexec_b64 s[40:41], s[28:29]
	s_xor_b64 s[28:29], exec, s[40:41]
; %bb.1496:                             ;   in Loop: Header=BB23_1491 Depth=2
	v_bfe_u32 v16, v12, 16, 1
	v_add3_u32 v16, v12, v16, s74
                                        ; implicit-def: $vgpr12
; %bb.1497:                             ;   in Loop: Header=BB23_1491 Depth=2
	s_andn2_saveexec_b64 s[40:41], s[28:29]
; %bb.1498:                             ;   in Loop: Header=BB23_1491 Depth=2
	v_or_b32_e32 v16, 0x10000, v12
	v_cmp_eq_u32_sdwa s[28:29], v12, v3 src0_sel:WORD_0 src1_sel:DWORD
	s_nop 1
	v_cndmask_b32_e64 v16, v16, v12, s[28:29]
; %bb.1499:                             ;   in Loop: Header=BB23_1491 Depth=2
	s_or_b64 exec, exec, s[40:41]
	v_lshlrev_b32_e32 v12, 16, v13
	v_lshlrev_b32_e32 v28, 16, v17
	v_max_f32_e32 v12, v12, v12
	v_max_f32_e32 v28, v28, v28
	v_min_f32_e32 v29, v28, v12
	v_max_f32_e32 v12, v28, v12
	v_cndmask_b32_e64 v12, v12, v29, s[26:27]
	v_and_b32_e32 v28, 0x7f800000, v12
	v_cmp_ne_u32_e64 s[28:29], s97, v28
                                        ; implicit-def: $vgpr28
	s_and_saveexec_b64 s[40:41], s[28:29]
	s_xor_b64 s[28:29], exec, s[40:41]
; %bb.1500:                             ;   in Loop: Header=BB23_1491 Depth=2
	v_bfe_u32 v28, v12, 16, 1
	v_add3_u32 v28, v12, v28, s74
                                        ; implicit-def: $vgpr12
; %bb.1501:                             ;   in Loop: Header=BB23_1491 Depth=2
	s_andn2_saveexec_b64 s[40:41], s[28:29]
; %bb.1502:                             ;   in Loop: Header=BB23_1491 Depth=2
	v_or_b32_e32 v28, 0x10000, v12
	v_cmp_eq_u32_sdwa s[28:29], v12, v3 src0_sel:WORD_0 src1_sel:DWORD
	s_nop 1
	v_cndmask_b32_e64 v28, v28, v12, s[28:29]
; %bb.1503:                             ;   in Loop: Header=BB23_1491 Depth=2
	s_or_b64 exec, exec, s[40:41]
	v_and_b32_e32 v12, 0xffff0000, v17
	v_and_b32_e32 v13, 0xffff0000, v13
	v_max_f32_e32 v13, v13, v13
	v_max_f32_e32 v12, v12, v12
	v_min_f32_e32 v17, v12, v13
	v_max_f32_e32 v12, v12, v13
	v_cndmask_b32_e64 v12, v12, v17, s[26:27]
	v_and_b32_e32 v13, 0x7f800000, v12
	v_cmp_ne_u32_e64 s[28:29], s97, v13
                                        ; implicit-def: $vgpr17
	s_and_saveexec_b64 s[40:41], s[28:29]
	s_xor_b64 s[28:29], exec, s[40:41]
; %bb.1504:                             ;   in Loop: Header=BB23_1491 Depth=2
	v_bfe_u32 v13, v12, 16, 1
	v_add3_u32 v17, v12, v13, s74
                                        ; implicit-def: $vgpr12
; %bb.1505:                             ;   in Loop: Header=BB23_1491 Depth=2
	s_andn2_saveexec_b64 s[40:41], s[28:29]
; %bb.1506:                             ;   in Loop: Header=BB23_1491 Depth=2
	v_or_b32_e32 v13, 0x10000, v12
	v_cmp_eq_u32_sdwa s[28:29], v12, v3 src0_sel:WORD_0 src1_sel:DWORD
	s_nop 1
	v_cndmask_b32_e64 v17, v13, v12, s[28:29]
; %bb.1507:                             ;   in Loop: Header=BB23_1491 Depth=2
	s_or_b64 exec, exec, s[40:41]
	v_lshlrev_b32_e32 v12, 16, v14
	v_lshlrev_b32_e32 v13, 16, v18
	v_max_f32_e32 v12, v12, v12
	v_max_f32_e32 v13, v13, v13
	v_min_f32_e32 v29, v13, v12
	v_max_f32_e32 v12, v13, v12
	v_cndmask_b32_e64 v12, v12, v29, s[26:27]
	v_and_b32_e32 v13, 0x7f800000, v12
	v_cmp_ne_u32_e64 s[28:29], s97, v13
                                        ; implicit-def: $vgpr29
	s_and_saveexec_b64 s[40:41], s[28:29]
	s_xor_b64 s[28:29], exec, s[40:41]
; %bb.1508:                             ;   in Loop: Header=BB23_1491 Depth=2
	v_bfe_u32 v13, v12, 16, 1
	v_add3_u32 v29, v12, v13, s74
                                        ; implicit-def: $vgpr12
; %bb.1509:                             ;   in Loop: Header=BB23_1491 Depth=2
	s_andn2_saveexec_b64 s[40:41], s[28:29]
; %bb.1510:                             ;   in Loop: Header=BB23_1491 Depth=2
	v_or_b32_e32 v13, 0x10000, v12
	v_cmp_eq_u32_sdwa s[28:29], v12, v3 src0_sel:WORD_0 src1_sel:DWORD
	s_nop 1
	v_cndmask_b32_e64 v29, v13, v12, s[28:29]
; %bb.1511:                             ;   in Loop: Header=BB23_1491 Depth=2
	s_or_b64 exec, exec, s[40:41]
	v_and_b32_e32 v12, 0xffff0000, v18
	v_and_b32_e32 v13, 0xffff0000, v14
	v_max_f32_e32 v13, v13, v13
	v_max_f32_e32 v12, v12, v12
	v_min_f32_e32 v14, v12, v13
	v_max_f32_e32 v12, v12, v13
	v_cndmask_b32_e64 v12, v12, v14, s[26:27]
	v_and_b32_e32 v13, 0x7f800000, v12
	v_cmp_ne_u32_e64 s[28:29], s97, v13
                                        ; implicit-def: $vgpr14
	s_and_saveexec_b64 s[40:41], s[28:29]
	s_xor_b64 s[28:29], exec, s[40:41]
; %bb.1512:                             ;   in Loop: Header=BB23_1491 Depth=2
	v_bfe_u32 v13, v12, 16, 1
	v_add3_u32 v14, v12, v13, s74
                                        ; implicit-def: $vgpr12
; %bb.1513:                             ;   in Loop: Header=BB23_1491 Depth=2
	s_andn2_saveexec_b64 s[40:41], s[28:29]
; %bb.1514:                             ;   in Loop: Header=BB23_1491 Depth=2
	v_or_b32_e32 v13, 0x10000, v12
	v_cmp_eq_u32_sdwa s[28:29], v12, v3 src0_sel:WORD_0 src1_sel:DWORD
	s_nop 1
	v_cndmask_b32_e64 v14, v13, v12, s[28:29]
; %bb.1515:                             ;   in Loop: Header=BB23_1491 Depth=2
	s_or_b64 exec, exec, s[40:41]
	v_lshlrev_b32_e32 v12, 16, v15
	v_lshlrev_b32_e32 v13, 16, v19
	v_max_f32_e32 v12, v12, v12
	v_max_f32_e32 v13, v13, v13
	v_min_f32_e32 v18, v13, v12
	v_max_f32_e32 v12, v13, v12
	v_cndmask_b32_e64 v12, v12, v18, s[26:27]
	v_and_b32_e32 v13, 0x7f800000, v12
	v_cmp_ne_u32_e64 s[28:29], s97, v13
                                        ; implicit-def: $vgpr18
	s_and_saveexec_b64 s[40:41], s[28:29]
	s_xor_b64 s[28:29], exec, s[40:41]
; %bb.1516:                             ;   in Loop: Header=BB23_1491 Depth=2
	v_bfe_u32 v13, v12, 16, 1
	v_add3_u32 v18, v12, v13, s74
                                        ; implicit-def: $vgpr12
; %bb.1517:                             ;   in Loop: Header=BB23_1491 Depth=2
	s_andn2_saveexec_b64 s[40:41], s[28:29]
; %bb.1518:                             ;   in Loop: Header=BB23_1491 Depth=2
	v_or_b32_e32 v13, 0x10000, v12
	v_cmp_eq_u32_sdwa s[28:29], v12, v3 src0_sel:WORD_0 src1_sel:DWORD
	s_nop 1
	v_cndmask_b32_e64 v18, v13, v12, s[28:29]
; %bb.1519:                             ;   in Loop: Header=BB23_1491 Depth=2
	s_or_b64 exec, exec, s[40:41]
	v_and_b32_e32 v12, 0xffff0000, v19
	v_and_b32_e32 v13, 0xffff0000, v15
	v_max_f32_e32 v13, v13, v13
	v_max_f32_e32 v12, v12, v12
	v_min_f32_e32 v15, v12, v13
	v_max_f32_e32 v12, v12, v13
	v_cndmask_b32_e64 v12, v12, v15, s[26:27]
	v_and_b32_e32 v13, 0x7f800000, v12
	v_cmp_ne_u32_e64 s[28:29], s97, v13
                                        ; implicit-def: $vgpr15
	s_and_saveexec_b64 s[40:41], s[28:29]
	s_xor_b64 s[28:29], exec, s[40:41]
; %bb.1520:                             ;   in Loop: Header=BB23_1491 Depth=2
	v_bfe_u32 v13, v12, 16, 1
	v_add3_u32 v15, v12, v13, s74
                                        ; implicit-def: $vgpr12
; %bb.1521:                             ;   in Loop: Header=BB23_1491 Depth=2
	s_andn2_saveexec_b64 s[40:41], s[28:29]
	s_cbranch_execz .LBB23_1490
; %bb.1522:                             ;   in Loop: Header=BB23_1491 Depth=2
	v_or_b32_e32 v13, 0x10000, v12
	v_cmp_eq_u32_sdwa s[28:29], v12, v3 src0_sel:WORD_0 src1_sel:DWORD
	s_nop 1
	v_cndmask_b32_e64 v15, v13, v12, s[28:29]
	s_branch .LBB23_1490
.LBB23_1523:                            ;   in Loop: Header=BB23_47 Depth=1
	s_or_b64 exec, exec, s[66:67]
.LBB23_1524:                            ;   in Loop: Header=BB23_47 Depth=1
	s_or_b64 exec, exec, s[64:65]
	v_and_b32_e32 v2, 14, v2
	v_sub_u32_e32 v8, v33, v2
	v_cndmask_b32_e32 v8, 0, v8, vcc
	v_cndmask_b32_e32 v2, v33, v2, vcc
	v_cmp_lt_i32_e32 vcc, 0, v34
	v_add3_u32 v16, v32, v26, v8
	s_nop 0
	v_cndmask_b32_e32 v8, 0, v84, vcc
	v_sub_u32_e32 v8, v8, v34
	v_cmp_ne_u32_e32 vcc, 0, v2
	v_lshl_add_u32 v17, v8, 6, v27
	s_and_b64 s[26:27], vcc, exec
.LBB23_1525:                            ;   in Loop: Header=BB23_47 Depth=1
	s_or_b64 exec, exec, s[54:55]
	s_and_saveexec_b64 s[28:29], s[26:27]
	s_cbranch_execz .LBB23_1602
.LBB23_1526:                            ;   in Loop: Header=BB23_47 Depth=1
	v_ashrrev_i32_e32 v8, 31, v17
	v_ashrrev_i32_e32 v9, 31, v2
	v_lshrrev_b32_e32 v8, 26, v8
	v_lshrrev_b32_e32 v9, 22, v9
	v_add_u32_e32 v8, v17, v8
	v_add_u32_e32 v9, v2, v9
	v_ashrrev_i32_e32 v18, 6, v8
	v_ashrrev_i32_e32 v20, 10, v9
	v_sub_u32_e32 v19, v20, v18
	v_cmp_lt_i32_e32 vcc, 0, v19
	s_and_saveexec_b64 s[40:41], vcc
	s_cbranch_execz .LBB23_1594
; %bb.1527:                             ;   in Loop: Header=BB23_47 Depth=1
	v_and_b32_e32 v8, 0x7fffffc0, v8
	s_trap 2
	ds_read_b64 v[10:11], v0
	v_sub_u32_e32 v8, v17, v8
	v_lshlrev_b32_e32 v8, 1, v8
	v_lshlrev_b32_e32 v9, 10, v18
	v_add3_u32 v12, v8, v16, v9
	s_and_b32 s76, s49, 1
	v_ashrrev_i32_e32 v13, 31, v12
	s_cmp_eq_u64 s[76:77], 0
	s_mov_b64 s[44:45], 0x380
	v_lshl_add_u64 v[8:9], v[12:13], 0, v[4:5]
	s_waitcnt lgkmcnt(0)
	v_lshl_add_u64 v[10:11], v[10:11], 0, v[12:13]
	s_mov_b64 s[42:43], 0
	s_cselect_b64 s[26:27], -1, 0
	v_lshl_add_u64 v[12:13], v[12:13], 0, s[44:45]
	s_branch .LBB23_1529
.LBB23_1528:                            ;   in Loop: Header=BB23_1529 Depth=2
	s_or_b64 exec, exec, s[44:45]
	v_sub_u32_e32 v19, v19, v84
	v_cmp_gt_i32_e32 vcc, 1, v19
	v_lshl_add_u64 v[8:9], v[8:9], 0, v[100:101]
	v_lshl_add_u64 v[10:11], v[10:11], 0, v[100:101]
	s_or_b64 s[42:43], vcc, s[42:43]
	v_lshl_add_u64 v[12:13], v[12:13], 0, v[46:47]
	flat_store_short_d16_hi v[14:15], v22 nt
	s_andn2_b64 exec, exec, s[42:43]
	s_cbranch_execz .LBB23_1593
.LBB23_1529:                            ;   Parent Loop BB23_47 Depth=1
                                        ; =>  This Inner Loop Header: Depth=2
	v_add_co_u32_e32 v14, vcc, 0xfffffc80, v12
                                        ; implicit-def: $vgpr55
	s_nop 1
	v_addc_co_u32_e32 v15, vcc, -1, v13, vcc
	v_add_co_u32_e32 v22, vcc, 0xfffffd00, v12
	flat_load_ushort v14, v[14:15] nt
	s_nop 0
	flat_load_ushort v82, v[8:9] offset:128 nt
	v_addc_co_u32_e32 v23, vcc, -1, v13, vcc
	flat_load_ushort v27, v[22:23] nt
	flat_load_ushort v54, v[8:9] offset:256 nt
	v_add_co_u32_e32 v22, vcc, 0xfffffd80, v12
	s_nop 1
	v_addc_co_u32_e32 v23, vcc, -1, v13, vcc
	flat_load_ushort v26, v[22:23] nt
	flat_load_ushort v51, v[8:9] offset:384 nt
	v_add_co_u32_e32 v22, vcc, 0xfffffe00, v12
	s_nop 1
	;; [unrolled: 5-line block ×4, first 2 shown]
	v_addc_co_u32_e32 v23, vcc, -1, v13, vcc
	v_add_co_u32_e32 v28, vcc, s70, v12
	flat_load_ushort v23, v[22:23] nt
	s_nop 0
	flat_load_ushort v33, v[8:9] offset:768 nt
	v_addc_co_u32_e32 v29, vcc, -1, v13, vcc
	flat_load_ushort v22, v[28:29] nt
	flat_load_ushort v15, v[8:9] offset:896 nt
	flat_load_ushort v21, v[12:13] nt
	flat_load_ushort v62, v[10:11] offset:128 nt
	s_nop 0
	flat_load_ushort v29, v[10:11] offset:256 nt
	flat_load_ushort v28, v[10:11] offset:384 nt
	;; [unrolled: 1-line block ×6, first 2 shown]
	flat_load_ushort v31, v[8:9] nt
	flat_load_ushort v48, v[10:11] nt
	s_waitcnt vmcnt(0) lgkmcnt(0)
	v_lshlrev_b32_e32 v31, 16, v31
	v_lshlrev_b32_e32 v48, 16, v48
	v_max_f32_e32 v48, v48, v48
	v_max_f32_e32 v31, v31, v31
	v_min_f32_e32 v49, v31, v48
	v_max_f32_e32 v31, v31, v48
	v_cndmask_b32_e64 v63, v31, v49, s[26:27]
	v_and_b32_e32 v31, 0x7f800000, v63
	v_cmp_ne_u32_e32 vcc, s97, v31
	s_and_saveexec_b64 s[44:45], vcc
	s_xor_b64 s[44:45], exec, s[44:45]
; %bb.1530:                             ;   in Loop: Header=BB23_1529 Depth=2
	v_bfe_u32 v31, v63, 16, 1
	v_add3_u32 v55, v63, v31, s74
                                        ; implicit-def: $vgpr63
; %bb.1531:                             ;   in Loop: Header=BB23_1529 Depth=2
	s_andn2_saveexec_b64 s[44:45], s[44:45]
; %bb.1532:                             ;   in Loop: Header=BB23_1529 Depth=2
	v_or_b32_e32 v31, 0x10000, v63
	v_cmp_eq_u32_sdwa vcc, v63, v3 src0_sel:WORD_0 src1_sel:DWORD
	s_nop 1
	v_cndmask_b32_e32 v55, v31, v63, vcc
; %bb.1533:                             ;   in Loop: Header=BB23_1529 Depth=2
	s_or_b64 exec, exec, s[44:45]
	v_lshlrev_b32_e32 v31, 16, v82
	v_lshlrev_b32_e32 v48, 16, v62
	v_max_f32_e32 v48, v48, v48
	v_max_f32_e32 v31, v31, v31
	v_min_f32_e32 v49, v31, v48
	v_max_f32_e32 v31, v31, v48
	v_cndmask_b32_e64 v62, v31, v49, s[26:27]
	v_and_b32_e32 v31, 0x7f800000, v62
	v_cmp_ne_u32_e32 vcc, s97, v31
                                        ; implicit-def: $vgpr82
	s_and_saveexec_b64 s[44:45], vcc
	s_xor_b64 s[44:45], exec, s[44:45]
; %bb.1534:                             ;   in Loop: Header=BB23_1529 Depth=2
	v_bfe_u32 v31, v62, 16, 1
	v_add3_u32 v82, v62, v31, s74
                                        ; implicit-def: $vgpr62
; %bb.1535:                             ;   in Loop: Header=BB23_1529 Depth=2
	s_andn2_saveexec_b64 s[44:45], s[44:45]
; %bb.1536:                             ;   in Loop: Header=BB23_1529 Depth=2
	v_or_b32_e32 v31, 0x10000, v62
	v_cmp_eq_u32_sdwa vcc, v62, v3 src0_sel:WORD_0 src1_sel:DWORD
	s_nop 1
	v_cndmask_b32_e32 v82, v31, v62, vcc
; %bb.1537:                             ;   in Loop: Header=BB23_1529 Depth=2
	s_or_b64 exec, exec, s[44:45]
	v_lshlrev_b32_e32 v31, 16, v54
	v_lshlrev_b32_e32 v29, 16, v29
	v_max_f32_e32 v29, v29, v29
	v_max_f32_e32 v31, v31, v31
	v_min_f32_e32 v48, v31, v29
	v_max_f32_e32 v29, v31, v29
	v_cndmask_b32_e64 v29, v29, v48, s[26:27]
	v_and_b32_e32 v31, 0x7f800000, v29
	v_cmp_ne_u32_e32 vcc, s97, v31
                                        ; implicit-def: $vgpr54
	s_and_saveexec_b64 s[44:45], vcc
	s_xor_b64 s[44:45], exec, s[44:45]
; %bb.1538:                             ;   in Loop: Header=BB23_1529 Depth=2
	v_bfe_u32 v31, v29, 16, 1
	v_add3_u32 v54, v29, v31, s74
                                        ; implicit-def: $vgpr29
; %bb.1539:                             ;   in Loop: Header=BB23_1529 Depth=2
	s_andn2_saveexec_b64 s[44:45], s[44:45]
; %bb.1540:                             ;   in Loop: Header=BB23_1529 Depth=2
	v_or_b32_e32 v31, 0x10000, v29
	v_cmp_eq_u32_sdwa vcc, v29, v3 src0_sel:WORD_0 src1_sel:DWORD
	s_nop 1
	v_cndmask_b32_e32 v54, v31, v29, vcc
; %bb.1541:                             ;   in Loop: Header=BB23_1529 Depth=2
	s_or_b64 exec, exec, s[44:45]
	v_lshlrev_b32_e32 v29, 16, v51
	v_lshlrev_b32_e32 v28, 16, v28
	v_max_f32_e32 v28, v28, v28
	v_max_f32_e32 v29, v29, v29
	v_min_f32_e32 v31, v29, v28
	v_max_f32_e32 v28, v29, v28
	v_cndmask_b32_e64 v28, v28, v31, s[26:27]
	v_and_b32_e32 v29, 0x7f800000, v28
	v_cmp_ne_u32_e32 vcc, s97, v29
                                        ; implicit-def: $vgpr51
	s_and_saveexec_b64 s[44:45], vcc
	s_xor_b64 s[44:45], exec, s[44:45]
; %bb.1542:                             ;   in Loop: Header=BB23_1529 Depth=2
	v_bfe_u32 v29, v28, 16, 1
	v_add3_u32 v51, v28, v29, s74
                                        ; implicit-def: $vgpr28
; %bb.1543:                             ;   in Loop: Header=BB23_1529 Depth=2
	s_andn2_saveexec_b64 s[44:45], s[44:45]
; %bb.1544:                             ;   in Loop: Header=BB23_1529 Depth=2
	v_or_b32_e32 v29, 0x10000, v28
	v_cmp_eq_u32_sdwa vcc, v28, v3 src0_sel:WORD_0 src1_sel:DWORD
	s_nop 1
	v_cndmask_b32_e32 v51, v29, v28, vcc
; %bb.1545:                             ;   in Loop: Header=BB23_1529 Depth=2
	s_or_b64 exec, exec, s[44:45]
	v_lshlrev_b32_e32 v28, 16, v50
	v_lshlrev_b32_e32 v29, 16, v99
	v_max_f32_e32 v29, v29, v29
	v_max_f32_e32 v28, v28, v28
	v_min_f32_e32 v31, v28, v29
	v_max_f32_e32 v28, v28, v29
	v_cndmask_b32_e64 v28, v28, v31, s[26:27]
	v_and_b32_e32 v29, 0x7f800000, v28
	v_cmp_ne_u32_e32 vcc, s97, v29
                                        ; implicit-def: $vgpr50
	s_and_saveexec_b64 s[44:45], vcc
	s_xor_b64 s[44:45], exec, s[44:45]
; %bb.1546:                             ;   in Loop: Header=BB23_1529 Depth=2
	v_bfe_u32 v29, v28, 16, 1
	v_add3_u32 v50, v28, v29, s74
                                        ; implicit-def: $vgpr28
; %bb.1547:                             ;   in Loop: Header=BB23_1529 Depth=2
	s_andn2_saveexec_b64 s[44:45], s[44:45]
; %bb.1548:                             ;   in Loop: Header=BB23_1529 Depth=2
	v_or_b32_e32 v29, 0x10000, v28
	v_cmp_eq_u32_sdwa vcc, v28, v3 src0_sel:WORD_0 src1_sel:DWORD
	s_nop 1
	v_cndmask_b32_e32 v50, v29, v28, vcc
; %bb.1549:                             ;   in Loop: Header=BB23_1529 Depth=2
	s_or_b64 exec, exec, s[44:45]
	v_lshlrev_b32_e32 v28, 16, v34
	v_lshlrev_b32_e32 v29, 16, v98
	v_max_f32_e32 v29, v29, v29
	v_max_f32_e32 v28, v28, v28
	v_min_f32_e32 v31, v28, v29
	v_max_f32_e32 v28, v28, v29
	v_cndmask_b32_e64 v28, v28, v31, s[26:27]
	v_and_b32_e32 v29, 0x7f800000, v28
	v_cmp_ne_u32_e32 vcc, s97, v29
                                        ; implicit-def: $vgpr34
	s_and_saveexec_b64 s[44:45], vcc
	s_xor_b64 s[44:45], exec, s[44:45]
; %bb.1550:                             ;   in Loop: Header=BB23_1529 Depth=2
	v_bfe_u32 v29, v28, 16, 1
	v_add3_u32 v34, v28, v29, s74
                                        ; implicit-def: $vgpr28
; %bb.1551:                             ;   in Loop: Header=BB23_1529 Depth=2
	s_andn2_saveexec_b64 s[44:45], s[44:45]
; %bb.1552:                             ;   in Loop: Header=BB23_1529 Depth=2
	v_or_b32_e32 v29, 0x10000, v28
	v_cmp_eq_u32_sdwa vcc, v28, v3 src0_sel:WORD_0 src1_sel:DWORD
	s_nop 1
	v_cndmask_b32_e32 v34, v29, v28, vcc
; %bb.1553:                             ;   in Loop: Header=BB23_1529 Depth=2
	s_or_b64 exec, exec, s[44:45]
	v_lshlrev_b32_e32 v28, 16, v33
	v_lshlrev_b32_e32 v29, 16, v35
	v_max_f32_e32 v29, v29, v29
	v_max_f32_e32 v28, v28, v28
	v_min_f32_e32 v31, v28, v29
	v_max_f32_e32 v28, v28, v29
	v_cndmask_b32_e64 v28, v28, v31, s[26:27]
	v_and_b32_e32 v29, 0x7f800000, v28
	v_cmp_ne_u32_e32 vcc, s97, v29
                                        ; implicit-def: $vgpr33
	s_and_saveexec_b64 s[44:45], vcc
	s_xor_b64 s[44:45], exec, s[44:45]
; %bb.1554:                             ;   in Loop: Header=BB23_1529 Depth=2
	v_bfe_u32 v29, v28, 16, 1
	v_add3_u32 v33, v28, v29, s74
                                        ; implicit-def: $vgpr28
; %bb.1555:                             ;   in Loop: Header=BB23_1529 Depth=2
	s_andn2_saveexec_b64 s[44:45], s[44:45]
; %bb.1556:                             ;   in Loop: Header=BB23_1529 Depth=2
	v_or_b32_e32 v29, 0x10000, v28
	v_cmp_eq_u32_sdwa vcc, v28, v3 src0_sel:WORD_0 src1_sel:DWORD
	s_nop 1
	v_cndmask_b32_e32 v33, v29, v28, vcc
; %bb.1557:                             ;   in Loop: Header=BB23_1529 Depth=2
	s_or_b64 exec, exec, s[44:45]
	v_lshlrev_b32_e32 v15, 16, v15
	v_lshlrev_b32_e32 v28, 16, v32
	v_max_f32_e32 v28, v28, v28
	v_max_f32_e32 v15, v15, v15
	v_min_f32_e32 v29, v15, v28
	v_max_f32_e32 v15, v15, v28
	v_cndmask_b32_e64 v15, v15, v29, s[26:27]
	v_and_b32_e32 v28, 0x7f800000, v15
	v_cmp_ne_u32_e32 vcc, s97, v28
                                        ; implicit-def: $vgpr32
	s_and_saveexec_b64 s[44:45], vcc
	s_xor_b64 s[44:45], exec, s[44:45]
; %bb.1558:                             ;   in Loop: Header=BB23_1529 Depth=2
	v_bfe_u32 v28, v15, 16, 1
	v_add3_u32 v32, v15, v28, s74
                                        ; implicit-def: $vgpr15
; %bb.1559:                             ;   in Loop: Header=BB23_1529 Depth=2
	s_andn2_saveexec_b64 s[44:45], s[44:45]
; %bb.1560:                             ;   in Loop: Header=BB23_1529 Depth=2
	v_or_b32_e32 v28, 0x10000, v15
	v_cmp_eq_u32_sdwa vcc, v15, v3 src0_sel:WORD_0 src1_sel:DWORD
	s_nop 1
	v_cndmask_b32_e32 v32, v28, v15, vcc
; %bb.1561:                             ;   in Loop: Header=BB23_1529 Depth=2
	s_or_b64 exec, exec, s[44:45]
	v_and_b32_e32 v15, 0xffff0000, v55
	v_lshlrev_b32_e32 v14, 16, v14
	v_max_f32_e32 v15, v15, v15
	v_max_f32_e32 v14, v14, v14
	v_min_f32_e32 v28, v15, v14
	v_max_f32_e32 v14, v15, v14
	v_cndmask_b32_e64 v14, v14, v28, s[26:27]
	v_and_b32_e32 v15, 0x7f800000, v14
	v_cmp_ne_u32_e32 vcc, s97, v15
                                        ; implicit-def: $vgpr28
	s_and_saveexec_b64 s[44:45], vcc
	s_xor_b64 s[44:45], exec, s[44:45]
; %bb.1562:                             ;   in Loop: Header=BB23_1529 Depth=2
	v_bfe_u32 v15, v14, 16, 1
	v_add3_u32 v28, v14, v15, s74
                                        ; implicit-def: $vgpr14
; %bb.1563:                             ;   in Loop: Header=BB23_1529 Depth=2
	s_andn2_saveexec_b64 s[44:45], s[44:45]
; %bb.1564:                             ;   in Loop: Header=BB23_1529 Depth=2
	v_or_b32_e32 v15, 0x10000, v14
	v_cmp_eq_u32_sdwa vcc, v14, v3 src0_sel:WORD_0 src1_sel:DWORD
	s_nop 1
	v_cndmask_b32_e32 v28, v15, v14, vcc
; %bb.1565:                             ;   in Loop: Header=BB23_1529 Depth=2
	s_or_b64 exec, exec, s[44:45]
	v_lshl_add_u64 v[14:15], v[38:39], 0, v[12:13]
	v_add_co_u32_e32 v48, vcc, 0xfffffc80, v14
	v_and_b32_e32 v29, 0xffff0000, v82
	s_nop 0
	v_addc_co_u32_e32 v49, vcc, -1, v15, vcc
	v_lshlrev_b32_e32 v27, 16, v27
	flat_store_short_d16_hi v[48:49], v28 nt
	v_max_f32_e32 v28, v29, v29
	v_max_f32_e32 v27, v27, v27
	v_min_f32_e32 v29, v28, v27
	v_max_f32_e32 v27, v28, v27
	v_cndmask_b32_e64 v28, v27, v29, s[26:27]
	v_and_b32_e32 v27, 0x7f800000, v28
	v_cmp_ne_u32_e32 vcc, s97, v27
                                        ; implicit-def: $vgpr27
	s_and_saveexec_b64 s[44:45], vcc
	s_xor_b64 s[44:45], exec, s[44:45]
; %bb.1566:                             ;   in Loop: Header=BB23_1529 Depth=2
	v_bfe_u32 v27, v28, 16, 1
	v_add3_u32 v27, v28, v27, s74
                                        ; implicit-def: $vgpr28
; %bb.1567:                             ;   in Loop: Header=BB23_1529 Depth=2
	s_andn2_saveexec_b64 s[44:45], s[44:45]
; %bb.1568:                             ;   in Loop: Header=BB23_1529 Depth=2
	v_or_b32_e32 v27, 0x10000, v28
	v_cmp_eq_u32_sdwa vcc, v28, v3 src0_sel:WORD_0 src1_sel:DWORD
	s_nop 1
	v_cndmask_b32_e32 v27, v27, v28, vcc
; %bb.1569:                             ;   in Loop: Header=BB23_1529 Depth=2
	s_or_b64 exec, exec, s[44:45]
	v_add_co_u32_e32 v28, vcc, 0xfffffd00, v14
	v_and_b32_e32 v31, 0xffff0000, v54
	s_nop 0
	v_addc_co_u32_e32 v29, vcc, -1, v15, vcc
	v_lshlrev_b32_e32 v26, 16, v26
	flat_store_short_d16_hi v[28:29], v27 nt
	v_max_f32_e32 v27, v31, v31
	v_max_f32_e32 v26, v26, v26
	v_min_f32_e32 v28, v27, v26
	v_max_f32_e32 v26, v27, v26
	v_cndmask_b32_e64 v27, v26, v28, s[26:27]
	v_and_b32_e32 v26, 0x7f800000, v27
	v_cmp_ne_u32_e32 vcc, s97, v26
                                        ; implicit-def: $vgpr26
	s_and_saveexec_b64 s[44:45], vcc
	s_xor_b64 s[44:45], exec, s[44:45]
; %bb.1570:                             ;   in Loop: Header=BB23_1529 Depth=2
	v_bfe_u32 v26, v27, 16, 1
	v_add3_u32 v26, v27, v26, s74
                                        ; implicit-def: $vgpr27
; %bb.1571:                             ;   in Loop: Header=BB23_1529 Depth=2
	s_andn2_saveexec_b64 s[44:45], s[44:45]
; %bb.1572:                             ;   in Loop: Header=BB23_1529 Depth=2
	v_or_b32_e32 v26, 0x10000, v27
	v_cmp_eq_u32_sdwa vcc, v27, v3 src0_sel:WORD_0 src1_sel:DWORD
	s_nop 1
	v_cndmask_b32_e32 v26, v26, v27, vcc
; %bb.1573:                             ;   in Loop: Header=BB23_1529 Depth=2
	s_or_b64 exec, exec, s[44:45]
	v_add_co_u32_e32 v28, vcc, 0xfffffd80, v14
	v_and_b32_e32 v27, 0xffff0000, v51
	s_nop 0
	v_addc_co_u32_e32 v29, vcc, -1, v15, vcc
	v_lshlrev_b32_e32 v25, 16, v25
	flat_store_short_d16_hi v[28:29], v26 nt
	v_max_f32_e32 v26, v27, v27
	v_max_f32_e32 v25, v25, v25
	v_min_f32_e32 v27, v26, v25
	v_max_f32_e32 v25, v26, v25
	v_cndmask_b32_e64 v26, v25, v27, s[26:27]
	v_and_b32_e32 v25, 0x7f800000, v26
	v_cmp_ne_u32_e32 vcc, s97, v25
                                        ; implicit-def: $vgpr25
	s_and_saveexec_b64 s[44:45], vcc
	s_xor_b64 s[44:45], exec, s[44:45]
; %bb.1574:                             ;   in Loop: Header=BB23_1529 Depth=2
	v_bfe_u32 v25, v26, 16, 1
	v_add3_u32 v25, v26, v25, s74
                                        ; implicit-def: $vgpr26
; %bb.1575:                             ;   in Loop: Header=BB23_1529 Depth=2
	s_andn2_saveexec_b64 s[44:45], s[44:45]
; %bb.1576:                             ;   in Loop: Header=BB23_1529 Depth=2
	v_or_b32_e32 v25, 0x10000, v26
	v_cmp_eq_u32_sdwa vcc, v26, v3 src0_sel:WORD_0 src1_sel:DWORD
	s_nop 1
	v_cndmask_b32_e32 v25, v25, v26, vcc
; %bb.1577:                             ;   in Loop: Header=BB23_1529 Depth=2
	s_or_b64 exec, exec, s[44:45]
	v_add_co_u32_e32 v26, vcc, 0xfffffe00, v14
	v_and_b32_e32 v28, 0xffff0000, v50
	s_nop 0
	v_addc_co_u32_e32 v27, vcc, -1, v15, vcc
	v_lshlrev_b32_e32 v24, 16, v24
	flat_store_short_d16_hi v[26:27], v25 nt
	v_max_f32_e32 v25, v28, v28
	v_max_f32_e32 v24, v24, v24
	v_min_f32_e32 v26, v25, v24
	v_max_f32_e32 v24, v25, v24
	v_cndmask_b32_e64 v25, v24, v26, s[26:27]
	v_and_b32_e32 v24, 0x7f800000, v25
	v_cmp_ne_u32_e32 vcc, s97, v24
                                        ; implicit-def: $vgpr24
	s_and_saveexec_b64 s[44:45], vcc
	s_xor_b64 s[44:45], exec, s[44:45]
; %bb.1578:                             ;   in Loop: Header=BB23_1529 Depth=2
	v_bfe_u32 v24, v25, 16, 1
	v_add3_u32 v24, v25, v24, s74
                                        ; implicit-def: $vgpr25
; %bb.1579:                             ;   in Loop: Header=BB23_1529 Depth=2
	s_andn2_saveexec_b64 s[44:45], s[44:45]
; %bb.1580:                             ;   in Loop: Header=BB23_1529 Depth=2
	v_or_b32_e32 v24, 0x10000, v25
	v_cmp_eq_u32_sdwa vcc, v25, v3 src0_sel:WORD_0 src1_sel:DWORD
	s_nop 1
	v_cndmask_b32_e32 v24, v24, v25, vcc
; %bb.1581:                             ;   in Loop: Header=BB23_1529 Depth=2
	s_or_b64 exec, exec, s[44:45]
	v_add_co_u32_e32 v26, vcc, 0xfffffe80, v14
	v_and_b32_e32 v25, 0xffff0000, v34
	s_nop 0
	v_addc_co_u32_e32 v27, vcc, -1, v15, vcc
	v_lshlrev_b32_e32 v23, 16, v23
	flat_store_short_d16_hi v[26:27], v24 nt
	v_max_f32_e32 v24, v25, v25
	v_max_f32_e32 v23, v23, v23
	v_min_f32_e32 v25, v24, v23
	v_max_f32_e32 v23, v24, v23
	v_cndmask_b32_e64 v24, v23, v25, s[26:27]
	v_and_b32_e32 v23, 0x7f800000, v24
	v_cmp_ne_u32_e32 vcc, s97, v23
                                        ; implicit-def: $vgpr23
	s_and_saveexec_b64 s[44:45], vcc
	s_xor_b64 s[44:45], exec, s[44:45]
; %bb.1582:                             ;   in Loop: Header=BB23_1529 Depth=2
	v_bfe_u32 v23, v24, 16, 1
	v_add3_u32 v23, v24, v23, s74
                                        ; implicit-def: $vgpr24
; %bb.1583:                             ;   in Loop: Header=BB23_1529 Depth=2
	s_andn2_saveexec_b64 s[44:45], s[44:45]
; %bb.1584:                             ;   in Loop: Header=BB23_1529 Depth=2
	v_or_b32_e32 v23, 0x10000, v24
	v_cmp_eq_u32_sdwa vcc, v24, v3 src0_sel:WORD_0 src1_sel:DWORD
	s_nop 1
	v_cndmask_b32_e32 v23, v23, v24, vcc
; %bb.1585:                             ;   in Loop: Header=BB23_1529 Depth=2
	s_or_b64 exec, exec, s[44:45]
	v_add_co_u32_e32 v24, vcc, 0xffffff00, v14
	v_and_b32_e32 v26, 0xffff0000, v33
	s_nop 0
	v_addc_co_u32_e32 v25, vcc, -1, v15, vcc
	v_lshlrev_b32_e32 v22, 16, v22
	flat_store_short_d16_hi v[24:25], v23 nt
	v_max_f32_e32 v23, v26, v26
	v_max_f32_e32 v22, v22, v22
	v_min_f32_e32 v24, v23, v22
	v_max_f32_e32 v22, v23, v22
	v_cndmask_b32_e64 v23, v22, v24, s[26:27]
	v_and_b32_e32 v22, 0x7f800000, v23
	v_cmp_ne_u32_e32 vcc, s97, v22
                                        ; implicit-def: $vgpr22
	s_and_saveexec_b64 s[44:45], vcc
	s_xor_b64 s[44:45], exec, s[44:45]
; %bb.1586:                             ;   in Loop: Header=BB23_1529 Depth=2
	v_bfe_u32 v22, v23, 16, 1
	v_add3_u32 v22, v23, v22, s74
                                        ; implicit-def: $vgpr23
; %bb.1587:                             ;   in Loop: Header=BB23_1529 Depth=2
	s_andn2_saveexec_b64 s[44:45], s[44:45]
; %bb.1588:                             ;   in Loop: Header=BB23_1529 Depth=2
	v_or_b32_e32 v22, 0x10000, v23
	v_cmp_eq_u32_sdwa vcc, v23, v3 src0_sel:WORD_0 src1_sel:DWORD
	s_nop 1
	v_cndmask_b32_e32 v22, v22, v23, vcc
; %bb.1589:                             ;   in Loop: Header=BB23_1529 Depth=2
	s_or_b64 exec, exec, s[44:45]
	v_add_co_u32_e32 v24, vcc, 0xffffff80, v14
	v_and_b32_e32 v23, 0xffff0000, v32
	s_nop 0
	v_addc_co_u32_e32 v25, vcc, -1, v15, vcc
	v_lshlrev_b32_e32 v21, 16, v21
	flat_store_short_d16_hi v[24:25], v22 nt
	v_max_f32_e32 v22, v23, v23
	v_max_f32_e32 v21, v21, v21
	v_min_f32_e32 v23, v22, v21
	v_max_f32_e32 v21, v22, v21
	v_cndmask_b32_e64 v21, v21, v23, s[26:27]
	v_and_b32_e32 v22, 0x7f800000, v21
	v_cmp_ne_u32_e32 vcc, s97, v22
                                        ; implicit-def: $vgpr22
	s_and_saveexec_b64 s[44:45], vcc
	s_xor_b64 s[44:45], exec, s[44:45]
; %bb.1590:                             ;   in Loop: Header=BB23_1529 Depth=2
	v_bfe_u32 v22, v21, 16, 1
	v_add3_u32 v22, v21, v22, s74
                                        ; implicit-def: $vgpr21
; %bb.1591:                             ;   in Loop: Header=BB23_1529 Depth=2
	s_andn2_saveexec_b64 s[44:45], s[44:45]
	s_cbranch_execz .LBB23_1528
; %bb.1592:                             ;   in Loop: Header=BB23_1529 Depth=2
	v_or_b32_e32 v22, 0x10000, v21
	v_cmp_eq_u32_sdwa vcc, v21, v3 src0_sel:WORD_0 src1_sel:DWORD
	s_nop 1
	v_cndmask_b32_e32 v22, v22, v21, vcc
	s_branch .LBB23_1528
.LBB23_1593:                            ;   in Loop: Header=BB23_47 Depth=1
	s_or_b64 exec, exec, s[42:43]
.LBB23_1594:                            ;   in Loop: Header=BB23_47 Depth=1
	s_or_b64 exec, exec, s[40:41]
	v_lshlrev_b32_e32 v8, 10, v20
	v_cmp_ne_u32_e32 vcc, v2, v8
	s_and_b64 exec, exec, vcc
	s_cbranch_execz .LBB23_1602
; %bb.1595:                             ;   in Loop: Header=BB23_47 Depth=1
	v_lshlrev_b32_e32 v9, 6, v18
	v_sub_u32_e32 v9, v17, v9
	v_lshlrev_b32_e32 v10, 6, v19
	v_sub_u32_e32 v9, v9, v10
	v_ashrrev_i32_e32 v10, 31, v9
	v_lshrrev_b32_e32 v10, 26, v10
	v_add_u32_e32 v10, v9, v10
	v_and_b32_e32 v11, 0x7fffffc0, v10
	v_sub_u32_e32 v9, v9, v11
	v_lshlrev_b32_e32 v10, 1, v10
	v_and_b32_e32 v10, 0xffffff80, v10
	v_lshlrev_b32_e32 v9, 1, v9
	v_add3_u32 v8, v10, v9, v8
	v_sub_u32_e32 v2, v2, v8
	v_cmp_lt_i32_e32 vcc, 1, v2
	s_and_b64 exec, exec, vcc
	s_cbranch_execz .LBB23_1602
; %bb.1596:                             ;   in Loop: Header=BB23_47 Depth=1
	s_trap 2
	ds_read_b64 v[12:13], v0
	v_add_u32_e32 v8, v8, v16
	s_and_b32 s76, s49, 1
	v_ashrrev_i32_e32 v9, 31, v8
	s_cmp_eq_u64 s[76:77], 0
	v_lshl_add_u64 v[10:11], v[8:9], 0, v[4:5]
	s_waitcnt lgkmcnt(0)
	v_lshl_add_u64 v[12:13], v[12:13], 0, v[8:9]
	s_mov_b64 s[40:41], 0
	s_cselect_b64 vcc, -1, 0
	s_branch .LBB23_1598
.LBB23_1597:                            ;   in Loop: Header=BB23_1598 Depth=2
	s_or_b64 exec, exec, s[42:43]
	v_and_b32_e32 v15, 0xffff0000, v16
	v_lshlrev_b32_e32 v14, 16, v14
	v_max_f32_e32 v15, v15, v15
	v_max_f32_e32 v14, v14, v14
	v_min_f32_e32 v16, v15, v14
	v_max_f32_e32 v14, v15, v14
	v_cndmask_b32_e32 v14, v14, v16, vcc
	v_and_b32_e32 v15, 0x7f800000, v14
	v_bfe_u32 v16, v14, 16, 1
	v_or_b32_e32 v17, 0x10000, v14
	v_cmp_eq_u32_sdwa s[26:27], v14, v3 src0_sel:WORD_0 src1_sel:DWORD
	v_add3_u32 v16, v14, v16, s74
	v_sub_u32_e32 v2, v2, v114
	v_cndmask_b32_e64 v14, v17, v14, s[26:27]
	v_cmp_eq_u32_e64 s[26:27], s97, v15
	v_lshl_add_u64 v[4:5], v[38:39], 0, v[8:9]
	v_lshl_add_u64 v[10:11], v[10:11], 0, v[114:115]
	v_cndmask_b32_e64 v14, v16, v14, s[26:27]
	v_cmp_gt_i32_e64 s[26:27], 2, v2
	v_lshl_add_u64 v[12:13], v[12:13], 0, v[114:115]
	s_or_b64 s[40:41], s[26:27], s[40:41]
	v_lshl_add_u64 v[8:9], v[8:9], 0, v[114:115]
	flat_store_short_d16_hi v[4:5], v14 nt
	s_andn2_b64 exec, exec, s[40:41]
	s_cbranch_execz .LBB23_1602
.LBB23_1598:                            ;   Parent Loop BB23_47 Depth=1
                                        ; =>  This Inner Loop Header: Depth=2
	flat_load_ushort v4, v[12:13] nt
	flat_load_ushort v5, v[10:11] nt
	;; [unrolled: 1-line block ×3, first 2 shown]
                                        ; implicit-def: $vgpr16
	s_waitcnt vmcnt(0) lgkmcnt(0)
	v_lshlrev_b32_e32 v4, 16, v4
	v_lshlrev_b32_e32 v5, 16, v5
	v_max_f32_e32 v4, v4, v4
	v_max_f32_e32 v5, v5, v5
	v_min_f32_e32 v15, v5, v4
	v_max_f32_e32 v4, v5, v4
	v_cndmask_b32_e32 v15, v4, v15, vcc
	v_and_b32_e32 v4, 0x7f800000, v15
	v_cmp_ne_u32_e64 s[26:27], s97, v4
	s_and_saveexec_b64 s[42:43], s[26:27]
	s_xor_b64 s[26:27], exec, s[42:43]
; %bb.1599:                             ;   in Loop: Header=BB23_1598 Depth=2
	v_bfe_u32 v4, v15, 16, 1
	v_add3_u32 v16, v15, v4, s74
                                        ; implicit-def: $vgpr15
; %bb.1600:                             ;   in Loop: Header=BB23_1598 Depth=2
	s_andn2_saveexec_b64 s[42:43], s[26:27]
	s_cbranch_execz .LBB23_1597
; %bb.1601:                             ;   in Loop: Header=BB23_1598 Depth=2
	v_or_b32_e32 v4, 0x10000, v15
	v_cmp_eq_u32_sdwa s[26:27], v15, v3 src0_sel:WORD_0 src1_sel:DWORD
	s_nop 1
	v_cndmask_b32_e64 v16, v4, v15, s[26:27]
	s_branch .LBB23_1597
.LBB23_1602:                            ;   in Loop: Header=BB23_47 Depth=1
	s_or_b64 exec, exec, s[28:29]
	v_cmp_lt_i32_e64 s[26:27], 0, v37
	s_and_saveexec_b64 s[28:29], s[6:7]
	s_cbranch_execz .LBB23_1621
.LBB23_1603:                            ;   in Loop: Header=BB23_47 Depth=1
	s_and_saveexec_b64 s[40:41], s[78:79]
	s_xor_b64 s[40:41], exec, s[40:41]
	s_cbranch_execz .LBB23_1618
; %bb.1604:                             ;   in Loop: Header=BB23_47 Depth=1
	s_and_saveexec_b64 s[42:43], s[14:15]
	s_cbranch_execz .LBB23_1617
; %bb.1605:                             ;   in Loop: Header=BB23_47 Depth=1
	s_mov_b64 s[46:47], exec
	v_mbcnt_lo_u32_b32 v2, s46, 0
	v_mbcnt_hi_u32_b32 v2, s47, v2
	v_cmp_eq_u32_e32 vcc, 0, v2
	s_waitcnt lgkmcnt(0)
	s_and_saveexec_b64 s[44:45], vcc
	s_cbranch_execz .LBB23_1607
; %bb.1606:                             ;   in Loop: Header=BB23_47 Depth=1
	s_bcnt1_i32_b64 s46, s[46:47]
	v_mov_b32_e32 v2, s46
	ds_add_u64 v0, v[2:3]
	s_trap 2
.LBB23_1607:                            ;   in Loop: Header=BB23_47 Depth=1
	s_or_b64 exec, exec, s[44:45]
	s_trap 2
	ds_read_b64 v[4:5], v0
	s_waitcnt lgkmcnt(0)
	v_lshl_add_u64 v[80:81], v[80:81], 0, v[84:85]
	v_cmp_lt_u64_e32 vcc, v[4:5], v[80:81]
	s_and_saveexec_b64 s[44:45], vcc
	s_cbranch_execz .LBB23_1616
; %bb.1608:                             ;   in Loop: Header=BB23_47 Depth=1
	s_mov_b32 s76, 0
	s_mov_b64 s[46:47], 0
                                        ; implicit-def: $sgpr56_sgpr57
                                        ; implicit-def: $sgpr58_sgpr59
	s_branch .LBB23_1610
.LBB23_1609:                            ;   in Loop: Header=BB23_1610 Depth=2
	s_or_b64 exec, exec, s[62:63]
	s_and_b64 s[60:61], exec, vcc
	s_or_b64 s[46:47], s[60:61], s[46:47]
	s_andn2_b64 s[56:57], s[56:57], exec
	s_and_b64 s[60:61], s[58:59], exec
	s_or_b64 s[56:57], s[56:57], s[60:61]
	s_andn2_b64 exec, exec, s[46:47]
	s_cbranch_execz .LBB23_1614
.LBB23_1610:                            ;   Parent Loop BB23_47 Depth=1
                                        ; =>  This Inner Loop Header: Depth=2
	s_add_i32 s76, s76, 1
	s_cmpk_lg_i32 s76, 0x2710
	s_cselect_b64 s[60:61], -1, 0
	s_and_b64 vcc, exec, s[60:61]
	s_cbranch_vccz .LBB23_1612
; %bb.1611:                             ;   in Loop: Header=BB23_1610 Depth=2
	s_mov_b64 vcc, -1
	s_or_b64 s[58:59], s[58:59], exec
	s_and_saveexec_b64 s[62:63], s[60:61]
	s_cbranch_execz .LBB23_1609
	s_branch .LBB23_1613
.LBB23_1612:                            ;   in Loop: Header=BB23_1610 Depth=2
	s_trap 2
	ds_read_b64 v[4:5], v0
	s_andn2_b64 s[60:61], s[60:61], exec
	s_mov_b32 s76, 0
	s_waitcnt vmcnt(0) lgkmcnt(0)
	flat_load_dword v2, v[4:5] sc0 sc1
	s_waitcnt vmcnt(0) lgkmcnt(0)
	buffer_inv sc0 sc1
	v_cmp_eq_u32_e32 vcc, 0, v2
	s_and_b64 s[62:63], vcc, exec
	s_or_b64 s[60:61], s[60:61], s[62:63]
	s_mov_b64 vcc, -1
	s_or_b64 s[58:59], s[58:59], exec
	s_and_saveexec_b64 s[62:63], s[60:61]
	s_cbranch_execz .LBB23_1609
.LBB23_1613:                            ;   in Loop: Header=BB23_1610 Depth=2
	s_sleep 1
	s_trap 2
	ds_read_b64 v[4:5], v0
	s_waitcnt lgkmcnt(0)
	s_andn2_b64 s[58:59], s[58:59], exec
	v_cmp_ge_u64_e32 vcc, v[4:5], v[80:81]
	s_orn2_b64 vcc, vcc, exec
	s_branch .LBB23_1609
.LBB23_1614:                            ;   in Loop: Header=BB23_47 Depth=1
	s_or_b64 exec, exec, s[46:47]
	s_and_saveexec_b64 s[46:47], s[56:57]
	s_xor_b64 s[46:47], exec, s[46:47]
	s_cbranch_execz .LBB23_1616
; %bb.1615:                             ;   in Loop: Header=BB23_47 Depth=1
	ds_write_b32 v0, v1
	s_trap 2
.LBB23_1616:                            ;   in Loop: Header=BB23_47 Depth=1
	s_or_b64 exec, exec, s[44:45]
	;;#ASMSTART
	s_wakeup
	;;#ASMEND
.LBB23_1617:                            ;   in Loop: Header=BB23_47 Depth=1
	s_or_b64 exec, exec, s[42:43]
.LBB23_1618:                            ;   in Loop: Header=BB23_47 Depth=1
	s_andn2_saveexec_b64 s[40:41], s[40:41]
	s_cbranch_execz .LBB23_1620
; %bb.1619:                             ;   in Loop: Header=BB23_47 Depth=1
	s_waitcnt lgkmcnt(0)
	s_barrier
.LBB23_1620:                            ;   in Loop: Header=BB23_47 Depth=1
	s_or_b64 exec, exec, s[40:41]
.LBB23_1621:                            ;   in Loop: Header=BB23_47 Depth=1
	s_or_b64 exec, exec, s[28:29]
	v_and_b32_e32 v8, 16, v110
	s_and_saveexec_b64 s[28:29], s[22:23]
	s_xor_b64 s[28:29], exec, s[28:29]
	s_cbranch_execz .LBB23_1625
; %bb.1622:                             ;   in Loop: Header=BB23_47 Depth=1
	v_and_b32_e32 v2, 16, v110
	v_cmp_ne_u32_e32 vcc, 0, v2
	v_and_b32_e32 v8, 16, v110
	s_and_b64 s[40:41], vcc, s[26:27]
	s_and_saveexec_b64 s[26:27], s[40:41]
	s_cbranch_execz .LBB23_1624
; %bb.1623:                             ;   in Loop: Header=BB23_47 Depth=1
	v_mov_b32_e32 v8, 1
	buffer_wbl2 sc1
	s_waitcnt vmcnt(0) lgkmcnt(0)
	buffer_inv sc1
.LBB23_1624:                            ;   in Loop: Header=BB23_47 Depth=1
	s_or_b64 exec, exec, s[26:27]
.LBB23_1625:                            ;   in Loop: Header=BB23_47 Depth=1
	s_andn2_saveexec_b64 s[26:27], s[28:29]
	s_cbranch_execz .LBB23_1644
; %bb.1626:                             ;   in Loop: Header=BB23_47 Depth=1
	s_and_saveexec_b64 s[28:29], s[78:79]
	s_xor_b64 s[28:29], exec, s[28:29]
	s_cbranch_execz .LBB23_1641
; %bb.1627:                             ;   in Loop: Header=BB23_47 Depth=1
	s_and_saveexec_b64 s[40:41], s[14:15]
	s_cbranch_execz .LBB23_1640
; %bb.1628:                             ;   in Loop: Header=BB23_47 Depth=1
	s_mov_b64 s[44:45], exec
	v_mbcnt_lo_u32_b32 v2, s44, 0
	v_mbcnt_hi_u32_b32 v2, s45, v2
	v_cmp_eq_u32_e32 vcc, 0, v2
	;;#ASMSTART
	s_waitcnt lgkmcnt(0) vmcnt(0)
	;;#ASMEND
	s_and_saveexec_b64 s[42:43], vcc
	s_cbranch_execz .LBB23_1630
; %bb.1629:                             ;   in Loop: Header=BB23_47 Depth=1
	s_bcnt1_i32_b64 s44, s[44:45]
	v_mov_b32_e32 v2, s44
	s_waitcnt lgkmcnt(0)
	ds_add_u64 v0, v[2:3]
	s_trap 2
.LBB23_1630:                            ;   in Loop: Header=BB23_47 Depth=1
	s_or_b64 exec, exec, s[42:43]
	s_trap 2
	ds_read_b64 v[4:5], v0
	s_waitcnt lgkmcnt(0)
	v_lshl_add_u64 v[80:81], v[80:81], 0, v[84:85]
	v_cmp_lt_u64_e32 vcc, v[4:5], v[80:81]
	s_and_saveexec_b64 s[42:43], vcc
	s_cbranch_execz .LBB23_1639
; %bb.1631:                             ;   in Loop: Header=BB23_47 Depth=1
	s_mov_b32 s76, 0
	s_mov_b64 s[44:45], 0
                                        ; implicit-def: $sgpr46_sgpr47
                                        ; implicit-def: $sgpr56_sgpr57
	s_branch .LBB23_1633
.LBB23_1632:                            ;   in Loop: Header=BB23_1633 Depth=2
	s_or_b64 exec, exec, s[60:61]
	s_and_b64 s[58:59], exec, s[62:63]
	s_or_b64 s[44:45], s[58:59], s[44:45]
	s_andn2_b64 s[46:47], s[46:47], exec
	s_and_b64 s[58:59], s[56:57], exec
	s_or_b64 s[46:47], s[46:47], s[58:59]
	s_andn2_b64 exec, exec, s[44:45]
	s_cbranch_execz .LBB23_1637
.LBB23_1633:                            ;   Parent Loop BB23_47 Depth=1
                                        ; =>  This Inner Loop Header: Depth=2
	s_add_i32 s76, s76, 1
	s_cmpk_lg_i32 s76, 0x2710
	s_cselect_b64 s[58:59], -1, 0
	s_and_b64 vcc, exec, s[58:59]
	s_cbranch_vccz .LBB23_1635
; %bb.1634:                             ;   in Loop: Header=BB23_1633 Depth=2
	s_mov_b64 s[62:63], -1
	s_or_b64 s[56:57], s[56:57], exec
	s_and_saveexec_b64 s[60:61], s[58:59]
	s_cbranch_execz .LBB23_1632
	s_branch .LBB23_1636
.LBB23_1635:                            ;   in Loop: Header=BB23_1633 Depth=2
	s_trap 2
	ds_read_b64 v[4:5], v0
	s_andn2_b64 s[58:59], s[58:59], exec
	s_mov_b32 s76, 0
	s_waitcnt vmcnt(0) lgkmcnt(0)
	flat_load_dword v2, v[4:5] sc0 sc1
	s_waitcnt vmcnt(0) lgkmcnt(0)
	buffer_inv sc0 sc1
	v_cmp_eq_u32_e32 vcc, 0, v2
	s_and_b64 s[60:61], vcc, exec
	s_or_b64 s[58:59], s[58:59], s[60:61]
	s_mov_b64 s[62:63], -1
	s_or_b64 s[56:57], s[56:57], exec
	s_and_saveexec_b64 s[60:61], s[58:59]
	s_cbranch_execz .LBB23_1632
.LBB23_1636:                            ;   in Loop: Header=BB23_1633 Depth=2
	s_sleep 1
	s_trap 2
	ds_read_b64 v[4:5], v0
	s_waitcnt lgkmcnt(0)
	s_andn2_b64 s[56:57], s[56:57], exec
	v_cmp_ge_u64_e32 vcc, v[4:5], v[80:81]
	s_orn2_b64 s[62:63], vcc, exec
	s_branch .LBB23_1632
.LBB23_1637:                            ;   in Loop: Header=BB23_47 Depth=1
	s_or_b64 exec, exec, s[44:45]
	s_and_saveexec_b64 s[44:45], s[46:47]
	s_xor_b64 s[44:45], exec, s[44:45]
	s_cbranch_execz .LBB23_1639
; %bb.1638:                             ;   in Loop: Header=BB23_47 Depth=1
	ds_write_b32 v0, v1
	s_trap 2
.LBB23_1639:                            ;   in Loop: Header=BB23_47 Depth=1
	s_or_b64 exec, exec, s[42:43]
	;;#ASMSTART
	s_wakeup
	;;#ASMEND
.LBB23_1640:                            ;   in Loop: Header=BB23_47 Depth=1
	s_or_b64 exec, exec, s[40:41]
.LBB23_1641:                            ;   in Loop: Header=BB23_47 Depth=1
	s_andn2_saveexec_b64 s[28:29], s[28:29]
	s_cbranch_execz .LBB23_1643
; %bb.1642:                             ;   in Loop: Header=BB23_47 Depth=1
	;;#ASMSTART
	s_waitcnt lgkmcnt(0) vmcnt(0)
	;;#ASMEND
	s_barrier
.LBB23_1643:                            ;   in Loop: Header=BB23_47 Depth=1
	s_or_b64 exec, exec, s[28:29]
.LBB23_1644:                            ;   in Loop: Header=BB23_47 Depth=1
	s_or_b64 exec, exec, s[26:27]
	v_cmp_ne_u32_e32 vcc, 0, v8
	s_xor_b64 s[26:27], s[10:11], -1
	s_and_b64 s[28:29], vcc, s[26:27]
	s_and_saveexec_b64 s[26:27], s[28:29]
	s_cbranch_execz .LBB23_1646
; %bb.1645:                             ;   in Loop: Header=BB23_47 Depth=1
	flat_store_dword v[68:69], v1 sc0 sc1
.LBB23_1646:                            ;   in Loop: Header=BB23_47 Depth=1
	s_or_b64 exec, exec, s[26:27]
	v_and_b32_e32 v2, 48, v110
	v_cmp_ne_u32_e32 vcc, 0, v2
	s_and_saveexec_b64 s[26:27], vcc
	s_cbranch_execz .LBB23_1648
; %bb.1647:                             ;   in Loop: Header=BB23_47 Depth=1
	v_lshl_add_u64 v[76:77], v[76:77], 0, 4
	flat_store_dwordx2 v[64:65], v[76:77] sc0 sc1
.LBB23_1648:                            ;   in Loop: Header=BB23_47 Depth=1
	s_or_b64 exec, exec, s[26:27]
	v_mov_b32_e32 v2, v36
	s_or_b64 exec, exec, s[52:53]
	s_and_saveexec_b64 s[28:29], s[50:51]
	s_cbranch_execnz .LBB23_951
.LBB23_1649:                            ;   in Loop: Header=BB23_47 Depth=1
	s_or_b64 exec, exec, s[28:29]
	s_and_b64 vcc, exec, s[24:25]
	s_cbranch_vccnz .LBB23_2158
.LBB23_1650:                            ;   in Loop: Header=BB23_47 Depth=1
	s_mov_b32 s49, 1
.LBB23_1651:                            ;   Parent Loop BB23_47 Depth=1
                                        ; =>  This Loop Header: Depth=2
                                        ;       Child Loop BB23_1664 Depth 3
                                        ;       Child Loop BB23_1704 Depth 3
	;; [unrolled: 1-line block ×9, first 2 shown]
                                        ;         Child Loop BB23_1880 Depth 4
                                        ;       Child Loop BB23_1888 Depth 3
                                        ;       Child Loop BB23_1924 Depth 3
                                        ;         Child Loop BB23_1925 Depth 4
                                        ;       Child Loop BB23_2121 Depth 3
                                        ;       Child Loop BB23_2140 Depth 3
	;; [unrolled: 1-line block ×5, first 2 shown]
	s_sub_i32 s24, s71, s49
	s_cmp_ge_i32 s24, s68
	s_cselect_b32 s25, s68, 0
	s_sub_i32 s24, s24, s25
	s_ashr_i32 s25, s24, 31
	v_mul_lo_u32 v2, v74, s25
	v_mul_lo_u32 v4, v75, s24
	v_mad_u64_u32 v[8:9], s[24:25], v74, s24, 0
	v_add3_u32 v9, v9, v2, v4
	v_sub_co_u32_e32 v4, vcc, v78, v8
	s_nop 1
	v_subb_co_u32_e32 v5, vcc, v79, v9, vcc
	v_cmp_lt_i64_e32 vcc, v[74:75], v[4:5]
	s_nop 1
	v_cndmask_b32_e32 v2, v4, v74, vcc
	v_max_i32_e32 v53, 0, v2
	v_add_u32_e32 v4, 15, v53
	v_ashrrev_i32_e32 v5, 31, v4
	v_lshrrev_b32_e32 v5, 28, v5
	v_add_u32_e32 v4, v4, v5
	v_cmp_gt_i32_e32 vcc, 1, v2
	v_and_b32_e32 v4, -16, v4
	s_or_b64 s[62:63], s[2:3], vcc
	v_max_i32_e32 v90, s82, v4
	s_xor_b64 s[24:25], s[62:63], -1
	v_mov_b32_e32 v2, 0
	s_and_saveexec_b64 s[50:51], s[24:25]
	s_cbranch_execz .LBB23_1657
; %bb.1652:                             ;   in Loop: Header=BB23_1651 Depth=2
	s_and_saveexec_b64 s[24:25], s[0:1]
	s_cbranch_execz .LBB23_1654
; %bb.1653:                             ;   in Loop: Header=BB23_1651 Depth=2
	s_trap 2
	ds_read_b128 v[10:13], v0
	v_lshl_add_u64 v[4:5], v[8:9], 0, v[88:89]
	v_lshlrev_b64 v[4:5], 1, v[4:5]
	s_waitcnt lgkmcnt(0)
	v_lshl_add_u64 v[8:9], v[10:11], 0, v[4:5]
	v_lshl_add_u64 v[4:5], v[12:13], 0, v[4:5]
	v_cmp_ne_u64_e32 vcc, 0, v[12:13]
	ds_write_b64 v0, v[8:9]
	s_nop 0
	v_cndmask_b32_e32 v5, 0, v5, vcc
	v_cndmask_b32_e32 v4, 0, v4, vcc
	ds_write_b64 v0, v[4:5]
.LBB23_1654:                            ;   in Loop: Header=BB23_1651 Depth=2
	s_or_b64 exec, exec, s[24:25]
	v_and_b32_e32 v2, 12, v110
	v_min_i32_e32 v90, v90, v53
	v_cmp_ne_u32_e32 vcc, 0, v2
	s_and_saveexec_b64 s[26:27], vcc
	s_cbranch_execz .LBB23_1696
; %bb.1655:                             ;   in Loop: Header=BB23_1651 Depth=2
	v_and_b32_e32 v2, 8, v110
	s_waitcnt vmcnt(0) lgkmcnt(0)
	v_lshl_add_u64 v[4:5], v[70:71], 0, v[2:3]
	v_lshl_add_u64 v[8:9], v[76:77], 0, 4
	v_cmp_lt_u64_e32 vcc, v[4:5], v[8:9]
	s_and_saveexec_b64 s[28:29], vcc
	s_cbranch_execz .LBB23_1683
; %bb.1656:                             ;   in Loop: Header=BB23_1651 Depth=2
	v_and_b32_e32 v4, 64, v110
	s_mov_b32 s76, 0
	v_cmp_eq_u32_e32 vcc, 0, v4
	s_mov_b64 s[40:41], 0
                                        ; implicit-def: $sgpr42_sgpr43
                                        ; implicit-def: $sgpr44_sgpr45
                                        ; implicit-def: $sgpr46_sgpr47
	s_branch .LBB23_1664
.LBB23_1657:                            ;   in Loop: Header=BB23_1651 Depth=2
	s_or_b64 exec, exec, s[50:51]
	s_and_saveexec_b64 s[26:27], s[62:63]
	s_cbranch_execz .LBB23_2156
.LBB23_1658:                            ;   in Loop: Header=BB23_1651 Depth=2
	v_sub_u32_e32 v2, v53, v2
	v_min_i32_e32 v8, v90, v2
	v_and_b32_e32 v2, 12, v110
	v_cmp_ne_u32_e32 vcc, 0, v2
	s_and_saveexec_b64 s[28:29], vcc
	s_cbranch_execz .LBB23_1675
; %bb.1659:                             ;   in Loop: Header=BB23_1651 Depth=2
	v_and_b32_e32 v2, 8, v110
	s_waitcnt vmcnt(0) lgkmcnt(0)
	v_lshl_add_u64 v[4:5], v[70:71], 0, v[2:3]
	v_lshl_add_u64 v[10:11], v[76:77], 0, 4
	v_cmp_lt_u64_e32 vcc, v[4:5], v[10:11]
	s_and_saveexec_b64 s[40:41], vcc
	s_cbranch_execz .LBB23_1711
; %bb.1660:                             ;   in Loop: Header=BB23_1651 Depth=2
	v_and_b32_e32 v4, 64, v110
	s_mov_b32 s76, 0
	v_cmp_eq_u32_e32 vcc, 0, v4
	s_mov_b64 s[42:43], 0
                                        ; implicit-def: $sgpr44_sgpr45
                                        ; implicit-def: $sgpr46_sgpr47
                                        ; implicit-def: $sgpr56_sgpr57
	s_branch .LBB23_1671
.LBB23_1661:                            ;   in Loop: Header=BB23_1664 Depth=3
	s_waitcnt vmcnt(0) lgkmcnt(0)
	v_lshl_add_u64 v[4:5], v[70:71], 0, v[2:3]
	v_cmp_ge_u64_e64 s[24:25], v[4:5], v[8:9]
	s_or_b64 s[60:61], s[60:61], exec
	s_orn2_b64 s[58:59], s[24:25], exec
.LBB23_1662:                            ;   in Loop: Header=BB23_1664 Depth=3
	s_or_b64 exec, exec, s[54:55]
	s_andn2_b64 s[24:25], s[46:47], exec
	s_and_b64 s[46:47], s[60:61], exec
	s_or_b64 s[46:47], s[24:25], s[46:47]
	s_andn2_b64 s[24:25], s[44:45], exec
	s_and_b64 s[44:45], s[58:59], exec
	s_or_b64 s[44:45], s[24:25], s[44:45]
.LBB23_1663:                            ;   in Loop: Header=BB23_1664 Depth=3
	s_or_b64 exec, exec, s[56:57]
	s_and_b64 s[24:25], exec, s[44:45]
	s_or_b64 s[40:41], s[24:25], s[40:41]
	s_andn2_b64 s[24:25], s[42:43], exec
	s_and_b64 s[42:43], s[46:47], exec
	s_or_b64 s[42:43], s[24:25], s[42:43]
	s_andn2_b64 exec, exec, s[40:41]
	s_cbranch_execz .LBB23_1680
.LBB23_1664:                            ;   Parent Loop BB23_47 Depth=1
                                        ;     Parent Loop BB23_1651 Depth=2
                                        ; =>    This Inner Loop Header: Depth=3
	s_sleep 1
	s_waitcnt vmcnt(0) lgkmcnt(0)
	flat_load_dwordx2 v[70:71], v[64:65] sc0 sc1
	s_or_b64 s[46:47], s[46:47], exec
	s_or_b64 s[44:45], s[44:45], exec
                                        ; implicit-def: $vgpr10
	s_and_saveexec_b64 s[56:57], vcc
	s_cbranch_execz .LBB23_1663
; %bb.1665:                             ;   in Loop: Header=BB23_1664 Depth=3
	s_cmpk_lt_i32 s76, 0x270f
	s_cselect_b64 s[52:53], -1, 0
	s_cmpk_gt_i32 s76, 0x270e
	s_mov_b64 s[58:59], -1
	s_cbranch_scc0 .LBB23_1667
; %bb.1666:                             ;   in Loop: Header=BB23_1664 Depth=3
	s_trap 2
	ds_read_b64 v[4:5], v0
	s_andn2_b64 s[52:53], s[52:53], exec
	s_mov_b32 s76, 0
	s_mov_b64 s[60:61], 0
	s_waitcnt vmcnt(0) lgkmcnt(0)
	flat_load_dword v10, v[4:5] sc0 sc1
	s_waitcnt vmcnt(0) lgkmcnt(0)
	buffer_inv sc0 sc1
	v_cmp_eq_u32_e64 s[24:25], 0, v10
	s_and_b64 s[24:25], s[24:25], exec
	s_or_b64 s[52:53], s[52:53], s[24:25]
	s_and_saveexec_b64 s[54:55], s[52:53]
	s_cbranch_execz .LBB23_1662
	s_branch .LBB23_1661
.LBB23_1667:                            ;   in Loop: Header=BB23_1664 Depth=3
	s_add_i32 s76, s76, 1
	s_mov_b64 s[60:61], -1
                                        ; implicit-def: $vgpr10
	s_and_saveexec_b64 s[54:55], s[52:53]
	s_cbranch_execz .LBB23_1662
	s_branch .LBB23_1661
.LBB23_1668:                            ;   in Loop: Header=BB23_1671 Depth=3
	s_waitcnt vmcnt(0) lgkmcnt(0)
	v_lshl_add_u64 v[4:5], v[70:71], 0, v[2:3]
	v_cmp_ge_u64_e64 s[24:25], v[4:5], v[10:11]
	s_or_b64 s[62:63], s[62:63], exec
	s_orn2_b64 s[60:61], s[24:25], exec
.LBB23_1669:                            ;   in Loop: Header=BB23_1671 Depth=3
	s_or_b64 exec, exec, s[52:53]
	s_andn2_b64 s[24:25], s[56:57], exec
	s_and_b64 s[56:57], s[62:63], exec
	s_or_b64 s[56:57], s[24:25], s[56:57]
	s_andn2_b64 s[24:25], s[46:47], exec
	s_and_b64 s[46:47], s[60:61], exec
	s_or_b64 s[46:47], s[24:25], s[46:47]
.LBB23_1670:                            ;   in Loop: Header=BB23_1671 Depth=3
	s_or_b64 exec, exec, s[58:59]
	s_and_b64 s[24:25], exec, s[46:47]
	s_or_b64 s[42:43], s[24:25], s[42:43]
	s_andn2_b64 s[24:25], s[44:45], exec
	s_and_b64 s[44:45], s[56:57], exec
	s_or_b64 s[44:45], s[24:25], s[44:45]
	s_andn2_b64 exec, exec, s[42:43]
	s_cbranch_execz .LBB23_1708
.LBB23_1671:                            ;   Parent Loop BB23_47 Depth=1
                                        ;     Parent Loop BB23_1651 Depth=2
                                        ; =>    This Inner Loop Header: Depth=3
	s_sleep 1
	s_waitcnt vmcnt(0) lgkmcnt(0)
	flat_load_dwordx2 v[70:71], v[64:65] sc0 sc1
	s_or_b64 s[56:57], s[56:57], exec
	s_or_b64 s[46:47], s[46:47], exec
                                        ; implicit-def: $vgpr9
	s_and_saveexec_b64 s[58:59], vcc
	s_cbranch_execz .LBB23_1670
; %bb.1672:                             ;   in Loop: Header=BB23_1671 Depth=3
	s_cmpk_lt_i32 s76, 0x270f
	s_cselect_b64 s[50:51], -1, 0
	s_cmpk_gt_i32 s76, 0x270e
	s_mov_b64 s[60:61], -1
	s_cbranch_scc0 .LBB23_1674
; %bb.1673:                             ;   in Loop: Header=BB23_1671 Depth=3
	s_trap 2
	ds_read_b64 v[4:5], v0
	s_andn2_b64 s[50:51], s[50:51], exec
	s_mov_b32 s76, 0
	s_mov_b64 s[62:63], 0
	s_waitcnt vmcnt(0) lgkmcnt(0)
	flat_load_dword v9, v[4:5] sc0 sc1
	s_waitcnt vmcnt(0) lgkmcnt(0)
	buffer_inv sc0 sc1
	v_cmp_eq_u32_e64 s[24:25], 0, v9
	s_and_b64 s[24:25], s[24:25], exec
	s_or_b64 s[50:51], s[50:51], s[24:25]
	s_and_saveexec_b64 s[52:53], s[50:51]
	s_cbranch_execz .LBB23_1669
	s_branch .LBB23_1668
.LBB23_1674:                            ;   in Loop: Header=BB23_1671 Depth=3
	s_add_i32 s76, s76, 1
	s_mov_b64 s[62:63], -1
                                        ; implicit-def: $vgpr9
	s_and_saveexec_b64 s[52:53], s[50:51]
	s_cbranch_execz .LBB23_1669
	s_branch .LBB23_1668
.LBB23_1675:                            ;   in Loop: Header=BB23_1651 Depth=2
	s_or_b64 exec, exec, s[28:29]
	s_and_saveexec_b64 s[24:25], s[6:7]
	s_cbranch_execnz .LBB23_1724
.LBB23_1676:                            ;   in Loop: Header=BB23_1651 Depth=2
	s_or_b64 exec, exec, s[24:25]
                                        ; implicit-def: $vgpr2
	s_and_saveexec_b64 s[24:25], s[22:23]
	s_xor_b64 s[24:25], exec, s[24:25]
	s_cbranch_execz .LBB23_1761
.LBB23_1677:                            ;   in Loop: Header=BB23_1651 Depth=2
	s_trap 2
	ds_read_b32 v4, v0
	v_cmp_lt_i32_e32 vcc, 0, v8
	v_and_b32_e32 v5, 16, v110
	v_and_b32_e32 v2, 16, v110
	s_waitcnt lgkmcnt(0)
	v_readfirstlane_b32 s28, v4
	s_cmp_eq_u32 s28, 0
	s_cselect_b64 s[28:29], -1, 0
	s_and_b64 s[28:29], vcc, s[28:29]
	v_cmp_ne_u32_e32 vcc, 0, v5
	s_and_b64 s[40:41], vcc, s[28:29]
	s_and_saveexec_b64 s[28:29], s[40:41]
	s_cbranch_execz .LBB23_1679
; %bb.1678:                             ;   in Loop: Header=BB23_1651 Depth=2
	v_mov_b32_e32 v2, 1
	buffer_wbl2 sc1
	s_waitcnt vmcnt(0)
	buffer_inv sc1
.LBB23_1679:                            ;   in Loop: Header=BB23_1651 Depth=2
	s_or_b64 exec, exec, s[28:29]
	s_andn2_saveexec_b64 s[24:25], s[24:25]
	s_cbranch_execz .LBB23_1870
	s_branch .LBB23_1762
.LBB23_1680:                            ;   in Loop: Header=BB23_1651 Depth=2
	s_or_b64 exec, exec, s[40:41]
	s_xor_b64 s[24:25], s[42:43], -1
	s_and_saveexec_b64 s[40:41], s[24:25]
	s_xor_b64 s[24:25], exec, s[40:41]
	s_cbranch_execz .LBB23_1682
; %bb.1681:                             ;   in Loop: Header=BB23_1651 Depth=2
	v_or_b32_e32 v110, 64, v110
	s_waitcnt lgkmcnt(0)
	ds_write_b32 v0, v10
	s_trap 2
.LBB23_1682:                            ;   in Loop: Header=BB23_1651 Depth=2
	s_or_b64 exec, exec, s[24:25]
.LBB23_1683:                            ;   in Loop: Header=BB23_1651 Depth=2
	s_or_b64 exec, exec, s[28:29]
	v_and_b32_e32 v4, 0x108, v110
	v_cmp_ne_u32_e32 vcc, s96, v4
	;;#ASMSTART
	s_wakeup
	;;#ASMEND
                                        ; implicit-def: $vgpr10_vgpr11
	s_and_saveexec_b64 s[24:25], vcc
	s_xor_b64 s[24:25], exec, s[24:25]
; %bb.1684:                             ;   in Loop: Header=BB23_1651 Depth=2
	v_and_b32_e32 v10, 7, v76
	v_mov_b32_e32 v11, v3
                                        ; implicit-def: $vgpr76_vgpr77
; %bb.1685:                             ;   in Loop: Header=BB23_1651 Depth=2
	s_andn2_saveexec_b64 s[24:25], s[24:25]
	s_cbranch_execz .LBB23_1687
; %bb.1686:                             ;   in Loop: Header=BB23_1651 Depth=2
	v_and_b32_e32 v10, 7, v76
	v_ashrrev_i32_e32 v91, 31, v90
	v_mov_b32_e32 v11, v3
	v_mad_u64_u32 v[4:5], s[28:29], v10, 24, v[6:7]
	v_lshlrev_b64 v[12:13], 1, v[90:91]
	flat_store_dwordx2 v[4:5], v[12:13] offset:8
.LBB23_1687:                            ;   in Loop: Header=BB23_1651 Depth=2
	s_or_b64 exec, exec, s[24:25]
	v_and_b32_e32 v4, 0x100, v110
	v_cmp_ne_u32_e32 vcc, 0, v4
	s_mov_b64 s[24:25], -1
                                        ; implicit-def: $vgpr12_vgpr13
	s_and_saveexec_b64 s[28:29], vcc
	s_cbranch_execz .LBB23_1691
; %bb.1688:                             ;   in Loop: Header=BB23_1651 Depth=2
	v_mad_u64_u32 v[14:15], s[24:25], v10, 24, v[6:7]
	v_mov_b32_e32 v4, v15
	v_mad_u64_u32 v[4:5], s[24:25], v11, 24, v[4:5]
	v_mov_b32_e32 v15, v4
	flat_load_dword v4, v[14:15]
                                        ; implicit-def: $vgpr12_vgpr13
	s_waitcnt vmcnt(0) lgkmcnt(0)
	v_cmp_ne_u32_e32 vcc, 1, v4
	v_cmp_eq_u32_e64 s[24:25], 1, v4
	s_and_saveexec_b64 s[40:41], s[24:25]
	s_cbranch_execz .LBB23_1690
; %bb.1689:                             ;   in Loop: Header=BB23_1651 Depth=2
	flat_load_dword v4, v[14:15] offset:4 sc0 sc1
	s_waitcnt vmcnt(0) lgkmcnt(0)
	v_ashrrev_i32_e32 v5, 31, v4
	v_lshrrev_b64 v[12:13], 1, v[4:5]
.LBB23_1690:                            ;   in Loop: Header=BB23_1651 Depth=2
	s_or_b64 exec, exec, s[40:41]
	s_orn2_b64 s[24:25], vcc, exec
.LBB23_1691:                            ;   in Loop: Header=BB23_1651 Depth=2
	s_or_b64 exec, exec, s[28:29]
	s_and_saveexec_b64 s[28:29], s[24:25]
; %bb.1692:                             ;   in Loop: Header=BB23_1651 Depth=2
	v_mul_lo_u32 v4, v11, v30
	v_mul_lo_u32 v5, v10, v83
	v_mad_u64_u32 v[12:13], s[24:25], v10, v30, 0
	v_add3_u32 v13, v13, v5, v4
; %bb.1693:                             ;   in Loop: Header=BB23_1651 Depth=2
	s_or_b64 exec, exec, s[28:29]
	v_cmp_eq_u32_e32 vcc, 0, v2
	v_lshl_add_u64 v[4:5], v[12:13], 1, v[66:67]
	s_nop 0
	v_cndmask_b32_e32 v2, v97, v52, vcc
	v_add_u32_e32 v2, v0, v2
	ds_write_b64 v2, v[4:5] offset:584
	v_and_b32_e32 v2, 0x2000, v110
	v_cmp_ne_u32_e32 vcc, 0, v2
	s_and_saveexec_b64 s[24:25], vcc
	s_cbranch_execz .LBB23_1695
; %bb.1694:                             ;   in Loop: Header=BB23_1651 Depth=2
	ds_read_b64 v[4:5], v0 offset:872
	s_waitcnt lgkmcnt(0)
	v_lshl_add_u64 v[4:5], v[4:5], 0, 1
	ds_write_b64 v0, v[4:5] offset:872
.LBB23_1695:                            ;   in Loop: Header=BB23_1651 Depth=2
	s_or_b64 exec, exec, s[24:25]
	v_mov_b64_e32 v[76:77], v[8:9]
.LBB23_1696:                            ;   in Loop: Header=BB23_1651 Depth=2
	s_or_b64 exec, exec, s[26:27]
	s_and_saveexec_b64 s[24:25], s[6:7]
	s_cbranch_execz .LBB23_1742
; %bb.1697:                             ;   in Loop: Header=BB23_1651 Depth=2
	s_and_saveexec_b64 s[26:27], s[78:79]
	s_xor_b64 s[26:27], exec, s[26:27]
	s_cbranch_execz .LBB23_1739
; %bb.1698:                             ;   in Loop: Header=BB23_1651 Depth=2
	s_and_saveexec_b64 s[28:29], s[14:15]
	s_cbranch_execz .LBB23_1738
; %bb.1699:                             ;   in Loop: Header=BB23_1651 Depth=2
	s_mov_b64 s[42:43], exec
	v_mbcnt_lo_u32_b32 v2, s42, 0
	v_mbcnt_hi_u32_b32 v2, s43, v2
	v_cmp_eq_u32_e32 vcc, 0, v2
	s_waitcnt lgkmcnt(0)
	s_and_saveexec_b64 s[40:41], vcc
	s_cbranch_execz .LBB23_1701
; %bb.1700:                             ;   in Loop: Header=BB23_1651 Depth=2
	s_bcnt1_i32_b64 s42, s[42:43]
	v_mov_b32_e32 v2, s42
	ds_add_u64 v0, v[2:3]
	s_trap 2
.LBB23_1701:                            ;   in Loop: Header=BB23_1651 Depth=2
	s_or_b64 exec, exec, s[40:41]
	s_trap 2
	ds_read_b64 v[4:5], v0
	s_waitcnt lgkmcnt(0)
	v_lshl_add_u64 v[80:81], v[80:81], 0, v[84:85]
	v_cmp_lt_u64_e32 vcc, v[4:5], v[80:81]
	s_and_saveexec_b64 s[40:41], vcc
	s_cbranch_execz .LBB23_1737
; %bb.1702:                             ;   in Loop: Header=BB23_1651 Depth=2
	s_mov_b32 s76, 0
	s_mov_b64 s[42:43], 0
                                        ; implicit-def: $sgpr44_sgpr45
                                        ; implicit-def: $sgpr46_sgpr47
	s_branch .LBB23_1704
.LBB23_1703:                            ;   in Loop: Header=BB23_1704 Depth=3
	s_or_b64 exec, exec, s[58:59]
	s_and_b64 s[56:57], exec, s[60:61]
	s_or_b64 s[42:43], s[56:57], s[42:43]
	s_andn2_b64 s[44:45], s[44:45], exec
	s_and_b64 s[56:57], s[46:47], exec
	s_or_b64 s[44:45], s[44:45], s[56:57]
	s_andn2_b64 exec, exec, s[42:43]
	s_cbranch_execz .LBB23_1735
.LBB23_1704:                            ;   Parent Loop BB23_47 Depth=1
                                        ;     Parent Loop BB23_1651 Depth=2
                                        ; =>    This Inner Loop Header: Depth=3
	s_add_i32 s76, s76, 1
	s_cmpk_lg_i32 s76, 0x2710
	s_cselect_b64 s[56:57], -1, 0
	s_and_b64 vcc, exec, s[56:57]
	s_cbranch_vccz .LBB23_1706
; %bb.1705:                             ;   in Loop: Header=BB23_1704 Depth=3
	s_mov_b64 s[60:61], -1
	s_or_b64 s[46:47], s[46:47], exec
	s_and_saveexec_b64 s[58:59], s[56:57]
	s_cbranch_execz .LBB23_1703
	s_branch .LBB23_1707
.LBB23_1706:                            ;   in Loop: Header=BB23_1704 Depth=3
	s_trap 2
	ds_read_b64 v[4:5], v0
	s_andn2_b64 s[56:57], s[56:57], exec
	s_mov_b32 s76, 0
	s_waitcnt vmcnt(0) lgkmcnt(0)
	flat_load_dword v2, v[4:5] sc0 sc1
	s_waitcnt vmcnt(0) lgkmcnt(0)
	buffer_inv sc0 sc1
	v_cmp_eq_u32_e32 vcc, 0, v2
	s_and_b64 s[58:59], vcc, exec
	s_or_b64 s[56:57], s[56:57], s[58:59]
	s_mov_b64 s[60:61], -1
	s_or_b64 s[46:47], s[46:47], exec
	s_and_saveexec_b64 s[58:59], s[56:57]
	s_cbranch_execz .LBB23_1703
.LBB23_1707:                            ;   in Loop: Header=BB23_1704 Depth=3
	s_sleep 1
	s_trap 2
	ds_read_b64 v[4:5], v0
	s_waitcnt lgkmcnt(0)
	s_andn2_b64 s[46:47], s[46:47], exec
	v_cmp_ge_u64_e32 vcc, v[4:5], v[80:81]
	s_orn2_b64 s[60:61], vcc, exec
	s_branch .LBB23_1703
.LBB23_1708:                            ;   in Loop: Header=BB23_1651 Depth=2
	s_or_b64 exec, exec, s[42:43]
	s_xor_b64 s[24:25], s[44:45], -1
	s_and_saveexec_b64 s[42:43], s[24:25]
	s_xor_b64 s[24:25], exec, s[42:43]
	s_cbranch_execz .LBB23_1710
; %bb.1709:                             ;   in Loop: Header=BB23_1651 Depth=2
	v_or_b32_e32 v110, 64, v110
	s_waitcnt lgkmcnt(0)
	ds_write_b32 v0, v9
	s_trap 2
.LBB23_1710:                            ;   in Loop: Header=BB23_1651 Depth=2
	s_or_b64 exec, exec, s[24:25]
.LBB23_1711:                            ;   in Loop: Header=BB23_1651 Depth=2
	s_or_b64 exec, exec, s[40:41]
	v_and_b32_e32 v4, 0x108, v110
	v_cmp_ne_u32_e32 vcc, s96, v4
	;;#ASMSTART
	s_wakeup
	;;#ASMEND
                                        ; implicit-def: $vgpr12_vgpr13
	s_and_saveexec_b64 s[24:25], vcc
	s_xor_b64 s[24:25], exec, s[24:25]
; %bb.1712:                             ;   in Loop: Header=BB23_1651 Depth=2
	v_and_b32_e32 v12, 7, v76
	v_mov_b32_e32 v13, v3
                                        ; implicit-def: $vgpr76_vgpr77
; %bb.1713:                             ;   in Loop: Header=BB23_1651 Depth=2
	s_andn2_saveexec_b64 s[24:25], s[24:25]
	s_cbranch_execz .LBB23_1715
; %bb.1714:                             ;   in Loop: Header=BB23_1651 Depth=2
	v_and_b32_e32 v12, 7, v76
	v_ashrrev_i32_e32 v9, 31, v8
	v_mov_b32_e32 v13, v3
	v_mad_u64_u32 v[4:5], s[40:41], v12, 24, v[6:7]
	v_lshlrev_b64 v[14:15], 1, v[8:9]
	flat_store_dwordx2 v[4:5], v[14:15] offset:8
.LBB23_1715:                            ;   in Loop: Header=BB23_1651 Depth=2
	s_or_b64 exec, exec, s[24:25]
	v_and_b32_e32 v4, 0x100, v110
	v_cmp_ne_u32_e32 vcc, 0, v4
	s_mov_b64 s[24:25], -1
                                        ; implicit-def: $vgpr14_vgpr15
	s_and_saveexec_b64 s[40:41], vcc
	s_cbranch_execz .LBB23_1719
; %bb.1716:                             ;   in Loop: Header=BB23_1651 Depth=2
	v_mad_u64_u32 v[16:17], s[24:25], v12, 24, v[6:7]
	v_mov_b32_e32 v4, v17
	v_mad_u64_u32 v[4:5], s[24:25], v13, 24, v[4:5]
	v_mov_b32_e32 v17, v4
	flat_load_dword v4, v[16:17]
                                        ; implicit-def: $vgpr14_vgpr15
	s_waitcnt vmcnt(0) lgkmcnt(0)
	v_cmp_ne_u32_e32 vcc, 1, v4
	v_cmp_eq_u32_e64 s[24:25], 1, v4
	s_and_saveexec_b64 s[42:43], s[24:25]
	s_cbranch_execz .LBB23_1718
; %bb.1717:                             ;   in Loop: Header=BB23_1651 Depth=2
	flat_load_dword v4, v[16:17] offset:4 sc0 sc1
	s_waitcnt vmcnt(0) lgkmcnt(0)
	v_ashrrev_i32_e32 v5, 31, v4
	v_lshrrev_b64 v[14:15], 1, v[4:5]
.LBB23_1718:                            ;   in Loop: Header=BB23_1651 Depth=2
	s_or_b64 exec, exec, s[42:43]
	s_orn2_b64 s[24:25], vcc, exec
.LBB23_1719:                            ;   in Loop: Header=BB23_1651 Depth=2
	s_or_b64 exec, exec, s[40:41]
	s_and_saveexec_b64 s[40:41], s[24:25]
; %bb.1720:                             ;   in Loop: Header=BB23_1651 Depth=2
	v_mul_lo_u32 v4, v13, v30
	v_mul_lo_u32 v5, v12, v83
	v_mad_u64_u32 v[14:15], s[24:25], v12, v30, 0
	v_add3_u32 v15, v15, v5, v4
; %bb.1721:                             ;   in Loop: Header=BB23_1651 Depth=2
	s_or_b64 exec, exec, s[40:41]
	v_cmp_eq_u32_e32 vcc, 0, v2
	v_lshl_add_u64 v[4:5], v[14:15], 1, v[66:67]
	s_nop 0
	v_cndmask_b32_e32 v2, v97, v52, vcc
	v_add_u32_e32 v2, v0, v2
	ds_write_b64 v2, v[4:5] offset:584
	v_and_b32_e32 v2, 0x2000, v110
	v_cmp_ne_u32_e32 vcc, 0, v2
	s_and_saveexec_b64 s[24:25], vcc
	s_cbranch_execz .LBB23_1723
; %bb.1722:                             ;   in Loop: Header=BB23_1651 Depth=2
	ds_read_b64 v[4:5], v0 offset:872
	s_waitcnt lgkmcnt(0)
	v_lshl_add_u64 v[4:5], v[4:5], 0, 1
	ds_write_b64 v0, v[4:5] offset:872
.LBB23_1723:                            ;   in Loop: Header=BB23_1651 Depth=2
	s_or_b64 exec, exec, s[24:25]
	v_mov_b64_e32 v[76:77], v[10:11]
	s_or_b64 exec, exec, s[28:29]
	s_and_saveexec_b64 s[24:25], s[6:7]
	s_cbranch_execz .LBB23_1676
.LBB23_1724:                            ;   in Loop: Header=BB23_1651 Depth=2
	s_and_saveexec_b64 s[28:29], s[78:79]
	s_xor_b64 s[28:29], exec, s[28:29]
	s_cbranch_execz .LBB23_1758
; %bb.1725:                             ;   in Loop: Header=BB23_1651 Depth=2
	s_and_saveexec_b64 s[40:41], s[14:15]
	s_cbranch_execz .LBB23_1757
; %bb.1726:                             ;   in Loop: Header=BB23_1651 Depth=2
	s_mov_b64 s[44:45], exec
	v_mbcnt_lo_u32_b32 v2, s44, 0
	v_mbcnt_hi_u32_b32 v2, s45, v2
	v_cmp_eq_u32_e32 vcc, 0, v2
	s_waitcnt lgkmcnt(0)
	s_and_saveexec_b64 s[42:43], vcc
	s_cbranch_execz .LBB23_1728
; %bb.1727:                             ;   in Loop: Header=BB23_1651 Depth=2
	s_bcnt1_i32_b64 s44, s[44:45]
	v_mov_b32_e32 v2, s44
	ds_add_u64 v0, v[2:3]
	s_trap 2
.LBB23_1728:                            ;   in Loop: Header=BB23_1651 Depth=2
	s_or_b64 exec, exec, s[42:43]
	s_trap 2
	ds_read_b64 v[4:5], v0
	s_waitcnt lgkmcnt(0)
	v_lshl_add_u64 v[80:81], v[80:81], 0, v[84:85]
	v_cmp_lt_u64_e32 vcc, v[4:5], v[80:81]
	s_and_saveexec_b64 s[42:43], vcc
	s_cbranch_execz .LBB23_1756
; %bb.1729:                             ;   in Loop: Header=BB23_1651 Depth=2
	s_mov_b32 s76, 0
	s_mov_b64 s[44:45], 0
                                        ; implicit-def: $sgpr46_sgpr47
                                        ; implicit-def: $sgpr56_sgpr57
	s_branch .LBB23_1731
.LBB23_1730:                            ;   in Loop: Header=BB23_1731 Depth=3
	s_or_b64 exec, exec, s[60:61]
	s_and_b64 s[58:59], exec, s[62:63]
	s_or_b64 s[44:45], s[58:59], s[44:45]
	s_andn2_b64 s[46:47], s[46:47], exec
	s_and_b64 s[58:59], s[56:57], exec
	s_or_b64 s[46:47], s[46:47], s[58:59]
	s_andn2_b64 exec, exec, s[44:45]
	s_cbranch_execz .LBB23_1754
.LBB23_1731:                            ;   Parent Loop BB23_47 Depth=1
                                        ;     Parent Loop BB23_1651 Depth=2
                                        ; =>    This Inner Loop Header: Depth=3
	s_add_i32 s76, s76, 1
	s_cmpk_lg_i32 s76, 0x2710
	s_cselect_b64 s[58:59], -1, 0
	s_and_b64 vcc, exec, s[58:59]
	s_cbranch_vccz .LBB23_1733
; %bb.1732:                             ;   in Loop: Header=BB23_1731 Depth=3
	s_mov_b64 s[62:63], -1
	s_or_b64 s[56:57], s[56:57], exec
	s_and_saveexec_b64 s[60:61], s[58:59]
	s_cbranch_execz .LBB23_1730
	s_branch .LBB23_1734
.LBB23_1733:                            ;   in Loop: Header=BB23_1731 Depth=3
	s_trap 2
	ds_read_b64 v[4:5], v0
	s_andn2_b64 s[58:59], s[58:59], exec
	s_mov_b32 s76, 0
	s_waitcnt vmcnt(0) lgkmcnt(0)
	flat_load_dword v2, v[4:5] sc0 sc1
	s_waitcnt vmcnt(0) lgkmcnt(0)
	buffer_inv sc0 sc1
	v_cmp_eq_u32_e32 vcc, 0, v2
	s_and_b64 s[60:61], vcc, exec
	s_or_b64 s[58:59], s[58:59], s[60:61]
	s_mov_b64 s[62:63], -1
	s_or_b64 s[56:57], s[56:57], exec
	s_and_saveexec_b64 s[60:61], s[58:59]
	s_cbranch_execz .LBB23_1730
.LBB23_1734:                            ;   in Loop: Header=BB23_1731 Depth=3
	s_sleep 1
	s_trap 2
	ds_read_b64 v[4:5], v0
	s_waitcnt lgkmcnt(0)
	s_andn2_b64 s[56:57], s[56:57], exec
	v_cmp_ge_u64_e32 vcc, v[4:5], v[80:81]
	s_orn2_b64 s[62:63], vcc, exec
	s_branch .LBB23_1730
.LBB23_1735:                            ;   in Loop: Header=BB23_1651 Depth=2
	s_or_b64 exec, exec, s[42:43]
	s_and_saveexec_b64 s[42:43], s[44:45]
	s_xor_b64 s[42:43], exec, s[42:43]
	s_cbranch_execz .LBB23_1737
; %bb.1736:                             ;   in Loop: Header=BB23_1651 Depth=2
	ds_write_b32 v0, v1
	s_trap 2
.LBB23_1737:                            ;   in Loop: Header=BB23_1651 Depth=2
	s_or_b64 exec, exec, s[40:41]
	;;#ASMSTART
	s_wakeup
	;;#ASMEND
.LBB23_1738:                            ;   in Loop: Header=BB23_1651 Depth=2
	s_or_b64 exec, exec, s[28:29]
.LBB23_1739:                            ;   in Loop: Header=BB23_1651 Depth=2
	s_andn2_saveexec_b64 s[26:27], s[26:27]
	s_cbranch_execz .LBB23_1741
; %bb.1740:                             ;   in Loop: Header=BB23_1651 Depth=2
	s_waitcnt lgkmcnt(0)
	s_barrier
.LBB23_1741:                            ;   in Loop: Header=BB23_1651 Depth=2
	s_or_b64 exec, exec, s[26:27]
.LBB23_1742:                            ;   in Loop: Header=BB23_1651 Depth=2
	s_or_b64 exec, exec, s[24:25]
	s_trap 2
	ds_read_b32 v8, v0
	v_and_b32_e32 v2, 0x4000, v110
	v_cmp_ne_u32_e32 vcc, 0, v2
	s_xor_b64 s[24:25], s[4:5], -1
	s_and_b64 s[26:27], s[24:25], vcc
	s_and_saveexec_b64 s[24:25], s[26:27]
	s_cbranch_execz .LBB23_1780
; %bb.1743:                             ;   in Loop: Header=BB23_1651 Depth=2
	s_and_saveexec_b64 s[26:27], s[78:79]
	s_xor_b64 s[26:27], exec, s[26:27]
	s_cbranch_execz .LBB23_1777
; %bb.1744:                             ;   in Loop: Header=BB23_1651 Depth=2
	s_and_saveexec_b64 s[28:29], s[14:15]
	s_cbranch_execz .LBB23_1776
; %bb.1745:                             ;   in Loop: Header=BB23_1651 Depth=2
	s_mov_b64 s[42:43], exec
	v_mbcnt_lo_u32_b32 v2, s42, 0
	v_mbcnt_hi_u32_b32 v2, s43, v2
	v_cmp_eq_u32_e32 vcc, 0, v2
	s_waitcnt lgkmcnt(0)
	s_and_saveexec_b64 s[40:41], vcc
	s_cbranch_execz .LBB23_1747
; %bb.1746:                             ;   in Loop: Header=BB23_1651 Depth=2
	s_bcnt1_i32_b64 s42, s[42:43]
	v_mov_b32_e32 v2, s42
	ds_add_u64 v0, v[2:3]
	s_trap 2
.LBB23_1747:                            ;   in Loop: Header=BB23_1651 Depth=2
	s_or_b64 exec, exec, s[40:41]
	s_trap 2
	ds_read_b64 v[4:5], v0
	s_waitcnt lgkmcnt(0)
	v_lshl_add_u64 v[80:81], v[80:81], 0, v[84:85]
	v_cmp_lt_u64_e32 vcc, v[4:5], v[80:81]
	s_and_saveexec_b64 s[40:41], vcc
	s_cbranch_execz .LBB23_1775
; %bb.1748:                             ;   in Loop: Header=BB23_1651 Depth=2
	s_mov_b32 s76, 0
	s_mov_b64 s[42:43], 0
                                        ; implicit-def: $sgpr44_sgpr45
                                        ; implicit-def: $sgpr46_sgpr47
	s_branch .LBB23_1750
.LBB23_1749:                            ;   in Loop: Header=BB23_1750 Depth=3
	s_or_b64 exec, exec, s[58:59]
	s_and_b64 s[56:57], exec, s[60:61]
	s_or_b64 s[42:43], s[56:57], s[42:43]
	s_andn2_b64 s[44:45], s[44:45], exec
	s_and_b64 s[56:57], s[46:47], exec
	s_or_b64 s[44:45], s[44:45], s[56:57]
	s_andn2_b64 exec, exec, s[42:43]
	s_cbranch_execz .LBB23_1773
.LBB23_1750:                            ;   Parent Loop BB23_47 Depth=1
                                        ;     Parent Loop BB23_1651 Depth=2
                                        ; =>    This Inner Loop Header: Depth=3
	s_add_i32 s76, s76, 1
	s_cmpk_lg_i32 s76, 0x2710
	s_cselect_b64 s[56:57], -1, 0
	s_and_b64 vcc, exec, s[56:57]
	s_cbranch_vccz .LBB23_1752
; %bb.1751:                             ;   in Loop: Header=BB23_1750 Depth=3
	s_mov_b64 s[60:61], -1
	s_or_b64 s[46:47], s[46:47], exec
	s_and_saveexec_b64 s[58:59], s[56:57]
	s_cbranch_execz .LBB23_1749
	s_branch .LBB23_1753
.LBB23_1752:                            ;   in Loop: Header=BB23_1750 Depth=3
	s_trap 2
	ds_read_b64 v[4:5], v0
	s_andn2_b64 s[56:57], s[56:57], exec
	s_mov_b32 s76, 0
	s_waitcnt vmcnt(0) lgkmcnt(0)
	flat_load_dword v2, v[4:5] sc0 sc1
	s_waitcnt vmcnt(0) lgkmcnt(0)
	buffer_inv sc0 sc1
	v_cmp_eq_u32_e32 vcc, 0, v2
	s_and_b64 s[58:59], vcc, exec
	s_or_b64 s[56:57], s[56:57], s[58:59]
	s_mov_b64 s[60:61], -1
	s_or_b64 s[46:47], s[46:47], exec
	s_and_saveexec_b64 s[58:59], s[56:57]
	s_cbranch_execz .LBB23_1749
.LBB23_1753:                            ;   in Loop: Header=BB23_1750 Depth=3
	s_sleep 1
	s_trap 2
	ds_read_b64 v[4:5], v0
	s_waitcnt lgkmcnt(0)
	s_andn2_b64 s[46:47], s[46:47], exec
	v_cmp_ge_u64_e32 vcc, v[4:5], v[80:81]
	s_orn2_b64 s[60:61], vcc, exec
	s_branch .LBB23_1749
.LBB23_1754:                            ;   in Loop: Header=BB23_1651 Depth=2
	s_or_b64 exec, exec, s[44:45]
	s_and_saveexec_b64 s[44:45], s[46:47]
	s_xor_b64 s[44:45], exec, s[44:45]
	s_cbranch_execz .LBB23_1756
; %bb.1755:                             ;   in Loop: Header=BB23_1651 Depth=2
	ds_write_b32 v0, v1
	s_trap 2
.LBB23_1756:                            ;   in Loop: Header=BB23_1651 Depth=2
	s_or_b64 exec, exec, s[42:43]
	;;#ASMSTART
	s_wakeup
	;;#ASMEND
.LBB23_1757:                            ;   in Loop: Header=BB23_1651 Depth=2
	s_or_b64 exec, exec, s[40:41]
.LBB23_1758:                            ;   in Loop: Header=BB23_1651 Depth=2
	s_andn2_saveexec_b64 s[28:29], s[28:29]
	s_cbranch_execz .LBB23_1760
; %bb.1759:                             ;   in Loop: Header=BB23_1651 Depth=2
	s_waitcnt lgkmcnt(0)
	s_barrier
.LBB23_1760:                            ;   in Loop: Header=BB23_1651 Depth=2
	s_or_b64 exec, exec, s[28:29]
	s_or_b64 exec, exec, s[24:25]
                                        ; implicit-def: $vgpr2
	s_and_saveexec_b64 s[24:25], s[22:23]
	s_xor_b64 s[24:25], exec, s[24:25]
	s_cbranch_execnz .LBB23_1677
.LBB23_1761:                            ;   in Loop: Header=BB23_1651 Depth=2
	s_andn2_saveexec_b64 s[24:25], s[24:25]
	s_cbranch_execz .LBB23_1870
.LBB23_1762:                            ;   in Loop: Header=BB23_1651 Depth=2
	s_and_saveexec_b64 s[28:29], s[78:79]
	s_xor_b64 s[28:29], exec, s[28:29]
	s_cbranch_execz .LBB23_1867
; %bb.1763:                             ;   in Loop: Header=BB23_1651 Depth=2
	s_and_saveexec_b64 s[40:41], s[14:15]
	s_cbranch_execz .LBB23_1866
; %bb.1764:                             ;   in Loop: Header=BB23_1651 Depth=2
	s_mov_b64 s[44:45], exec
	v_mbcnt_lo_u32_b32 v2, s44, 0
	v_mbcnt_hi_u32_b32 v2, s45, v2
	v_cmp_eq_u32_e32 vcc, 0, v2
	;;#ASMSTART
	s_waitcnt lgkmcnt(0) vmcnt(0)
	;;#ASMEND
	s_and_saveexec_b64 s[42:43], vcc
	s_cbranch_execz .LBB23_1766
; %bb.1765:                             ;   in Loop: Header=BB23_1651 Depth=2
	s_bcnt1_i32_b64 s44, s[44:45]
	v_mov_b32_e32 v2, s44
	s_waitcnt lgkmcnt(0)
	ds_add_u64 v0, v[2:3]
	s_trap 2
.LBB23_1766:                            ;   in Loop: Header=BB23_1651 Depth=2
	s_or_b64 exec, exec, s[42:43]
	s_trap 2
	ds_read_b64 v[4:5], v0
	s_waitcnt lgkmcnt(0)
	v_lshl_add_u64 v[80:81], v[80:81], 0, v[84:85]
	v_cmp_lt_u64_e32 vcc, v[4:5], v[80:81]
	s_and_saveexec_b64 s[42:43], vcc
	s_cbranch_execz .LBB23_1865
; %bb.1767:                             ;   in Loop: Header=BB23_1651 Depth=2
	s_mov_b32 s76, 0
	s_mov_b64 s[44:45], 0
                                        ; implicit-def: $sgpr46_sgpr47
                                        ; implicit-def: $sgpr56_sgpr57
	s_branch .LBB23_1769
.LBB23_1768:                            ;   in Loop: Header=BB23_1769 Depth=3
	s_or_b64 exec, exec, s[60:61]
	s_and_b64 s[58:59], exec, s[62:63]
	s_or_b64 s[44:45], s[58:59], s[44:45]
	s_andn2_b64 s[46:47], s[46:47], exec
	s_and_b64 s[58:59], s[56:57], exec
	s_or_b64 s[46:47], s[46:47], s[58:59]
	s_andn2_b64 exec, exec, s[44:45]
	s_cbranch_execz .LBB23_1863
.LBB23_1769:                            ;   Parent Loop BB23_47 Depth=1
                                        ;     Parent Loop BB23_1651 Depth=2
                                        ; =>    This Inner Loop Header: Depth=3
	s_add_i32 s76, s76, 1
	s_cmpk_lg_i32 s76, 0x2710
	s_cselect_b64 s[58:59], -1, 0
	s_and_b64 vcc, exec, s[58:59]
	s_cbranch_vccz .LBB23_1771
; %bb.1770:                             ;   in Loop: Header=BB23_1769 Depth=3
	s_mov_b64 s[62:63], -1
	s_or_b64 s[56:57], s[56:57], exec
	s_and_saveexec_b64 s[60:61], s[58:59]
	s_cbranch_execz .LBB23_1768
	s_branch .LBB23_1772
.LBB23_1771:                            ;   in Loop: Header=BB23_1769 Depth=3
	s_trap 2
	ds_read_b64 v[4:5], v0
	s_andn2_b64 s[58:59], s[58:59], exec
	s_mov_b32 s76, 0
	s_waitcnt vmcnt(0) lgkmcnt(0)
	flat_load_dword v2, v[4:5] sc0 sc1
	s_waitcnt vmcnt(0) lgkmcnt(0)
	buffer_inv sc0 sc1
	v_cmp_eq_u32_e32 vcc, 0, v2
	s_and_b64 s[60:61], vcc, exec
	s_or_b64 s[58:59], s[58:59], s[60:61]
	s_mov_b64 s[62:63], -1
	s_or_b64 s[56:57], s[56:57], exec
	s_and_saveexec_b64 s[60:61], s[58:59]
	s_cbranch_execz .LBB23_1768
.LBB23_1772:                            ;   in Loop: Header=BB23_1769 Depth=3
	s_sleep 1
	s_trap 2
	ds_read_b64 v[4:5], v0
	s_waitcnt lgkmcnt(0)
	s_andn2_b64 s[56:57], s[56:57], exec
	v_cmp_ge_u64_e32 vcc, v[4:5], v[80:81]
	s_orn2_b64 s[62:63], vcc, exec
	s_branch .LBB23_1768
.LBB23_1773:                            ;   in Loop: Header=BB23_1651 Depth=2
	s_or_b64 exec, exec, s[42:43]
	s_and_saveexec_b64 s[42:43], s[44:45]
	s_xor_b64 s[42:43], exec, s[42:43]
	s_cbranch_execz .LBB23_1775
; %bb.1774:                             ;   in Loop: Header=BB23_1651 Depth=2
	ds_write_b32 v0, v1
	s_trap 2
.LBB23_1775:                            ;   in Loop: Header=BB23_1651 Depth=2
	s_or_b64 exec, exec, s[40:41]
	;;#ASMSTART
	s_wakeup
	;;#ASMEND
.LBB23_1776:                            ;   in Loop: Header=BB23_1651 Depth=2
	s_or_b64 exec, exec, s[28:29]
.LBB23_1777:                            ;   in Loop: Header=BB23_1651 Depth=2
	s_andn2_saveexec_b64 s[26:27], s[26:27]
	s_cbranch_execz .LBB23_1779
; %bb.1778:                             ;   in Loop: Header=BB23_1651 Depth=2
	s_waitcnt lgkmcnt(0)
	s_barrier
.LBB23_1779:                            ;   in Loop: Header=BB23_1651 Depth=2
	s_or_b64 exec, exec, s[26:27]
.LBB23_1780:                            ;   in Loop: Header=BB23_1651 Depth=2
	s_or_b64 exec, exec, s[24:25]
	s_trap 2
	ds_read_b64 v[92:93], v0
	s_waitcnt lgkmcnt(0)
	v_cmp_eq_u64_e32 vcc, 0, v[92:93]
	s_cbranch_vccnz .LBB23_1789
; %bb.1781:                             ;   in Loop: Header=BB23_1651 Depth=2
	s_trap 2
	ds_read_b64 v[94:95], v0
	s_waitcnt lgkmcnt(0)
	v_cmp_eq_u64_e32 vcc, 0, v[94:95]
	s_cbranch_vccnz .LBB23_1789
; %bb.1782:                             ;   in Loop: Header=BB23_1651 Depth=2
	s_trap 2
	ds_read_b64 v[24:25], v0
	v_cmp_eq_u32_e32 vcc, 0, v8
	s_waitcnt lgkmcnt(0)
	v_readfirstlane_b32 s66, v24
	v_cndmask_b32_e32 v91, 0, v90, vcc
	v_cmp_ne_u64_e32 vcc, 0, v[24:25]
	s_cbranch_vccz .LBB23_1794
; %bb.1783:                             ;   in Loop: Header=BB23_1651 Depth=2
	s_trap 2
	ds_read_b64 v[26:27], v0
	s_mov_b64 s[26:27], -1
	s_and_saveexec_b64 s[24:25], s[18:19]
	s_cbranch_execz .LBB23_1785
; %bb.1784:                             ;   in Loop: Header=BB23_1651 Depth=2
	ds_read_b32 v2, v0 offset:720
	s_waitcnt lgkmcnt(0)
	v_and_b32_e32 v2, 15, v2
	v_cmp_eq_u32_e32 vcc, 0, v2
	s_orn2_b64 s[26:27], vcc, exec
.LBB23_1785:                            ;   in Loop: Header=BB23_1651 Depth=2
	s_or_b64 exec, exec, s[24:25]
	s_and_saveexec_b64 s[24:25], s[20:21]
	s_cbranch_execz .LBB23_1787
; %bb.1786:                             ;   in Loop: Header=BB23_1651 Depth=2
	ds_read_b32 v2, v0 offset:784
	s_waitcnt lgkmcnt(0)
	v_and_b32_e32 v2, 15, v2
	v_cmp_eq_u32_e32 vcc, 0, v2
	s_and_b64 s[28:29], s[26:27], vcc
	s_andn2_b64 s[26:27], s[26:27], exec
	s_and_b64 s[28:29], s[28:29], exec
	s_or_b64 s[26:27], s[26:27], s[28:29]
.LBB23_1787:                            ;   in Loop: Header=BB23_1651 Depth=2
	s_or_b64 exec, exec, s[24:25]
	s_xor_b64 s[26:27], s[26:27], -1
	v_cndmask_b32_e64 v2, 0, 1, s[26:27]
	v_lshlrev_b32_e32 v38, 1, v91
	s_mov_b64 s[24:25], -1
	v_mov_b32_e32 v18, 0
	v_cmp_ne_u32_e32 vcc, 0, v2
	s_cbranch_vccz .LBB23_1796
; %bb.1788:                             ;   in Loop: Header=BB23_1651 Depth=2
	v_mov_b32_e32 v19, v0
	s_and_saveexec_b64 s[42:43], s[24:25]
	s_cbranch_execnz .LBB23_1885
	s_branch .LBB23_1927
.LBB23_1789:                            ;   in Loop: Header=BB23_1651 Depth=2
	s_mov_b64 s[24:25], 0
	s_and_saveexec_b64 s[26:27], s[6:7]
	s_cbranch_execnz .LBB23_2114
.LBB23_1790:                            ;   in Loop: Header=BB23_1651 Depth=2
	s_or_b64 exec, exec, s[26:27]
                                        ; implicit-def: $vgpr2
	s_and_saveexec_b64 s[26:27], s[22:23]
	s_xor_b64 s[26:27], exec, s[26:27]
	s_cbranch_execz .LBB23_2132
.LBB23_1791:                            ;   in Loop: Header=BB23_1651 Depth=2
	v_and_b32_e32 v4, 16, v110
	v_cmp_ne_u32_e32 vcc, 0, v4
	v_and_b32_e32 v2, 16, v110
	s_and_b64 s[28:29], vcc, s[24:25]
	s_and_saveexec_b64 s[24:25], s[28:29]
	s_cbranch_execz .LBB23_1793
; %bb.1792:                             ;   in Loop: Header=BB23_1651 Depth=2
	v_mov_b32_e32 v2, 1
	buffer_wbl2 sc1
	s_waitcnt vmcnt(0) lgkmcnt(0)
	buffer_inv sc1
.LBB23_1793:                            ;   in Loop: Header=BB23_1651 Depth=2
	s_or_b64 exec, exec, s[24:25]
	s_andn2_saveexec_b64 s[24:25], s[26:27]
	s_cbranch_execz .LBB23_2151
	s_branch .LBB23_2133
.LBB23_1794:                            ;   in Loop: Header=BB23_1651 Depth=2
	s_cbranch_execnz .LBB23_1928
.LBB23_1795:                            ;   in Loop: Header=BB23_1651 Depth=2
	v_cmp_lt_i32_e64 s[24:25], 0, v91
	s_and_saveexec_b64 s[26:27], s[6:7]
	s_cbranch_execnz .LBB23_2114
	s_branch .LBB23_1790
.LBB23_1796:                            ;   in Loop: Header=BB23_1651 Depth=2
	v_ashrrev_i32_e32 v2, 31, v38
	v_lshrrev_b32_e32 v2, 21, v2
	v_add_u32_e32 v2, v38, v2
	v_ashrrev_i32_e32 v39, 11, v2
	v_lshrrev_b32_e32 v2, 6, v0
	v_sub_u32_e32 v2, v39, v2
	v_cmp_lt_i32_e32 vcc, 0, v2
	s_and_saveexec_b64 s[26:27], vcc
	s_cbranch_execz .LBB23_1876
; %bb.1797:                             ;   in Loop: Header=BB23_1651 Depth=2
	s_and_b32 s76, s66, 1
	s_cmp_eq_u64 s[76:77], 0
	v_lshl_add_u64 v[32:33], v[94:95], 0, v[102:103]
	v_lshl_add_u64 v[34:35], v[24:25], 0, v[102:103]
	s_mov_b64 s[28:29], 0
	s_cselect_b64 vcc, -1, 0
	v_mov_b64_e32 v[36:37], v[102:103]
	s_branch .LBB23_1799
.LBB23_1798:                            ;   in Loop: Header=BB23_1799 Depth=3
	s_or_b64 exec, exec, s[40:41]
	v_lshrrev_b32_e32 v4, 16, v21
	v_and_or_b32 v17, v17, s75, v4
	v_lshrrev_b32_e32 v4, 16, v20
	v_and_or_b32 v16, v16, s75, v4
	;; [unrolled: 2-line block ×3, first 2 shown]
	v_lshrrev_b32_e32 v4, 16, v23
	v_sub_u32_e32 v2, v2, v84
	v_and_or_b32 v19, v19, s75, v4
	v_cmp_gt_i32_e64 s[24:25], 1, v2
	global_store_dwordx4 v[32:33], v[16:19], off offset:1024
	global_store_dwordx4 v[34:35], v[12:15], off
	global_store_dwordx4 v[34:35], v[8:11], off offset:1024
	v_lshl_add_u64 v[32:33], v[32:33], 0, v[112:113]
	v_lshl_add_u64 v[34:35], v[34:35], 0, v[112:113]
	s_or_b64 s[28:29], s[24:25], s[28:29]
	v_lshl_add_u64 v[36:37], v[36:37], 0, v[58:59]
	s_andn2_b64 exec, exec, s[28:29]
	s_cbranch_execz .LBB23_1875
.LBB23_1799:                            ;   Parent Loop BB23_47 Depth=1
                                        ;     Parent Loop BB23_1651 Depth=2
                                        ; =>    This Inner Loop Header: Depth=3
	v_lshl_add_u64 v[8:9], v[92:93], 0, v[36:37]
	s_waitcnt lgkmcnt(0)
	v_lshl_add_u64 v[4:5], v[26:27], 0, v[36:37]
	global_load_dwordx4 v[12:15], v[8:9], off nt
	global_load_dwordx4 v[20:23], v[4:5], off nt
	s_nop 0
	global_load_dwordx4 v[8:11], v[8:9], off offset:1024 nt
	s_nop 0
	global_load_dwordx4 v[16:19], v[4:5], off offset:1024 nt
                                        ; implicit-def: $vgpr48
	s_waitcnt vmcnt(0)
	v_lshlrev_b32_e32 v4, 16, v12
	v_lshlrev_b32_e32 v5, 16, v20
	v_max_f32_e32 v5, v5, v5
	v_max_f32_e32 v4, v4, v4
	v_min_f32_e32 v28, v4, v5
	v_max_f32_e32 v4, v4, v5
	v_cndmask_b32_e32 v28, v4, v28, vcc
	v_and_b32_e32 v4, 0x7f800000, v28
	v_cmp_ne_u32_e64 s[24:25], s97, v4
	s_and_saveexec_b64 s[40:41], s[24:25]
	s_xor_b64 s[24:25], exec, s[40:41]
; %bb.1800:                             ;   in Loop: Header=BB23_1799 Depth=3
	v_bfe_u32 v4, v28, 16, 1
	v_add3_u32 v48, v28, v4, s74
                                        ; implicit-def: $vgpr28
; %bb.1801:                             ;   in Loop: Header=BB23_1799 Depth=3
	s_andn2_saveexec_b64 s[40:41], s[24:25]
; %bb.1802:                             ;   in Loop: Header=BB23_1799 Depth=3
	v_or_b32_e32 v4, 0x10000, v28
	v_cmp_eq_u32_sdwa s[24:25], v28, v3 src0_sel:WORD_0 src1_sel:DWORD
	s_nop 1
	v_cndmask_b32_e64 v48, v4, v28, s[24:25]
; %bb.1803:                             ;   in Loop: Header=BB23_1799 Depth=3
	s_or_b64 exec, exec, s[40:41]
	v_and_b32_e32 v4, 0xffff0000, v12
	v_and_b32_e32 v5, 0xffff0000, v20
	v_max_f32_e32 v5, v5, v5
	v_max_f32_e32 v4, v4, v4
	v_min_f32_e32 v20, v4, v5
	v_max_f32_e32 v4, v4, v5
	v_cndmask_b32_e32 v28, v4, v20, vcc
	v_and_b32_e32 v4, 0x7f800000, v28
	v_cmp_ne_u32_e64 s[24:25], s97, v4
                                        ; implicit-def: $vgpr20
	s_and_saveexec_b64 s[40:41], s[24:25]
	s_xor_b64 s[24:25], exec, s[40:41]
; %bb.1804:                             ;   in Loop: Header=BB23_1799 Depth=3
	v_bfe_u32 v4, v28, 16, 1
	v_add3_u32 v20, v28, v4, s74
                                        ; implicit-def: $vgpr28
; %bb.1805:                             ;   in Loop: Header=BB23_1799 Depth=3
	s_andn2_saveexec_b64 s[40:41], s[24:25]
; %bb.1806:                             ;   in Loop: Header=BB23_1799 Depth=3
	v_or_b32_e32 v4, 0x10000, v28
	v_cmp_eq_u32_sdwa s[24:25], v28, v3 src0_sel:WORD_0 src1_sel:DWORD
	s_nop 1
	v_cndmask_b32_e64 v20, v4, v28, s[24:25]
; %bb.1807:                             ;   in Loop: Header=BB23_1799 Depth=3
	s_or_b64 exec, exec, s[40:41]
	v_lshlrev_b32_e32 v4, 16, v13
	v_lshlrev_b32_e32 v5, 16, v21
	v_max_f32_e32 v5, v5, v5
	v_max_f32_e32 v4, v4, v4
	v_min_f32_e32 v28, v4, v5
	v_max_f32_e32 v4, v4, v5
	v_cndmask_b32_e32 v29, v4, v28, vcc
	v_and_b32_e32 v4, 0x7f800000, v29
	v_cmp_ne_u32_e64 s[24:25], s97, v4
                                        ; implicit-def: $vgpr28
	s_and_saveexec_b64 s[40:41], s[24:25]
	s_xor_b64 s[24:25], exec, s[40:41]
; %bb.1808:                             ;   in Loop: Header=BB23_1799 Depth=3
	v_bfe_u32 v4, v29, 16, 1
	v_add3_u32 v28, v29, v4, s74
                                        ; implicit-def: $vgpr29
; %bb.1809:                             ;   in Loop: Header=BB23_1799 Depth=3
	s_andn2_saveexec_b64 s[40:41], s[24:25]
; %bb.1810:                             ;   in Loop: Header=BB23_1799 Depth=3
	v_or_b32_e32 v4, 0x10000, v29
	v_cmp_eq_u32_sdwa s[24:25], v29, v3 src0_sel:WORD_0 src1_sel:DWORD
	s_nop 1
	v_cndmask_b32_e64 v28, v4, v29, s[24:25]
; %bb.1811:                             ;   in Loop: Header=BB23_1799 Depth=3
	s_or_b64 exec, exec, s[40:41]
	v_and_b32_e32 v4, 0xffff0000, v13
	v_and_b32_e32 v5, 0xffff0000, v21
	v_max_f32_e32 v5, v5, v5
	v_max_f32_e32 v4, v4, v4
	v_min_f32_e32 v21, v4, v5
	v_max_f32_e32 v4, v4, v5
	v_cndmask_b32_e32 v29, v4, v21, vcc
	v_and_b32_e32 v4, 0x7f800000, v29
	v_cmp_ne_u32_e64 s[24:25], s97, v4
                                        ; implicit-def: $vgpr21
	s_and_saveexec_b64 s[40:41], s[24:25]
	s_xor_b64 s[24:25], exec, s[40:41]
; %bb.1812:                             ;   in Loop: Header=BB23_1799 Depth=3
	v_bfe_u32 v4, v29, 16, 1
	v_add3_u32 v21, v29, v4, s74
                                        ; implicit-def: $vgpr29
; %bb.1813:                             ;   in Loop: Header=BB23_1799 Depth=3
	s_andn2_saveexec_b64 s[40:41], s[24:25]
; %bb.1814:                             ;   in Loop: Header=BB23_1799 Depth=3
	v_or_b32_e32 v4, 0x10000, v29
	v_cmp_eq_u32_sdwa s[24:25], v29, v3 src0_sel:WORD_0 src1_sel:DWORD
	s_nop 1
	v_cndmask_b32_e64 v21, v4, v29, s[24:25]
; %bb.1815:                             ;   in Loop: Header=BB23_1799 Depth=3
	s_or_b64 exec, exec, s[40:41]
	v_lshlrev_b32_e32 v4, 16, v14
	v_lshlrev_b32_e32 v5, 16, v22
	v_max_f32_e32 v5, v5, v5
	v_max_f32_e32 v4, v4, v4
	v_min_f32_e32 v29, v4, v5
	v_max_f32_e32 v4, v4, v5
	v_cndmask_b32_e32 v31, v4, v29, vcc
	v_and_b32_e32 v4, 0x7f800000, v31
	v_cmp_ne_u32_e64 s[24:25], s97, v4
                                        ; implicit-def: $vgpr29
	s_and_saveexec_b64 s[40:41], s[24:25]
	s_xor_b64 s[24:25], exec, s[40:41]
; %bb.1816:                             ;   in Loop: Header=BB23_1799 Depth=3
	v_bfe_u32 v4, v31, 16, 1
	v_add3_u32 v29, v31, v4, s74
                                        ; implicit-def: $vgpr31
; %bb.1817:                             ;   in Loop: Header=BB23_1799 Depth=3
	s_andn2_saveexec_b64 s[40:41], s[24:25]
; %bb.1818:                             ;   in Loop: Header=BB23_1799 Depth=3
	v_or_b32_e32 v4, 0x10000, v31
	v_cmp_eq_u32_sdwa s[24:25], v31, v3 src0_sel:WORD_0 src1_sel:DWORD
	s_nop 1
	v_cndmask_b32_e64 v29, v4, v31, s[24:25]
; %bb.1819:                             ;   in Loop: Header=BB23_1799 Depth=3
	s_or_b64 exec, exec, s[40:41]
	v_and_b32_e32 v4, 0xffff0000, v14
	v_and_b32_e32 v5, 0xffff0000, v22
	v_max_f32_e32 v5, v5, v5
	v_max_f32_e32 v4, v4, v4
	v_min_f32_e32 v22, v4, v5
	v_max_f32_e32 v4, v4, v5
	v_cndmask_b32_e32 v31, v4, v22, vcc
	v_and_b32_e32 v4, 0x7f800000, v31
	v_cmp_ne_u32_e64 s[24:25], s97, v4
                                        ; implicit-def: $vgpr22
	s_and_saveexec_b64 s[40:41], s[24:25]
	s_xor_b64 s[24:25], exec, s[40:41]
; %bb.1820:                             ;   in Loop: Header=BB23_1799 Depth=3
	v_bfe_u32 v4, v31, 16, 1
	v_add3_u32 v22, v31, v4, s74
                                        ; implicit-def: $vgpr31
; %bb.1821:                             ;   in Loop: Header=BB23_1799 Depth=3
	s_andn2_saveexec_b64 s[40:41], s[24:25]
; %bb.1822:                             ;   in Loop: Header=BB23_1799 Depth=3
	v_or_b32_e32 v4, 0x10000, v31
	v_cmp_eq_u32_sdwa s[24:25], v31, v3 src0_sel:WORD_0 src1_sel:DWORD
	s_nop 1
	v_cndmask_b32_e64 v22, v4, v31, s[24:25]
; %bb.1823:                             ;   in Loop: Header=BB23_1799 Depth=3
	s_or_b64 exec, exec, s[40:41]
	v_lshlrev_b32_e32 v4, 16, v15
	v_lshlrev_b32_e32 v5, 16, v23
	v_max_f32_e32 v5, v5, v5
	v_max_f32_e32 v4, v4, v4
	v_min_f32_e32 v31, v4, v5
	v_max_f32_e32 v4, v4, v5
	v_cndmask_b32_e32 v31, v4, v31, vcc
	v_and_b32_e32 v4, 0x7f800000, v31
	v_cmp_ne_u32_e64 s[24:25], s97, v4
                                        ; implicit-def: $vgpr49
	s_and_saveexec_b64 s[40:41], s[24:25]
	s_xor_b64 s[24:25], exec, s[40:41]
; %bb.1824:                             ;   in Loop: Header=BB23_1799 Depth=3
	v_bfe_u32 v4, v31, 16, 1
	v_add3_u32 v49, v31, v4, s74
                                        ; implicit-def: $vgpr31
; %bb.1825:                             ;   in Loop: Header=BB23_1799 Depth=3
	s_andn2_saveexec_b64 s[40:41], s[24:25]
; %bb.1826:                             ;   in Loop: Header=BB23_1799 Depth=3
	v_or_b32_e32 v4, 0x10000, v31
	v_cmp_eq_u32_sdwa s[24:25], v31, v3 src0_sel:WORD_0 src1_sel:DWORD
	s_nop 1
	v_cndmask_b32_e64 v49, v4, v31, s[24:25]
; %bb.1827:                             ;   in Loop: Header=BB23_1799 Depth=3
	s_or_b64 exec, exec, s[40:41]
	v_and_b32_e32 v4, 0xffff0000, v15
	v_and_b32_e32 v5, 0xffff0000, v23
	v_max_f32_e32 v5, v5, v5
	v_max_f32_e32 v4, v4, v4
	v_min_f32_e32 v23, v4, v5
	v_max_f32_e32 v4, v4, v5
	v_cndmask_b32_e32 v31, v4, v23, vcc
	v_and_b32_e32 v4, 0x7f800000, v31
	v_cmp_ne_u32_e64 s[24:25], s97, v4
                                        ; implicit-def: $vgpr23
	s_and_saveexec_b64 s[40:41], s[24:25]
	s_xor_b64 s[24:25], exec, s[40:41]
; %bb.1828:                             ;   in Loop: Header=BB23_1799 Depth=3
	v_bfe_u32 v4, v31, 16, 1
	v_add3_u32 v23, v31, v4, s74
                                        ; implicit-def: $vgpr31
; %bb.1829:                             ;   in Loop: Header=BB23_1799 Depth=3
	s_andn2_saveexec_b64 s[40:41], s[24:25]
; %bb.1830:                             ;   in Loop: Header=BB23_1799 Depth=3
	v_or_b32_e32 v4, 0x10000, v31
	v_cmp_eq_u32_sdwa s[24:25], v31, v3 src0_sel:WORD_0 src1_sel:DWORD
	s_nop 1
	v_cndmask_b32_e64 v23, v4, v31, s[24:25]
; %bb.1831:                             ;   in Loop: Header=BB23_1799 Depth=3
	s_or_b64 exec, exec, s[40:41]
	v_lshrrev_b32_e32 v4, 16, v28
	v_and_or_b32 v21, v21, s75, v4
	v_lshrrev_b32_e32 v4, 16, v48
	v_and_or_b32 v20, v20, s75, v4
	;; [unrolled: 2-line block ×4, first 2 shown]
	v_lshlrev_b32_e32 v4, 16, v8
	v_lshlrev_b32_e32 v5, 16, v16
	v_max_f32_e32 v5, v5, v5
	v_max_f32_e32 v4, v4, v4
	global_store_dwordx4 v[32:33], v[20:23], off
	s_nop 1
	v_min_f32_e32 v20, v4, v5
	v_max_f32_e32 v4, v4, v5
	v_cndmask_b32_e32 v21, v4, v20, vcc
	v_and_b32_e32 v4, 0x7f800000, v21
	v_cmp_ne_u32_e64 s[24:25], s97, v4
                                        ; implicit-def: $vgpr20
	s_and_saveexec_b64 s[40:41], s[24:25]
	s_xor_b64 s[24:25], exec, s[40:41]
; %bb.1832:                             ;   in Loop: Header=BB23_1799 Depth=3
	v_bfe_u32 v4, v21, 16, 1
	v_add3_u32 v20, v21, v4, s74
                                        ; implicit-def: $vgpr21
; %bb.1833:                             ;   in Loop: Header=BB23_1799 Depth=3
	s_andn2_saveexec_b64 s[40:41], s[24:25]
; %bb.1834:                             ;   in Loop: Header=BB23_1799 Depth=3
	v_or_b32_e32 v4, 0x10000, v21
	v_cmp_eq_u32_sdwa s[24:25], v21, v3 src0_sel:WORD_0 src1_sel:DWORD
	s_nop 1
	v_cndmask_b32_e64 v20, v4, v21, s[24:25]
; %bb.1835:                             ;   in Loop: Header=BB23_1799 Depth=3
	s_or_b64 exec, exec, s[40:41]
	v_and_b32_e32 v4, 0xffff0000, v8
	v_and_b32_e32 v5, 0xffff0000, v16
	v_max_f32_e32 v5, v5, v5
	v_max_f32_e32 v4, v4, v4
	v_min_f32_e32 v16, v4, v5
	v_max_f32_e32 v4, v4, v5
	v_cndmask_b32_e32 v21, v4, v16, vcc
	v_and_b32_e32 v4, 0x7f800000, v21
	v_cmp_ne_u32_e64 s[24:25], s97, v4
                                        ; implicit-def: $vgpr16
	s_and_saveexec_b64 s[40:41], s[24:25]
	s_xor_b64 s[24:25], exec, s[40:41]
; %bb.1836:                             ;   in Loop: Header=BB23_1799 Depth=3
	v_bfe_u32 v4, v21, 16, 1
	v_add3_u32 v16, v21, v4, s74
                                        ; implicit-def: $vgpr21
; %bb.1837:                             ;   in Loop: Header=BB23_1799 Depth=3
	s_andn2_saveexec_b64 s[40:41], s[24:25]
; %bb.1838:                             ;   in Loop: Header=BB23_1799 Depth=3
	v_or_b32_e32 v4, 0x10000, v21
	v_cmp_eq_u32_sdwa s[24:25], v21, v3 src0_sel:WORD_0 src1_sel:DWORD
	s_nop 1
	v_cndmask_b32_e64 v16, v4, v21, s[24:25]
; %bb.1839:                             ;   in Loop: Header=BB23_1799 Depth=3
	s_or_b64 exec, exec, s[40:41]
	v_lshlrev_b32_e32 v4, 16, v9
	v_lshlrev_b32_e32 v5, 16, v17
	v_max_f32_e32 v5, v5, v5
	v_max_f32_e32 v4, v4, v4
	v_min_f32_e32 v21, v4, v5
	v_max_f32_e32 v4, v4, v5
	v_cndmask_b32_e32 v22, v4, v21, vcc
	v_and_b32_e32 v4, 0x7f800000, v22
	v_cmp_ne_u32_e64 s[24:25], s97, v4
                                        ; implicit-def: $vgpr21
	s_and_saveexec_b64 s[40:41], s[24:25]
	s_xor_b64 s[24:25], exec, s[40:41]
; %bb.1840:                             ;   in Loop: Header=BB23_1799 Depth=3
	v_bfe_u32 v4, v22, 16, 1
	v_add3_u32 v21, v22, v4, s74
                                        ; implicit-def: $vgpr22
; %bb.1841:                             ;   in Loop: Header=BB23_1799 Depth=3
	s_andn2_saveexec_b64 s[40:41], s[24:25]
; %bb.1842:                             ;   in Loop: Header=BB23_1799 Depth=3
	v_or_b32_e32 v4, 0x10000, v22
	v_cmp_eq_u32_sdwa s[24:25], v22, v3 src0_sel:WORD_0 src1_sel:DWORD
	s_nop 1
	v_cndmask_b32_e64 v21, v4, v22, s[24:25]
; %bb.1843:                             ;   in Loop: Header=BB23_1799 Depth=3
	s_or_b64 exec, exec, s[40:41]
	v_and_b32_e32 v4, 0xffff0000, v9
	v_and_b32_e32 v5, 0xffff0000, v17
	v_max_f32_e32 v5, v5, v5
	v_max_f32_e32 v4, v4, v4
	v_min_f32_e32 v17, v4, v5
	v_max_f32_e32 v4, v4, v5
	v_cndmask_b32_e32 v22, v4, v17, vcc
	v_and_b32_e32 v4, 0x7f800000, v22
	v_cmp_ne_u32_e64 s[24:25], s97, v4
                                        ; implicit-def: $vgpr17
	s_and_saveexec_b64 s[40:41], s[24:25]
	s_xor_b64 s[24:25], exec, s[40:41]
; %bb.1844:                             ;   in Loop: Header=BB23_1799 Depth=3
	v_bfe_u32 v4, v22, 16, 1
	v_add3_u32 v17, v22, v4, s74
                                        ; implicit-def: $vgpr22
; %bb.1845:                             ;   in Loop: Header=BB23_1799 Depth=3
	s_andn2_saveexec_b64 s[40:41], s[24:25]
; %bb.1846:                             ;   in Loop: Header=BB23_1799 Depth=3
	v_or_b32_e32 v4, 0x10000, v22
	v_cmp_eq_u32_sdwa s[24:25], v22, v3 src0_sel:WORD_0 src1_sel:DWORD
	s_nop 1
	v_cndmask_b32_e64 v17, v4, v22, s[24:25]
; %bb.1847:                             ;   in Loop: Header=BB23_1799 Depth=3
	s_or_b64 exec, exec, s[40:41]
	v_lshlrev_b32_e32 v4, 16, v10
	v_lshlrev_b32_e32 v5, 16, v18
	v_max_f32_e32 v5, v5, v5
	v_max_f32_e32 v4, v4, v4
	v_min_f32_e32 v22, v4, v5
	v_max_f32_e32 v4, v4, v5
	v_cndmask_b32_e32 v23, v4, v22, vcc
	v_and_b32_e32 v4, 0x7f800000, v23
	v_cmp_ne_u32_e64 s[24:25], s97, v4
                                        ; implicit-def: $vgpr22
	s_and_saveexec_b64 s[40:41], s[24:25]
	s_xor_b64 s[24:25], exec, s[40:41]
; %bb.1848:                             ;   in Loop: Header=BB23_1799 Depth=3
	v_bfe_u32 v4, v23, 16, 1
	v_add3_u32 v22, v23, v4, s74
                                        ; implicit-def: $vgpr23
; %bb.1849:                             ;   in Loop: Header=BB23_1799 Depth=3
	s_andn2_saveexec_b64 s[40:41], s[24:25]
; %bb.1850:                             ;   in Loop: Header=BB23_1799 Depth=3
	v_or_b32_e32 v4, 0x10000, v23
	v_cmp_eq_u32_sdwa s[24:25], v23, v3 src0_sel:WORD_0 src1_sel:DWORD
	s_nop 1
	v_cndmask_b32_e64 v22, v4, v23, s[24:25]
; %bb.1851:                             ;   in Loop: Header=BB23_1799 Depth=3
	s_or_b64 exec, exec, s[40:41]
	v_and_b32_e32 v4, 0xffff0000, v10
	v_and_b32_e32 v5, 0xffff0000, v18
	v_max_f32_e32 v5, v5, v5
	v_max_f32_e32 v4, v4, v4
	v_min_f32_e32 v18, v4, v5
	v_max_f32_e32 v4, v4, v5
	v_cndmask_b32_e32 v23, v4, v18, vcc
	v_and_b32_e32 v4, 0x7f800000, v23
	v_cmp_ne_u32_e64 s[24:25], s97, v4
                                        ; implicit-def: $vgpr18
	s_and_saveexec_b64 s[40:41], s[24:25]
	s_xor_b64 s[24:25], exec, s[40:41]
; %bb.1852:                             ;   in Loop: Header=BB23_1799 Depth=3
	v_bfe_u32 v4, v23, 16, 1
	v_add3_u32 v18, v23, v4, s74
                                        ; implicit-def: $vgpr23
; %bb.1853:                             ;   in Loop: Header=BB23_1799 Depth=3
	s_andn2_saveexec_b64 s[40:41], s[24:25]
; %bb.1854:                             ;   in Loop: Header=BB23_1799 Depth=3
	v_or_b32_e32 v4, 0x10000, v23
	v_cmp_eq_u32_sdwa s[24:25], v23, v3 src0_sel:WORD_0 src1_sel:DWORD
	s_nop 1
	v_cndmask_b32_e64 v18, v4, v23, s[24:25]
; %bb.1855:                             ;   in Loop: Header=BB23_1799 Depth=3
	s_or_b64 exec, exec, s[40:41]
	v_lshlrev_b32_e32 v4, 16, v11
	v_lshlrev_b32_e32 v5, 16, v19
	v_max_f32_e32 v5, v5, v5
	v_max_f32_e32 v4, v4, v4
	v_min_f32_e32 v23, v4, v5
	v_max_f32_e32 v4, v4, v5
	v_cndmask_b32_e32 v28, v4, v23, vcc
	v_and_b32_e32 v4, 0x7f800000, v28
	v_cmp_ne_u32_e64 s[24:25], s97, v4
                                        ; implicit-def: $vgpr23
	s_and_saveexec_b64 s[40:41], s[24:25]
	s_xor_b64 s[24:25], exec, s[40:41]
; %bb.1856:                             ;   in Loop: Header=BB23_1799 Depth=3
	v_bfe_u32 v4, v28, 16, 1
	v_add3_u32 v23, v28, v4, s74
                                        ; implicit-def: $vgpr28
; %bb.1857:                             ;   in Loop: Header=BB23_1799 Depth=3
	s_andn2_saveexec_b64 s[40:41], s[24:25]
; %bb.1858:                             ;   in Loop: Header=BB23_1799 Depth=3
	v_or_b32_e32 v4, 0x10000, v28
	v_cmp_eq_u32_sdwa s[24:25], v28, v3 src0_sel:WORD_0 src1_sel:DWORD
	s_nop 1
	v_cndmask_b32_e64 v23, v4, v28, s[24:25]
; %bb.1859:                             ;   in Loop: Header=BB23_1799 Depth=3
	s_or_b64 exec, exec, s[40:41]
	v_and_b32_e32 v4, 0xffff0000, v11
	v_and_b32_e32 v5, 0xffff0000, v19
	v_max_f32_e32 v5, v5, v5
	v_max_f32_e32 v4, v4, v4
	v_min_f32_e32 v19, v4, v5
	v_max_f32_e32 v4, v4, v5
	v_cndmask_b32_e32 v28, v4, v19, vcc
	v_and_b32_e32 v4, 0x7f800000, v28
	v_cmp_ne_u32_e64 s[24:25], s97, v4
                                        ; implicit-def: $vgpr19
	s_and_saveexec_b64 s[40:41], s[24:25]
	s_xor_b64 s[24:25], exec, s[40:41]
; %bb.1860:                             ;   in Loop: Header=BB23_1799 Depth=3
	v_bfe_u32 v4, v28, 16, 1
	v_add3_u32 v19, v28, v4, s74
                                        ; implicit-def: $vgpr28
; %bb.1861:                             ;   in Loop: Header=BB23_1799 Depth=3
	s_andn2_saveexec_b64 s[40:41], s[24:25]
	s_cbranch_execz .LBB23_1798
; %bb.1862:                             ;   in Loop: Header=BB23_1799 Depth=3
	v_or_b32_e32 v4, 0x10000, v28
	v_cmp_eq_u32_sdwa s[24:25], v28, v3 src0_sel:WORD_0 src1_sel:DWORD
	s_nop 1
	v_cndmask_b32_e64 v19, v4, v28, s[24:25]
	s_branch .LBB23_1798
.LBB23_1863:                            ;   in Loop: Header=BB23_1651 Depth=2
	s_or_b64 exec, exec, s[44:45]
	s_and_saveexec_b64 s[44:45], s[46:47]
	s_xor_b64 s[44:45], exec, s[44:45]
	s_cbranch_execz .LBB23_1865
; %bb.1864:                             ;   in Loop: Header=BB23_1651 Depth=2
	ds_write_b32 v0, v1
	s_trap 2
.LBB23_1865:                            ;   in Loop: Header=BB23_1651 Depth=2
	s_or_b64 exec, exec, s[42:43]
	;;#ASMSTART
	s_wakeup
	;;#ASMEND
.LBB23_1866:                            ;   in Loop: Header=BB23_1651 Depth=2
	s_or_b64 exec, exec, s[40:41]
.LBB23_1867:                            ;   in Loop: Header=BB23_1651 Depth=2
	s_andn2_saveexec_b64 s[28:29], s[28:29]
	s_cbranch_execz .LBB23_1869
; %bb.1868:                             ;   in Loop: Header=BB23_1651 Depth=2
	;;#ASMSTART
	s_waitcnt lgkmcnt(0) vmcnt(0)
	;;#ASMEND
	s_barrier
.LBB23_1869:                            ;   in Loop: Header=BB23_1651 Depth=2
	s_or_b64 exec, exec, s[28:29]
	v_and_b32_e32 v2, 16, v110
.LBB23_1870:                            ;   in Loop: Header=BB23_1651 Depth=2
	s_or_b64 exec, exec, s[24:25]
	v_cmp_ne_u32_e32 vcc, 0, v2
	s_xor_b64 s[24:25], s[10:11], -1
	s_and_b64 s[28:29], vcc, s[24:25]
	s_and_saveexec_b64 s[24:25], s[28:29]
	s_cbranch_execz .LBB23_1872
; %bb.1871:                             ;   in Loop: Header=BB23_1651 Depth=2
	flat_store_dword v[68:69], v1 sc0 sc1
.LBB23_1872:                            ;   in Loop: Header=BB23_1651 Depth=2
	s_or_b64 exec, exec, s[24:25]
	v_and_b32_e32 v2, 48, v110
	v_cmp_ne_u32_e32 vcc, 0, v2
	s_and_saveexec_b64 s[24:25], vcc
	s_cbranch_execz .LBB23_1874
; %bb.1873:                             ;   in Loop: Header=BB23_1651 Depth=2
	v_lshl_add_u64 v[76:77], v[76:77], 0, 4
	flat_store_dwordx2 v[64:65], v[76:77] sc0 sc1
.LBB23_1874:                            ;   in Loop: Header=BB23_1651 Depth=2
	s_or_b64 exec, exec, s[24:25]
	s_or_b64 exec, exec, s[26:27]
	s_add_i32 s24, s49, 1
	s_cmp_eq_u32 s49, s87
	s_cbranch_scc0 .LBB23_2157
	s_branch .LBB23_2158
.LBB23_1875:                            ;   in Loop: Header=BB23_1651 Depth=2
	s_or_b64 exec, exec, s[28:29]
.LBB23_1876:                            ;   in Loop: Header=BB23_1651 Depth=2
	s_or_b64 exec, exec, s[26:27]
	v_lshlrev_b32_e32 v32, 11, v39
	v_cmp_ne_u32_e32 vcc, v38, v32
	s_mov_b64 s[24:25], 0
	v_mov_b32_e32 v18, 0
                                        ; implicit-def: $vgpr19
	s_and_saveexec_b64 s[52:53], vcc
	s_cbranch_execz .LBB23_1884
; %bb.1877:                             ;   in Loop: Header=BB23_1651 Depth=2
	v_lshlrev_b32_e32 v2, 6, v2
	v_and_b32_e32 v5, 63, v0
	v_sub_u32_e32 v2, v5, v2
	v_ashrrev_i32_e32 v5, 31, v2
	v_lshrrev_b32_e32 v5, 26, v5
	v_add_u32_e32 v5, v2, v5
	v_sub_u32_e32 v4, v38, v32
	v_ashrrev_i32_e32 v8, 6, v5
	v_and_b32_e32 v5, 0xffffffc0, v5
	v_sub_u32_e32 v33, v2, v5
	v_ashrrev_i32_e32 v5, 31, v4
	v_lshrrev_b32_e32 v5, 22, v5
	v_add_u32_e32 v5, v4, v5
	v_and_b32_e32 v34, 0xfffffc00, v5
	v_lshlrev_b32_e32 v2, 4, v33
	v_sub_u32_e32 v35, v4, v34
	v_lshl_add_u32 v2, v8, 10, v2
	v_ashrrev_i32_e32 v9, 10, v5
	v_cmp_lt_i32_e64 s[24:25], 15, v35
	v_sub_u32_e32 v37, v4, v2
	s_nop 0
	v_addc_co_u32_e64 v4, vcc, 0, v9, s[24:25]
	v_sub_u32_e32 v36, v4, v8
	v_cmp_lt_i32_e32 vcc, 15, v37
	s_and_saveexec_b64 s[54:55], vcc
	s_cbranch_execz .LBB23_1883
; %bb.1878:                             ;   in Loop: Header=BB23_1651 Depth=2
	v_add_u32_e32 v4, v2, v32
	s_and_b32 s76, s66, 1
	v_ashrrev_i32_e32 v5, 31, v4
	s_cmp_eq_u64 s[76:77], 0
	v_lshl_add_u64 v[16:17], v[4:5], 0, v[92:93]
	s_waitcnt lgkmcnt(0)
	v_lshl_add_u64 v[18:19], v[4:5], 0, v[26:27]
	v_lshl_add_u64 v[20:21], v[4:5], 0, v[94:95]
	;; [unrolled: 1-line block ×3, first 2 shown]
	s_mov_b64 s[64:65], 0
	s_cselect_b64 s[26:27], -1, 0
.LBB23_1879:                            ;   Parent Loop BB23_47 Depth=1
                                        ;     Parent Loop BB23_1651 Depth=2
                                        ; =>    This Loop Header: Depth=3
                                        ;         Child Loop BB23_1880 Depth 4
	global_load_dwordx4 v[8:11], v[16:17], off nt
	global_load_dwordx4 v[12:15], v[18:19], off nt
	s_waitcnt vmcnt(0)
	v_lshlrev_b32_e32 v2, 16, v8
	v_and_b32_e32 v5, 0xffff0000, v12
	v_lshlrev_b32_e32 v12, 16, v12
	v_max_f32_e32 v12, v12, v12
	v_max_f32_e32 v2, v2, v2
	v_min_f32_e32 v28, v2, v12
	v_max_f32_e32 v2, v2, v12
	v_cndmask_b32_e64 v12, v2, v28, s[26:27]
	v_and_b32_e32 v4, 0xffff0000, v8
	v_and_b32_e32 v2, 0x7f800000, v12
	v_cmp_eq_u32_e32 vcc, s97, v2
	v_bfe_u32 v2, v12, 16, 1
	v_cmp_eq_u32_sdwa s[28:29], v12, v3 src0_sel:WORD_0 src1_sel:DWORD
	v_or_b32_e32 v28, 0x10000, v12
	v_max_f32_e32 v5, v5, v5
	v_max_f32_e32 v4, v4, v4
	v_add3_u32 v2, v12, v2, s74
	v_cndmask_b32_e64 v12, v28, v12, s[28:29]
	v_min_f32_e32 v28, v4, v5
	v_max_f32_e32 v4, v4, v5
	v_cndmask_b32_e64 v4, v4, v28, s[26:27]
	v_and_b32_e32 v5, 0x7f800000, v4
	v_cmp_eq_u32_e64 s[28:29], s97, v5
	v_bfe_u32 v5, v4, 16, 1
	v_add3_u32 v39, v4, v5, s74
	v_cmp_eq_u32_sdwa s[40:41], v4, v3 src0_sel:WORD_0 src1_sel:DWORD
	v_or_b32_e32 v5, 0x10000, v4
	v_lshlrev_b32_e32 v28, 16, v9
	v_cndmask_b32_e64 v48, v5, v4, s[40:41]
	v_and_b32_e32 v5, 0xffff0000, v13
	v_lshlrev_b32_e32 v13, 16, v13
	v_max_f32_e32 v13, v13, v13
	v_max_f32_e32 v28, v28, v28
	v_min_f32_e32 v29, v28, v13
	v_max_f32_e32 v13, v28, v13
	v_cndmask_b32_e64 v28, v13, v29, s[26:27]
	v_and_b32_e32 v4, 0xffff0000, v9
	v_and_b32_e32 v13, 0x7f800000, v28
	v_cmp_eq_u32_e64 s[40:41], s97, v13
	v_bfe_u32 v13, v28, 16, 1
	v_cmp_eq_u32_sdwa s[42:43], v28, v3 src0_sel:WORD_0 src1_sel:DWORD
	v_or_b32_e32 v29, 0x10000, v28
	v_max_f32_e32 v5, v5, v5
	v_max_f32_e32 v4, v4, v4
	v_add3_u32 v13, v28, v13, s74
	v_cndmask_b32_e64 v49, v29, v28, s[42:43]
	v_min_f32_e32 v28, v4, v5
	v_max_f32_e32 v4, v4, v5
	v_cndmask_b32_e64 v4, v4, v28, s[26:27]
	v_and_b32_e32 v5, 0x7f800000, v4
	v_cmp_eq_u32_e64 s[42:43], s97, v5
	v_bfe_u32 v5, v4, 16, 1
	v_add3_u32 v50, v4, v5, s74
	v_cmp_eq_u32_sdwa s[44:45], v4, v3 src0_sel:WORD_0 src1_sel:DWORD
	v_or_b32_e32 v5, 0x10000, v4
	v_lshlrev_b32_e32 v28, 16, v10
	v_cndmask_b32_e64 v51, v5, v4, s[44:45]
	v_and_b32_e32 v5, 0xffff0000, v14
	v_lshlrev_b32_e32 v14, 16, v14
	v_max_f32_e32 v14, v14, v14
	v_max_f32_e32 v28, v28, v28
	v_min_f32_e32 v29, v28, v14
	v_max_f32_e32 v14, v28, v14
	v_cndmask_b32_e64 v28, v14, v29, s[26:27]
	v_and_b32_e32 v4, 0xffff0000, v10
	v_and_b32_e32 v14, 0x7f800000, v28
	v_cmp_eq_u32_e64 s[44:45], s97, v14
	;; [unrolled: 28-line block ×3, first 2 shown]
	v_bfe_u32 v28, v15, 16, 1
	v_cmp_eq_u32_sdwa s[58:59], v15, v3 src0_sel:WORD_0 src1_sel:DWORD
	v_or_b32_e32 v29, 0x10000, v15
	v_max_f32_e32 v5, v5, v5
	v_max_f32_e32 v4, v4, v4
	v_add3_u32 v28, v15, v28, s74
	v_cndmask_b32_e64 v15, v29, v15, s[58:59]
	v_min_f32_e32 v29, v4, v5
	v_max_f32_e32 v4, v4, v5
	v_cndmask_b32_e64 v4, v4, v29, s[26:27]
	v_and_b32_e32 v5, 0x7f800000, v4
	v_cmp_eq_u32_e64 s[58:59], s97, v5
	v_bfe_u32 v5, v4, 16, 1
	v_cmp_eq_u32_sdwa s[60:61], v4, v3 src0_sel:WORD_0 src1_sel:DWORD
	v_or_b32_e32 v29, 0x10000, v4
	v_add3_u32 v5, v4, v5, s74
	v_cndmask_b32_e64 v4, v29, v4, s[60:61]
	v_cndmask_b32_e64 v13, v13, v49, s[40:41]
	v_cndmask_b32_e32 v2, v2, v12, vcc
	v_cndmask_b32_e64 v29, v50, v51, s[42:43]
	v_cndmask_b32_e64 v14, v14, v54, s[44:45]
	;; [unrolled: 1-line block ×3, first 2 shown]
	v_lshrrev_b32_e32 v5, 16, v13
	v_cndmask_b32_e64 v12, v39, v48, s[28:29]
	v_cndmask_b32_e64 v31, v55, v82, s[46:47]
	;; [unrolled: 1-line block ×3, first 2 shown]
	v_and_or_b32 v13, v29, s75, v5
	v_lshrrev_b32_e32 v2, 16, v2
	v_lshrrev_b32_e32 v5, 16, v14
	v_and_or_b32 v2, v12, s75, v2
	v_and_or_b32 v12, v31, s75, v5
	v_lshrrev_b32_e32 v5, 16, v15
	v_and_or_b32 v15, v4, s75, v5
	s_mov_b64 s[28:29], -1
	s_mov_b64 s[40:41], 0
.LBB23_1880:                            ;   Parent Loop BB23_47 Depth=1
                                        ;     Parent Loop BB23_1651 Depth=2
                                        ;       Parent Loop BB23_1879 Depth=3
                                        ; =>      This Inner Loop Header: Depth=4
	v_cndmask_b32_e64 v4, 0, 1, s[28:29]
	v_cmp_ne_u32_e32 vcc, 1, v4
	s_cmp_eq_u32 s40, 1
	v_cndmask_b32_e64 v49, v9, v13, s[28:29]
	v_cndmask_b32_e64 v48, v8, v2, s[28:29]
	;; [unrolled: 1-line block ×4, first 2 shown]
	v_cndmask_b32_e32 v5, v21, v23, vcc
	v_cndmask_b32_e32 v4, v20, v22, vcc
	s_cselect_b64 vcc, -1, 0
	global_store_dwordx4 v[4:5], v[48:51], off
	v_cndmask_b32_e32 v5, v21, v23, vcc
	v_cndmask_b32_e32 v4, v20, v22, vcc
	v_lshl_add_u64 v[4:5], v[4:5], 0, s[90:91]
	s_cmp_eq_u32 s40, 0
	v_cndmask_b32_e32 v23, v23, v5, vcc
	v_cndmask_b32_e32 v22, v22, v4, vcc
	s_cselect_b64 vcc, -1, 0
	v_cndmask_b32_e32 v21, v21, v5, vcc
	v_cndmask_b32_e32 v20, v20, v4, vcc
	s_mov_b64 s[40:41], 1
	s_and_b64 vcc, exec, s[28:29]
	s_mov_b64 s[28:29], 0
	s_cbranch_vccnz .LBB23_1880
; %bb.1881:                             ;   in Loop: Header=BB23_1879 Depth=3
	v_sub_u32_e32 v37, v37, v100
	v_cmp_gt_i32_e32 vcc, 16, v37
	v_lshl_add_u64 v[20:21], v[20:21], 0, v[116:117]
	v_lshl_add_u64 v[22:23], v[22:23], 0, v[116:117]
	;; [unrolled: 1-line block ×4, first 2 shown]
	s_or_b64 s[64:65], vcc, s[64:65]
	v_sub_u32_e32 v36, v36, v84
	s_andn2_b64 exec, exec, s[64:65]
	s_cbranch_execnz .LBB23_1879
; %bb.1882:                             ;   in Loop: Header=BB23_1651 Depth=2
	s_or_b64 exec, exec, s[64:65]
.LBB23_1883:                            ;   in Loop: Header=BB23_1651 Depth=2
	s_or_b64 exec, exec, s[54:55]
	v_and_b32_e32 v2, 14, v38
	v_cmp_lt_i32_e32 vcc, 0, v36
	v_sub_u32_e32 v4, v35, v2
	v_cndmask_b32_e64 v38, v35, v2, s[24:25]
	v_cndmask_b32_e32 v2, 0, v84, vcc
	v_cndmask_b32_e64 v4, 0, v4, s[24:25]
	v_sub_u32_e32 v2, v2, v36
	v_cmp_ne_u32_e32 vcc, 0, v38
	v_add3_u32 v18, v34, v32, v4
	v_lshl_add_u32 v19, v2, 6, v33
	s_and_b64 s[24:25], vcc, exec
.LBB23_1884:                            ;   in Loop: Header=BB23_1651 Depth=2
	s_or_b64 exec, exec, s[52:53]
	s_and_saveexec_b64 s[42:43], s[24:25]
	s_cbranch_execz .LBB23_1927
.LBB23_1885:                            ;   in Loop: Header=BB23_1651 Depth=2
	v_ashrrev_i32_e32 v2, 31, v19
	v_ashrrev_i32_e32 v4, 31, v38
	v_lshrrev_b32_e32 v2, 26, v2
	v_lshrrev_b32_e32 v4, 22, v4
	v_add_u32_e32 v8, v19, v2
	v_add_u32_e32 v4, v38, v4
	v_ashrrev_i32_e32 v2, 6, v8
	v_ashrrev_i32_e32 v21, 10, v4
	v_sub_u32_e32 v20, v21, v2
	v_cmp_lt_i32_e32 vcc, 0, v20
	s_and_saveexec_b64 s[26:27], vcc
	s_cbranch_execz .LBB23_1921
; %bb.1886:                             ;   in Loop: Header=BB23_1651 Depth=2
	v_and_b32_e32 v4, 0x7fffffc0, v8
	v_sub_u32_e32 v4, v19, v4
	v_lshlrev_b32_e32 v4, 1, v4
	v_lshlrev_b32_e32 v5, 10, v2
	v_add3_u32 v8, v4, v18, v5
	s_and_b32 s76, s66, 1
	v_ashrrev_i32_e32 v9, 31, v8
	s_cmp_eq_u64 s[76:77], 0
	v_lshl_add_u64 v[10:11], v[8:9], 0, v[94:95]
	v_lshl_add_u64 v[12:13], v[8:9], 0, v[24:25]
	s_mov_b64 s[28:29], 0
	s_cselect_b64 vcc, -1, 0
	v_mov_b64_e32 v[14:15], v[92:93]
	s_waitcnt lgkmcnt(0)
	v_mov_b64_e32 v[16:17], v[26:27]
	s_branch .LBB23_1888
.LBB23_1887:                            ;   in Loop: Header=BB23_1888 Depth=3
	s_or_b64 exec, exec, s[40:41]
	v_sub_u32_e32 v20, v20, v84
	v_cmp_gt_i32_e64 s[24:25], 1, v20
	flat_store_short_d16_hi v[10:11], v29 offset:896 nt
	flat_store_short v[12:13], v22 nt
	flat_store_short v[12:13], v23 offset:128 nt
	flat_store_short v[12:13], v32 offset:256 nt
	;; [unrolled: 1-line block ×7, first 2 shown]
	v_lshl_add_u64 v[10:11], v[10:11], 0, v[100:101]
	v_lshl_add_u64 v[12:13], v[12:13], 0, v[100:101]
	;; [unrolled: 1-line block ×3, first 2 shown]
	s_or_b64 s[28:29], s[24:25], s[28:29]
	v_lshl_add_u64 v[14:15], v[14:15], 0, v[46:47]
	s_andn2_b64 exec, exec, s[28:29]
	s_cbranch_execz .LBB23_1920
.LBB23_1888:                            ;   Parent Loop BB23_47 Depth=1
                                        ;     Parent Loop BB23_1651 Depth=2
                                        ; =>    This Inner Loop Header: Depth=3
	v_lshl_add_u64 v[54:55], v[8:9], 0, v[14:15]
	v_lshl_add_u64 v[4:5], v[8:9], 0, v[16:17]
	flat_load_ushort v22, v[54:55] nt
	flat_load_ushort v50, v[4:5] offset:256 nt
	flat_load_ushort v49, v[4:5] offset:384 nt
	;; [unrolled: 1-line block ×6, first 2 shown]
	flat_load_ushort v31, v[4:5] nt
	flat_load_ushort v51, v[4:5] offset:128 nt
	flat_load_ushort v23, v[54:55] offset:128 nt
	;; [unrolled: 1-line block ×8, first 2 shown]
                                        ; implicit-def: $vgpr54
	s_waitcnt vmcnt(0) lgkmcnt(0)
	v_lshlrev_b32_e32 v4, 16, v22
	v_max_f32_e32 v4, v4, v4
	v_lshlrev_b32_e32 v5, 16, v31
	v_max_f32_e32 v5, v5, v5
	v_min_f32_e32 v31, v4, v5
	v_max_f32_e32 v4, v4, v5
	v_cndmask_b32_e32 v31, v4, v31, vcc
	v_and_b32_e32 v4, 0x7f800000, v31
	v_cmp_ne_u32_e64 s[24:25], s97, v4
	s_and_saveexec_b64 s[40:41], s[24:25]
	s_xor_b64 s[24:25], exec, s[40:41]
; %bb.1889:                             ;   in Loop: Header=BB23_1888 Depth=3
	v_bfe_u32 v4, v31, 16, 1
	v_add3_u32 v54, v31, v4, s74
                                        ; implicit-def: $vgpr31
; %bb.1890:                             ;   in Loop: Header=BB23_1888 Depth=3
	s_andn2_saveexec_b64 s[40:41], s[24:25]
; %bb.1891:                             ;   in Loop: Header=BB23_1888 Depth=3
	v_or_b32_e32 v4, 0x10000, v31
	v_cmp_eq_u32_sdwa s[24:25], v31, v3 src0_sel:WORD_0 src1_sel:DWORD
	s_nop 1
	v_cndmask_b32_e64 v54, v4, v31, s[24:25]
; %bb.1892:                             ;   in Loop: Header=BB23_1888 Depth=3
	s_or_b64 exec, exec, s[40:41]
	v_lshlrev_b32_e32 v4, 16, v23
	v_lshlrev_b32_e32 v5, 16, v51
	v_max_f32_e32 v5, v5, v5
	v_max_f32_e32 v4, v4, v4
	v_min_f32_e32 v31, v4, v5
	v_max_f32_e32 v4, v4, v5
	v_cndmask_b32_e32 v31, v4, v31, vcc
	v_and_b32_e32 v4, 0x7f800000, v31
	v_cmp_ne_u32_e64 s[24:25], s97, v4
	flat_store_short_d16_hi v[10:11], v54 nt
                                        ; implicit-def: $vgpr51
	s_and_saveexec_b64 s[40:41], s[24:25]
	s_xor_b64 s[24:25], exec, s[40:41]
; %bb.1893:                             ;   in Loop: Header=BB23_1888 Depth=3
	v_bfe_u32 v4, v31, 16, 1
	v_add3_u32 v51, v31, v4, s74
                                        ; implicit-def: $vgpr31
; %bb.1894:                             ;   in Loop: Header=BB23_1888 Depth=3
	s_andn2_saveexec_b64 s[40:41], s[24:25]
; %bb.1895:                             ;   in Loop: Header=BB23_1888 Depth=3
	v_or_b32_e32 v4, 0x10000, v31
	v_cmp_eq_u32_sdwa s[24:25], v31, v3 src0_sel:WORD_0 src1_sel:DWORD
	s_nop 1
	v_cndmask_b32_e64 v51, v4, v31, s[24:25]
; %bb.1896:                             ;   in Loop: Header=BB23_1888 Depth=3
	s_or_b64 exec, exec, s[40:41]
	v_lshlrev_b32_e32 v4, 16, v32
	v_lshlrev_b32_e32 v5, 16, v50
	v_max_f32_e32 v5, v5, v5
	v_max_f32_e32 v4, v4, v4
	v_min_f32_e32 v31, v4, v5
	v_max_f32_e32 v4, v4, v5
	v_cndmask_b32_e32 v31, v4, v31, vcc
	v_and_b32_e32 v4, 0x7f800000, v31
	v_cmp_ne_u32_e64 s[24:25], s97, v4
	flat_store_short_d16_hi v[10:11], v51 offset:128 nt
                                        ; implicit-def: $vgpr50
	s_and_saveexec_b64 s[40:41], s[24:25]
	s_xor_b64 s[24:25], exec, s[40:41]
; %bb.1897:                             ;   in Loop: Header=BB23_1888 Depth=3
	v_bfe_u32 v4, v31, 16, 1
	v_add3_u32 v50, v31, v4, s74
                                        ; implicit-def: $vgpr31
; %bb.1898:                             ;   in Loop: Header=BB23_1888 Depth=3
	s_andn2_saveexec_b64 s[40:41], s[24:25]
; %bb.1899:                             ;   in Loop: Header=BB23_1888 Depth=3
	v_or_b32_e32 v4, 0x10000, v31
	v_cmp_eq_u32_sdwa s[24:25], v31, v3 src0_sel:WORD_0 src1_sel:DWORD
	s_nop 1
	v_cndmask_b32_e64 v50, v4, v31, s[24:25]
; %bb.1900:                             ;   in Loop: Header=BB23_1888 Depth=3
	s_or_b64 exec, exec, s[40:41]
	v_lshlrev_b32_e32 v4, 16, v33
	v_lshlrev_b32_e32 v5, 16, v49
	v_max_f32_e32 v5, v5, v5
	v_max_f32_e32 v4, v4, v4
	v_min_f32_e32 v31, v4, v5
	v_max_f32_e32 v4, v4, v5
	v_cndmask_b32_e32 v31, v4, v31, vcc
	v_and_b32_e32 v4, 0x7f800000, v31
	v_cmp_ne_u32_e64 s[24:25], s97, v4
	flat_store_short_d16_hi v[10:11], v50 offset:256 nt
                                        ; implicit-def: $vgpr49
	s_and_saveexec_b64 s[40:41], s[24:25]
	s_xor_b64 s[24:25], exec, s[40:41]
; %bb.1901:                             ;   in Loop: Header=BB23_1888 Depth=3
	v_bfe_u32 v4, v31, 16, 1
	v_add3_u32 v49, v31, v4, s74
                                        ; implicit-def: $vgpr31
; %bb.1902:                             ;   in Loop: Header=BB23_1888 Depth=3
	s_andn2_saveexec_b64 s[40:41], s[24:25]
; %bb.1903:                             ;   in Loop: Header=BB23_1888 Depth=3
	v_or_b32_e32 v4, 0x10000, v31
	v_cmp_eq_u32_sdwa s[24:25], v31, v3 src0_sel:WORD_0 src1_sel:DWORD
	s_nop 1
	v_cndmask_b32_e64 v49, v4, v31, s[24:25]
; %bb.1904:                             ;   in Loop: Header=BB23_1888 Depth=3
	s_or_b64 exec, exec, s[40:41]
	v_lshlrev_b32_e32 v4, 16, v34
	v_lshlrev_b32_e32 v5, 16, v29
	v_max_f32_e32 v5, v5, v5
	v_max_f32_e32 v4, v4, v4
	v_min_f32_e32 v29, v4, v5
	v_max_f32_e32 v4, v4, v5
	v_cndmask_b32_e32 v29, v4, v29, vcc
	v_and_b32_e32 v4, 0x7f800000, v29
	v_cmp_ne_u32_e64 s[24:25], s97, v4
	flat_store_short_d16_hi v[10:11], v49 offset:384 nt
                                        ; implicit-def: $vgpr31
	s_and_saveexec_b64 s[40:41], s[24:25]
	s_xor_b64 s[24:25], exec, s[40:41]
; %bb.1905:                             ;   in Loop: Header=BB23_1888 Depth=3
	v_bfe_u32 v4, v29, 16, 1
	v_add3_u32 v31, v29, v4, s74
                                        ; implicit-def: $vgpr29
; %bb.1906:                             ;   in Loop: Header=BB23_1888 Depth=3
	s_andn2_saveexec_b64 s[40:41], s[24:25]
; %bb.1907:                             ;   in Loop: Header=BB23_1888 Depth=3
	v_or_b32_e32 v4, 0x10000, v29
	v_cmp_eq_u32_sdwa s[24:25], v29, v3 src0_sel:WORD_0 src1_sel:DWORD
	s_nop 1
	v_cndmask_b32_e64 v31, v4, v29, s[24:25]
; %bb.1908:                             ;   in Loop: Header=BB23_1888 Depth=3
	s_or_b64 exec, exec, s[40:41]
	v_lshlrev_b32_e32 v4, 16, v35
	v_lshlrev_b32_e32 v5, 16, v28
	v_max_f32_e32 v5, v5, v5
	v_max_f32_e32 v4, v4, v4
	v_min_f32_e32 v28, v4, v5
	v_max_f32_e32 v4, v4, v5
	v_cndmask_b32_e32 v28, v4, v28, vcc
	v_and_b32_e32 v4, 0x7f800000, v28
	v_cmp_ne_u32_e64 s[24:25], s97, v4
	flat_store_short_d16_hi v[10:11], v31 offset:512 nt
                                        ; implicit-def: $vgpr29
	s_and_saveexec_b64 s[40:41], s[24:25]
	s_xor_b64 s[24:25], exec, s[40:41]
; %bb.1909:                             ;   in Loop: Header=BB23_1888 Depth=3
	v_bfe_u32 v4, v28, 16, 1
	v_add3_u32 v29, v28, v4, s74
                                        ; implicit-def: $vgpr28
; %bb.1910:                             ;   in Loop: Header=BB23_1888 Depth=3
	s_andn2_saveexec_b64 s[40:41], s[24:25]
; %bb.1911:                             ;   in Loop: Header=BB23_1888 Depth=3
	v_or_b32_e32 v4, 0x10000, v28
	v_cmp_eq_u32_sdwa s[24:25], v28, v3 src0_sel:WORD_0 src1_sel:DWORD
	s_nop 1
	v_cndmask_b32_e64 v29, v4, v28, s[24:25]
; %bb.1912:                             ;   in Loop: Header=BB23_1888 Depth=3
	s_or_b64 exec, exec, s[40:41]
	v_lshlrev_b32_e32 v4, 16, v36
	v_lshlrev_b32_e32 v5, 16, v48
	v_max_f32_e32 v5, v5, v5
	v_max_f32_e32 v4, v4, v4
	v_min_f32_e32 v28, v4, v5
	v_max_f32_e32 v4, v4, v5
	v_cndmask_b32_e32 v28, v4, v28, vcc
	v_and_b32_e32 v4, 0x7f800000, v28
	v_cmp_ne_u32_e64 s[24:25], s97, v4
	flat_store_short_d16_hi v[10:11], v29 offset:640 nt
                                        ; implicit-def: $vgpr29
	s_and_saveexec_b64 s[40:41], s[24:25]
	s_xor_b64 s[24:25], exec, s[40:41]
; %bb.1913:                             ;   in Loop: Header=BB23_1888 Depth=3
	v_bfe_u32 v4, v28, 16, 1
	v_add3_u32 v29, v28, v4, s74
                                        ; implicit-def: $vgpr28
	;; [unrolled: 26-line block ×3, first 2 shown]
; %bb.1918:                             ;   in Loop: Header=BB23_1888 Depth=3
	s_andn2_saveexec_b64 s[40:41], s[24:25]
	s_cbranch_execz .LBB23_1887
; %bb.1919:                             ;   in Loop: Header=BB23_1888 Depth=3
	v_or_b32_e32 v4, 0x10000, v28
	v_cmp_eq_u32_sdwa s[24:25], v28, v3 src0_sel:WORD_0 src1_sel:DWORD
	s_nop 1
	v_cndmask_b32_e64 v29, v4, v28, s[24:25]
	s_branch .LBB23_1887
.LBB23_1920:                            ;   in Loop: Header=BB23_1651 Depth=2
	s_or_b64 exec, exec, s[28:29]
.LBB23_1921:                            ;   in Loop: Header=BB23_1651 Depth=2
	s_or_b64 exec, exec, s[26:27]
	v_lshlrev_b32_e32 v8, 10, v21
	v_cmp_ne_u32_e32 vcc, v38, v8
	s_and_b64 exec, exec, vcc
	s_cbranch_execz .LBB23_1927
; %bb.1922:                             ;   in Loop: Header=BB23_1651 Depth=2
	v_lshlrev_b32_e32 v2, 6, v2
	v_sub_u32_e32 v2, v19, v2
	v_lshlrev_b32_e32 v4, 6, v20
	v_sub_u32_e32 v2, v2, v4
	v_ashrrev_i32_e32 v4, 31, v2
	v_lshrrev_b32_e32 v4, 26, v4
	v_add_u32_e32 v4, v2, v4
	v_and_b32_e32 v5, 0x7fffffc0, v4
	v_sub_u32_e32 v2, v2, v5
	v_lshlrev_b32_e32 v4, 1, v4
	v_and_b32_e32 v4, 0xffffff80, v4
	v_lshlrev_b32_e32 v2, 1, v2
	v_add3_u32 v8, v4, v2, v8
	v_sub_u32_e32 v2, v38, v8
	v_cmp_lt_i32_e32 vcc, 1, v2
	s_and_b64 exec, exec, vcc
	s_cbranch_execz .LBB23_1927
; %bb.1923:                             ;   in Loop: Header=BB23_1651 Depth=2
	v_add_u32_e32 v4, v8, v18
	s_and_b32 s76, s66, 1
	v_ashrrev_i32_e32 v5, 31, v4
	s_cmp_eq_u64 s[76:77], 0
	v_lshl_add_u64 v[8:9], v[4:5], 0, v[92:93]
	s_waitcnt lgkmcnt(0)
	v_lshl_add_u64 v[10:11], v[4:5], 0, v[26:27]
	v_lshl_add_u64 v[12:13], v[4:5], 0, v[94:95]
	;; [unrolled: 1-line block ×3, first 2 shown]
	s_mov_b64 s[44:45], 0
	s_cselect_b64 s[24:25], -1, 0
.LBB23_1924:                            ;   Parent Loop BB23_47 Depth=1
                                        ;     Parent Loop BB23_1651 Depth=2
                                        ; =>    This Loop Header: Depth=3
                                        ;         Child Loop BB23_1925 Depth 4
	flat_load_ushort v16, v[8:9] nt
	flat_load_ushort v4, v[10:11] nt
	s_mov_b64 s[26:27], -1
	s_mov_b64 s[46:47], 0
	s_waitcnt vmcnt(0) lgkmcnt(0)
	v_lshlrev_b32_e32 v5, 16, v16
	v_lshlrev_b32_e32 v4, 16, v4
	v_max_f32_e32 v4, v4, v4
	v_max_f32_e32 v5, v5, v5
	v_min_f32_e32 v17, v5, v4
	v_max_f32_e32 v4, v5, v4
	v_cndmask_b32_e64 v4, v4, v17, s[24:25]
	v_and_b32_e32 v5, 0x7f800000, v4
	v_bfe_u32 v17, v4, 16, 1
	v_or_b32_e32 v18, 0x10000, v4
	v_cmp_eq_u32_sdwa vcc, v4, v3 src0_sel:WORD_0 src1_sel:DWORD
	v_add3_u32 v17, v4, v17, s74
	s_nop 0
	v_cndmask_b32_e32 v4, v18, v4, vcc
	v_cmp_eq_u32_e32 vcc, s97, v5
	s_nop 1
	v_cndmask_b32_e32 v17, v17, v4, vcc
.LBB23_1925:                            ;   Parent Loop BB23_47 Depth=1
                                        ;     Parent Loop BB23_1651 Depth=2
                                        ;       Parent Loop BB23_1924 Depth=3
                                        ; =>      This Inner Loop Header: Depth=4
	s_mov_b64 vcc, s[26:27]
	v_cndmask_b32_e64 v4, 0, 1, s[26:27]
	s_cmp_eq_u32 s46, 1
	v_cndmask_b32_sdwa v20, v16, v17, vcc dst_sel:DWORD dst_unused:UNUSED_PAD src0_sel:DWORD src1_sel:WORD_1
	v_cmp_ne_u32_e32 vcc, 1, v4
	s_cselect_b64 s[28:29], -1, 0
	v_cndmask_b32_e64 v19, v13, v15, s[28:29]
	v_cndmask_b32_e32 v5, v13, v15, vcc
	s_cmp_eq_u32 s46, 0
	v_cndmask_b32_e32 v4, v12, v14, vcc
	v_cndmask_b32_e64 v18, v12, v14, s[28:29]
	flat_store_short v[4:5], v20 nt
	v_lshl_add_u64 v[4:5], v[18:19], 0, s[92:93]
	s_cselect_b64 vcc, -1, 0
	s_and_b64 s[40:41], exec, s[26:27]
	s_mov_b64 s[46:47], 1
	s_mov_b64 s[26:27], 0
	v_cndmask_b32_e64 v15, v15, v5, s[28:29]
	v_cndmask_b32_e64 v14, v14, v4, s[28:29]
	v_cndmask_b32_e32 v13, v13, v5, vcc
	v_cndmask_b32_e32 v12, v12, v4, vcc
	s_mov_b64 vcc, s[40:41]
	s_cbranch_vccnz .LBB23_1925
; %bb.1926:                             ;   in Loop: Header=BB23_1924 Depth=3
	v_sub_u32_e32 v2, v2, v114
	v_cmp_gt_i32_e32 vcc, 2, v2
	v_lshl_add_u64 v[12:13], v[12:13], 0, v[42:43]
	v_lshl_add_u64 v[14:15], v[14:15], 0, v[42:43]
	;; [unrolled: 1-line block ×3, first 2 shown]
	s_or_b64 s[44:45], vcc, s[44:45]
	v_lshl_add_u64 v[10:11], v[10:11], 0, v[60:61]
	s_andn2_b64 exec, exec, s[44:45]
	s_cbranch_execnz .LBB23_1924
.LBB23_1927:                            ;   in Loop: Header=BB23_1651 Depth=2
	s_or_b64 exec, exec, s[42:43]
	s_branch .LBB23_1795
.LBB23_1928:                            ;   in Loop: Header=BB23_1651 Depth=2
	s_mov_b64 s[26:27], -1
	s_and_saveexec_b64 s[24:25], s[18:19]
	s_cbranch_execz .LBB23_1930
; %bb.1929:                             ;   in Loop: Header=BB23_1651 Depth=2
	ds_read_b32 v2, v0 offset:720
	s_waitcnt lgkmcnt(0)
	v_and_b32_e32 v2, 15, v2
	v_cmp_eq_u32_e32 vcc, 0, v2
	s_orn2_b64 s[26:27], vcc, exec
.LBB23_1930:                            ;   in Loop: Header=BB23_1651 Depth=2
	s_or_b64 exec, exec, s[24:25]
	s_and_saveexec_b64 s[24:25], s[16:17]
	s_cbranch_execz .LBB23_1932
; %bb.1931:                             ;   in Loop: Header=BB23_1651 Depth=2
	ds_read_b32 v2, v0 offset:784
	s_waitcnt lgkmcnt(0)
	v_and_b32_e32 v2, 15, v2
	v_cmp_eq_u32_e32 vcc, 0, v2
	s_and_b64 s[28:29], s[26:27], vcc
	s_andn2_b64 s[26:27], s[26:27], exec
	s_and_b64 s[28:29], s[28:29], exec
	s_or_b64 s[26:27], s[26:27], s[28:29]
.LBB23_1932:                            ;   in Loop: Header=BB23_1651 Depth=2
	s_or_b64 exec, exec, s[24:25]
	s_xor_b64 s[26:27], s[26:27], -1
	v_cndmask_b32_e64 v4, 0, 1, s[26:27]
	v_lshlrev_b32_e32 v2, 1, v91
	s_mov_b64 s[24:25], -1
	v_mov_b32_e32 v14, 0
	v_cmp_ne_u32_e32 vcc, 0, v4
	s_cbranch_vccz .LBB23_1934
; %bb.1933:                             ;   in Loop: Header=BB23_1651 Depth=2
	v_mov_b32_e32 v13, v0
	s_and_saveexec_b64 s[40:41], s[24:25]
	s_cbranch_execnz .LBB23_2073
	s_branch .LBB23_2113
.LBB23_1934:                            ;   in Loop: Header=BB23_1651 Depth=2
	v_ashrrev_i32_e32 v4, 31, v2
	v_lshrrev_b32_e32 v4, 20, v4
	v_add_u32_e32 v4, v2, v4
	v_ashrrev_i32_e32 v55, 12, v4
	v_lshrrev_b32_e32 v4, 6, v0
	v_sub_u32_e32 v54, v55, v4
	v_cmp_lt_i32_e32 vcc, 0, v54
	s_and_saveexec_b64 s[26:27], vcc
	s_cbranch_execz .LBB23_2066
; %bb.1935:                             ;   in Loop: Header=BB23_1651 Depth=2
	scratch_load_dwordx2 v[104:105], off, s33 offset:296 ; 8-byte Folded Reload
	s_and_b32 s76, s66, 1
	s_cmp_eq_u64 s[76:77], 0
	s_mov_b64 s[28:29], 0
	s_cselect_b64 vcc, -1, 0
	s_branch .LBB23_1937
.LBB23_1936:                            ;   in Loop: Header=BB23_1937 Depth=3
	s_or_b64 exec, exec, s[40:41]
	v_lshrrev_b32_e32 v4, 16, v12
	v_and_or_b32 v9, v9, s75, v4
	v_lshrrev_b32_e32 v4, 16, v16
	v_and_or_b32 v8, v8, s75, v4
	v_lshrrev_b32_e32 v4, 16, v13
	v_sub_u32_e32 v54, v54, v84
	v_and_or_b32 v10, v10, s75, v4
	v_lshrrev_b32_e32 v4, 16, v14
	v_cmp_gt_i32_e64 s[24:25], 1, v54
	v_and_or_b32 v11, v11, s75, v4
	s_or_b64 s[28:29], s[24:25], s[28:29]
	v_lshl_add_u64 v[104:105], v[104:105], 0, v[44:45]
	global_store_dwordx4 v[36:37], v[8:11], off
	s_andn2_b64 exec, exec, s[28:29]
	s_cbranch_execz .LBB23_2065
.LBB23_1937:                            ;   Parent Loop BB23_47 Depth=1
                                        ;     Parent Loop BB23_1651 Depth=2
                                        ; =>    This Inner Loop Header: Depth=3
	s_waitcnt vmcnt(0)
	v_lshl_add_u64 v[4:5], v[92:93], 0, v[104:105]
	global_load_dwordx4 v[36:39], v[4:5], off offset:-3072 nt
	global_load_dwordx4 v[48:51], v[104:105], off offset:-3072 nt
	s_waitcnt lgkmcnt(0)
	global_load_dwordx4 v[24:27], v[4:5], off offset:-2048 nt
	global_load_dwordx4 v[32:35], v[104:105], off offset:-2048 nt
	;; [unrolled: 1-line block ×4, first 2 shown]
	global_load_dwordx4 v[8:11], v[4:5], off nt
	global_load_dwordx4 v[12:15], v[104:105], off nt
                                        ; implicit-def: $vgpr82
	s_waitcnt vmcnt(7)
	v_lshlrev_b32_e32 v4, 16, v36
	s_waitcnt vmcnt(6)
	v_lshlrev_b32_e32 v5, 16, v48
	v_max_f32_e32 v5, v5, v5
	v_max_f32_e32 v4, v4, v4
	v_min_f32_e32 v28, v4, v5
	v_max_f32_e32 v4, v4, v5
	v_cndmask_b32_e32 v28, v4, v28, vcc
	v_and_b32_e32 v4, 0x7f800000, v28
	v_cmp_ne_u32_e64 s[24:25], s97, v4
	s_and_saveexec_b64 s[40:41], s[24:25]
	s_xor_b64 s[24:25], exec, s[40:41]
; %bb.1938:                             ;   in Loop: Header=BB23_1937 Depth=3
	v_bfe_u32 v4, v28, 16, 1
	v_add3_u32 v82, v28, v4, s74
                                        ; implicit-def: $vgpr28
; %bb.1939:                             ;   in Loop: Header=BB23_1937 Depth=3
	s_andn2_saveexec_b64 s[40:41], s[24:25]
; %bb.1940:                             ;   in Loop: Header=BB23_1937 Depth=3
	v_or_b32_e32 v4, 0x10000, v28
	v_cmp_eq_u32_sdwa s[24:25], v28, v3 src0_sel:WORD_0 src1_sel:DWORD
	s_nop 1
	v_cndmask_b32_e64 v82, v4, v28, s[24:25]
; %bb.1941:                             ;   in Loop: Header=BB23_1937 Depth=3
	s_or_b64 exec, exec, s[40:41]
	v_and_b32_e32 v4, 0xffff0000, v36
	v_and_b32_e32 v5, 0xffff0000, v48
	v_max_f32_e32 v5, v5, v5
	v_max_f32_e32 v4, v4, v4
	v_min_f32_e32 v28, v4, v5
	v_max_f32_e32 v4, v4, v5
	v_cndmask_b32_e32 v28, v4, v28, vcc
	v_and_b32_e32 v4, 0x7f800000, v28
	v_cmp_ne_u32_e64 s[24:25], s97, v4
                                        ; implicit-def: $vgpr48
	s_and_saveexec_b64 s[40:41], s[24:25]
	s_xor_b64 s[24:25], exec, s[40:41]
; %bb.1942:                             ;   in Loop: Header=BB23_1937 Depth=3
	v_bfe_u32 v4, v28, 16, 1
	v_add3_u32 v48, v28, v4, s74
                                        ; implicit-def: $vgpr28
; %bb.1943:                             ;   in Loop: Header=BB23_1937 Depth=3
	s_andn2_saveexec_b64 s[40:41], s[24:25]
; %bb.1944:                             ;   in Loop: Header=BB23_1937 Depth=3
	v_or_b32_e32 v4, 0x10000, v28
	v_cmp_eq_u32_sdwa s[24:25], v28, v3 src0_sel:WORD_0 src1_sel:DWORD
	s_nop 1
	v_cndmask_b32_e64 v48, v4, v28, s[24:25]
; %bb.1945:                             ;   in Loop: Header=BB23_1937 Depth=3
	s_or_b64 exec, exec, s[40:41]
	v_lshlrev_b32_e32 v4, 16, v37
	v_lshlrev_b32_e32 v5, 16, v49
	v_max_f32_e32 v5, v5, v5
	v_max_f32_e32 v4, v4, v4
	v_min_f32_e32 v28, v4, v5
	v_max_f32_e32 v4, v4, v5
	v_cndmask_b32_e32 v29, v4, v28, vcc
	v_and_b32_e32 v4, 0x7f800000, v29
	v_cmp_ne_u32_e64 s[24:25], s97, v4
                                        ; implicit-def: $vgpr28
	s_and_saveexec_b64 s[40:41], s[24:25]
	s_xor_b64 s[24:25], exec, s[40:41]
; %bb.1946:                             ;   in Loop: Header=BB23_1937 Depth=3
	v_bfe_u32 v4, v29, 16, 1
	v_add3_u32 v28, v29, v4, s74
                                        ; implicit-def: $vgpr29
; %bb.1947:                             ;   in Loop: Header=BB23_1937 Depth=3
	s_andn2_saveexec_b64 s[40:41], s[24:25]
; %bb.1948:                             ;   in Loop: Header=BB23_1937 Depth=3
	v_or_b32_e32 v4, 0x10000, v29
	v_cmp_eq_u32_sdwa s[24:25], v29, v3 src0_sel:WORD_0 src1_sel:DWORD
	s_nop 1
	v_cndmask_b32_e64 v28, v4, v29, s[24:25]
; %bb.1949:                             ;   in Loop: Header=BB23_1937 Depth=3
	s_or_b64 exec, exec, s[40:41]
	v_and_b32_e32 v4, 0xffff0000, v37
	v_and_b32_e32 v5, 0xffff0000, v49
	v_max_f32_e32 v5, v5, v5
	v_max_f32_e32 v4, v4, v4
	v_min_f32_e32 v29, v4, v5
	v_max_f32_e32 v4, v4, v5
	v_cndmask_b32_e32 v31, v4, v29, vcc
	v_and_b32_e32 v4, 0x7f800000, v31
	v_cmp_ne_u32_e64 s[24:25], s97, v4
                                        ; implicit-def: $vgpr29
	s_and_saveexec_b64 s[40:41], s[24:25]
	s_xor_b64 s[24:25], exec, s[40:41]
; %bb.1950:                             ;   in Loop: Header=BB23_1937 Depth=3
	v_bfe_u32 v4, v31, 16, 1
	v_add3_u32 v29, v31, v4, s74
                                        ; implicit-def: $vgpr31
; %bb.1951:                             ;   in Loop: Header=BB23_1937 Depth=3
	s_andn2_saveexec_b64 s[40:41], s[24:25]
; %bb.1952:                             ;   in Loop: Header=BB23_1937 Depth=3
	v_or_b32_e32 v4, 0x10000, v31
	v_cmp_eq_u32_sdwa s[24:25], v31, v3 src0_sel:WORD_0 src1_sel:DWORD
	s_nop 1
	v_cndmask_b32_e64 v29, v4, v31, s[24:25]
; %bb.1953:                             ;   in Loop: Header=BB23_1937 Depth=3
	s_or_b64 exec, exec, s[40:41]
	v_lshlrev_b32_e32 v4, 16, v38
	v_lshlrev_b32_e32 v5, 16, v50
	v_max_f32_e32 v5, v5, v5
	v_max_f32_e32 v4, v4, v4
	v_min_f32_e32 v31, v4, v5
	v_max_f32_e32 v4, v4, v5
	v_cndmask_b32_e32 v31, v4, v31, vcc
	v_and_b32_e32 v4, 0x7f800000, v31
	v_cmp_ne_u32_e64 s[24:25], s97, v4
                                        ; implicit-def: $vgpr49
	s_and_saveexec_b64 s[40:41], s[24:25]
	s_xor_b64 s[24:25], exec, s[40:41]
; %bb.1954:                             ;   in Loop: Header=BB23_1937 Depth=3
	v_bfe_u32 v4, v31, 16, 1
	v_add3_u32 v49, v31, v4, s74
                                        ; implicit-def: $vgpr31
; %bb.1955:                             ;   in Loop: Header=BB23_1937 Depth=3
	s_andn2_saveexec_b64 s[40:41], s[24:25]
; %bb.1956:                             ;   in Loop: Header=BB23_1937 Depth=3
	v_or_b32_e32 v4, 0x10000, v31
	v_cmp_eq_u32_sdwa s[24:25], v31, v3 src0_sel:WORD_0 src1_sel:DWORD
	s_nop 1
	v_cndmask_b32_e64 v49, v4, v31, s[24:25]
; %bb.1957:                             ;   in Loop: Header=BB23_1937 Depth=3
	s_or_b64 exec, exec, s[40:41]
	v_and_b32_e32 v4, 0xffff0000, v38
	v_and_b32_e32 v5, 0xffff0000, v50
	v_max_f32_e32 v5, v5, v5
	v_max_f32_e32 v4, v4, v4
	v_min_f32_e32 v31, v4, v5
	v_max_f32_e32 v4, v4, v5
	v_cndmask_b32_e32 v31, v4, v31, vcc
	v_and_b32_e32 v4, 0x7f800000, v31
	v_cmp_ne_u32_e64 s[24:25], s97, v4
                                        ; implicit-def: $vgpr38
	s_and_saveexec_b64 s[40:41], s[24:25]
	s_xor_b64 s[24:25], exec, s[40:41]
; %bb.1958:                             ;   in Loop: Header=BB23_1937 Depth=3
	v_bfe_u32 v4, v31, 16, 1
	v_add3_u32 v38, v31, v4, s74
                                        ; implicit-def: $vgpr31
; %bb.1959:                             ;   in Loop: Header=BB23_1937 Depth=3
	s_andn2_saveexec_b64 s[40:41], s[24:25]
; %bb.1960:                             ;   in Loop: Header=BB23_1937 Depth=3
	v_or_b32_e32 v4, 0x10000, v31
	v_cmp_eq_u32_sdwa s[24:25], v31, v3 src0_sel:WORD_0 src1_sel:DWORD
	s_nop 1
	v_cndmask_b32_e64 v38, v4, v31, s[24:25]
; %bb.1961:                             ;   in Loop: Header=BB23_1937 Depth=3
	s_or_b64 exec, exec, s[40:41]
	v_lshlrev_b32_e32 v4, 16, v39
	v_lshlrev_b32_e32 v5, 16, v51
	v_max_f32_e32 v5, v5, v5
	v_max_f32_e32 v4, v4, v4
	v_min_f32_e32 v31, v4, v5
	v_max_f32_e32 v4, v4, v5
	v_cndmask_b32_e32 v31, v4, v31, vcc
	v_and_b32_e32 v4, 0x7f800000, v31
	v_cmp_ne_u32_e64 s[24:25], s97, v4
                                        ; implicit-def: $vgpr50
	s_and_saveexec_b64 s[40:41], s[24:25]
	s_xor_b64 s[24:25], exec, s[40:41]
; %bb.1962:                             ;   in Loop: Header=BB23_1937 Depth=3
	v_bfe_u32 v4, v31, 16, 1
	v_add3_u32 v50, v31, v4, s74
                                        ; implicit-def: $vgpr31
; %bb.1963:                             ;   in Loop: Header=BB23_1937 Depth=3
	s_andn2_saveexec_b64 s[40:41], s[24:25]
; %bb.1964:                             ;   in Loop: Header=BB23_1937 Depth=3
	v_or_b32_e32 v4, 0x10000, v31
	v_cmp_eq_u32_sdwa s[24:25], v31, v3 src0_sel:WORD_0 src1_sel:DWORD
	s_nop 1
	v_cndmask_b32_e64 v50, v4, v31, s[24:25]
; %bb.1965:                             ;   in Loop: Header=BB23_1937 Depth=3
	s_or_b64 exec, exec, s[40:41]
	v_and_b32_e32 v4, 0xffff0000, v39
	v_and_b32_e32 v5, 0xffff0000, v51
	v_max_f32_e32 v5, v5, v5
	v_max_f32_e32 v4, v4, v4
	v_min_f32_e32 v31, v4, v5
	v_max_f32_e32 v4, v4, v5
	v_cndmask_b32_e32 v31, v4, v31, vcc
	v_and_b32_e32 v4, 0x7f800000, v31
	v_cmp_ne_u32_e64 s[24:25], s97, v4
                                        ; implicit-def: $vgpr39
	s_and_saveexec_b64 s[40:41], s[24:25]
	s_xor_b64 s[24:25], exec, s[40:41]
; %bb.1966:                             ;   in Loop: Header=BB23_1937 Depth=3
	v_bfe_u32 v4, v31, 16, 1
	v_add3_u32 v39, v31, v4, s74
                                        ; implicit-def: $vgpr31
; %bb.1967:                             ;   in Loop: Header=BB23_1937 Depth=3
	s_andn2_saveexec_b64 s[40:41], s[24:25]
; %bb.1968:                             ;   in Loop: Header=BB23_1937 Depth=3
	v_or_b32_e32 v4, 0x10000, v31
	v_cmp_eq_u32_sdwa s[24:25], v31, v3 src0_sel:WORD_0 src1_sel:DWORD
	s_nop 1
	v_cndmask_b32_e64 v39, v4, v31, s[24:25]
; %bb.1969:                             ;   in Loop: Header=BB23_1937 Depth=3
	s_or_b64 exec, exec, s[40:41]
	v_lshrrev_b32_e32 v4, 16, v28
	v_and_or_b32 v107, v29, s75, v4
	v_lshrrev_b32_e32 v4, 16, v82
	v_and_or_b32 v106, v48, s75, v4
	v_lshrrev_b32_e32 v4, 16, v49
	v_and_or_b32 v108, v38, s75, v4
	v_lshrrev_b32_e32 v4, 16, v50
	v_and_or_b32 v109, v39, s75, v4
	s_waitcnt vmcnt(5)
	v_lshlrev_b32_e32 v4, 16, v24
	s_waitcnt vmcnt(4)
	v_lshlrev_b32_e32 v5, 16, v32
	v_max_f32_e32 v5, v5, v5
	v_max_f32_e32 v4, v4, v4
	v_min_f32_e32 v28, v4, v5
	v_max_f32_e32 v4, v4, v5
	v_cndmask_b32_e32 v28, v4, v28, vcc
	v_and_b32_e32 v4, 0x7f800000, v28
	v_lshl_add_u64 v[36:37], v[94:95], 0, v[104:105]
	v_cmp_ne_u32_e64 s[24:25], s97, v4
	global_store_dwordx4 v[36:37], v[106:109], off offset:-3072
                                        ; implicit-def: $vgpr38
	s_and_saveexec_b64 s[40:41], s[24:25]
	s_xor_b64 s[24:25], exec, s[40:41]
; %bb.1970:                             ;   in Loop: Header=BB23_1937 Depth=3
	v_bfe_u32 v4, v28, 16, 1
	v_add3_u32 v38, v28, v4, s74
                                        ; implicit-def: $vgpr28
; %bb.1971:                             ;   in Loop: Header=BB23_1937 Depth=3
	s_andn2_saveexec_b64 s[40:41], s[24:25]
; %bb.1972:                             ;   in Loop: Header=BB23_1937 Depth=3
	v_or_b32_e32 v4, 0x10000, v28
	v_cmp_eq_u32_sdwa s[24:25], v28, v3 src0_sel:WORD_0 src1_sel:DWORD
	s_nop 1
	v_cndmask_b32_e64 v38, v4, v28, s[24:25]
; %bb.1973:                             ;   in Loop: Header=BB23_1937 Depth=3
	s_or_b64 exec, exec, s[40:41]
	v_and_b32_e32 v4, 0xffff0000, v24
	v_and_b32_e32 v5, 0xffff0000, v32
	v_max_f32_e32 v5, v5, v5
	v_max_f32_e32 v4, v4, v4
	v_min_f32_e32 v24, v4, v5
	v_max_f32_e32 v4, v4, v5
	v_cndmask_b32_e32 v28, v4, v24, vcc
	v_and_b32_e32 v4, 0x7f800000, v28
	v_cmp_ne_u32_e64 s[24:25], s97, v4
                                        ; implicit-def: $vgpr24
	s_and_saveexec_b64 s[40:41], s[24:25]
	s_xor_b64 s[24:25], exec, s[40:41]
; %bb.1974:                             ;   in Loop: Header=BB23_1937 Depth=3
	v_bfe_u32 v4, v28, 16, 1
	v_add3_u32 v24, v28, v4, s74
                                        ; implicit-def: $vgpr28
; %bb.1975:                             ;   in Loop: Header=BB23_1937 Depth=3
	s_andn2_saveexec_b64 s[40:41], s[24:25]
; %bb.1976:                             ;   in Loop: Header=BB23_1937 Depth=3
	v_or_b32_e32 v4, 0x10000, v28
	v_cmp_eq_u32_sdwa s[24:25], v28, v3 src0_sel:WORD_0 src1_sel:DWORD
	s_nop 1
	v_cndmask_b32_e64 v24, v4, v28, s[24:25]
; %bb.1977:                             ;   in Loop: Header=BB23_1937 Depth=3
	s_or_b64 exec, exec, s[40:41]
	v_lshlrev_b32_e32 v4, 16, v25
	v_lshlrev_b32_e32 v5, 16, v33
	v_max_f32_e32 v5, v5, v5
	v_max_f32_e32 v4, v4, v4
	v_min_f32_e32 v28, v4, v5
	v_max_f32_e32 v4, v4, v5
	v_cndmask_b32_e32 v29, v4, v28, vcc
	v_and_b32_e32 v4, 0x7f800000, v29
	v_cmp_ne_u32_e64 s[24:25], s97, v4
                                        ; implicit-def: $vgpr28
	s_and_saveexec_b64 s[40:41], s[24:25]
	s_xor_b64 s[24:25], exec, s[40:41]
; %bb.1978:                             ;   in Loop: Header=BB23_1937 Depth=3
	v_bfe_u32 v4, v29, 16, 1
	v_add3_u32 v28, v29, v4, s74
                                        ; implicit-def: $vgpr29
; %bb.1979:                             ;   in Loop: Header=BB23_1937 Depth=3
	s_andn2_saveexec_b64 s[40:41], s[24:25]
; %bb.1980:                             ;   in Loop: Header=BB23_1937 Depth=3
	v_or_b32_e32 v4, 0x10000, v29
	v_cmp_eq_u32_sdwa s[24:25], v29, v3 src0_sel:WORD_0 src1_sel:DWORD
	s_nop 1
	v_cndmask_b32_e64 v28, v4, v29, s[24:25]
; %bb.1981:                             ;   in Loop: Header=BB23_1937 Depth=3
	s_or_b64 exec, exec, s[40:41]
	v_and_b32_e32 v4, 0xffff0000, v25
	v_and_b32_e32 v5, 0xffff0000, v33
	v_max_f32_e32 v5, v5, v5
	v_max_f32_e32 v4, v4, v4
	v_min_f32_e32 v25, v4, v5
	v_max_f32_e32 v4, v4, v5
	v_cndmask_b32_e32 v29, v4, v25, vcc
	v_and_b32_e32 v4, 0x7f800000, v29
	v_cmp_ne_u32_e64 s[24:25], s97, v4
                                        ; implicit-def: $vgpr25
	s_and_saveexec_b64 s[40:41], s[24:25]
	s_xor_b64 s[24:25], exec, s[40:41]
; %bb.1982:                             ;   in Loop: Header=BB23_1937 Depth=3
	v_bfe_u32 v4, v29, 16, 1
	v_add3_u32 v25, v29, v4, s74
                                        ; implicit-def: $vgpr29
; %bb.1983:                             ;   in Loop: Header=BB23_1937 Depth=3
	s_andn2_saveexec_b64 s[40:41], s[24:25]
; %bb.1984:                             ;   in Loop: Header=BB23_1937 Depth=3
	v_or_b32_e32 v4, 0x10000, v29
	v_cmp_eq_u32_sdwa s[24:25], v29, v3 src0_sel:WORD_0 src1_sel:DWORD
	s_nop 1
	v_cndmask_b32_e64 v25, v4, v29, s[24:25]
; %bb.1985:                             ;   in Loop: Header=BB23_1937 Depth=3
	s_or_b64 exec, exec, s[40:41]
	v_lshlrev_b32_e32 v4, 16, v26
	v_lshlrev_b32_e32 v5, 16, v34
	v_max_f32_e32 v5, v5, v5
	v_max_f32_e32 v4, v4, v4
	v_min_f32_e32 v29, v4, v5
	v_max_f32_e32 v4, v4, v5
	v_cndmask_b32_e32 v31, v4, v29, vcc
	v_and_b32_e32 v4, 0x7f800000, v31
	v_cmp_ne_u32_e64 s[24:25], s97, v4
                                        ; implicit-def: $vgpr29
	s_and_saveexec_b64 s[40:41], s[24:25]
	s_xor_b64 s[24:25], exec, s[40:41]
; %bb.1986:                             ;   in Loop: Header=BB23_1937 Depth=3
	v_bfe_u32 v4, v31, 16, 1
	v_add3_u32 v29, v31, v4, s74
                                        ; implicit-def: $vgpr31
; %bb.1987:                             ;   in Loop: Header=BB23_1937 Depth=3
	s_andn2_saveexec_b64 s[40:41], s[24:25]
; %bb.1988:                             ;   in Loop: Header=BB23_1937 Depth=3
	v_or_b32_e32 v4, 0x10000, v31
	v_cmp_eq_u32_sdwa s[24:25], v31, v3 src0_sel:WORD_0 src1_sel:DWORD
	s_nop 1
	v_cndmask_b32_e64 v29, v4, v31, s[24:25]
; %bb.1989:                             ;   in Loop: Header=BB23_1937 Depth=3
	s_or_b64 exec, exec, s[40:41]
	v_and_b32_e32 v4, 0xffff0000, v26
	v_and_b32_e32 v5, 0xffff0000, v34
	v_max_f32_e32 v5, v5, v5
	v_max_f32_e32 v4, v4, v4
	v_min_f32_e32 v26, v4, v5
	v_max_f32_e32 v4, v4, v5
	v_cndmask_b32_e32 v31, v4, v26, vcc
	v_and_b32_e32 v4, 0x7f800000, v31
	v_cmp_ne_u32_e64 s[24:25], s97, v4
                                        ; implicit-def: $vgpr26
	s_and_saveexec_b64 s[40:41], s[24:25]
	s_xor_b64 s[24:25], exec, s[40:41]
; %bb.1990:                             ;   in Loop: Header=BB23_1937 Depth=3
	v_bfe_u32 v4, v31, 16, 1
	v_add3_u32 v26, v31, v4, s74
                                        ; implicit-def: $vgpr31
; %bb.1991:                             ;   in Loop: Header=BB23_1937 Depth=3
	s_andn2_saveexec_b64 s[40:41], s[24:25]
; %bb.1992:                             ;   in Loop: Header=BB23_1937 Depth=3
	v_or_b32_e32 v4, 0x10000, v31
	v_cmp_eq_u32_sdwa s[24:25], v31, v3 src0_sel:WORD_0 src1_sel:DWORD
	s_nop 1
	v_cndmask_b32_e64 v26, v4, v31, s[24:25]
; %bb.1993:                             ;   in Loop: Header=BB23_1937 Depth=3
	s_or_b64 exec, exec, s[40:41]
	v_lshlrev_b32_e32 v4, 16, v27
	v_lshlrev_b32_e32 v5, 16, v35
	v_max_f32_e32 v5, v5, v5
	v_max_f32_e32 v4, v4, v4
	v_min_f32_e32 v31, v4, v5
	v_max_f32_e32 v4, v4, v5
	v_cndmask_b32_e32 v31, v4, v31, vcc
	v_and_b32_e32 v4, 0x7f800000, v31
	v_cmp_ne_u32_e64 s[24:25], s97, v4
                                        ; implicit-def: $vgpr32
	s_and_saveexec_b64 s[40:41], s[24:25]
	s_xor_b64 s[24:25], exec, s[40:41]
; %bb.1994:                             ;   in Loop: Header=BB23_1937 Depth=3
	v_bfe_u32 v4, v31, 16, 1
	v_add3_u32 v32, v31, v4, s74
                                        ; implicit-def: $vgpr31
; %bb.1995:                             ;   in Loop: Header=BB23_1937 Depth=3
	s_andn2_saveexec_b64 s[40:41], s[24:25]
; %bb.1996:                             ;   in Loop: Header=BB23_1937 Depth=3
	v_or_b32_e32 v4, 0x10000, v31
	v_cmp_eq_u32_sdwa s[24:25], v31, v3 src0_sel:WORD_0 src1_sel:DWORD
	s_nop 1
	v_cndmask_b32_e64 v32, v4, v31, s[24:25]
; %bb.1997:                             ;   in Loop: Header=BB23_1937 Depth=3
	s_or_b64 exec, exec, s[40:41]
	v_and_b32_e32 v4, 0xffff0000, v27
	v_and_b32_e32 v5, 0xffff0000, v35
	v_max_f32_e32 v5, v5, v5
	v_max_f32_e32 v4, v4, v4
	v_min_f32_e32 v27, v4, v5
	v_max_f32_e32 v4, v4, v5
	v_cndmask_b32_e32 v31, v4, v27, vcc
	v_and_b32_e32 v4, 0x7f800000, v31
	v_cmp_ne_u32_e64 s[24:25], s97, v4
                                        ; implicit-def: $vgpr27
	s_and_saveexec_b64 s[40:41], s[24:25]
	s_xor_b64 s[24:25], exec, s[40:41]
; %bb.1998:                             ;   in Loop: Header=BB23_1937 Depth=3
	v_bfe_u32 v4, v31, 16, 1
	v_add3_u32 v27, v31, v4, s74
                                        ; implicit-def: $vgpr31
; %bb.1999:                             ;   in Loop: Header=BB23_1937 Depth=3
	s_andn2_saveexec_b64 s[40:41], s[24:25]
; %bb.2000:                             ;   in Loop: Header=BB23_1937 Depth=3
	v_or_b32_e32 v4, 0x10000, v31
	v_cmp_eq_u32_sdwa s[24:25], v31, v3 src0_sel:WORD_0 src1_sel:DWORD
	s_nop 1
	v_cndmask_b32_e64 v27, v4, v31, s[24:25]
; %bb.2001:                             ;   in Loop: Header=BB23_1937 Depth=3
	s_or_b64 exec, exec, s[40:41]
	v_lshrrev_b32_e32 v4, 16, v28
	v_and_or_b32 v25, v25, s75, v4
	v_lshrrev_b32_e32 v4, 16, v38
	v_and_or_b32 v24, v24, s75, v4
	v_lshrrev_b32_e32 v4, 16, v29
	v_and_or_b32 v26, v26, s75, v4
	v_lshrrev_b32_e32 v4, 16, v32
	v_and_or_b32 v27, v27, s75, v4
	s_waitcnt vmcnt(4)
	v_lshlrev_b32_e32 v4, 16, v16
	s_waitcnt vmcnt(3)
	v_lshlrev_b32_e32 v5, 16, v20
	v_max_f32_e32 v5, v5, v5
	v_max_f32_e32 v4, v4, v4
	global_store_dwordx4 v[36:37], v[24:27], off offset:-2048
	s_nop 1
	v_min_f32_e32 v24, v4, v5
	v_max_f32_e32 v4, v4, v5
	v_cndmask_b32_e32 v25, v4, v24, vcc
	v_and_b32_e32 v4, 0x7f800000, v25
	v_cmp_ne_u32_e64 s[24:25], s97, v4
                                        ; implicit-def: $vgpr24
	s_and_saveexec_b64 s[40:41], s[24:25]
	s_xor_b64 s[24:25], exec, s[40:41]
; %bb.2002:                             ;   in Loop: Header=BB23_1937 Depth=3
	v_bfe_u32 v4, v25, 16, 1
	v_add3_u32 v24, v25, v4, s74
                                        ; implicit-def: $vgpr25
; %bb.2003:                             ;   in Loop: Header=BB23_1937 Depth=3
	s_andn2_saveexec_b64 s[40:41], s[24:25]
; %bb.2004:                             ;   in Loop: Header=BB23_1937 Depth=3
	v_or_b32_e32 v4, 0x10000, v25
	v_cmp_eq_u32_sdwa s[24:25], v25, v3 src0_sel:WORD_0 src1_sel:DWORD
	s_nop 1
	v_cndmask_b32_e64 v24, v4, v25, s[24:25]
; %bb.2005:                             ;   in Loop: Header=BB23_1937 Depth=3
	s_or_b64 exec, exec, s[40:41]
	v_and_b32_e32 v4, 0xffff0000, v16
	v_and_b32_e32 v5, 0xffff0000, v20
	v_max_f32_e32 v5, v5, v5
	v_max_f32_e32 v4, v4, v4
	v_min_f32_e32 v16, v4, v5
	v_max_f32_e32 v4, v4, v5
	v_cndmask_b32_e32 v20, v4, v16, vcc
	v_and_b32_e32 v4, 0x7f800000, v20
	v_cmp_ne_u32_e64 s[24:25], s97, v4
                                        ; implicit-def: $vgpr16
	s_and_saveexec_b64 s[40:41], s[24:25]
	s_xor_b64 s[24:25], exec, s[40:41]
; %bb.2006:                             ;   in Loop: Header=BB23_1937 Depth=3
	v_bfe_u32 v4, v20, 16, 1
	v_add3_u32 v16, v20, v4, s74
                                        ; implicit-def: $vgpr20
; %bb.2007:                             ;   in Loop: Header=BB23_1937 Depth=3
	s_andn2_saveexec_b64 s[40:41], s[24:25]
; %bb.2008:                             ;   in Loop: Header=BB23_1937 Depth=3
	v_or_b32_e32 v4, 0x10000, v20
	v_cmp_eq_u32_sdwa s[24:25], v20, v3 src0_sel:WORD_0 src1_sel:DWORD
	s_nop 1
	v_cndmask_b32_e64 v16, v4, v20, s[24:25]
; %bb.2009:                             ;   in Loop: Header=BB23_1937 Depth=3
	s_or_b64 exec, exec, s[40:41]
	v_lshlrev_b32_e32 v4, 16, v17
	v_lshlrev_b32_e32 v5, 16, v21
	v_max_f32_e32 v5, v5, v5
	v_max_f32_e32 v4, v4, v4
	v_min_f32_e32 v20, v4, v5
	v_max_f32_e32 v4, v4, v5
	v_cndmask_b32_e32 v25, v4, v20, vcc
	v_and_b32_e32 v4, 0x7f800000, v25
	v_cmp_ne_u32_e64 s[24:25], s97, v4
                                        ; implicit-def: $vgpr20
	s_and_saveexec_b64 s[40:41], s[24:25]
	s_xor_b64 s[24:25], exec, s[40:41]
; %bb.2010:                             ;   in Loop: Header=BB23_1937 Depth=3
	v_bfe_u32 v4, v25, 16, 1
	v_add3_u32 v20, v25, v4, s74
                                        ; implicit-def: $vgpr25
; %bb.2011:                             ;   in Loop: Header=BB23_1937 Depth=3
	s_andn2_saveexec_b64 s[40:41], s[24:25]
; %bb.2012:                             ;   in Loop: Header=BB23_1937 Depth=3
	v_or_b32_e32 v4, 0x10000, v25
	v_cmp_eq_u32_sdwa s[24:25], v25, v3 src0_sel:WORD_0 src1_sel:DWORD
	s_nop 1
	v_cndmask_b32_e64 v20, v4, v25, s[24:25]
; %bb.2013:                             ;   in Loop: Header=BB23_1937 Depth=3
	s_or_b64 exec, exec, s[40:41]
	v_and_b32_e32 v4, 0xffff0000, v17
	v_and_b32_e32 v5, 0xffff0000, v21
	v_max_f32_e32 v5, v5, v5
	v_max_f32_e32 v4, v4, v4
	v_min_f32_e32 v17, v4, v5
	v_max_f32_e32 v4, v4, v5
	v_cndmask_b32_e32 v21, v4, v17, vcc
	v_and_b32_e32 v4, 0x7f800000, v21
	v_cmp_ne_u32_e64 s[24:25], s97, v4
                                        ; implicit-def: $vgpr17
	s_and_saveexec_b64 s[40:41], s[24:25]
	s_xor_b64 s[24:25], exec, s[40:41]
; %bb.2014:                             ;   in Loop: Header=BB23_1937 Depth=3
	v_bfe_u32 v4, v21, 16, 1
	v_add3_u32 v17, v21, v4, s74
                                        ; implicit-def: $vgpr21
; %bb.2015:                             ;   in Loop: Header=BB23_1937 Depth=3
	s_andn2_saveexec_b64 s[40:41], s[24:25]
; %bb.2016:                             ;   in Loop: Header=BB23_1937 Depth=3
	v_or_b32_e32 v4, 0x10000, v21
	v_cmp_eq_u32_sdwa s[24:25], v21, v3 src0_sel:WORD_0 src1_sel:DWORD
	s_nop 1
	v_cndmask_b32_e64 v17, v4, v21, s[24:25]
; %bb.2017:                             ;   in Loop: Header=BB23_1937 Depth=3
	s_or_b64 exec, exec, s[40:41]
	v_lshlrev_b32_e32 v4, 16, v18
	v_lshlrev_b32_e32 v5, 16, v22
	v_max_f32_e32 v5, v5, v5
	v_max_f32_e32 v4, v4, v4
	v_min_f32_e32 v21, v4, v5
	v_max_f32_e32 v4, v4, v5
	v_cndmask_b32_e32 v25, v4, v21, vcc
	v_and_b32_e32 v4, 0x7f800000, v25
	v_cmp_ne_u32_e64 s[24:25], s97, v4
                                        ; implicit-def: $vgpr21
	s_and_saveexec_b64 s[40:41], s[24:25]
	s_xor_b64 s[24:25], exec, s[40:41]
; %bb.2018:                             ;   in Loop: Header=BB23_1937 Depth=3
	v_bfe_u32 v4, v25, 16, 1
	v_add3_u32 v21, v25, v4, s74
                                        ; implicit-def: $vgpr25
; %bb.2019:                             ;   in Loop: Header=BB23_1937 Depth=3
	s_andn2_saveexec_b64 s[40:41], s[24:25]
; %bb.2020:                             ;   in Loop: Header=BB23_1937 Depth=3
	v_or_b32_e32 v4, 0x10000, v25
	v_cmp_eq_u32_sdwa s[24:25], v25, v3 src0_sel:WORD_0 src1_sel:DWORD
	s_nop 1
	v_cndmask_b32_e64 v21, v4, v25, s[24:25]
; %bb.2021:                             ;   in Loop: Header=BB23_1937 Depth=3
	s_or_b64 exec, exec, s[40:41]
	v_and_b32_e32 v4, 0xffff0000, v18
	v_and_b32_e32 v5, 0xffff0000, v22
	v_max_f32_e32 v5, v5, v5
	v_max_f32_e32 v4, v4, v4
	v_min_f32_e32 v18, v4, v5
	v_max_f32_e32 v4, v4, v5
	v_cndmask_b32_e32 v22, v4, v18, vcc
	v_and_b32_e32 v4, 0x7f800000, v22
	v_cmp_ne_u32_e64 s[24:25], s97, v4
                                        ; implicit-def: $vgpr18
	s_and_saveexec_b64 s[40:41], s[24:25]
	s_xor_b64 s[24:25], exec, s[40:41]
; %bb.2022:                             ;   in Loop: Header=BB23_1937 Depth=3
	v_bfe_u32 v4, v22, 16, 1
	v_add3_u32 v18, v22, v4, s74
                                        ; implicit-def: $vgpr22
; %bb.2023:                             ;   in Loop: Header=BB23_1937 Depth=3
	s_andn2_saveexec_b64 s[40:41], s[24:25]
; %bb.2024:                             ;   in Loop: Header=BB23_1937 Depth=3
	v_or_b32_e32 v4, 0x10000, v22
	v_cmp_eq_u32_sdwa s[24:25], v22, v3 src0_sel:WORD_0 src1_sel:DWORD
	s_nop 1
	v_cndmask_b32_e64 v18, v4, v22, s[24:25]
; %bb.2025:                             ;   in Loop: Header=BB23_1937 Depth=3
	s_or_b64 exec, exec, s[40:41]
	v_lshlrev_b32_e32 v4, 16, v19
	v_lshlrev_b32_e32 v5, 16, v23
	v_max_f32_e32 v5, v5, v5
	v_max_f32_e32 v4, v4, v4
	v_min_f32_e32 v22, v4, v5
	v_max_f32_e32 v4, v4, v5
	v_cndmask_b32_e32 v25, v4, v22, vcc
	v_and_b32_e32 v4, 0x7f800000, v25
	v_cmp_ne_u32_e64 s[24:25], s97, v4
                                        ; implicit-def: $vgpr22
	s_and_saveexec_b64 s[40:41], s[24:25]
	s_xor_b64 s[24:25], exec, s[40:41]
; %bb.2026:                             ;   in Loop: Header=BB23_1937 Depth=3
	v_bfe_u32 v4, v25, 16, 1
	v_add3_u32 v22, v25, v4, s74
                                        ; implicit-def: $vgpr25
; %bb.2027:                             ;   in Loop: Header=BB23_1937 Depth=3
	s_andn2_saveexec_b64 s[40:41], s[24:25]
; %bb.2028:                             ;   in Loop: Header=BB23_1937 Depth=3
	v_or_b32_e32 v4, 0x10000, v25
	v_cmp_eq_u32_sdwa s[24:25], v25, v3 src0_sel:WORD_0 src1_sel:DWORD
	s_nop 1
	v_cndmask_b32_e64 v22, v4, v25, s[24:25]
; %bb.2029:                             ;   in Loop: Header=BB23_1937 Depth=3
	s_or_b64 exec, exec, s[40:41]
	v_and_b32_e32 v4, 0xffff0000, v19
	v_and_b32_e32 v5, 0xffff0000, v23
	v_max_f32_e32 v5, v5, v5
	v_max_f32_e32 v4, v4, v4
	v_min_f32_e32 v19, v4, v5
	v_max_f32_e32 v4, v4, v5
	v_cndmask_b32_e32 v23, v4, v19, vcc
	v_and_b32_e32 v4, 0x7f800000, v23
	v_cmp_ne_u32_e64 s[24:25], s97, v4
                                        ; implicit-def: $vgpr19
	s_and_saveexec_b64 s[40:41], s[24:25]
	s_xor_b64 s[24:25], exec, s[40:41]
; %bb.2030:                             ;   in Loop: Header=BB23_1937 Depth=3
	v_bfe_u32 v4, v23, 16, 1
	v_add3_u32 v19, v23, v4, s74
                                        ; implicit-def: $vgpr23
; %bb.2031:                             ;   in Loop: Header=BB23_1937 Depth=3
	s_andn2_saveexec_b64 s[40:41], s[24:25]
; %bb.2032:                             ;   in Loop: Header=BB23_1937 Depth=3
	v_or_b32_e32 v4, 0x10000, v23
	v_cmp_eq_u32_sdwa s[24:25], v23, v3 src0_sel:WORD_0 src1_sel:DWORD
	s_nop 1
	v_cndmask_b32_e64 v19, v4, v23, s[24:25]
; %bb.2033:                             ;   in Loop: Header=BB23_1937 Depth=3
	s_or_b64 exec, exec, s[40:41]
	v_lshrrev_b32_e32 v4, 16, v20
	v_and_or_b32 v17, v17, s75, v4
	v_lshrrev_b32_e32 v4, 16, v24
	v_and_or_b32 v16, v16, s75, v4
	;; [unrolled: 2-line block ×4, first 2 shown]
	s_waitcnt vmcnt(3)
	v_lshlrev_b32_e32 v4, 16, v8
	s_waitcnt vmcnt(2)
	v_lshlrev_b32_e32 v5, 16, v12
	v_max_f32_e32 v5, v5, v5
	v_max_f32_e32 v4, v4, v4
	global_store_dwordx4 v[36:37], v[16:19], off offset:-1024
	s_nop 1
	v_min_f32_e32 v16, v4, v5
	v_max_f32_e32 v4, v4, v5
	v_cndmask_b32_e32 v17, v4, v16, vcc
	v_and_b32_e32 v4, 0x7f800000, v17
	v_cmp_ne_u32_e64 s[24:25], s97, v4
                                        ; implicit-def: $vgpr16
	s_and_saveexec_b64 s[40:41], s[24:25]
	s_xor_b64 s[24:25], exec, s[40:41]
; %bb.2034:                             ;   in Loop: Header=BB23_1937 Depth=3
	v_bfe_u32 v4, v17, 16, 1
	v_add3_u32 v16, v17, v4, s74
                                        ; implicit-def: $vgpr17
; %bb.2035:                             ;   in Loop: Header=BB23_1937 Depth=3
	s_andn2_saveexec_b64 s[40:41], s[24:25]
; %bb.2036:                             ;   in Loop: Header=BB23_1937 Depth=3
	v_or_b32_e32 v4, 0x10000, v17
	v_cmp_eq_u32_sdwa s[24:25], v17, v3 src0_sel:WORD_0 src1_sel:DWORD
	s_nop 1
	v_cndmask_b32_e64 v16, v4, v17, s[24:25]
; %bb.2037:                             ;   in Loop: Header=BB23_1937 Depth=3
	s_or_b64 exec, exec, s[40:41]
	v_and_b32_e32 v4, 0xffff0000, v8
	v_and_b32_e32 v5, 0xffff0000, v12
	v_max_f32_e32 v5, v5, v5
	v_max_f32_e32 v4, v4, v4
	v_min_f32_e32 v8, v4, v5
	v_max_f32_e32 v4, v4, v5
	v_cndmask_b32_e32 v12, v4, v8, vcc
	v_and_b32_e32 v4, 0x7f800000, v12
	v_cmp_ne_u32_e64 s[24:25], s97, v4
                                        ; implicit-def: $vgpr8
	s_and_saveexec_b64 s[40:41], s[24:25]
	s_xor_b64 s[24:25], exec, s[40:41]
; %bb.2038:                             ;   in Loop: Header=BB23_1937 Depth=3
	v_bfe_u32 v4, v12, 16, 1
	v_add3_u32 v8, v12, v4, s74
                                        ; implicit-def: $vgpr12
; %bb.2039:                             ;   in Loop: Header=BB23_1937 Depth=3
	s_andn2_saveexec_b64 s[40:41], s[24:25]
; %bb.2040:                             ;   in Loop: Header=BB23_1937 Depth=3
	v_or_b32_e32 v4, 0x10000, v12
	v_cmp_eq_u32_sdwa s[24:25], v12, v3 src0_sel:WORD_0 src1_sel:DWORD
	s_nop 1
	v_cndmask_b32_e64 v8, v4, v12, s[24:25]
; %bb.2041:                             ;   in Loop: Header=BB23_1937 Depth=3
	s_or_b64 exec, exec, s[40:41]
	v_lshlrev_b32_e32 v4, 16, v9
	v_lshlrev_b32_e32 v5, 16, v13
	v_max_f32_e32 v5, v5, v5
	v_max_f32_e32 v4, v4, v4
	v_min_f32_e32 v12, v4, v5
	v_max_f32_e32 v4, v4, v5
	v_cndmask_b32_e32 v17, v4, v12, vcc
	v_and_b32_e32 v4, 0x7f800000, v17
	v_cmp_ne_u32_e64 s[24:25], s97, v4
                                        ; implicit-def: $vgpr12
	s_and_saveexec_b64 s[40:41], s[24:25]
	s_xor_b64 s[24:25], exec, s[40:41]
; %bb.2042:                             ;   in Loop: Header=BB23_1937 Depth=3
	v_bfe_u32 v4, v17, 16, 1
	v_add3_u32 v12, v17, v4, s74
                                        ; implicit-def: $vgpr17
; %bb.2043:                             ;   in Loop: Header=BB23_1937 Depth=3
	s_andn2_saveexec_b64 s[40:41], s[24:25]
; %bb.2044:                             ;   in Loop: Header=BB23_1937 Depth=3
	v_or_b32_e32 v4, 0x10000, v17
	v_cmp_eq_u32_sdwa s[24:25], v17, v3 src0_sel:WORD_0 src1_sel:DWORD
	s_nop 1
	v_cndmask_b32_e64 v12, v4, v17, s[24:25]
; %bb.2045:                             ;   in Loop: Header=BB23_1937 Depth=3
	s_or_b64 exec, exec, s[40:41]
	v_and_b32_e32 v4, 0xffff0000, v9
	v_and_b32_e32 v5, 0xffff0000, v13
	v_max_f32_e32 v5, v5, v5
	v_max_f32_e32 v4, v4, v4
	v_min_f32_e32 v9, v4, v5
	v_max_f32_e32 v4, v4, v5
	v_cndmask_b32_e32 v13, v4, v9, vcc
	v_and_b32_e32 v4, 0x7f800000, v13
	v_cmp_ne_u32_e64 s[24:25], s97, v4
                                        ; implicit-def: $vgpr9
	s_and_saveexec_b64 s[40:41], s[24:25]
	s_xor_b64 s[24:25], exec, s[40:41]
; %bb.2046:                             ;   in Loop: Header=BB23_1937 Depth=3
	v_bfe_u32 v4, v13, 16, 1
	v_add3_u32 v9, v13, v4, s74
                                        ; implicit-def: $vgpr13
; %bb.2047:                             ;   in Loop: Header=BB23_1937 Depth=3
	s_andn2_saveexec_b64 s[40:41], s[24:25]
; %bb.2048:                             ;   in Loop: Header=BB23_1937 Depth=3
	v_or_b32_e32 v4, 0x10000, v13
	v_cmp_eq_u32_sdwa s[24:25], v13, v3 src0_sel:WORD_0 src1_sel:DWORD
	s_nop 1
	v_cndmask_b32_e64 v9, v4, v13, s[24:25]
; %bb.2049:                             ;   in Loop: Header=BB23_1937 Depth=3
	s_or_b64 exec, exec, s[40:41]
	v_lshlrev_b32_e32 v4, 16, v10
	v_lshlrev_b32_e32 v5, 16, v14
	v_max_f32_e32 v5, v5, v5
	v_max_f32_e32 v4, v4, v4
	v_min_f32_e32 v13, v4, v5
	v_max_f32_e32 v4, v4, v5
	v_cndmask_b32_e32 v17, v4, v13, vcc
	v_and_b32_e32 v4, 0x7f800000, v17
	v_cmp_ne_u32_e64 s[24:25], s97, v4
                                        ; implicit-def: $vgpr13
	s_and_saveexec_b64 s[40:41], s[24:25]
	s_xor_b64 s[24:25], exec, s[40:41]
; %bb.2050:                             ;   in Loop: Header=BB23_1937 Depth=3
	v_bfe_u32 v4, v17, 16, 1
	v_add3_u32 v13, v17, v4, s74
                                        ; implicit-def: $vgpr17
; %bb.2051:                             ;   in Loop: Header=BB23_1937 Depth=3
	s_andn2_saveexec_b64 s[40:41], s[24:25]
; %bb.2052:                             ;   in Loop: Header=BB23_1937 Depth=3
	v_or_b32_e32 v4, 0x10000, v17
	v_cmp_eq_u32_sdwa s[24:25], v17, v3 src0_sel:WORD_0 src1_sel:DWORD
	s_nop 1
	v_cndmask_b32_e64 v13, v4, v17, s[24:25]
; %bb.2053:                             ;   in Loop: Header=BB23_1937 Depth=3
	s_or_b64 exec, exec, s[40:41]
	v_and_b32_e32 v4, 0xffff0000, v10
	v_and_b32_e32 v5, 0xffff0000, v14
	v_max_f32_e32 v5, v5, v5
	v_max_f32_e32 v4, v4, v4
	v_min_f32_e32 v10, v4, v5
	v_max_f32_e32 v4, v4, v5
	v_cndmask_b32_e32 v14, v4, v10, vcc
	v_and_b32_e32 v4, 0x7f800000, v14
	v_cmp_ne_u32_e64 s[24:25], s97, v4
                                        ; implicit-def: $vgpr10
	s_and_saveexec_b64 s[40:41], s[24:25]
	s_xor_b64 s[24:25], exec, s[40:41]
; %bb.2054:                             ;   in Loop: Header=BB23_1937 Depth=3
	v_bfe_u32 v4, v14, 16, 1
	v_add3_u32 v10, v14, v4, s74
                                        ; implicit-def: $vgpr14
; %bb.2055:                             ;   in Loop: Header=BB23_1937 Depth=3
	s_andn2_saveexec_b64 s[40:41], s[24:25]
; %bb.2056:                             ;   in Loop: Header=BB23_1937 Depth=3
	v_or_b32_e32 v4, 0x10000, v14
	v_cmp_eq_u32_sdwa s[24:25], v14, v3 src0_sel:WORD_0 src1_sel:DWORD
	s_nop 1
	v_cndmask_b32_e64 v10, v4, v14, s[24:25]
; %bb.2057:                             ;   in Loop: Header=BB23_1937 Depth=3
	s_or_b64 exec, exec, s[40:41]
	v_lshlrev_b32_e32 v4, 16, v11
	v_lshlrev_b32_e32 v5, 16, v15
	v_max_f32_e32 v5, v5, v5
	v_max_f32_e32 v4, v4, v4
	v_min_f32_e32 v14, v4, v5
	v_max_f32_e32 v4, v4, v5
	v_cndmask_b32_e32 v17, v4, v14, vcc
	v_and_b32_e32 v4, 0x7f800000, v17
	v_cmp_ne_u32_e64 s[24:25], s97, v4
                                        ; implicit-def: $vgpr14
	s_and_saveexec_b64 s[40:41], s[24:25]
	s_xor_b64 s[24:25], exec, s[40:41]
; %bb.2058:                             ;   in Loop: Header=BB23_1937 Depth=3
	v_bfe_u32 v4, v17, 16, 1
	v_add3_u32 v14, v17, v4, s74
                                        ; implicit-def: $vgpr17
; %bb.2059:                             ;   in Loop: Header=BB23_1937 Depth=3
	s_andn2_saveexec_b64 s[40:41], s[24:25]
; %bb.2060:                             ;   in Loop: Header=BB23_1937 Depth=3
	v_or_b32_e32 v4, 0x10000, v17
	v_cmp_eq_u32_sdwa s[24:25], v17, v3 src0_sel:WORD_0 src1_sel:DWORD
	s_nop 1
	v_cndmask_b32_e64 v14, v4, v17, s[24:25]
; %bb.2061:                             ;   in Loop: Header=BB23_1937 Depth=3
	s_or_b64 exec, exec, s[40:41]
	v_and_b32_e32 v4, 0xffff0000, v11
	v_and_b32_e32 v5, 0xffff0000, v15
	v_max_f32_e32 v5, v5, v5
	v_max_f32_e32 v4, v4, v4
	v_min_f32_e32 v11, v4, v5
	v_max_f32_e32 v4, v4, v5
	v_cndmask_b32_e32 v15, v4, v11, vcc
	v_and_b32_e32 v4, 0x7f800000, v15
	v_cmp_ne_u32_e64 s[24:25], s97, v4
                                        ; implicit-def: $vgpr11
	s_and_saveexec_b64 s[40:41], s[24:25]
	s_xor_b64 s[24:25], exec, s[40:41]
; %bb.2062:                             ;   in Loop: Header=BB23_1937 Depth=3
	v_bfe_u32 v4, v15, 16, 1
	v_add3_u32 v11, v15, v4, s74
                                        ; implicit-def: $vgpr15
; %bb.2063:                             ;   in Loop: Header=BB23_1937 Depth=3
	s_andn2_saveexec_b64 s[40:41], s[24:25]
	s_cbranch_execz .LBB23_1936
; %bb.2064:                             ;   in Loop: Header=BB23_1937 Depth=3
	v_or_b32_e32 v4, 0x10000, v15
	v_cmp_eq_u32_sdwa s[24:25], v15, v3 src0_sel:WORD_0 src1_sel:DWORD
	s_nop 1
	v_cndmask_b32_e64 v11, v4, v15, s[24:25]
	s_branch .LBB23_1936
.LBB23_2065:                            ;   in Loop: Header=BB23_1651 Depth=2
	s_or_b64 exec, exec, s[28:29]
.LBB23_2066:                            ;   in Loop: Header=BB23_1651 Depth=2
	s_or_b64 exec, exec, s[26:27]
	v_lshlrev_b32_e32 v12, 12, v55
	v_cmp_ne_u32_e32 vcc, v2, v12
	s_mov_b64 s[24:25], 0
	v_mov_b32_e32 v14, 0
                                        ; implicit-def: $vgpr13
	s_and_saveexec_b64 s[52:53], vcc
	s_cbranch_execz .LBB23_2072
; %bb.2067:                             ;   in Loop: Header=BB23_1651 Depth=2
	v_lshlrev_b32_e32 v5, 6, v54
	v_and_b32_e32 v8, 63, v0
	v_sub_u32_e32 v5, v8, v5
	v_ashrrev_i32_e32 v8, 31, v5
	v_lshrrev_b32_e32 v8, 26, v8
	v_add_u32_e32 v8, v5, v8
	v_ashrrev_i32_e32 v9, 6, v8
	v_and_b32_e32 v8, 0xffffffc0, v8
	v_sub_u32_e32 v13, v5, v8
	v_sub_u32_e32 v4, v2, v12
	v_lshlrev_b32_e32 v5, 4, v13
	v_lshl_add_u32 v8, v9, 10, v5
	v_ashrrev_i32_e32 v5, 31, v4
	v_lshrrev_b32_e32 v5, 22, v5
	v_add_u32_e32 v5, v4, v5
	v_and_b32_e32 v14, 0xfffffc00, v5
	v_sub_u32_e32 v15, v4, v14
	v_ashrrev_i32_e32 v10, 10, v5
	v_cmp_lt_i32_e32 vcc, 15, v15
	v_sub_u32_e32 v17, v4, v8
	s_nop 0
	v_addc_co_u32_e64 v4, s[24:25], 0, v10, vcc
	v_sub_u32_e32 v16, v4, v9
	v_cmp_lt_i32_e64 s[24:25], 15, v17
	s_and_saveexec_b64 s[54:55], s[24:25]
	s_cbranch_execz .LBB23_2071
; %bb.2068:                             ;   in Loop: Header=BB23_1651 Depth=2
	s_and_b32 s76, s66, 1
	v_add_u32_e32 v8, v8, v12
	s_cmp_eq_u64 s[76:77], 0
	v_ashrrev_i32_e32 v9, 31, v8
	s_mov_b64 s[64:65], 0
	s_cselect_b64 s[24:25], -1, 0
.LBB23_2069:                            ;   Parent Loop BB23_47 Depth=1
                                        ;     Parent Loop BB23_1651 Depth=2
                                        ; =>    This Inner Loop Header: Depth=3
	v_lshl_add_u64 v[4:5], v[92:93], 0, v[8:9]
	global_load_dwordx4 v[18:21], v[4:5], off nt
	global_load_dwordx4 v[22:25], v[8:9], off nt
	v_sub_u32_e32 v17, v17, v100
	v_lshl_add_u64 v[10:11], v[94:95], 0, v[8:9]
	v_lshl_add_u64 v[8:9], v[8:9], 0, v[100:101]
	v_sub_u32_e32 v16, v16, v84
	s_waitcnt vmcnt(0)
	v_and_b32_e32 v4, 0xffff0000, v18
	v_and_b32_e32 v5, 0xffff0000, v22
	v_lshlrev_b32_e32 v18, 16, v18
	v_lshlrev_b32_e32 v22, 16, v22
	v_max_f32_e32 v22, v22, v22
	v_max_f32_e32 v18, v18, v18
	s_waitcnt lgkmcnt(0)
	v_min_f32_e32 v26, v18, v22
	v_max_f32_e32 v18, v18, v22
	v_cndmask_b32_e64 v18, v18, v26, s[24:25]
	v_and_b32_e32 v22, 0x7f800000, v18
	v_cmp_eq_u32_e64 s[26:27], s97, v22
	v_bfe_u32 v22, v18, 16, 1
	v_cmp_eq_u32_sdwa s[28:29], v18, v3 src0_sel:WORD_0 src1_sel:DWORD
	v_or_b32_e32 v26, 0x10000, v18
	v_max_f32_e32 v5, v5, v5
	v_max_f32_e32 v4, v4, v4
	v_add3_u32 v22, v18, v22, s74
	v_cndmask_b32_e64 v18, v26, v18, s[28:29]
	v_min_f32_e32 v26, v4, v5
	v_max_f32_e32 v4, v4, v5
	v_cndmask_b32_e64 v4, v4, v26, s[24:25]
	v_and_b32_e32 v5, 0x7f800000, v4
	v_cmp_eq_u32_e64 s[28:29], s97, v5
	v_bfe_u32 v5, v4, 16, 1
	v_cmp_eq_u32_sdwa s[40:41], v4, v3 src0_sel:WORD_0 src1_sel:DWORD
	v_or_b32_e32 v26, 0x10000, v4
	v_add3_u32 v5, v4, v5, s74
	v_cndmask_b32_e64 v4, v26, v4, s[40:41]
	v_and_b32_e32 v26, 0xffff0000, v19
	v_and_b32_e32 v27, 0xffff0000, v23
	v_lshlrev_b32_e32 v19, 16, v19
	v_lshlrev_b32_e32 v23, 16, v23
	v_max_f32_e32 v23, v23, v23
	v_max_f32_e32 v19, v19, v19
	v_min_f32_e32 v28, v19, v23
	v_max_f32_e32 v19, v19, v23
	v_cndmask_b32_e64 v19, v19, v28, s[24:25]
	v_and_b32_e32 v23, 0x7f800000, v19
	v_cmp_eq_u32_e64 s[40:41], s97, v23
	v_bfe_u32 v23, v19, 16, 1
	v_cmp_eq_u32_sdwa s[42:43], v19, v3 src0_sel:WORD_0 src1_sel:DWORD
	v_or_b32_e32 v28, 0x10000, v19
	v_max_f32_e32 v27, v27, v27
	v_max_f32_e32 v26, v26, v26
	v_add3_u32 v23, v19, v23, s74
	v_cndmask_b32_e64 v19, v28, v19, s[42:43]
	v_min_f32_e32 v28, v26, v27
	v_max_f32_e32 v26, v26, v27
	v_cndmask_b32_e64 v26, v26, v28, s[24:25]
	v_and_b32_e32 v27, 0x7f800000, v26
	v_cmp_eq_u32_e64 s[42:43], s97, v27
	v_bfe_u32 v27, v26, 16, 1
	v_cmp_eq_u32_sdwa s[44:45], v26, v3 src0_sel:WORD_0 src1_sel:DWORD
	v_or_b32_e32 v28, 0x10000, v26
	v_add3_u32 v27, v26, v27, s74
	v_cndmask_b32_e64 v26, v28, v26, s[44:45]
	v_and_b32_e32 v28, 0xffff0000, v20
	v_and_b32_e32 v29, 0xffff0000, v24
	v_lshlrev_b32_e32 v20, 16, v20
	v_lshlrev_b32_e32 v24, 16, v24
	v_max_f32_e32 v24, v24, v24
	v_max_f32_e32 v20, v20, v20
	;; [unrolled: 28-line block ×3, first 2 shown]
	v_min_f32_e32 v33, v21, v25
	v_max_f32_e32 v21, v21, v25
	v_cndmask_b32_e64 v21, v21, v33, s[24:25]
	v_and_b32_e32 v25, 0x7f800000, v21
	v_cmp_eq_u32_e64 s[56:57], s97, v25
	v_bfe_u32 v25, v21, 16, 1
	v_cmp_eq_u32_sdwa s[58:59], v21, v3 src0_sel:WORD_0 src1_sel:DWORD
	v_or_b32_e32 v33, 0x10000, v21
	v_max_f32_e32 v32, v32, v32
	v_max_f32_e32 v31, v31, v31
	v_add3_u32 v25, v21, v25, s74
	v_cndmask_b32_e64 v21, v33, v21, s[58:59]
	v_min_f32_e32 v33, v31, v32
	v_max_f32_e32 v31, v31, v32
	v_cndmask_b32_e64 v31, v31, v33, s[24:25]
	v_cndmask_b32_e64 v4, v5, v4, s[28:29]
	;; [unrolled: 1-line block ×3, first 2 shown]
	v_and_b32_e32 v32, 0x7f800000, v31
	v_cndmask_b32_e64 v18, v22, v18, s[26:27]
	v_cndmask_b32_e64 v19, v27, v26, s[42:43]
	v_lshrrev_b32_e32 v5, 16, v5
	v_cmp_eq_u32_e64 s[58:59], s97, v32
	v_bfe_u32 v32, v31, 16, 1
	v_cmp_eq_u32_sdwa s[60:61], v31, v3 src0_sel:WORD_0 src1_sel:DWORD
	v_or_b32_e32 v33, 0x10000, v31
	v_cndmask_b32_e64 v20, v24, v20, s[44:45]
	v_and_or_b32 v19, v19, s75, v5
	v_lshrrev_b32_e32 v5, 16, v18
	v_add3_u32 v32, v31, v32, s74
	v_cndmask_b32_e64 v31, v33, v31, s[60:61]
	v_cndmask_b32_e64 v22, v29, v28, s[46:47]
	;; [unrolled: 1-line block ×3, first 2 shown]
	v_and_or_b32 v18, v4, s75, v5
	v_lshrrev_b32_e32 v4, 16, v20
	v_cndmask_b32_e64 v23, v32, v31, s[58:59]
	v_and_or_b32 v20, v22, s75, v4
	v_lshrrev_b32_e32 v4, 16, v21
	v_cmp_gt_i32_e64 s[26:27], 16, v17
	v_and_or_b32 v21, v23, s75, v4
	s_or_b64 s[64:65], s[26:27], s[64:65]
	global_store_dwordx4 v[10:11], v[18:21], off
	s_andn2_b64 exec, exec, s[64:65]
	s_cbranch_execnz .LBB23_2069
; %bb.2070:                             ;   in Loop: Header=BB23_1651 Depth=2
	s_or_b64 exec, exec, s[64:65]
.LBB23_2071:                            ;   in Loop: Header=BB23_1651 Depth=2
	s_or_b64 exec, exec, s[54:55]
	v_and_b32_e32 v2, 14, v2
	v_sub_u32_e32 v4, v15, v2
	v_cndmask_b32_e32 v4, 0, v4, vcc
	v_cndmask_b32_e32 v2, v15, v2, vcc
	v_cmp_lt_i32_e32 vcc, 0, v16
	v_add3_u32 v14, v14, v12, v4
	s_nop 0
	v_cndmask_b32_e32 v4, 0, v84, vcc
	v_sub_u32_e32 v4, v4, v16
	v_cmp_ne_u32_e32 vcc, 0, v2
	v_lshl_add_u32 v13, v4, 6, v13
	s_and_b64 s[24:25], vcc, exec
.LBB23_2072:                            ;   in Loop: Header=BB23_1651 Depth=2
	s_or_b64 exec, exec, s[52:53]
	s_and_saveexec_b64 s[40:41], s[24:25]
	s_cbranch_execz .LBB23_2113
.LBB23_2073:                            ;   in Loop: Header=BB23_1651 Depth=2
	v_ashrrev_i32_e32 v4, 31, v13
	v_lshrrev_b32_e32 v4, 26, v4
	v_add_u32_e32 v8, v13, v4
	v_ashrrev_i32_e32 v4, 31, v2
	v_lshrrev_b32_e32 v4, 22, v4
	v_add_u32_e32 v4, v2, v4
	v_ashrrev_i32_e32 v12, 6, v8
	v_ashrrev_i32_e32 v16, 10, v4
	v_sub_u32_e32 v15, v16, v12
	v_cmp_lt_i32_e32 vcc, 0, v15
	s_and_saveexec_b64 s[42:43], vcc
	s_cbranch_execz .LBB23_2109
; %bb.2074:                             ;   in Loop: Header=BB23_1651 Depth=2
	v_and_b32_e32 v4, 0x7fffffc0, v8
	v_sub_u32_e32 v4, v13, v4
	v_lshlrev_b32_e32 v4, 1, v4
	v_lshlrev_b32_e32 v5, 10, v12
	v_add3_u32 v4, v4, v14, v5
	s_and_b32 s76, s66, 1
	v_ashrrev_i32_e32 v5, 31, v4
	s_cmp_eq_u64 s[76:77], 0
	s_mov_b64 s[26:27], 0x380
	s_mov_b64 s[44:45], 0
	s_cselect_b64 s[24:25], -1, 0
	v_lshl_add_u64 v[8:9], v[4:5], 0, s[26:27]
	s_branch .LBB23_2076
.LBB23_2075:                            ;   in Loop: Header=BB23_2076 Depth=3
	s_or_b64 exec, exec, s[26:27]
	v_sub_u32_e32 v15, v15, v84
	v_cmp_gt_i32_e32 vcc, 1, v15
	s_or_b64 s[44:45], vcc, s[44:45]
	v_lshl_add_u64 v[8:9], v[8:9], 0, v[46:47]
	flat_store_short_d16_hi v[10:11], v18 nt
	s_andn2_b64 exec, exec, s[44:45]
	s_cbranch_execz .LBB23_2108
.LBB23_2076:                            ;   Parent Loop BB23_47 Depth=1
                                        ;     Parent Loop BB23_1651 Depth=2
                                        ; =>    This Inner Loop Header: Depth=3
	v_lshl_add_u64 v[4:5], v[92:93], 0, v[8:9]
	v_add_co_u32_e32 v10, vcc, 0xfffffd00, v4
	s_nop 1
	v_addc_co_u32_e32 v11, vcc, -1, v5, vcc
	flat_load_ushort v29, v[10:11] nt
	v_add_co_u32_e32 v10, vcc, 0xfffffd00, v8
	s_nop 1
	v_addc_co_u32_e32 v11, vcc, -1, v9, vcc
	flat_load_ushort v32, v[10:11] nt
	v_add_co_u32_e32 v10, vcc, 0xfffffd80, v4
	s_nop 1
	v_addc_co_u32_e32 v11, vcc, -1, v5, vcc
	s_waitcnt lgkmcnt(0)
	flat_load_ushort v27, v[10:11] nt
	v_add_co_u32_e32 v10, vcc, 0xfffffd80, v8
	s_nop 1
	v_addc_co_u32_e32 v11, vcc, -1, v9, vcc
	flat_load_ushort v28, v[10:11] nt
	v_add_co_u32_e32 v10, vcc, 0xfffffe00, v4
	s_nop 1
	v_addc_co_u32_e32 v11, vcc, -1, v5, vcc
	flat_load_ushort v25, v[10:11] nt
	v_add_co_u32_e32 v10, vcc, 0xfffffe00, v8
	s_nop 1
	v_addc_co_u32_e32 v11, vcc, -1, v9, vcc
	flat_load_ushort v26, v[10:11] nt
	v_add_co_u32_e32 v10, vcc, 0xfffffe80, v4
	s_nop 1
	v_addc_co_u32_e32 v11, vcc, -1, v5, vcc
	flat_load_ushort v22, v[10:11] nt
	v_add_co_u32_e32 v10, vcc, 0xfffffe80, v8
	s_nop 1
	v_addc_co_u32_e32 v11, vcc, -1, v9, vcc
	flat_load_ushort v24, v[10:11] nt
	v_add_co_u32_e32 v10, vcc, 0xffffff00, v4
	s_nop 1
	v_addc_co_u32_e32 v11, vcc, -1, v5, vcc
	flat_load_ushort v21, v[10:11] nt
	v_add_co_u32_e32 v10, vcc, 0xffffff00, v8
	s_mov_b64 s[26:27], vcc
	v_add_co_u32_e32 v34, vcc, s48, v4
	s_nop 1
	v_addc_co_u32_e32 v35, vcc, -1, v5, vcc
	v_add_co_u32_e32 v36, vcc, s70, v8
	s_mov_b64 s[28:29], vcc
	flat_load_ushort v19, v[34:35] offset:768 nt
	flat_load_ushort v31, v[34:35] nt
	v_add_co_u32_e32 v34, vcc, 0xfffffc80, v8
	s_nop 1
	v_addc_co_u32_e32 v35, vcc, -1, v9, vcc
	flat_load_ushort v33, v[34:35] nt
	v_addc_co_u32_e64 v11, vcc, -1, v9, s[26:27]
	flat_load_ushort v23, v[10:11] nt
	v_addc_co_u32_e64 v37, vcc, -1, v9, s[28:29]
	flat_load_ushort v17, v[4:5] nt
	flat_load_ushort v18, v[8:9] nt
	;; [unrolled: 1-line block ×3, first 2 shown]
	s_waitcnt vmcnt(0) lgkmcnt(0)
	v_lshlrev_b32_e32 v4, 16, v31
	v_max_f32_e32 v4, v4, v4
	v_lshlrev_b32_e32 v5, 16, v33
	v_max_f32_e32 v5, v5, v5
	v_min_f32_e32 v10, v4, v5
	v_max_f32_e32 v4, v4, v5
	v_cndmask_b32_e64 v10, v4, v10, s[24:25]
	v_and_b32_e32 v4, 0x7f800000, v10
	v_cmp_ne_u32_e32 vcc, s97, v4
                                        ; implicit-def: $vgpr33
	s_and_saveexec_b64 s[26:27], vcc
	s_xor_b64 s[26:27], exec, s[26:27]
; %bb.2077:                             ;   in Loop: Header=BB23_2076 Depth=3
	v_bfe_u32 v4, v10, 16, 1
	v_add3_u32 v33, v10, v4, s74
                                        ; implicit-def: $vgpr10
; %bb.2078:                             ;   in Loop: Header=BB23_2076 Depth=3
	s_andn2_saveexec_b64 s[26:27], s[26:27]
; %bb.2079:                             ;   in Loop: Header=BB23_2076 Depth=3
	v_or_b32_e32 v4, 0x10000, v10
	v_cmp_eq_u32_sdwa vcc, v10, v3 src0_sel:WORD_0 src1_sel:DWORD
	s_nop 1
	v_cndmask_b32_e32 v33, v4, v10, vcc
; %bb.2080:                             ;   in Loop: Header=BB23_2076 Depth=3
	s_or_b64 exec, exec, s[26:27]
	v_lshl_add_u64 v[10:11], v[94:95], 0, v[8:9]
	v_add_co_u32_e32 v4, vcc, 0xfffffc80, v10
	s_nop 1
	v_addc_co_u32_e32 v5, vcc, -1, v11, vcc
	flat_store_short_d16_hi v[4:5], v33 nt
	v_lshlrev_b32_e32 v4, 16, v29
	v_lshlrev_b32_e32 v5, 16, v32
	v_max_f32_e32 v5, v5, v5
	v_max_f32_e32 v4, v4, v4
	v_min_f32_e32 v29, v4, v5
	v_max_f32_e32 v4, v4, v5
	v_cndmask_b32_e64 v31, v4, v29, s[24:25]
	v_and_b32_e32 v4, 0x7f800000, v31
	v_cmp_ne_u32_e32 vcc, s97, v4
                                        ; implicit-def: $vgpr29
	s_and_saveexec_b64 s[26:27], vcc
	s_xor_b64 s[26:27], exec, s[26:27]
; %bb.2081:                             ;   in Loop: Header=BB23_2076 Depth=3
	v_bfe_u32 v4, v31, 16, 1
	v_add3_u32 v29, v31, v4, s74
                                        ; implicit-def: $vgpr31
; %bb.2082:                             ;   in Loop: Header=BB23_2076 Depth=3
	s_andn2_saveexec_b64 s[26:27], s[26:27]
; %bb.2083:                             ;   in Loop: Header=BB23_2076 Depth=3
	v_or_b32_e32 v4, 0x10000, v31
	v_cmp_eq_u32_sdwa vcc, v31, v3 src0_sel:WORD_0 src1_sel:DWORD
	s_nop 1
	v_cndmask_b32_e32 v29, v4, v31, vcc
; %bb.2084:                             ;   in Loop: Header=BB23_2076 Depth=3
	s_or_b64 exec, exec, s[26:27]
	v_add_co_u32_e32 v4, vcc, 0xfffffd00, v10
	s_nop 1
	v_addc_co_u32_e32 v5, vcc, -1, v11, vcc
	flat_store_short_d16_hi v[4:5], v29 nt
	v_lshlrev_b32_e32 v4, 16, v27
	v_lshlrev_b32_e32 v5, 16, v28
	v_max_f32_e32 v5, v5, v5
	v_max_f32_e32 v4, v4, v4
	v_min_f32_e32 v27, v4, v5
	v_max_f32_e32 v4, v4, v5
	v_cndmask_b32_e64 v28, v4, v27, s[24:25]
	v_and_b32_e32 v4, 0x7f800000, v28
	v_cmp_ne_u32_e32 vcc, s97, v4
                                        ; implicit-def: $vgpr27
	s_and_saveexec_b64 s[26:27], vcc
	s_xor_b64 s[26:27], exec, s[26:27]
; %bb.2085:                             ;   in Loop: Header=BB23_2076 Depth=3
	v_bfe_u32 v4, v28, 16, 1
	v_add3_u32 v27, v28, v4, s74
                                        ; implicit-def: $vgpr28
; %bb.2086:                             ;   in Loop: Header=BB23_2076 Depth=3
	s_andn2_saveexec_b64 s[26:27], s[26:27]
; %bb.2087:                             ;   in Loop: Header=BB23_2076 Depth=3
	v_or_b32_e32 v4, 0x10000, v28
	v_cmp_eq_u32_sdwa vcc, v28, v3 src0_sel:WORD_0 src1_sel:DWORD
	s_nop 1
	v_cndmask_b32_e32 v27, v4, v28, vcc
; %bb.2088:                             ;   in Loop: Header=BB23_2076 Depth=3
	s_or_b64 exec, exec, s[26:27]
	v_add_co_u32_e32 v4, vcc, 0xfffffd80, v10
	s_nop 1
	v_addc_co_u32_e32 v5, vcc, -1, v11, vcc
	flat_store_short_d16_hi v[4:5], v27 nt
	v_lshlrev_b32_e32 v4, 16, v25
	v_lshlrev_b32_e32 v5, 16, v26
	v_max_f32_e32 v5, v5, v5
	v_max_f32_e32 v4, v4, v4
	v_min_f32_e32 v25, v4, v5
	v_max_f32_e32 v4, v4, v5
	v_cndmask_b32_e64 v26, v4, v25, s[24:25]
	v_and_b32_e32 v4, 0x7f800000, v26
	v_cmp_ne_u32_e32 vcc, s97, v4
                                        ; implicit-def: $vgpr25
	s_and_saveexec_b64 s[26:27], vcc
	s_xor_b64 s[26:27], exec, s[26:27]
; %bb.2089:                             ;   in Loop: Header=BB23_2076 Depth=3
	v_bfe_u32 v4, v26, 16, 1
	v_add3_u32 v25, v26, v4, s74
                                        ; implicit-def: $vgpr26
; %bb.2090:                             ;   in Loop: Header=BB23_2076 Depth=3
	s_andn2_saveexec_b64 s[26:27], s[26:27]
; %bb.2091:                             ;   in Loop: Header=BB23_2076 Depth=3
	v_or_b32_e32 v4, 0x10000, v26
	v_cmp_eq_u32_sdwa vcc, v26, v3 src0_sel:WORD_0 src1_sel:DWORD
	s_nop 1
	v_cndmask_b32_e32 v25, v4, v26, vcc
; %bb.2092:                             ;   in Loop: Header=BB23_2076 Depth=3
	s_or_b64 exec, exec, s[26:27]
	v_add_co_u32_e32 v4, vcc, 0xfffffe00, v10
	s_nop 1
	v_addc_co_u32_e32 v5, vcc, -1, v11, vcc
	flat_store_short_d16_hi v[4:5], v25 nt
	v_lshlrev_b32_e32 v4, 16, v22
	v_lshlrev_b32_e32 v5, 16, v24
	v_max_f32_e32 v5, v5, v5
	v_max_f32_e32 v4, v4, v4
	v_min_f32_e32 v22, v4, v5
	v_max_f32_e32 v4, v4, v5
	v_cndmask_b32_e64 v24, v4, v22, s[24:25]
	v_and_b32_e32 v4, 0x7f800000, v24
	v_cmp_ne_u32_e32 vcc, s97, v4
                                        ; implicit-def: $vgpr22
	s_and_saveexec_b64 s[26:27], vcc
	s_xor_b64 s[26:27], exec, s[26:27]
; %bb.2093:                             ;   in Loop: Header=BB23_2076 Depth=3
	v_bfe_u32 v4, v24, 16, 1
	v_add3_u32 v22, v24, v4, s74
                                        ; implicit-def: $vgpr24
; %bb.2094:                             ;   in Loop: Header=BB23_2076 Depth=3
	s_andn2_saveexec_b64 s[26:27], s[26:27]
; %bb.2095:                             ;   in Loop: Header=BB23_2076 Depth=3
	v_or_b32_e32 v4, 0x10000, v24
	v_cmp_eq_u32_sdwa vcc, v24, v3 src0_sel:WORD_0 src1_sel:DWORD
	s_nop 1
	v_cndmask_b32_e32 v22, v4, v24, vcc
; %bb.2096:                             ;   in Loop: Header=BB23_2076 Depth=3
	s_or_b64 exec, exec, s[26:27]
	v_add_co_u32_e32 v4, vcc, 0xfffffe80, v10
	s_nop 1
	v_addc_co_u32_e32 v5, vcc, -1, v11, vcc
	flat_store_short_d16_hi v[4:5], v22 nt
	v_lshlrev_b32_e32 v4, 16, v21
	v_lshlrev_b32_e32 v5, 16, v23
	v_max_f32_e32 v5, v5, v5
	v_max_f32_e32 v4, v4, v4
	v_min_f32_e32 v21, v4, v5
	v_max_f32_e32 v4, v4, v5
	v_cndmask_b32_e64 v22, v4, v21, s[24:25]
	v_and_b32_e32 v4, 0x7f800000, v22
	v_cmp_ne_u32_e32 vcc, s97, v4
                                        ; implicit-def: $vgpr21
	s_and_saveexec_b64 s[26:27], vcc
	s_xor_b64 s[26:27], exec, s[26:27]
; %bb.2097:                             ;   in Loop: Header=BB23_2076 Depth=3
	v_bfe_u32 v4, v22, 16, 1
	v_add3_u32 v21, v22, v4, s74
                                        ; implicit-def: $vgpr22
; %bb.2098:                             ;   in Loop: Header=BB23_2076 Depth=3
	s_andn2_saveexec_b64 s[26:27], s[26:27]
; %bb.2099:                             ;   in Loop: Header=BB23_2076 Depth=3
	v_or_b32_e32 v4, 0x10000, v22
	v_cmp_eq_u32_sdwa vcc, v22, v3 src0_sel:WORD_0 src1_sel:DWORD
	s_nop 1
	v_cndmask_b32_e32 v21, v4, v22, vcc
; %bb.2100:                             ;   in Loop: Header=BB23_2076 Depth=3
	s_or_b64 exec, exec, s[26:27]
	v_add_co_u32_e32 v4, vcc, 0xffffff00, v10
	s_nop 1
	v_addc_co_u32_e32 v5, vcc, -1, v11, vcc
	flat_store_short_d16_hi v[4:5], v21 nt
	v_lshlrev_b32_e32 v4, 16, v19
	v_lshlrev_b32_e32 v5, 16, v20
	v_max_f32_e32 v5, v5, v5
	v_max_f32_e32 v4, v4, v4
	v_min_f32_e32 v19, v4, v5
	v_max_f32_e32 v4, v4, v5
	v_cndmask_b32_e64 v20, v4, v19, s[24:25]
	v_and_b32_e32 v4, 0x7f800000, v20
	v_cmp_ne_u32_e32 vcc, s97, v4
                                        ; implicit-def: $vgpr19
	s_and_saveexec_b64 s[26:27], vcc
	s_xor_b64 s[26:27], exec, s[26:27]
; %bb.2101:                             ;   in Loop: Header=BB23_2076 Depth=3
	v_bfe_u32 v4, v20, 16, 1
	v_add3_u32 v19, v20, v4, s74
                                        ; implicit-def: $vgpr20
; %bb.2102:                             ;   in Loop: Header=BB23_2076 Depth=3
	s_andn2_saveexec_b64 s[26:27], s[26:27]
; %bb.2103:                             ;   in Loop: Header=BB23_2076 Depth=3
	v_or_b32_e32 v4, 0x10000, v20
	v_cmp_eq_u32_sdwa vcc, v20, v3 src0_sel:WORD_0 src1_sel:DWORD
	s_nop 1
	v_cndmask_b32_e32 v19, v4, v20, vcc
; %bb.2104:                             ;   in Loop: Header=BB23_2076 Depth=3
	s_or_b64 exec, exec, s[26:27]
	v_add_co_u32_e32 v4, vcc, 0xffffff80, v10
	s_nop 1
	v_addc_co_u32_e32 v5, vcc, -1, v11, vcc
	flat_store_short_d16_hi v[4:5], v19 nt
	v_lshlrev_b32_e32 v4, 16, v17
	v_lshlrev_b32_e32 v5, 16, v18
	v_max_f32_e32 v5, v5, v5
	v_max_f32_e32 v4, v4, v4
	v_min_f32_e32 v17, v4, v5
	v_max_f32_e32 v4, v4, v5
	v_cndmask_b32_e64 v17, v4, v17, s[24:25]
	v_and_b32_e32 v4, 0x7f800000, v17
	v_cmp_ne_u32_e32 vcc, s97, v4
                                        ; implicit-def: $vgpr18
	s_and_saveexec_b64 s[26:27], vcc
	s_xor_b64 s[26:27], exec, s[26:27]
; %bb.2105:                             ;   in Loop: Header=BB23_2076 Depth=3
	v_bfe_u32 v4, v17, 16, 1
	v_add3_u32 v18, v17, v4, s74
                                        ; implicit-def: $vgpr17
; %bb.2106:                             ;   in Loop: Header=BB23_2076 Depth=3
	s_andn2_saveexec_b64 s[26:27], s[26:27]
	s_cbranch_execz .LBB23_2075
; %bb.2107:                             ;   in Loop: Header=BB23_2076 Depth=3
	v_or_b32_e32 v4, 0x10000, v17
	v_cmp_eq_u32_sdwa vcc, v17, v3 src0_sel:WORD_0 src1_sel:DWORD
	s_nop 1
	v_cndmask_b32_e32 v18, v4, v17, vcc
	s_branch .LBB23_2075
.LBB23_2108:                            ;   in Loop: Header=BB23_1651 Depth=2
	s_or_b64 exec, exec, s[44:45]
.LBB23_2109:                            ;   in Loop: Header=BB23_1651 Depth=2
	s_or_b64 exec, exec, s[42:43]
	v_lshlrev_b32_e32 v8, 10, v16
	v_cmp_ne_u32_e32 vcc, v2, v8
	s_and_b64 exec, exec, vcc
	s_cbranch_execz .LBB23_2113
; %bb.2110:                             ;   in Loop: Header=BB23_1651 Depth=2
	v_lshlrev_b32_e32 v4, 6, v12
	v_sub_u32_e32 v4, v13, v4
	v_lshlrev_b32_e32 v5, 6, v15
	v_sub_u32_e32 v4, v4, v5
	v_ashrrev_i32_e32 v5, 31, v4
	v_lshrrev_b32_e32 v5, 26, v5
	v_add_u32_e32 v5, v4, v5
	v_and_b32_e32 v9, 0x7fffffc0, v5
	v_sub_u32_e32 v4, v4, v9
	v_lshlrev_b32_e32 v5, 1, v5
	v_and_b32_e32 v5, 0xffffff80, v5
	v_lshlrev_b32_e32 v4, 1, v4
	v_add3_u32 v8, v5, v4, v8
	v_sub_u32_e32 v2, v2, v8
	v_cmp_lt_i32_e32 vcc, 1, v2
	s_and_b64 exec, exec, vcc
	s_cbranch_execz .LBB23_2113
; %bb.2111:                             ;   in Loop: Header=BB23_1651 Depth=2
	s_and_b32 s76, s66, 1
	v_add_u32_e32 v8, v8, v14
	s_cmp_eq_u64 s[76:77], 0
	v_ashrrev_i32_e32 v9, 31, v8
	s_mov_b64 s[26:27], 0
	s_cselect_b64 vcc, -1, 0
.LBB23_2112:                            ;   Parent Loop BB23_47 Depth=1
                                        ;     Parent Loop BB23_1651 Depth=2
                                        ; =>    This Inner Loop Header: Depth=3
	v_lshl_add_u64 v[4:5], v[92:93], 0, v[8:9]
	flat_load_ushort v10, v[8:9] nt
	flat_load_ushort v11, v[4:5] nt
	v_sub_u32_e32 v2, v2, v114
	v_cmp_gt_i32_e64 s[24:25], 2, v2
	s_or_b64 s[26:27], s[24:25], s[26:27]
	v_lshl_add_u64 v[4:5], v[94:95], 0, v[8:9]
	v_lshl_add_u64 v[8:9], v[8:9], 0, v[114:115]
	s_waitcnt vmcnt(0) lgkmcnt(0)
	v_lshlrev_b32_e32 v10, 16, v10
	v_lshlrev_b32_e32 v11, 16, v11
	v_max_f32_e32 v10, v10, v10
	v_max_f32_e32 v11, v11, v11
	v_min_f32_e32 v12, v11, v10
	v_max_f32_e32 v10, v11, v10
	v_cndmask_b32_e32 v10, v10, v12, vcc
	v_and_b32_e32 v11, 0x7f800000, v10
	v_bfe_u32 v12, v10, 16, 1
	v_or_b32_e32 v13, 0x10000, v10
	v_cmp_eq_u32_sdwa s[24:25], v10, v3 src0_sel:WORD_0 src1_sel:DWORD
	v_add3_u32 v12, v10, v12, s74
	s_nop 0
	v_cndmask_b32_e64 v10, v13, v10, s[24:25]
	v_cmp_eq_u32_e64 s[24:25], s97, v11
	s_nop 1
	v_cndmask_b32_e64 v10, v12, v10, s[24:25]
	flat_store_short_d16_hi v[4:5], v10 nt
	s_andn2_b64 exec, exec, s[26:27]
	s_cbranch_execnz .LBB23_2112
.LBB23_2113:                            ;   in Loop: Header=BB23_1651 Depth=2
	s_or_b64 exec, exec, s[40:41]
	v_cmp_lt_i32_e64 s[24:25], 0, v91
	s_and_saveexec_b64 s[26:27], s[6:7]
	s_cbranch_execz .LBB23_1790
.LBB23_2114:                            ;   in Loop: Header=BB23_1651 Depth=2
	s_and_saveexec_b64 s[28:29], s[78:79]
	s_xor_b64 s[28:29], exec, s[28:29]
	s_cbranch_execz .LBB23_2129
; %bb.2115:                             ;   in Loop: Header=BB23_1651 Depth=2
	s_and_saveexec_b64 s[40:41], s[14:15]
	s_cbranch_execz .LBB23_2128
; %bb.2116:                             ;   in Loop: Header=BB23_1651 Depth=2
	s_mov_b64 s[44:45], exec
	v_mbcnt_lo_u32_b32 v2, s44, 0
	v_mbcnt_hi_u32_b32 v2, s45, v2
	v_cmp_eq_u32_e32 vcc, 0, v2
	s_waitcnt lgkmcnt(0)
	s_and_saveexec_b64 s[42:43], vcc
	s_cbranch_execz .LBB23_2118
; %bb.2117:                             ;   in Loop: Header=BB23_1651 Depth=2
	s_bcnt1_i32_b64 s44, s[44:45]
	v_mov_b32_e32 v2, s44
	ds_add_u64 v0, v[2:3]
	s_trap 2
.LBB23_2118:                            ;   in Loop: Header=BB23_1651 Depth=2
	s_or_b64 exec, exec, s[42:43]
	s_trap 2
	ds_read_b64 v[4:5], v0
	s_waitcnt lgkmcnt(0)
	v_lshl_add_u64 v[80:81], v[80:81], 0, v[84:85]
	v_cmp_lt_u64_e32 vcc, v[4:5], v[80:81]
	s_and_saveexec_b64 s[42:43], vcc
	s_cbranch_execz .LBB23_2127
; %bb.2119:                             ;   in Loop: Header=BB23_1651 Depth=2
	s_mov_b32 s76, 0
	s_mov_b64 s[44:45], 0
                                        ; implicit-def: $sgpr46_sgpr47
                                        ; implicit-def: $sgpr56_sgpr57
	s_branch .LBB23_2121
.LBB23_2120:                            ;   in Loop: Header=BB23_2121 Depth=3
	s_or_b64 exec, exec, s[60:61]
	s_and_b64 s[58:59], exec, vcc
	s_or_b64 s[44:45], s[58:59], s[44:45]
	s_andn2_b64 s[46:47], s[46:47], exec
	s_and_b64 s[58:59], s[56:57], exec
	s_or_b64 s[46:47], s[46:47], s[58:59]
	s_andn2_b64 exec, exec, s[44:45]
	s_cbranch_execz .LBB23_2125
.LBB23_2121:                            ;   Parent Loop BB23_47 Depth=1
                                        ;     Parent Loop BB23_1651 Depth=2
                                        ; =>    This Inner Loop Header: Depth=3
	s_add_i32 s76, s76, 1
	s_cmpk_lg_i32 s76, 0x2710
	s_cselect_b64 s[58:59], -1, 0
	s_and_b64 vcc, exec, s[58:59]
	s_cbranch_vccz .LBB23_2123
; %bb.2122:                             ;   in Loop: Header=BB23_2121 Depth=3
	s_mov_b64 vcc, -1
	s_or_b64 s[56:57], s[56:57], exec
	s_and_saveexec_b64 s[60:61], s[58:59]
	s_cbranch_execz .LBB23_2120
	s_branch .LBB23_2124
.LBB23_2123:                            ;   in Loop: Header=BB23_2121 Depth=3
	s_trap 2
	ds_read_b64 v[4:5], v0
	s_andn2_b64 s[58:59], s[58:59], exec
	s_mov_b32 s76, 0
	s_waitcnt vmcnt(0) lgkmcnt(0)
	flat_load_dword v2, v[4:5] sc0 sc1
	s_waitcnt vmcnt(0) lgkmcnt(0)
	buffer_inv sc0 sc1
	v_cmp_eq_u32_e32 vcc, 0, v2
	s_and_b64 s[60:61], vcc, exec
	s_or_b64 s[58:59], s[58:59], s[60:61]
	s_mov_b64 vcc, -1
	s_or_b64 s[56:57], s[56:57], exec
	s_and_saveexec_b64 s[60:61], s[58:59]
	s_cbranch_execz .LBB23_2120
.LBB23_2124:                            ;   in Loop: Header=BB23_2121 Depth=3
	s_sleep 1
	s_trap 2
	ds_read_b64 v[4:5], v0
	s_waitcnt lgkmcnt(0)
	s_andn2_b64 s[56:57], s[56:57], exec
	v_cmp_ge_u64_e32 vcc, v[4:5], v[80:81]
	s_orn2_b64 vcc, vcc, exec
	s_branch .LBB23_2120
.LBB23_2125:                            ;   in Loop: Header=BB23_1651 Depth=2
	s_or_b64 exec, exec, s[44:45]
	s_and_saveexec_b64 s[44:45], s[46:47]
	s_xor_b64 s[44:45], exec, s[44:45]
	s_cbranch_execz .LBB23_2127
; %bb.2126:                             ;   in Loop: Header=BB23_1651 Depth=2
	ds_write_b32 v0, v1
	s_trap 2
.LBB23_2127:                            ;   in Loop: Header=BB23_1651 Depth=2
	s_or_b64 exec, exec, s[42:43]
	;;#ASMSTART
	s_wakeup
	;;#ASMEND
.LBB23_2128:                            ;   in Loop: Header=BB23_1651 Depth=2
	s_or_b64 exec, exec, s[40:41]
.LBB23_2129:                            ;   in Loop: Header=BB23_1651 Depth=2
	s_andn2_saveexec_b64 s[28:29], s[28:29]
	s_cbranch_execz .LBB23_2131
; %bb.2130:                             ;   in Loop: Header=BB23_1651 Depth=2
	s_waitcnt lgkmcnt(0)
	s_barrier
.LBB23_2131:                            ;   in Loop: Header=BB23_1651 Depth=2
	s_or_b64 exec, exec, s[28:29]
	s_or_b64 exec, exec, s[26:27]
                                        ; implicit-def: $vgpr2
	s_and_saveexec_b64 s[26:27], s[22:23]
	s_xor_b64 s[26:27], exec, s[26:27]
	s_cbranch_execnz .LBB23_1791
.LBB23_2132:                            ;   in Loop: Header=BB23_1651 Depth=2
	s_andn2_saveexec_b64 s[24:25], s[26:27]
	s_cbranch_execz .LBB23_2151
.LBB23_2133:                            ;   in Loop: Header=BB23_1651 Depth=2
	s_and_saveexec_b64 s[26:27], s[78:79]
	s_xor_b64 s[26:27], exec, s[26:27]
	s_cbranch_execz .LBB23_2148
; %bb.2134:                             ;   in Loop: Header=BB23_1651 Depth=2
	s_and_saveexec_b64 s[28:29], s[14:15]
	s_cbranch_execz .LBB23_2147
; %bb.2135:                             ;   in Loop: Header=BB23_1651 Depth=2
	s_mov_b64 s[42:43], exec
	v_mbcnt_lo_u32_b32 v2, s42, 0
	v_mbcnt_hi_u32_b32 v2, s43, v2
	v_cmp_eq_u32_e32 vcc, 0, v2
	;;#ASMSTART
	s_waitcnt lgkmcnt(0) vmcnt(0)
	;;#ASMEND
	s_and_saveexec_b64 s[40:41], vcc
	s_cbranch_execz .LBB23_2137
; %bb.2136:                             ;   in Loop: Header=BB23_1651 Depth=2
	s_bcnt1_i32_b64 s42, s[42:43]
	v_mov_b32_e32 v2, s42
	s_waitcnt lgkmcnt(0)
	ds_add_u64 v0, v[2:3]
	s_trap 2
.LBB23_2137:                            ;   in Loop: Header=BB23_1651 Depth=2
	s_or_b64 exec, exec, s[40:41]
	s_trap 2
	ds_read_b64 v[4:5], v0
	s_waitcnt lgkmcnt(0)
	v_lshl_add_u64 v[80:81], v[80:81], 0, v[84:85]
	v_cmp_lt_u64_e32 vcc, v[4:5], v[80:81]
	s_and_saveexec_b64 s[40:41], vcc
	s_cbranch_execz .LBB23_2146
; %bb.2138:                             ;   in Loop: Header=BB23_1651 Depth=2
	s_mov_b32 s76, 0
	s_mov_b64 s[42:43], 0
                                        ; implicit-def: $sgpr44_sgpr45
                                        ; implicit-def: $sgpr46_sgpr47
	s_branch .LBB23_2140
.LBB23_2139:                            ;   in Loop: Header=BB23_2140 Depth=3
	s_or_b64 exec, exec, s[58:59]
	s_and_b64 s[56:57], exec, s[60:61]
	s_or_b64 s[42:43], s[56:57], s[42:43]
	s_andn2_b64 s[44:45], s[44:45], exec
	s_and_b64 s[56:57], s[46:47], exec
	s_or_b64 s[44:45], s[44:45], s[56:57]
	s_andn2_b64 exec, exec, s[42:43]
	s_cbranch_execz .LBB23_2144
.LBB23_2140:                            ;   Parent Loop BB23_47 Depth=1
                                        ;     Parent Loop BB23_1651 Depth=2
                                        ; =>    This Inner Loop Header: Depth=3
	s_add_i32 s76, s76, 1
	s_cmpk_lg_i32 s76, 0x2710
	s_cselect_b64 s[56:57], -1, 0
	s_and_b64 vcc, exec, s[56:57]
	s_cbranch_vccz .LBB23_2142
; %bb.2141:                             ;   in Loop: Header=BB23_2140 Depth=3
	s_mov_b64 s[60:61], -1
	s_or_b64 s[46:47], s[46:47], exec
	s_and_saveexec_b64 s[58:59], s[56:57]
	s_cbranch_execz .LBB23_2139
	s_branch .LBB23_2143
.LBB23_2142:                            ;   in Loop: Header=BB23_2140 Depth=3
	s_trap 2
	ds_read_b64 v[4:5], v0
	s_andn2_b64 s[56:57], s[56:57], exec
	s_mov_b32 s76, 0
	s_waitcnt vmcnt(0) lgkmcnt(0)
	flat_load_dword v2, v[4:5] sc0 sc1
	s_waitcnt vmcnt(0) lgkmcnt(0)
	buffer_inv sc0 sc1
	v_cmp_eq_u32_e32 vcc, 0, v2
	s_and_b64 s[58:59], vcc, exec
	s_or_b64 s[56:57], s[56:57], s[58:59]
	s_mov_b64 s[60:61], -1
	s_or_b64 s[46:47], s[46:47], exec
	s_and_saveexec_b64 s[58:59], s[56:57]
	s_cbranch_execz .LBB23_2139
.LBB23_2143:                            ;   in Loop: Header=BB23_2140 Depth=3
	s_sleep 1
	s_trap 2
	ds_read_b64 v[4:5], v0
	s_waitcnt lgkmcnt(0)
	s_andn2_b64 s[46:47], s[46:47], exec
	v_cmp_ge_u64_e32 vcc, v[4:5], v[80:81]
	s_orn2_b64 s[60:61], vcc, exec
	s_branch .LBB23_2139
.LBB23_2144:                            ;   in Loop: Header=BB23_1651 Depth=2
	s_or_b64 exec, exec, s[42:43]
	s_and_saveexec_b64 s[42:43], s[44:45]
	s_xor_b64 s[42:43], exec, s[42:43]
	s_cbranch_execz .LBB23_2146
; %bb.2145:                             ;   in Loop: Header=BB23_1651 Depth=2
	ds_write_b32 v0, v1
	s_trap 2
.LBB23_2146:                            ;   in Loop: Header=BB23_1651 Depth=2
	s_or_b64 exec, exec, s[40:41]
	;;#ASMSTART
	s_wakeup
	;;#ASMEND
.LBB23_2147:                            ;   in Loop: Header=BB23_1651 Depth=2
	s_or_b64 exec, exec, s[28:29]
.LBB23_2148:                            ;   in Loop: Header=BB23_1651 Depth=2
	s_andn2_saveexec_b64 s[26:27], s[26:27]
	s_cbranch_execz .LBB23_2150
; %bb.2149:                             ;   in Loop: Header=BB23_1651 Depth=2
	;;#ASMSTART
	s_waitcnt lgkmcnt(0) vmcnt(0)
	;;#ASMEND
	s_barrier
.LBB23_2150:                            ;   in Loop: Header=BB23_1651 Depth=2
	s_or_b64 exec, exec, s[26:27]
	v_and_b32_e32 v2, 16, v110
.LBB23_2151:                            ;   in Loop: Header=BB23_1651 Depth=2
	s_or_b64 exec, exec, s[24:25]
	v_cmp_ne_u32_e32 vcc, 0, v2
	s_xor_b64 s[24:25], s[10:11], -1
	s_and_b64 s[26:27], vcc, s[24:25]
	s_and_saveexec_b64 s[24:25], s[26:27]
	s_cbranch_execz .LBB23_2153
; %bb.2152:                             ;   in Loop: Header=BB23_1651 Depth=2
	flat_store_dword v[68:69], v1 sc0 sc1
.LBB23_2153:                            ;   in Loop: Header=BB23_1651 Depth=2
	s_or_b64 exec, exec, s[24:25]
	v_and_b32_e32 v2, 48, v110
	v_cmp_ne_u32_e32 vcc, 0, v2
	s_and_saveexec_b64 s[24:25], vcc
	s_cbranch_execz .LBB23_2155
; %bb.2154:                             ;   in Loop: Header=BB23_1651 Depth=2
	v_lshl_add_u64 v[76:77], v[76:77], 0, 4
	flat_store_dwordx2 v[64:65], v[76:77] sc0 sc1
.LBB23_2155:                            ;   in Loop: Header=BB23_1651 Depth=2
	s_or_b64 exec, exec, s[24:25]
	v_mov_b32_e32 v2, v90
	s_or_b64 exec, exec, s[50:51]
	s_and_saveexec_b64 s[26:27], s[62:63]
	s_cbranch_execnz .LBB23_1658
.LBB23_2156:                            ;   in Loop: Header=BB23_1651 Depth=2
	s_or_b64 exec, exec, s[26:27]
	s_add_i32 s24, s49, 1
	s_cmp_eq_u32 s49, s87
	s_cbranch_scc1 .LBB23_2158
.LBB23_2157:                            ;   in Loop: Header=BB23_1651 Depth=2
	s_mov_b32 s49, s24
	s_branch .LBB23_1651
.LBB23_2158:                            ;   in Loop: Header=BB23_47 Depth=1
	v_mul_lo_u32 v2, v75, s85
	v_mul_lo_u32 v4, v74, s86
	v_mad_u64_u32 v[8:9], s[24:25], v74, s85, 0
	v_add3_u32 v9, v9, v4, v2
	v_sub_co_u32_e32 v4, vcc, v78, v8
	v_mov_b32_e32 v14, 0
	s_nop 0
	v_subb_co_u32_e32 v5, vcc, v79, v9, vcc
	v_cmp_lt_i64_e32 vcc, v[74:75], v[4:5]
	s_nop 1
	v_cndmask_b32_e32 v2, v4, v74, vcc
	v_max_i32_e32 v53, 0, v2
	v_add_u32_e32 v4, 15, v53
	v_ashrrev_i32_e32 v5, 31, v4
	v_lshrrev_b32_e32 v5, 28, v5
	v_add_u32_e32 v4, v4, v5
	v_cmp_gt_i32_e32 vcc, 1, v2
	v_and_b32_e32 v4, -16, v4
	s_or_b64 s[62:63], s[2:3], vcc
	v_max_i32_e32 v106, s82, v4
	s_xor_b64 s[24:25], s[62:63], -1
	s_and_saveexec_b64 s[50:51], s[24:25]
	s_cbranch_execz .LBB23_2454
; %bb.2159:                             ;   in Loop: Header=BB23_47 Depth=1
	s_and_saveexec_b64 s[24:25], s[0:1]
	s_cbranch_execz .LBB23_2161
; %bb.2160:                             ;   in Loop: Header=BB23_47 Depth=1
	s_trap 2
	ds_read_b128 v[10:13], v0
	v_lshl_add_u64 v[4:5], v[8:9], 0, v[88:89]
	v_lshlrev_b64 v[4:5], 1, v[4:5]
	s_waitcnt lgkmcnt(0)
	v_lshl_add_u64 v[8:9], v[10:11], 0, v[4:5]
	v_lshl_add_u64 v[4:5], v[12:13], 0, v[4:5]
	v_cmp_ne_u64_e32 vcc, 0, v[12:13]
	ds_write_b64 v0, v[8:9]
	s_nop 0
	v_cndmask_b32_e32 v5, 0, v5, vcc
	v_cndmask_b32_e32 v4, 0, v4, vcc
	ds_write_b64 v0, v[4:5]
.LBB23_2161:                            ;   in Loop: Header=BB23_47 Depth=1
	s_or_b64 exec, exec, s[24:25]
	v_and_b32_e32 v2, 4, v110
	v_cmp_ne_u32_e32 vcc, 0, v2
	s_and_saveexec_b64 s[26:27], vcc
	s_cbranch_execz .LBB23_2183
; %bb.2162:                             ;   in Loop: Header=BB23_47 Depth=1
	v_lshl_add_u64 v[8:9], v[76:77], 0, 4
	s_waitcnt vmcnt(0) lgkmcnt(0)
	v_cmp_lt_u64_e32 vcc, v[70:71], v[8:9]
	s_and_saveexec_b64 s[28:29], vcc
	s_cbranch_execz .LBB23_2174
; %bb.2163:                             ;   in Loop: Header=BB23_47 Depth=1
	v_and_b32_e32 v2, 64, v110
	s_mov_b32 s76, 0
	v_cmp_eq_u32_e32 vcc, 0, v2
	s_mov_b64 s[40:41], 0
                                        ; implicit-def: $sgpr42_sgpr43
                                        ; implicit-def: $sgpr44_sgpr45
                                        ; implicit-def: $sgpr46_sgpr47
	s_branch .LBB23_2167
.LBB23_2164:                            ;   in Loop: Header=BB23_2167 Depth=2
	s_waitcnt vmcnt(0) lgkmcnt(0)
	v_cmp_ge_u64_e64 s[24:25], v[70:71], v[8:9]
	s_or_b64 s[60:61], s[60:61], exec
	s_orn2_b64 s[58:59], s[24:25], exec
.LBB23_2165:                            ;   in Loop: Header=BB23_2167 Depth=2
	s_or_b64 exec, exec, s[54:55]
	s_andn2_b64 s[24:25], s[46:47], exec
	s_and_b64 s[46:47], s[60:61], exec
	s_or_b64 s[46:47], s[24:25], s[46:47]
	s_andn2_b64 s[24:25], s[44:45], exec
	s_and_b64 s[44:45], s[58:59], exec
	s_or_b64 s[44:45], s[24:25], s[44:45]
.LBB23_2166:                            ;   in Loop: Header=BB23_2167 Depth=2
	s_or_b64 exec, exec, s[56:57]
	s_and_b64 s[24:25], exec, s[44:45]
	s_or_b64 s[40:41], s[24:25], s[40:41]
	s_andn2_b64 s[24:25], s[42:43], exec
	s_and_b64 s[42:43], s[46:47], exec
	s_or_b64 s[42:43], s[24:25], s[42:43]
	s_andn2_b64 exec, exec, s[40:41]
	s_cbranch_execz .LBB23_2171
.LBB23_2167:                            ;   Parent Loop BB23_47 Depth=1
                                        ; =>  This Inner Loop Header: Depth=2
	s_sleep 1
	s_waitcnt vmcnt(0) lgkmcnt(0)
	flat_load_dwordx2 v[70:71], v[64:65] sc0 sc1
	s_or_b64 s[46:47], s[46:47], exec
	s_or_b64 s[44:45], s[44:45], exec
                                        ; implicit-def: $vgpr2
	s_and_saveexec_b64 s[56:57], vcc
	s_cbranch_execz .LBB23_2166
; %bb.2168:                             ;   in Loop: Header=BB23_2167 Depth=2
	s_cmpk_lt_i32 s76, 0x270f
	s_cselect_b64 s[52:53], -1, 0
	s_cmpk_gt_i32 s76, 0x270e
	s_mov_b64 s[58:59], -1
	s_cbranch_scc0 .LBB23_2170
; %bb.2169:                             ;   in Loop: Header=BB23_2167 Depth=2
	s_trap 2
	ds_read_b64 v[4:5], v0
	s_andn2_b64 s[52:53], s[52:53], exec
	s_mov_b32 s76, 0
	s_mov_b64 s[60:61], 0
	s_waitcnt vmcnt(0) lgkmcnt(0)
	flat_load_dword v2, v[4:5] sc0 sc1
	s_waitcnt vmcnt(0) lgkmcnt(0)
	buffer_inv sc0 sc1
	v_cmp_eq_u32_e64 s[24:25], 0, v2
	s_and_b64 s[24:25], s[24:25], exec
	s_or_b64 s[52:53], s[52:53], s[24:25]
	s_and_saveexec_b64 s[54:55], s[52:53]
	s_cbranch_execz .LBB23_2165
	s_branch .LBB23_2164
.LBB23_2170:                            ;   in Loop: Header=BB23_2167 Depth=2
	s_add_i32 s76, s76, 1
	s_mov_b64 s[60:61], -1
                                        ; implicit-def: $vgpr2
	s_and_saveexec_b64 s[54:55], s[52:53]
	s_cbranch_execz .LBB23_2165
	s_branch .LBB23_2164
.LBB23_2171:                            ;   in Loop: Header=BB23_47 Depth=1
	s_or_b64 exec, exec, s[40:41]
	s_xor_b64 s[24:25], s[42:43], -1
	s_and_saveexec_b64 s[40:41], s[24:25]
	s_xor_b64 s[24:25], exec, s[40:41]
	s_cbranch_execz .LBB23_2173
; %bb.2172:                             ;   in Loop: Header=BB23_47 Depth=1
	v_or_b32_e32 v110, 64, v110
	s_waitcnt lgkmcnt(0)
	ds_write_b32 v0, v2
	s_trap 2
.LBB23_2173:                            ;   in Loop: Header=BB23_47 Depth=1
	s_or_b64 exec, exec, s[24:25]
.LBB23_2174:                            ;   in Loop: Header=BB23_47 Depth=1
	s_or_b64 exec, exec, s[28:29]
	v_and_b32_e32 v2, 0x100, v110
	v_cmp_ne_u32_e32 vcc, 0, v2
	v_and_b32_e32 v2, 7, v76
	s_mov_b64 s[24:25], -1
	;;#ASMSTART
	s_wakeup
	;;#ASMEND
                                        ; implicit-def: $vgpr10_vgpr11
	s_and_saveexec_b64 s[28:29], vcc
	s_cbranch_execz .LBB23_2178
; %bb.2175:                             ;   in Loop: Header=BB23_47 Depth=1
	v_mad_u64_u32 v[12:13], s[24:25], v2, 24, v[6:7]
	flat_load_dword v4, v[12:13]
                                        ; implicit-def: $vgpr10_vgpr11
	s_waitcnt vmcnt(0) lgkmcnt(0)
	v_cmp_ne_u32_e32 vcc, 1, v4
	v_cmp_eq_u32_e64 s[24:25], 1, v4
	s_and_saveexec_b64 s[40:41], s[24:25]
	s_cbranch_execz .LBB23_2177
; %bb.2176:                             ;   in Loop: Header=BB23_47 Depth=1
	flat_load_dword v4, v[12:13] offset:4 sc0 sc1
	s_waitcnt vmcnt(0) lgkmcnt(0)
	v_ashrrev_i32_e32 v5, 31, v4
	v_lshrrev_b64 v[10:11], 1, v[4:5]
.LBB23_2177:                            ;   in Loop: Header=BB23_47 Depth=1
	s_or_b64 exec, exec, s[40:41]
	s_orn2_b64 s[24:25], vcc, exec
.LBB23_2178:                            ;   in Loop: Header=BB23_47 Depth=1
	s_or_b64 exec, exec, s[28:29]
	s_and_saveexec_b64 s[28:29], s[24:25]
; %bb.2179:                             ;   in Loop: Header=BB23_47 Depth=1
	v_mad_i64_i32 v[10:11], s[24:25], v2, v30, 0
; %bb.2180:                             ;   in Loop: Header=BB23_47 Depth=1
	s_or_b64 exec, exec, s[28:29]
	v_and_b32_e32 v2, 0x2000, v110
	v_lshl_add_u64 v[4:5], v[10:11], 1, v[66:67]
	v_cmp_ne_u32_e32 vcc, 0, v2
	ds_write_b64 v0, v[4:5] offset:720
	s_and_saveexec_b64 s[24:25], vcc
	s_cbranch_execz .LBB23_2182
; %bb.2181:                             ;   in Loop: Header=BB23_47 Depth=1
	ds_read_b64 v[4:5], v0 offset:872
	s_waitcnt lgkmcnt(0)
	v_lshl_add_u64 v[4:5], v[4:5], 0, 1
	ds_write_b64 v0, v[4:5] offset:872
.LBB23_2182:                            ;   in Loop: Header=BB23_47 Depth=1
	s_or_b64 exec, exec, s[24:25]
	v_mov_b64_e32 v[76:77], v[8:9]
.LBB23_2183:                            ;   in Loop: Header=BB23_47 Depth=1
	s_or_b64 exec, exec, s[26:27]
	s_and_saveexec_b64 s[24:25], s[6:7]
	s_cbranch_execz .LBB23_2202
; %bb.2184:                             ;   in Loop: Header=BB23_47 Depth=1
	s_and_saveexec_b64 s[26:27], s[78:79]
	s_xor_b64 s[26:27], exec, s[26:27]
	s_cbranch_execz .LBB23_2199
; %bb.2185:                             ;   in Loop: Header=BB23_47 Depth=1
	s_and_saveexec_b64 s[28:29], s[14:15]
	s_cbranch_execz .LBB23_2198
; %bb.2186:                             ;   in Loop: Header=BB23_47 Depth=1
	s_mov_b64 s[42:43], exec
	v_mbcnt_lo_u32_b32 v2, s42, 0
	v_mbcnt_hi_u32_b32 v2, s43, v2
	v_cmp_eq_u32_e32 vcc, 0, v2
	s_waitcnt lgkmcnt(0)
	s_and_saveexec_b64 s[40:41], vcc
	s_cbranch_execz .LBB23_2188
; %bb.2187:                             ;   in Loop: Header=BB23_47 Depth=1
	s_bcnt1_i32_b64 s42, s[42:43]
	v_mov_b32_e32 v2, s42
	ds_add_u64 v0, v[2:3]
	s_trap 2
.LBB23_2188:                            ;   in Loop: Header=BB23_47 Depth=1
	s_or_b64 exec, exec, s[40:41]
	s_trap 2
	ds_read_b64 v[4:5], v0
	s_waitcnt lgkmcnt(0)
	v_lshl_add_u64 v[80:81], v[80:81], 0, v[84:85]
	v_cmp_lt_u64_e32 vcc, v[4:5], v[80:81]
	s_and_saveexec_b64 s[40:41], vcc
	s_cbranch_execz .LBB23_2197
; %bb.2189:                             ;   in Loop: Header=BB23_47 Depth=1
	s_mov_b32 s76, 0
	s_mov_b64 s[42:43], 0
                                        ; implicit-def: $sgpr44_sgpr45
                                        ; implicit-def: $sgpr46_sgpr47
	s_branch .LBB23_2191
.LBB23_2190:                            ;   in Loop: Header=BB23_2191 Depth=2
	s_or_b64 exec, exec, s[58:59]
	s_and_b64 s[56:57], exec, s[60:61]
	s_or_b64 s[42:43], s[56:57], s[42:43]
	s_andn2_b64 s[44:45], s[44:45], exec
	s_and_b64 s[56:57], s[46:47], exec
	s_or_b64 s[44:45], s[44:45], s[56:57]
	s_andn2_b64 exec, exec, s[42:43]
	s_cbranch_execz .LBB23_2195
.LBB23_2191:                            ;   Parent Loop BB23_47 Depth=1
                                        ; =>  This Inner Loop Header: Depth=2
	s_add_i32 s76, s76, 1
	s_cmpk_lg_i32 s76, 0x2710
	s_cselect_b64 s[56:57], -1, 0
	s_and_b64 vcc, exec, s[56:57]
	s_cbranch_vccz .LBB23_2193
; %bb.2192:                             ;   in Loop: Header=BB23_2191 Depth=2
	s_mov_b64 s[60:61], -1
	s_or_b64 s[46:47], s[46:47], exec
	s_and_saveexec_b64 s[58:59], s[56:57]
	s_cbranch_execz .LBB23_2190
	s_branch .LBB23_2194
.LBB23_2193:                            ;   in Loop: Header=BB23_2191 Depth=2
	s_trap 2
	ds_read_b64 v[4:5], v0
	s_andn2_b64 s[56:57], s[56:57], exec
	s_mov_b32 s76, 0
	s_waitcnt vmcnt(0) lgkmcnt(0)
	flat_load_dword v2, v[4:5] sc0 sc1
	s_waitcnt vmcnt(0) lgkmcnt(0)
	buffer_inv sc0 sc1
	v_cmp_eq_u32_e32 vcc, 0, v2
	s_and_b64 s[58:59], vcc, exec
	s_or_b64 s[56:57], s[56:57], s[58:59]
	s_mov_b64 s[60:61], -1
	s_or_b64 s[46:47], s[46:47], exec
	s_and_saveexec_b64 s[58:59], s[56:57]
	s_cbranch_execz .LBB23_2190
.LBB23_2194:                            ;   in Loop: Header=BB23_2191 Depth=2
	s_sleep 1
	s_trap 2
	ds_read_b64 v[4:5], v0
	s_waitcnt lgkmcnt(0)
	s_andn2_b64 s[46:47], s[46:47], exec
	v_cmp_ge_u64_e32 vcc, v[4:5], v[80:81]
	s_orn2_b64 s[60:61], vcc, exec
	s_branch .LBB23_2190
.LBB23_2195:                            ;   in Loop: Header=BB23_47 Depth=1
	s_or_b64 exec, exec, s[42:43]
	s_and_saveexec_b64 s[42:43], s[44:45]
	s_xor_b64 s[42:43], exec, s[42:43]
	s_cbranch_execz .LBB23_2197
; %bb.2196:                             ;   in Loop: Header=BB23_47 Depth=1
	ds_write_b32 v0, v1
	s_trap 2
.LBB23_2197:                            ;   in Loop: Header=BB23_47 Depth=1
	s_or_b64 exec, exec, s[40:41]
	;;#ASMSTART
	s_wakeup
	;;#ASMEND
.LBB23_2198:                            ;   in Loop: Header=BB23_47 Depth=1
	s_or_b64 exec, exec, s[28:29]
.LBB23_2199:                            ;   in Loop: Header=BB23_47 Depth=1
	s_andn2_saveexec_b64 s[26:27], s[26:27]
	s_cbranch_execz .LBB23_2201
; %bb.2200:                             ;   in Loop: Header=BB23_47 Depth=1
	s_waitcnt lgkmcnt(0)
	s_barrier
.LBB23_2201:                            ;   in Loop: Header=BB23_47 Depth=1
	s_or_b64 exec, exec, s[26:27]
.LBB23_2202:                            ;   in Loop: Header=BB23_47 Depth=1
	s_or_b64 exec, exec, s[24:25]
	s_trap 2
	ds_read_b32 v8, v0
	v_and_b32_e32 v2, 0x4000, v110
	v_cmp_ne_u32_e32 vcc, 0, v2
	s_xor_b64 s[24:25], s[4:5], -1
	s_and_b64 s[26:27], s[24:25], vcc
	s_and_saveexec_b64 s[24:25], s[26:27]
	s_cbranch_execz .LBB23_2221
; %bb.2203:                             ;   in Loop: Header=BB23_47 Depth=1
	s_and_saveexec_b64 s[26:27], s[78:79]
	s_xor_b64 s[26:27], exec, s[26:27]
	s_cbranch_execz .LBB23_2218
; %bb.2204:                             ;   in Loop: Header=BB23_47 Depth=1
	s_and_saveexec_b64 s[28:29], s[14:15]
	s_cbranch_execz .LBB23_2217
; %bb.2205:                             ;   in Loop: Header=BB23_47 Depth=1
	s_mov_b64 s[42:43], exec
	v_mbcnt_lo_u32_b32 v2, s42, 0
	v_mbcnt_hi_u32_b32 v2, s43, v2
	v_cmp_eq_u32_e32 vcc, 0, v2
	s_waitcnt lgkmcnt(0)
	s_and_saveexec_b64 s[40:41], vcc
	s_cbranch_execz .LBB23_2207
; %bb.2206:                             ;   in Loop: Header=BB23_47 Depth=1
	s_bcnt1_i32_b64 s42, s[42:43]
	v_mov_b32_e32 v2, s42
	ds_add_u64 v0, v[2:3]
	s_trap 2
.LBB23_2207:                            ;   in Loop: Header=BB23_47 Depth=1
	s_or_b64 exec, exec, s[40:41]
	s_trap 2
	ds_read_b64 v[4:5], v0
	s_waitcnt lgkmcnt(0)
	v_lshl_add_u64 v[80:81], v[80:81], 0, v[84:85]
	v_cmp_lt_u64_e32 vcc, v[4:5], v[80:81]
	s_and_saveexec_b64 s[40:41], vcc
	s_cbranch_execz .LBB23_2216
; %bb.2208:                             ;   in Loop: Header=BB23_47 Depth=1
	s_mov_b32 s76, 0
	s_mov_b64 s[42:43], 0
                                        ; implicit-def: $sgpr44_sgpr45
                                        ; implicit-def: $sgpr46_sgpr47
	s_branch .LBB23_2210
.LBB23_2209:                            ;   in Loop: Header=BB23_2210 Depth=2
	s_or_b64 exec, exec, s[58:59]
	s_and_b64 s[56:57], exec, s[60:61]
	s_or_b64 s[42:43], s[56:57], s[42:43]
	s_andn2_b64 s[44:45], s[44:45], exec
	s_and_b64 s[56:57], s[46:47], exec
	s_or_b64 s[44:45], s[44:45], s[56:57]
	s_andn2_b64 exec, exec, s[42:43]
	s_cbranch_execz .LBB23_2214
.LBB23_2210:                            ;   Parent Loop BB23_47 Depth=1
                                        ; =>  This Inner Loop Header: Depth=2
	s_add_i32 s76, s76, 1
	s_cmpk_lg_i32 s76, 0x2710
	s_cselect_b64 s[56:57], -1, 0
	s_and_b64 vcc, exec, s[56:57]
	s_cbranch_vccz .LBB23_2212
; %bb.2211:                             ;   in Loop: Header=BB23_2210 Depth=2
	s_mov_b64 s[60:61], -1
	s_or_b64 s[46:47], s[46:47], exec
	s_and_saveexec_b64 s[58:59], s[56:57]
	s_cbranch_execz .LBB23_2209
	s_branch .LBB23_2213
.LBB23_2212:                            ;   in Loop: Header=BB23_2210 Depth=2
	s_trap 2
	ds_read_b64 v[4:5], v0
	s_andn2_b64 s[56:57], s[56:57], exec
	s_mov_b32 s76, 0
	s_waitcnt vmcnt(0) lgkmcnt(0)
	flat_load_dword v2, v[4:5] sc0 sc1
	s_waitcnt vmcnt(0) lgkmcnt(0)
	buffer_inv sc0 sc1
	v_cmp_eq_u32_e32 vcc, 0, v2
	s_and_b64 s[58:59], vcc, exec
	s_or_b64 s[56:57], s[56:57], s[58:59]
	s_mov_b64 s[60:61], -1
	s_or_b64 s[46:47], s[46:47], exec
	s_and_saveexec_b64 s[58:59], s[56:57]
	s_cbranch_execz .LBB23_2209
.LBB23_2213:                            ;   in Loop: Header=BB23_2210 Depth=2
	s_sleep 1
	s_trap 2
	ds_read_b64 v[4:5], v0
	s_waitcnt lgkmcnt(0)
	s_andn2_b64 s[46:47], s[46:47], exec
	v_cmp_ge_u64_e32 vcc, v[4:5], v[80:81]
	s_orn2_b64 s[60:61], vcc, exec
	s_branch .LBB23_2209
.LBB23_2214:                            ;   in Loop: Header=BB23_47 Depth=1
	s_or_b64 exec, exec, s[42:43]
	s_and_saveexec_b64 s[42:43], s[44:45]
	s_xor_b64 s[42:43], exec, s[42:43]
	s_cbranch_execz .LBB23_2216
; %bb.2215:                             ;   in Loop: Header=BB23_47 Depth=1
	ds_write_b32 v0, v1
	s_trap 2
.LBB23_2216:                            ;   in Loop: Header=BB23_47 Depth=1
	s_or_b64 exec, exec, s[40:41]
	;;#ASMSTART
	s_wakeup
	;;#ASMEND
.LBB23_2217:                            ;   in Loop: Header=BB23_47 Depth=1
	s_or_b64 exec, exec, s[28:29]
.LBB23_2218:                            ;   in Loop: Header=BB23_47 Depth=1
	s_andn2_saveexec_b64 s[26:27], s[26:27]
	s_cbranch_execz .LBB23_2220
; %bb.2219:                             ;   in Loop: Header=BB23_47 Depth=1
	s_waitcnt lgkmcnt(0)
	s_barrier
.LBB23_2220:                            ;   in Loop: Header=BB23_47 Depth=1
	s_or_b64 exec, exec, s[26:27]
.LBB23_2221:                            ;   in Loop: Header=BB23_47 Depth=1
	s_or_b64 exec, exec, s[24:25]
	s_trap 2
	ds_read_b64 v[78:79], v0
	v_min_i32_e32 v106, v106, v53
	s_waitcnt lgkmcnt(0)
	v_cmp_eq_u64_e32 vcc, 0, v[78:79]
	s_cbranch_vccnz .LBB23_2229
; %bb.2222:                             ;   in Loop: Header=BB23_47 Depth=1
	s_trap 2
	ds_read_b64 v[88:89], v0
	s_waitcnt lgkmcnt(0)
	v_cmp_eq_u64_e32 vcc, 0, v[88:89]
	s_cbranch_vccnz .LBB23_2229
; %bb.2223:                             ;   in Loop: Header=BB23_47 Depth=1
	s_trap 2
	ds_read_b64 v[90:91], v0
	s_mov_b64 s[26:27], -1
	s_waitcnt lgkmcnt(0)
	v_readfirstlane_b32 s49, v90
	s_and_saveexec_b64 s[24:25], s[18:19]
	s_cbranch_execz .LBB23_2225
; %bb.2224:                             ;   in Loop: Header=BB23_47 Depth=1
	ds_read_b32 v2, v0 offset:720
	s_waitcnt lgkmcnt(0)
	v_and_b32_e32 v2, 15, v2
	v_cmp_eq_u32_e32 vcc, 0, v2
	s_orn2_b64 s[26:27], vcc, exec
.LBB23_2225:                            ;   in Loop: Header=BB23_47 Depth=1
	s_or_b64 exec, exec, s[24:25]
	s_and_saveexec_b64 s[24:25], s[16:17]
	s_cbranch_execz .LBB23_2227
; %bb.2226:                             ;   in Loop: Header=BB23_47 Depth=1
	ds_read_b32 v2, v0 offset:784
	s_waitcnt lgkmcnt(0)
	v_and_b32_e32 v2, 15, v2
	v_cmp_eq_u32_e32 vcc, 0, v2
	s_and_b64 s[28:29], s[26:27], vcc
	s_andn2_b64 s[26:27], s[26:27], exec
	s_and_b64 s[28:29], s[28:29], exec
	s_or_b64 s[26:27], s[26:27], s[28:29]
.LBB23_2227:                            ;   in Loop: Header=BB23_47 Depth=1
	s_or_b64 exec, exec, s[24:25]
	v_cmp_eq_u32_e32 vcc, 0, v8
	s_xor_b64 s[26:27], s[26:27], -1
	v_cndmask_b32_e64 v4, 0, 1, s[26:27]
	v_cndmask_b32_e32 v2, 0, v106, vcc
	v_lshlrev_b32_e32 v82, 1, v2
	s_mov_b64 s[24:25], -1
	v_cmp_ne_u32_e32 vcc, 0, v4
	v_mov_b32_e32 v18, 0
	s_cbranch_vccz .LBB23_2234
; %bb.2228:                             ;   in Loop: Header=BB23_47 Depth=1
	v_mov_b32_e32 v19, v0
	s_and_saveexec_b64 s[26:27], s[24:25]
	s_cbranch_execnz .LBB23_2373
	s_branch .LBB23_2413
.LBB23_2229:                            ;   in Loop: Header=BB23_47 Depth=1
	s_mov_b64 s[24:25], 0
	s_and_saveexec_b64 s[26:27], s[6:7]
	s_cbranch_execnz .LBB23_2414
.LBB23_2230:                            ;   in Loop: Header=BB23_47 Depth=1
	s_or_b64 exec, exec, s[26:27]
	s_and_saveexec_b64 s[26:27], s[22:23]
	s_xor_b64 s[26:27], exec, s[26:27]
	s_cbranch_execz .LBB23_2432
.LBB23_2231:                            ;   in Loop: Header=BB23_47 Depth=1
	v_and_b32_e32 v2, 16, v110
	v_cmp_ne_u32_e32 vcc, 0, v2
	s_and_b64 s[28:29], vcc, s[24:25]
	s_and_saveexec_b64 s[24:25], s[28:29]
	s_cbranch_execz .LBB23_2233
; %bb.2232:                             ;   in Loop: Header=BB23_47 Depth=1
	buffer_wbl2 sc1
	s_waitcnt vmcnt(0) lgkmcnt(0)
	buffer_inv sc1
.LBB23_2233:                            ;   in Loop: Header=BB23_47 Depth=1
	s_or_b64 exec, exec, s[24:25]
	s_andn2_saveexec_b64 s[24:25], s[26:27]
	s_cbranch_execz .LBB23_2451
	s_branch .LBB23_2433
.LBB23_2234:                            ;   in Loop: Header=BB23_47 Depth=1
	v_ashrrev_i32_e32 v4, 31, v82
	v_lshrrev_b32_e32 v4, 20, v4
	v_add_u32_e32 v4, v82, v4
	v_ashrrev_i32_e32 v55, 12, v4
	v_lshrrev_b32_e32 v4, 6, v0
	v_sub_u32_e32 v54, v55, v4
	v_cmp_lt_i32_e32 vcc, 0, v54
	s_and_saveexec_b64 s[26:27], vcc
	s_cbranch_execz .LBB23_2366
; %bb.2235:                             ;   in Loop: Header=BB23_47 Depth=1
	s_and_b32 s76, s49, 1
	s_cmp_eq_u64 s[76:77], 0
	s_mov_b64 s[28:29], 0
	s_cselect_b64 vcc, -1, 0
	v_mov_b64_e32 v[92:93], v[88:89]
	v_mov_b64_e32 v[94:95], v[78:79]
	;; [unrolled: 1-line block ×3, first 2 shown]
	s_branch .LBB23_2237
.LBB23_2236:                            ;   in Loop: Header=BB23_2237 Depth=2
	s_or_b64 exec, exec, s[40:41]
	v_lshrrev_b32_e32 v4, 16, v12
	v_and_or_b32 v9, v9, s75, v4
	v_lshrrev_b32_e32 v4, 16, v16
	v_and_or_b32 v8, v8, s75, v4
	v_lshrrev_b32_e32 v4, 16, v13
	v_sub_u32_e32 v54, v54, v84
	v_and_or_b32 v10, v10, s75, v4
	v_lshrrev_b32_e32 v4, 16, v14
	v_cmp_gt_i32_e64 s[24:25], 1, v54
	v_and_or_b32 v11, v11, s75, v4
	v_lshl_add_u64 v[104:105], v[104:105], 0, v[44:45]
	v_lshl_add_u64 v[94:95], v[94:95], 0, v[44:45]
	s_or_b64 s[28:29], s[24:25], s[28:29]
	v_lshl_add_u64 v[92:93], v[92:93], 0, v[44:45]
	global_store_dwordx4 v[36:37], v[8:11], off offset:3072
	s_andn2_b64 exec, exec, s[28:29]
	s_cbranch_execz .LBB23_2365
.LBB23_2237:                            ;   Parent Loop BB23_47 Depth=1
                                        ; =>  This Inner Loop Header: Depth=2
	v_lshl_add_u64 v[8:9], v[122:123], 0, v[94:95]
	v_lshl_add_u64 v[4:5], v[122:123], 0, v[104:105]
	global_load_dwordx4 v[36:39], v[8:9], off nt
	global_load_dwordx4 v[48:51], v[4:5], off nt
	global_load_dwordx4 v[24:27], v[8:9], off offset:1024 nt
	global_load_dwordx4 v[32:35], v[4:5], off offset:1024 nt
	;; [unrolled: 1-line block ×3, first 2 shown]
	s_nop 0
	global_load_dwordx4 v[8:11], v[8:9], off offset:3072 nt
	s_nop 0
	global_load_dwordx4 v[20:23], v[4:5], off offset:2048 nt
	global_load_dwordx4 v[12:15], v[4:5], off offset:3072 nt
                                        ; implicit-def: $vgpr98
	s_waitcnt vmcnt(0)
	v_lshlrev_b32_e32 v4, 16, v36
	v_lshlrev_b32_e32 v5, 16, v48
	v_max_f32_e32 v5, v5, v5
	v_max_f32_e32 v4, v4, v4
	v_min_f32_e32 v28, v4, v5
	v_max_f32_e32 v4, v4, v5
	v_cndmask_b32_e32 v28, v4, v28, vcc
	v_and_b32_e32 v4, 0x7f800000, v28
	v_cmp_ne_u32_e64 s[24:25], s97, v4
	s_and_saveexec_b64 s[40:41], s[24:25]
	s_xor_b64 s[24:25], exec, s[40:41]
; %bb.2238:                             ;   in Loop: Header=BB23_2237 Depth=2
	v_bfe_u32 v4, v28, 16, 1
	v_add3_u32 v98, v28, v4, s74
                                        ; implicit-def: $vgpr28
; %bb.2239:                             ;   in Loop: Header=BB23_2237 Depth=2
	s_andn2_saveexec_b64 s[40:41], s[24:25]
; %bb.2240:                             ;   in Loop: Header=BB23_2237 Depth=2
	v_or_b32_e32 v4, 0x10000, v28
	v_cmp_eq_u32_sdwa s[24:25], v28, v3 src0_sel:WORD_0 src1_sel:DWORD
	s_nop 1
	v_cndmask_b32_e64 v98, v4, v28, s[24:25]
; %bb.2241:                             ;   in Loop: Header=BB23_2237 Depth=2
	s_or_b64 exec, exec, s[40:41]
	v_and_b32_e32 v4, 0xffff0000, v36
	v_and_b32_e32 v5, 0xffff0000, v48
	v_max_f32_e32 v5, v5, v5
	v_max_f32_e32 v4, v4, v4
	v_min_f32_e32 v28, v4, v5
	v_max_f32_e32 v4, v4, v5
	v_cndmask_b32_e32 v28, v4, v28, vcc
	v_and_b32_e32 v4, 0x7f800000, v28
	v_cmp_ne_u32_e64 s[24:25], s97, v4
                                        ; implicit-def: $vgpr48
	s_and_saveexec_b64 s[40:41], s[24:25]
	s_xor_b64 s[24:25], exec, s[40:41]
; %bb.2242:                             ;   in Loop: Header=BB23_2237 Depth=2
	v_bfe_u32 v4, v28, 16, 1
	v_add3_u32 v48, v28, v4, s74
                                        ; implicit-def: $vgpr28
; %bb.2243:                             ;   in Loop: Header=BB23_2237 Depth=2
	s_andn2_saveexec_b64 s[40:41], s[24:25]
; %bb.2244:                             ;   in Loop: Header=BB23_2237 Depth=2
	v_or_b32_e32 v4, 0x10000, v28
	v_cmp_eq_u32_sdwa s[24:25], v28, v3 src0_sel:WORD_0 src1_sel:DWORD
	s_nop 1
	v_cndmask_b32_e64 v48, v4, v28, s[24:25]
; %bb.2245:                             ;   in Loop: Header=BB23_2237 Depth=2
	s_or_b64 exec, exec, s[40:41]
	v_lshlrev_b32_e32 v4, 16, v37
	v_lshlrev_b32_e32 v5, 16, v49
	v_max_f32_e32 v5, v5, v5
	v_max_f32_e32 v4, v4, v4
	v_min_f32_e32 v28, v4, v5
	v_max_f32_e32 v4, v4, v5
	v_cndmask_b32_e32 v29, v4, v28, vcc
	v_and_b32_e32 v4, 0x7f800000, v29
	v_cmp_ne_u32_e64 s[24:25], s97, v4
                                        ; implicit-def: $vgpr28
	s_and_saveexec_b64 s[40:41], s[24:25]
	s_xor_b64 s[24:25], exec, s[40:41]
; %bb.2246:                             ;   in Loop: Header=BB23_2237 Depth=2
	v_bfe_u32 v4, v29, 16, 1
	v_add3_u32 v28, v29, v4, s74
                                        ; implicit-def: $vgpr29
; %bb.2247:                             ;   in Loop: Header=BB23_2237 Depth=2
	s_andn2_saveexec_b64 s[40:41], s[24:25]
; %bb.2248:                             ;   in Loop: Header=BB23_2237 Depth=2
	v_or_b32_e32 v4, 0x10000, v29
	v_cmp_eq_u32_sdwa s[24:25], v29, v3 src0_sel:WORD_0 src1_sel:DWORD
	s_nop 1
	v_cndmask_b32_e64 v28, v4, v29, s[24:25]
; %bb.2249:                             ;   in Loop: Header=BB23_2237 Depth=2
	s_or_b64 exec, exec, s[40:41]
	v_and_b32_e32 v4, 0xffff0000, v37
	v_and_b32_e32 v5, 0xffff0000, v49
	v_max_f32_e32 v5, v5, v5
	v_max_f32_e32 v4, v4, v4
	v_min_f32_e32 v29, v4, v5
	v_max_f32_e32 v4, v4, v5
	v_cndmask_b32_e32 v31, v4, v29, vcc
	v_and_b32_e32 v4, 0x7f800000, v31
	v_cmp_ne_u32_e64 s[24:25], s97, v4
                                        ; implicit-def: $vgpr29
	s_and_saveexec_b64 s[40:41], s[24:25]
	s_xor_b64 s[24:25], exec, s[40:41]
; %bb.2250:                             ;   in Loop: Header=BB23_2237 Depth=2
	v_bfe_u32 v4, v31, 16, 1
	v_add3_u32 v29, v31, v4, s74
                                        ; implicit-def: $vgpr31
; %bb.2251:                             ;   in Loop: Header=BB23_2237 Depth=2
	s_andn2_saveexec_b64 s[40:41], s[24:25]
; %bb.2252:                             ;   in Loop: Header=BB23_2237 Depth=2
	v_or_b32_e32 v4, 0x10000, v31
	v_cmp_eq_u32_sdwa s[24:25], v31, v3 src0_sel:WORD_0 src1_sel:DWORD
	s_nop 1
	v_cndmask_b32_e64 v29, v4, v31, s[24:25]
; %bb.2253:                             ;   in Loop: Header=BB23_2237 Depth=2
	s_or_b64 exec, exec, s[40:41]
	v_lshlrev_b32_e32 v4, 16, v38
	v_lshlrev_b32_e32 v5, 16, v50
	v_max_f32_e32 v5, v5, v5
	v_max_f32_e32 v4, v4, v4
	v_min_f32_e32 v31, v4, v5
	v_max_f32_e32 v4, v4, v5
	v_cndmask_b32_e32 v31, v4, v31, vcc
	v_and_b32_e32 v4, 0x7f800000, v31
	v_cmp_ne_u32_e64 s[24:25], s97, v4
                                        ; implicit-def: $vgpr49
	s_and_saveexec_b64 s[40:41], s[24:25]
	s_xor_b64 s[24:25], exec, s[40:41]
; %bb.2254:                             ;   in Loop: Header=BB23_2237 Depth=2
	v_bfe_u32 v4, v31, 16, 1
	v_add3_u32 v49, v31, v4, s74
                                        ; implicit-def: $vgpr31
; %bb.2255:                             ;   in Loop: Header=BB23_2237 Depth=2
	s_andn2_saveexec_b64 s[40:41], s[24:25]
; %bb.2256:                             ;   in Loop: Header=BB23_2237 Depth=2
	v_or_b32_e32 v4, 0x10000, v31
	v_cmp_eq_u32_sdwa s[24:25], v31, v3 src0_sel:WORD_0 src1_sel:DWORD
	s_nop 1
	v_cndmask_b32_e64 v49, v4, v31, s[24:25]
; %bb.2257:                             ;   in Loop: Header=BB23_2237 Depth=2
	s_or_b64 exec, exec, s[40:41]
	v_and_b32_e32 v4, 0xffff0000, v38
	v_and_b32_e32 v5, 0xffff0000, v50
	v_max_f32_e32 v5, v5, v5
	v_max_f32_e32 v4, v4, v4
	v_min_f32_e32 v31, v4, v5
	v_max_f32_e32 v4, v4, v5
	v_cndmask_b32_e32 v31, v4, v31, vcc
	v_and_b32_e32 v4, 0x7f800000, v31
	v_cmp_ne_u32_e64 s[24:25], s97, v4
                                        ; implicit-def: $vgpr38
	s_and_saveexec_b64 s[40:41], s[24:25]
	s_xor_b64 s[24:25], exec, s[40:41]
; %bb.2258:                             ;   in Loop: Header=BB23_2237 Depth=2
	v_bfe_u32 v4, v31, 16, 1
	v_add3_u32 v38, v31, v4, s74
                                        ; implicit-def: $vgpr31
; %bb.2259:                             ;   in Loop: Header=BB23_2237 Depth=2
	s_andn2_saveexec_b64 s[40:41], s[24:25]
; %bb.2260:                             ;   in Loop: Header=BB23_2237 Depth=2
	v_or_b32_e32 v4, 0x10000, v31
	v_cmp_eq_u32_sdwa s[24:25], v31, v3 src0_sel:WORD_0 src1_sel:DWORD
	s_nop 1
	v_cndmask_b32_e64 v38, v4, v31, s[24:25]
; %bb.2261:                             ;   in Loop: Header=BB23_2237 Depth=2
	s_or_b64 exec, exec, s[40:41]
	v_lshlrev_b32_e32 v4, 16, v39
	v_lshlrev_b32_e32 v5, 16, v51
	v_max_f32_e32 v5, v5, v5
	v_max_f32_e32 v4, v4, v4
	v_min_f32_e32 v31, v4, v5
	v_max_f32_e32 v4, v4, v5
	v_cndmask_b32_e32 v31, v4, v31, vcc
	v_and_b32_e32 v4, 0x7f800000, v31
	v_cmp_ne_u32_e64 s[24:25], s97, v4
                                        ; implicit-def: $vgpr50
	s_and_saveexec_b64 s[40:41], s[24:25]
	s_xor_b64 s[24:25], exec, s[40:41]
; %bb.2262:                             ;   in Loop: Header=BB23_2237 Depth=2
	v_bfe_u32 v4, v31, 16, 1
	v_add3_u32 v50, v31, v4, s74
                                        ; implicit-def: $vgpr31
; %bb.2263:                             ;   in Loop: Header=BB23_2237 Depth=2
	s_andn2_saveexec_b64 s[40:41], s[24:25]
; %bb.2264:                             ;   in Loop: Header=BB23_2237 Depth=2
	v_or_b32_e32 v4, 0x10000, v31
	v_cmp_eq_u32_sdwa s[24:25], v31, v3 src0_sel:WORD_0 src1_sel:DWORD
	s_nop 1
	v_cndmask_b32_e64 v50, v4, v31, s[24:25]
; %bb.2265:                             ;   in Loop: Header=BB23_2237 Depth=2
	s_or_b64 exec, exec, s[40:41]
	v_and_b32_e32 v4, 0xffff0000, v39
	v_and_b32_e32 v5, 0xffff0000, v51
	v_max_f32_e32 v5, v5, v5
	v_max_f32_e32 v4, v4, v4
	v_min_f32_e32 v31, v4, v5
	v_max_f32_e32 v4, v4, v5
	v_cndmask_b32_e32 v31, v4, v31, vcc
	v_and_b32_e32 v4, 0x7f800000, v31
	v_cmp_ne_u32_e64 s[24:25], s97, v4
                                        ; implicit-def: $vgpr39
	s_and_saveexec_b64 s[40:41], s[24:25]
	s_xor_b64 s[24:25], exec, s[40:41]
; %bb.2266:                             ;   in Loop: Header=BB23_2237 Depth=2
	v_bfe_u32 v4, v31, 16, 1
	v_add3_u32 v39, v31, v4, s74
                                        ; implicit-def: $vgpr31
; %bb.2267:                             ;   in Loop: Header=BB23_2237 Depth=2
	s_andn2_saveexec_b64 s[40:41], s[24:25]
; %bb.2268:                             ;   in Loop: Header=BB23_2237 Depth=2
	v_or_b32_e32 v4, 0x10000, v31
	v_cmp_eq_u32_sdwa s[24:25], v31, v3 src0_sel:WORD_0 src1_sel:DWORD
	s_nop 1
	v_cndmask_b32_e64 v39, v4, v31, s[24:25]
; %bb.2269:                             ;   in Loop: Header=BB23_2237 Depth=2
	s_or_b64 exec, exec, s[40:41]
	v_lshrrev_b32_e32 v4, 16, v28
	v_mov_b64_e32 v[62:63], v[122:123]
	v_lshl_add_u64 v[36:37], v[122:123], 0, v[92:93]
	v_and_or_b32 v123, v29, s75, v4
	v_lshrrev_b32_e32 v4, 16, v98
	v_and_or_b32 v122, v48, s75, v4
	v_lshrrev_b32_e32 v4, 16, v49
	;; [unrolled: 2-line block ×3, first 2 shown]
	v_and_or_b32 v125, v39, s75, v4
	v_lshlrev_b32_e32 v4, 16, v24
	v_lshlrev_b32_e32 v5, 16, v32
	v_max_f32_e32 v5, v5, v5
	v_max_f32_e32 v4, v4, v4
	v_min_f32_e32 v28, v4, v5
	v_max_f32_e32 v4, v4, v5
	v_cndmask_b32_e32 v28, v4, v28, vcc
	v_and_b32_e32 v4, 0x7f800000, v28
	v_cmp_ne_u32_e64 s[24:25], s97, v4
	global_store_dwordx4 v[36:37], v[122:125], off
                                        ; implicit-def: $vgpr38
	s_and_saveexec_b64 s[40:41], s[24:25]
	s_xor_b64 s[24:25], exec, s[40:41]
; %bb.2270:                             ;   in Loop: Header=BB23_2237 Depth=2
	v_bfe_u32 v4, v28, 16, 1
	v_add3_u32 v38, v28, v4, s74
                                        ; implicit-def: $vgpr28
; %bb.2271:                             ;   in Loop: Header=BB23_2237 Depth=2
	s_andn2_saveexec_b64 s[40:41], s[24:25]
; %bb.2272:                             ;   in Loop: Header=BB23_2237 Depth=2
	v_or_b32_e32 v4, 0x10000, v28
	v_cmp_eq_u32_sdwa s[24:25], v28, v3 src0_sel:WORD_0 src1_sel:DWORD
	s_nop 1
	v_cndmask_b32_e64 v38, v4, v28, s[24:25]
; %bb.2273:                             ;   in Loop: Header=BB23_2237 Depth=2
	s_or_b64 exec, exec, s[40:41]
	v_and_b32_e32 v4, 0xffff0000, v24
	v_and_b32_e32 v5, 0xffff0000, v32
	v_max_f32_e32 v5, v5, v5
	v_max_f32_e32 v4, v4, v4
	v_min_f32_e32 v24, v4, v5
	v_max_f32_e32 v4, v4, v5
	v_cndmask_b32_e32 v28, v4, v24, vcc
	v_and_b32_e32 v4, 0x7f800000, v28
	v_cmp_ne_u32_e64 s[24:25], s97, v4
                                        ; implicit-def: $vgpr24
	s_mov_b64 s[40:41], exec
	s_and_b64 s[42:43], s[40:41], s[24:25]
	s_xor_b64 s[24:25], s[42:43], s[40:41]
	v_mov_b64_e32 v[122:123], v[62:63]
	s_mov_b64 exec, s[42:43]
; %bb.2274:                             ;   in Loop: Header=BB23_2237 Depth=2
	v_bfe_u32 v4, v28, 16, 1
	v_add3_u32 v24, v28, v4, s74
                                        ; implicit-def: $vgpr28
; %bb.2275:                             ;   in Loop: Header=BB23_2237 Depth=2
	s_andn2_saveexec_b64 s[40:41], s[24:25]
; %bb.2276:                             ;   in Loop: Header=BB23_2237 Depth=2
	v_or_b32_e32 v4, 0x10000, v28
	v_cmp_eq_u32_sdwa s[24:25], v28, v3 src0_sel:WORD_0 src1_sel:DWORD
	s_nop 1
	v_cndmask_b32_e64 v24, v4, v28, s[24:25]
; %bb.2277:                             ;   in Loop: Header=BB23_2237 Depth=2
	s_or_b64 exec, exec, s[40:41]
	v_lshlrev_b32_e32 v4, 16, v25
	v_lshlrev_b32_e32 v5, 16, v33
	v_max_f32_e32 v5, v5, v5
	v_max_f32_e32 v4, v4, v4
	v_min_f32_e32 v28, v4, v5
	v_max_f32_e32 v4, v4, v5
	v_cndmask_b32_e32 v29, v4, v28, vcc
	v_and_b32_e32 v4, 0x7f800000, v29
	v_cmp_ne_u32_e64 s[24:25], s97, v4
                                        ; implicit-def: $vgpr28
	s_and_saveexec_b64 s[40:41], s[24:25]
	s_xor_b64 s[24:25], exec, s[40:41]
; %bb.2278:                             ;   in Loop: Header=BB23_2237 Depth=2
	v_bfe_u32 v4, v29, 16, 1
	v_add3_u32 v28, v29, v4, s74
                                        ; implicit-def: $vgpr29
; %bb.2279:                             ;   in Loop: Header=BB23_2237 Depth=2
	s_andn2_saveexec_b64 s[40:41], s[24:25]
; %bb.2280:                             ;   in Loop: Header=BB23_2237 Depth=2
	v_or_b32_e32 v4, 0x10000, v29
	v_cmp_eq_u32_sdwa s[24:25], v29, v3 src0_sel:WORD_0 src1_sel:DWORD
	s_nop 1
	v_cndmask_b32_e64 v28, v4, v29, s[24:25]
; %bb.2281:                             ;   in Loop: Header=BB23_2237 Depth=2
	s_or_b64 exec, exec, s[40:41]
	v_and_b32_e32 v4, 0xffff0000, v25
	v_and_b32_e32 v5, 0xffff0000, v33
	v_max_f32_e32 v5, v5, v5
	v_max_f32_e32 v4, v4, v4
	v_min_f32_e32 v25, v4, v5
	v_max_f32_e32 v4, v4, v5
	v_cndmask_b32_e32 v29, v4, v25, vcc
	v_and_b32_e32 v4, 0x7f800000, v29
	v_cmp_ne_u32_e64 s[24:25], s97, v4
                                        ; implicit-def: $vgpr25
	s_and_saveexec_b64 s[40:41], s[24:25]
	s_xor_b64 s[24:25], exec, s[40:41]
; %bb.2282:                             ;   in Loop: Header=BB23_2237 Depth=2
	v_bfe_u32 v4, v29, 16, 1
	v_add3_u32 v25, v29, v4, s74
                                        ; implicit-def: $vgpr29
; %bb.2283:                             ;   in Loop: Header=BB23_2237 Depth=2
	s_andn2_saveexec_b64 s[40:41], s[24:25]
; %bb.2284:                             ;   in Loop: Header=BB23_2237 Depth=2
	v_or_b32_e32 v4, 0x10000, v29
	v_cmp_eq_u32_sdwa s[24:25], v29, v3 src0_sel:WORD_0 src1_sel:DWORD
	s_nop 1
	v_cndmask_b32_e64 v25, v4, v29, s[24:25]
; %bb.2285:                             ;   in Loop: Header=BB23_2237 Depth=2
	s_or_b64 exec, exec, s[40:41]
	v_lshlrev_b32_e32 v4, 16, v26
	v_lshlrev_b32_e32 v5, 16, v34
	v_max_f32_e32 v5, v5, v5
	v_max_f32_e32 v4, v4, v4
	v_min_f32_e32 v29, v4, v5
	v_max_f32_e32 v4, v4, v5
	v_cndmask_b32_e32 v31, v4, v29, vcc
	v_and_b32_e32 v4, 0x7f800000, v31
	v_cmp_ne_u32_e64 s[24:25], s97, v4
                                        ; implicit-def: $vgpr29
	s_and_saveexec_b64 s[40:41], s[24:25]
	s_xor_b64 s[24:25], exec, s[40:41]
; %bb.2286:                             ;   in Loop: Header=BB23_2237 Depth=2
	v_bfe_u32 v4, v31, 16, 1
	v_add3_u32 v29, v31, v4, s74
                                        ; implicit-def: $vgpr31
; %bb.2287:                             ;   in Loop: Header=BB23_2237 Depth=2
	s_andn2_saveexec_b64 s[40:41], s[24:25]
; %bb.2288:                             ;   in Loop: Header=BB23_2237 Depth=2
	v_or_b32_e32 v4, 0x10000, v31
	v_cmp_eq_u32_sdwa s[24:25], v31, v3 src0_sel:WORD_0 src1_sel:DWORD
	s_nop 1
	v_cndmask_b32_e64 v29, v4, v31, s[24:25]
; %bb.2289:                             ;   in Loop: Header=BB23_2237 Depth=2
	s_or_b64 exec, exec, s[40:41]
	v_and_b32_e32 v4, 0xffff0000, v26
	v_and_b32_e32 v5, 0xffff0000, v34
	v_max_f32_e32 v5, v5, v5
	v_max_f32_e32 v4, v4, v4
	v_min_f32_e32 v26, v4, v5
	v_max_f32_e32 v4, v4, v5
	v_cndmask_b32_e32 v31, v4, v26, vcc
	v_and_b32_e32 v4, 0x7f800000, v31
	v_cmp_ne_u32_e64 s[24:25], s97, v4
                                        ; implicit-def: $vgpr26
	s_and_saveexec_b64 s[40:41], s[24:25]
	s_xor_b64 s[24:25], exec, s[40:41]
; %bb.2290:                             ;   in Loop: Header=BB23_2237 Depth=2
	v_bfe_u32 v4, v31, 16, 1
	v_add3_u32 v26, v31, v4, s74
                                        ; implicit-def: $vgpr31
; %bb.2291:                             ;   in Loop: Header=BB23_2237 Depth=2
	s_andn2_saveexec_b64 s[40:41], s[24:25]
; %bb.2292:                             ;   in Loop: Header=BB23_2237 Depth=2
	v_or_b32_e32 v4, 0x10000, v31
	v_cmp_eq_u32_sdwa s[24:25], v31, v3 src0_sel:WORD_0 src1_sel:DWORD
	s_nop 1
	v_cndmask_b32_e64 v26, v4, v31, s[24:25]
; %bb.2293:                             ;   in Loop: Header=BB23_2237 Depth=2
	s_or_b64 exec, exec, s[40:41]
	v_lshlrev_b32_e32 v4, 16, v27
	v_lshlrev_b32_e32 v5, 16, v35
	v_max_f32_e32 v5, v5, v5
	v_max_f32_e32 v4, v4, v4
	v_min_f32_e32 v31, v4, v5
	v_max_f32_e32 v4, v4, v5
	v_cndmask_b32_e32 v31, v4, v31, vcc
	v_and_b32_e32 v4, 0x7f800000, v31
	v_cmp_ne_u32_e64 s[24:25], s97, v4
                                        ; implicit-def: $vgpr32
	s_and_saveexec_b64 s[40:41], s[24:25]
	s_xor_b64 s[24:25], exec, s[40:41]
; %bb.2294:                             ;   in Loop: Header=BB23_2237 Depth=2
	v_bfe_u32 v4, v31, 16, 1
	v_add3_u32 v32, v31, v4, s74
                                        ; implicit-def: $vgpr31
; %bb.2295:                             ;   in Loop: Header=BB23_2237 Depth=2
	s_andn2_saveexec_b64 s[40:41], s[24:25]
; %bb.2296:                             ;   in Loop: Header=BB23_2237 Depth=2
	v_or_b32_e32 v4, 0x10000, v31
	v_cmp_eq_u32_sdwa s[24:25], v31, v3 src0_sel:WORD_0 src1_sel:DWORD
	s_nop 1
	v_cndmask_b32_e64 v32, v4, v31, s[24:25]
; %bb.2297:                             ;   in Loop: Header=BB23_2237 Depth=2
	s_or_b64 exec, exec, s[40:41]
	v_and_b32_e32 v4, 0xffff0000, v27
	v_and_b32_e32 v5, 0xffff0000, v35
	v_max_f32_e32 v5, v5, v5
	v_max_f32_e32 v4, v4, v4
	v_min_f32_e32 v27, v4, v5
	v_max_f32_e32 v4, v4, v5
	v_cndmask_b32_e32 v31, v4, v27, vcc
	v_and_b32_e32 v4, 0x7f800000, v31
	v_cmp_ne_u32_e64 s[24:25], s97, v4
                                        ; implicit-def: $vgpr27
	s_and_saveexec_b64 s[40:41], s[24:25]
	s_xor_b64 s[24:25], exec, s[40:41]
; %bb.2298:                             ;   in Loop: Header=BB23_2237 Depth=2
	v_bfe_u32 v4, v31, 16, 1
	v_add3_u32 v27, v31, v4, s74
                                        ; implicit-def: $vgpr31
; %bb.2299:                             ;   in Loop: Header=BB23_2237 Depth=2
	s_andn2_saveexec_b64 s[40:41], s[24:25]
; %bb.2300:                             ;   in Loop: Header=BB23_2237 Depth=2
	v_or_b32_e32 v4, 0x10000, v31
	v_cmp_eq_u32_sdwa s[24:25], v31, v3 src0_sel:WORD_0 src1_sel:DWORD
	s_nop 1
	v_cndmask_b32_e64 v27, v4, v31, s[24:25]
; %bb.2301:                             ;   in Loop: Header=BB23_2237 Depth=2
	s_or_b64 exec, exec, s[40:41]
	v_lshrrev_b32_e32 v4, 16, v28
	v_and_or_b32 v25, v25, s75, v4
	v_lshrrev_b32_e32 v4, 16, v38
	v_and_or_b32 v24, v24, s75, v4
	;; [unrolled: 2-line block ×4, first 2 shown]
	v_lshlrev_b32_e32 v4, 16, v16
	v_lshlrev_b32_e32 v5, 16, v20
	v_max_f32_e32 v5, v5, v5
	v_max_f32_e32 v4, v4, v4
	global_store_dwordx4 v[36:37], v[24:27], off offset:1024
	s_nop 1
	v_min_f32_e32 v24, v4, v5
	v_max_f32_e32 v4, v4, v5
	v_cndmask_b32_e32 v25, v4, v24, vcc
	v_and_b32_e32 v4, 0x7f800000, v25
	v_cmp_ne_u32_e64 s[24:25], s97, v4
                                        ; implicit-def: $vgpr24
	s_and_saveexec_b64 s[40:41], s[24:25]
	s_xor_b64 s[24:25], exec, s[40:41]
; %bb.2302:                             ;   in Loop: Header=BB23_2237 Depth=2
	v_bfe_u32 v4, v25, 16, 1
	v_add3_u32 v24, v25, v4, s74
                                        ; implicit-def: $vgpr25
; %bb.2303:                             ;   in Loop: Header=BB23_2237 Depth=2
	s_andn2_saveexec_b64 s[40:41], s[24:25]
; %bb.2304:                             ;   in Loop: Header=BB23_2237 Depth=2
	v_or_b32_e32 v4, 0x10000, v25
	v_cmp_eq_u32_sdwa s[24:25], v25, v3 src0_sel:WORD_0 src1_sel:DWORD
	s_nop 1
	v_cndmask_b32_e64 v24, v4, v25, s[24:25]
; %bb.2305:                             ;   in Loop: Header=BB23_2237 Depth=2
	s_or_b64 exec, exec, s[40:41]
	v_and_b32_e32 v4, 0xffff0000, v16
	v_and_b32_e32 v5, 0xffff0000, v20
	v_max_f32_e32 v5, v5, v5
	v_max_f32_e32 v4, v4, v4
	v_min_f32_e32 v16, v4, v5
	v_max_f32_e32 v4, v4, v5
	v_cndmask_b32_e32 v20, v4, v16, vcc
	v_and_b32_e32 v4, 0x7f800000, v20
	v_cmp_ne_u32_e64 s[24:25], s97, v4
                                        ; implicit-def: $vgpr16
	s_and_saveexec_b64 s[40:41], s[24:25]
	s_xor_b64 s[24:25], exec, s[40:41]
; %bb.2306:                             ;   in Loop: Header=BB23_2237 Depth=2
	v_bfe_u32 v4, v20, 16, 1
	v_add3_u32 v16, v20, v4, s74
                                        ; implicit-def: $vgpr20
; %bb.2307:                             ;   in Loop: Header=BB23_2237 Depth=2
	s_andn2_saveexec_b64 s[40:41], s[24:25]
; %bb.2308:                             ;   in Loop: Header=BB23_2237 Depth=2
	v_or_b32_e32 v4, 0x10000, v20
	v_cmp_eq_u32_sdwa s[24:25], v20, v3 src0_sel:WORD_0 src1_sel:DWORD
	s_nop 1
	v_cndmask_b32_e64 v16, v4, v20, s[24:25]
; %bb.2309:                             ;   in Loop: Header=BB23_2237 Depth=2
	s_or_b64 exec, exec, s[40:41]
	v_lshlrev_b32_e32 v4, 16, v17
	v_lshlrev_b32_e32 v5, 16, v21
	v_max_f32_e32 v5, v5, v5
	v_max_f32_e32 v4, v4, v4
	v_min_f32_e32 v20, v4, v5
	v_max_f32_e32 v4, v4, v5
	v_cndmask_b32_e32 v25, v4, v20, vcc
	v_and_b32_e32 v4, 0x7f800000, v25
	v_cmp_ne_u32_e64 s[24:25], s97, v4
                                        ; implicit-def: $vgpr20
	s_and_saveexec_b64 s[40:41], s[24:25]
	s_xor_b64 s[24:25], exec, s[40:41]
; %bb.2310:                             ;   in Loop: Header=BB23_2237 Depth=2
	v_bfe_u32 v4, v25, 16, 1
	v_add3_u32 v20, v25, v4, s74
                                        ; implicit-def: $vgpr25
; %bb.2311:                             ;   in Loop: Header=BB23_2237 Depth=2
	s_andn2_saveexec_b64 s[40:41], s[24:25]
; %bb.2312:                             ;   in Loop: Header=BB23_2237 Depth=2
	v_or_b32_e32 v4, 0x10000, v25
	v_cmp_eq_u32_sdwa s[24:25], v25, v3 src0_sel:WORD_0 src1_sel:DWORD
	s_nop 1
	v_cndmask_b32_e64 v20, v4, v25, s[24:25]
; %bb.2313:                             ;   in Loop: Header=BB23_2237 Depth=2
	s_or_b64 exec, exec, s[40:41]
	v_and_b32_e32 v4, 0xffff0000, v17
	v_and_b32_e32 v5, 0xffff0000, v21
	v_max_f32_e32 v5, v5, v5
	v_max_f32_e32 v4, v4, v4
	v_min_f32_e32 v17, v4, v5
	v_max_f32_e32 v4, v4, v5
	v_cndmask_b32_e32 v21, v4, v17, vcc
	v_and_b32_e32 v4, 0x7f800000, v21
	v_cmp_ne_u32_e64 s[24:25], s97, v4
                                        ; implicit-def: $vgpr17
	s_and_saveexec_b64 s[40:41], s[24:25]
	s_xor_b64 s[24:25], exec, s[40:41]
; %bb.2314:                             ;   in Loop: Header=BB23_2237 Depth=2
	v_bfe_u32 v4, v21, 16, 1
	v_add3_u32 v17, v21, v4, s74
                                        ; implicit-def: $vgpr21
; %bb.2315:                             ;   in Loop: Header=BB23_2237 Depth=2
	s_andn2_saveexec_b64 s[40:41], s[24:25]
; %bb.2316:                             ;   in Loop: Header=BB23_2237 Depth=2
	v_or_b32_e32 v4, 0x10000, v21
	v_cmp_eq_u32_sdwa s[24:25], v21, v3 src0_sel:WORD_0 src1_sel:DWORD
	s_nop 1
	v_cndmask_b32_e64 v17, v4, v21, s[24:25]
; %bb.2317:                             ;   in Loop: Header=BB23_2237 Depth=2
	s_or_b64 exec, exec, s[40:41]
	v_lshlrev_b32_e32 v4, 16, v18
	v_lshlrev_b32_e32 v5, 16, v22
	v_max_f32_e32 v5, v5, v5
	v_max_f32_e32 v4, v4, v4
	v_min_f32_e32 v21, v4, v5
	v_max_f32_e32 v4, v4, v5
	v_cndmask_b32_e32 v25, v4, v21, vcc
	v_and_b32_e32 v4, 0x7f800000, v25
	v_cmp_ne_u32_e64 s[24:25], s97, v4
                                        ; implicit-def: $vgpr21
	s_and_saveexec_b64 s[40:41], s[24:25]
	s_xor_b64 s[24:25], exec, s[40:41]
; %bb.2318:                             ;   in Loop: Header=BB23_2237 Depth=2
	v_bfe_u32 v4, v25, 16, 1
	v_add3_u32 v21, v25, v4, s74
                                        ; implicit-def: $vgpr25
; %bb.2319:                             ;   in Loop: Header=BB23_2237 Depth=2
	s_andn2_saveexec_b64 s[40:41], s[24:25]
; %bb.2320:                             ;   in Loop: Header=BB23_2237 Depth=2
	v_or_b32_e32 v4, 0x10000, v25
	v_cmp_eq_u32_sdwa s[24:25], v25, v3 src0_sel:WORD_0 src1_sel:DWORD
	s_nop 1
	v_cndmask_b32_e64 v21, v4, v25, s[24:25]
; %bb.2321:                             ;   in Loop: Header=BB23_2237 Depth=2
	s_or_b64 exec, exec, s[40:41]
	v_and_b32_e32 v4, 0xffff0000, v18
	v_and_b32_e32 v5, 0xffff0000, v22
	v_max_f32_e32 v5, v5, v5
	v_max_f32_e32 v4, v4, v4
	v_min_f32_e32 v18, v4, v5
	v_max_f32_e32 v4, v4, v5
	v_cndmask_b32_e32 v22, v4, v18, vcc
	v_and_b32_e32 v4, 0x7f800000, v22
	v_cmp_ne_u32_e64 s[24:25], s97, v4
                                        ; implicit-def: $vgpr18
	s_and_saveexec_b64 s[40:41], s[24:25]
	s_xor_b64 s[24:25], exec, s[40:41]
; %bb.2322:                             ;   in Loop: Header=BB23_2237 Depth=2
	v_bfe_u32 v4, v22, 16, 1
	v_add3_u32 v18, v22, v4, s74
                                        ; implicit-def: $vgpr22
; %bb.2323:                             ;   in Loop: Header=BB23_2237 Depth=2
	s_andn2_saveexec_b64 s[40:41], s[24:25]
; %bb.2324:                             ;   in Loop: Header=BB23_2237 Depth=2
	v_or_b32_e32 v4, 0x10000, v22
	v_cmp_eq_u32_sdwa s[24:25], v22, v3 src0_sel:WORD_0 src1_sel:DWORD
	s_nop 1
	v_cndmask_b32_e64 v18, v4, v22, s[24:25]
; %bb.2325:                             ;   in Loop: Header=BB23_2237 Depth=2
	s_or_b64 exec, exec, s[40:41]
	v_lshlrev_b32_e32 v4, 16, v19
	v_lshlrev_b32_e32 v5, 16, v23
	v_max_f32_e32 v5, v5, v5
	v_max_f32_e32 v4, v4, v4
	v_min_f32_e32 v22, v4, v5
	v_max_f32_e32 v4, v4, v5
	v_cndmask_b32_e32 v25, v4, v22, vcc
	v_and_b32_e32 v4, 0x7f800000, v25
	v_cmp_ne_u32_e64 s[24:25], s97, v4
                                        ; implicit-def: $vgpr22
	s_and_saveexec_b64 s[40:41], s[24:25]
	s_xor_b64 s[24:25], exec, s[40:41]
; %bb.2326:                             ;   in Loop: Header=BB23_2237 Depth=2
	v_bfe_u32 v4, v25, 16, 1
	v_add3_u32 v22, v25, v4, s74
                                        ; implicit-def: $vgpr25
; %bb.2327:                             ;   in Loop: Header=BB23_2237 Depth=2
	s_andn2_saveexec_b64 s[40:41], s[24:25]
; %bb.2328:                             ;   in Loop: Header=BB23_2237 Depth=2
	v_or_b32_e32 v4, 0x10000, v25
	v_cmp_eq_u32_sdwa s[24:25], v25, v3 src0_sel:WORD_0 src1_sel:DWORD
	s_nop 1
	v_cndmask_b32_e64 v22, v4, v25, s[24:25]
; %bb.2329:                             ;   in Loop: Header=BB23_2237 Depth=2
	s_or_b64 exec, exec, s[40:41]
	v_and_b32_e32 v4, 0xffff0000, v19
	v_and_b32_e32 v5, 0xffff0000, v23
	v_max_f32_e32 v5, v5, v5
	v_max_f32_e32 v4, v4, v4
	v_min_f32_e32 v19, v4, v5
	v_max_f32_e32 v4, v4, v5
	v_cndmask_b32_e32 v23, v4, v19, vcc
	v_and_b32_e32 v4, 0x7f800000, v23
	v_cmp_ne_u32_e64 s[24:25], s97, v4
                                        ; implicit-def: $vgpr19
	s_and_saveexec_b64 s[40:41], s[24:25]
	s_xor_b64 s[24:25], exec, s[40:41]
; %bb.2330:                             ;   in Loop: Header=BB23_2237 Depth=2
	v_bfe_u32 v4, v23, 16, 1
	v_add3_u32 v19, v23, v4, s74
                                        ; implicit-def: $vgpr23
; %bb.2331:                             ;   in Loop: Header=BB23_2237 Depth=2
	s_andn2_saveexec_b64 s[40:41], s[24:25]
; %bb.2332:                             ;   in Loop: Header=BB23_2237 Depth=2
	v_or_b32_e32 v4, 0x10000, v23
	v_cmp_eq_u32_sdwa s[24:25], v23, v3 src0_sel:WORD_0 src1_sel:DWORD
	s_nop 1
	v_cndmask_b32_e64 v19, v4, v23, s[24:25]
; %bb.2333:                             ;   in Loop: Header=BB23_2237 Depth=2
	s_or_b64 exec, exec, s[40:41]
	v_lshrrev_b32_e32 v4, 16, v20
	v_and_or_b32 v17, v17, s75, v4
	v_lshrrev_b32_e32 v4, 16, v24
	v_and_or_b32 v16, v16, s75, v4
	;; [unrolled: 2-line block ×4, first 2 shown]
	v_lshlrev_b32_e32 v4, 16, v8
	v_lshlrev_b32_e32 v5, 16, v12
	v_max_f32_e32 v5, v5, v5
	v_max_f32_e32 v4, v4, v4
	global_store_dwordx4 v[36:37], v[16:19], off offset:2048
	s_nop 1
	v_min_f32_e32 v16, v4, v5
	v_max_f32_e32 v4, v4, v5
	v_cndmask_b32_e32 v17, v4, v16, vcc
	v_and_b32_e32 v4, 0x7f800000, v17
	v_cmp_ne_u32_e64 s[24:25], s97, v4
                                        ; implicit-def: $vgpr16
	s_and_saveexec_b64 s[40:41], s[24:25]
	s_xor_b64 s[24:25], exec, s[40:41]
; %bb.2334:                             ;   in Loop: Header=BB23_2237 Depth=2
	v_bfe_u32 v4, v17, 16, 1
	v_add3_u32 v16, v17, v4, s74
                                        ; implicit-def: $vgpr17
; %bb.2335:                             ;   in Loop: Header=BB23_2237 Depth=2
	s_andn2_saveexec_b64 s[40:41], s[24:25]
; %bb.2336:                             ;   in Loop: Header=BB23_2237 Depth=2
	v_or_b32_e32 v4, 0x10000, v17
	v_cmp_eq_u32_sdwa s[24:25], v17, v3 src0_sel:WORD_0 src1_sel:DWORD
	s_nop 1
	v_cndmask_b32_e64 v16, v4, v17, s[24:25]
; %bb.2337:                             ;   in Loop: Header=BB23_2237 Depth=2
	s_or_b64 exec, exec, s[40:41]
	v_and_b32_e32 v4, 0xffff0000, v8
	v_and_b32_e32 v5, 0xffff0000, v12
	v_max_f32_e32 v5, v5, v5
	v_max_f32_e32 v4, v4, v4
	v_min_f32_e32 v8, v4, v5
	v_max_f32_e32 v4, v4, v5
	v_cndmask_b32_e32 v12, v4, v8, vcc
	v_and_b32_e32 v4, 0x7f800000, v12
	v_cmp_ne_u32_e64 s[24:25], s97, v4
                                        ; implicit-def: $vgpr8
	s_and_saveexec_b64 s[40:41], s[24:25]
	s_xor_b64 s[24:25], exec, s[40:41]
; %bb.2338:                             ;   in Loop: Header=BB23_2237 Depth=2
	v_bfe_u32 v4, v12, 16, 1
	v_add3_u32 v8, v12, v4, s74
                                        ; implicit-def: $vgpr12
; %bb.2339:                             ;   in Loop: Header=BB23_2237 Depth=2
	s_andn2_saveexec_b64 s[40:41], s[24:25]
; %bb.2340:                             ;   in Loop: Header=BB23_2237 Depth=2
	v_or_b32_e32 v4, 0x10000, v12
	v_cmp_eq_u32_sdwa s[24:25], v12, v3 src0_sel:WORD_0 src1_sel:DWORD
	s_nop 1
	v_cndmask_b32_e64 v8, v4, v12, s[24:25]
; %bb.2341:                             ;   in Loop: Header=BB23_2237 Depth=2
	s_or_b64 exec, exec, s[40:41]
	v_lshlrev_b32_e32 v4, 16, v9
	v_lshlrev_b32_e32 v5, 16, v13
	v_max_f32_e32 v5, v5, v5
	v_max_f32_e32 v4, v4, v4
	v_min_f32_e32 v12, v4, v5
	v_max_f32_e32 v4, v4, v5
	v_cndmask_b32_e32 v17, v4, v12, vcc
	v_and_b32_e32 v4, 0x7f800000, v17
	v_cmp_ne_u32_e64 s[24:25], s97, v4
                                        ; implicit-def: $vgpr12
	s_and_saveexec_b64 s[40:41], s[24:25]
	s_xor_b64 s[24:25], exec, s[40:41]
; %bb.2342:                             ;   in Loop: Header=BB23_2237 Depth=2
	v_bfe_u32 v4, v17, 16, 1
	v_add3_u32 v12, v17, v4, s74
                                        ; implicit-def: $vgpr17
; %bb.2343:                             ;   in Loop: Header=BB23_2237 Depth=2
	s_andn2_saveexec_b64 s[40:41], s[24:25]
; %bb.2344:                             ;   in Loop: Header=BB23_2237 Depth=2
	v_or_b32_e32 v4, 0x10000, v17
	v_cmp_eq_u32_sdwa s[24:25], v17, v3 src0_sel:WORD_0 src1_sel:DWORD
	s_nop 1
	v_cndmask_b32_e64 v12, v4, v17, s[24:25]
; %bb.2345:                             ;   in Loop: Header=BB23_2237 Depth=2
	s_or_b64 exec, exec, s[40:41]
	v_and_b32_e32 v4, 0xffff0000, v9
	v_and_b32_e32 v5, 0xffff0000, v13
	v_max_f32_e32 v5, v5, v5
	v_max_f32_e32 v4, v4, v4
	v_min_f32_e32 v9, v4, v5
	v_max_f32_e32 v4, v4, v5
	v_cndmask_b32_e32 v13, v4, v9, vcc
	v_and_b32_e32 v4, 0x7f800000, v13
	v_cmp_ne_u32_e64 s[24:25], s97, v4
                                        ; implicit-def: $vgpr9
	s_and_saveexec_b64 s[40:41], s[24:25]
	s_xor_b64 s[24:25], exec, s[40:41]
; %bb.2346:                             ;   in Loop: Header=BB23_2237 Depth=2
	v_bfe_u32 v4, v13, 16, 1
	v_add3_u32 v9, v13, v4, s74
                                        ; implicit-def: $vgpr13
; %bb.2347:                             ;   in Loop: Header=BB23_2237 Depth=2
	s_andn2_saveexec_b64 s[40:41], s[24:25]
; %bb.2348:                             ;   in Loop: Header=BB23_2237 Depth=2
	v_or_b32_e32 v4, 0x10000, v13
	v_cmp_eq_u32_sdwa s[24:25], v13, v3 src0_sel:WORD_0 src1_sel:DWORD
	s_nop 1
	v_cndmask_b32_e64 v9, v4, v13, s[24:25]
; %bb.2349:                             ;   in Loop: Header=BB23_2237 Depth=2
	s_or_b64 exec, exec, s[40:41]
	v_lshlrev_b32_e32 v4, 16, v10
	v_lshlrev_b32_e32 v5, 16, v14
	v_max_f32_e32 v5, v5, v5
	v_max_f32_e32 v4, v4, v4
	v_min_f32_e32 v13, v4, v5
	v_max_f32_e32 v4, v4, v5
	v_cndmask_b32_e32 v17, v4, v13, vcc
	v_and_b32_e32 v4, 0x7f800000, v17
	v_cmp_ne_u32_e64 s[24:25], s97, v4
                                        ; implicit-def: $vgpr13
	s_and_saveexec_b64 s[40:41], s[24:25]
	s_xor_b64 s[24:25], exec, s[40:41]
; %bb.2350:                             ;   in Loop: Header=BB23_2237 Depth=2
	v_bfe_u32 v4, v17, 16, 1
	v_add3_u32 v13, v17, v4, s74
                                        ; implicit-def: $vgpr17
; %bb.2351:                             ;   in Loop: Header=BB23_2237 Depth=2
	s_andn2_saveexec_b64 s[40:41], s[24:25]
; %bb.2352:                             ;   in Loop: Header=BB23_2237 Depth=2
	v_or_b32_e32 v4, 0x10000, v17
	v_cmp_eq_u32_sdwa s[24:25], v17, v3 src0_sel:WORD_0 src1_sel:DWORD
	s_nop 1
	v_cndmask_b32_e64 v13, v4, v17, s[24:25]
; %bb.2353:                             ;   in Loop: Header=BB23_2237 Depth=2
	s_or_b64 exec, exec, s[40:41]
	v_and_b32_e32 v4, 0xffff0000, v10
	v_and_b32_e32 v5, 0xffff0000, v14
	v_max_f32_e32 v5, v5, v5
	v_max_f32_e32 v4, v4, v4
	v_min_f32_e32 v10, v4, v5
	v_max_f32_e32 v4, v4, v5
	v_cndmask_b32_e32 v14, v4, v10, vcc
	v_and_b32_e32 v4, 0x7f800000, v14
	v_cmp_ne_u32_e64 s[24:25], s97, v4
                                        ; implicit-def: $vgpr10
	s_and_saveexec_b64 s[40:41], s[24:25]
	s_xor_b64 s[24:25], exec, s[40:41]
; %bb.2354:                             ;   in Loop: Header=BB23_2237 Depth=2
	v_bfe_u32 v4, v14, 16, 1
	v_add3_u32 v10, v14, v4, s74
                                        ; implicit-def: $vgpr14
; %bb.2355:                             ;   in Loop: Header=BB23_2237 Depth=2
	s_andn2_saveexec_b64 s[40:41], s[24:25]
; %bb.2356:                             ;   in Loop: Header=BB23_2237 Depth=2
	v_or_b32_e32 v4, 0x10000, v14
	v_cmp_eq_u32_sdwa s[24:25], v14, v3 src0_sel:WORD_0 src1_sel:DWORD
	s_nop 1
	v_cndmask_b32_e64 v10, v4, v14, s[24:25]
; %bb.2357:                             ;   in Loop: Header=BB23_2237 Depth=2
	s_or_b64 exec, exec, s[40:41]
	v_lshlrev_b32_e32 v4, 16, v11
	v_lshlrev_b32_e32 v5, 16, v15
	v_max_f32_e32 v5, v5, v5
	v_max_f32_e32 v4, v4, v4
	v_min_f32_e32 v14, v4, v5
	v_max_f32_e32 v4, v4, v5
	v_cndmask_b32_e32 v17, v4, v14, vcc
	v_and_b32_e32 v4, 0x7f800000, v17
	v_cmp_ne_u32_e64 s[24:25], s97, v4
                                        ; implicit-def: $vgpr14
	s_and_saveexec_b64 s[40:41], s[24:25]
	s_xor_b64 s[24:25], exec, s[40:41]
; %bb.2358:                             ;   in Loop: Header=BB23_2237 Depth=2
	v_bfe_u32 v4, v17, 16, 1
	v_add3_u32 v14, v17, v4, s74
                                        ; implicit-def: $vgpr17
; %bb.2359:                             ;   in Loop: Header=BB23_2237 Depth=2
	s_andn2_saveexec_b64 s[40:41], s[24:25]
; %bb.2360:                             ;   in Loop: Header=BB23_2237 Depth=2
	v_or_b32_e32 v4, 0x10000, v17
	v_cmp_eq_u32_sdwa s[24:25], v17, v3 src0_sel:WORD_0 src1_sel:DWORD
	s_nop 1
	v_cndmask_b32_e64 v14, v4, v17, s[24:25]
; %bb.2361:                             ;   in Loop: Header=BB23_2237 Depth=2
	s_or_b64 exec, exec, s[40:41]
	v_and_b32_e32 v4, 0xffff0000, v11
	v_and_b32_e32 v5, 0xffff0000, v15
	v_max_f32_e32 v5, v5, v5
	v_max_f32_e32 v4, v4, v4
	v_min_f32_e32 v11, v4, v5
	v_max_f32_e32 v4, v4, v5
	v_cndmask_b32_e32 v15, v4, v11, vcc
	v_and_b32_e32 v4, 0x7f800000, v15
	v_cmp_ne_u32_e64 s[24:25], s97, v4
                                        ; implicit-def: $vgpr11
	s_and_saveexec_b64 s[40:41], s[24:25]
	s_xor_b64 s[24:25], exec, s[40:41]
; %bb.2362:                             ;   in Loop: Header=BB23_2237 Depth=2
	v_bfe_u32 v4, v15, 16, 1
	v_add3_u32 v11, v15, v4, s74
                                        ; implicit-def: $vgpr15
; %bb.2363:                             ;   in Loop: Header=BB23_2237 Depth=2
	s_andn2_saveexec_b64 s[40:41], s[24:25]
	s_cbranch_execz .LBB23_2236
; %bb.2364:                             ;   in Loop: Header=BB23_2237 Depth=2
	v_or_b32_e32 v4, 0x10000, v15
	v_cmp_eq_u32_sdwa s[24:25], v15, v3 src0_sel:WORD_0 src1_sel:DWORD
	s_nop 1
	v_cndmask_b32_e64 v11, v4, v15, s[24:25]
	s_branch .LBB23_2236
.LBB23_2365:                            ;   in Loop: Header=BB23_47 Depth=1
	s_or_b64 exec, exec, s[28:29]
.LBB23_2366:                            ;   in Loop: Header=BB23_47 Depth=1
	s_or_b64 exec, exec, s[26:27]
	v_lshlrev_b32_e32 v12, 12, v55
	v_cmp_ne_u32_e32 vcc, v82, v12
	s_mov_b64 s[24:25], 0
	v_mov_b32_e32 v18, 0
                                        ; implicit-def: $vgpr19
	s_and_saveexec_b64 s[52:53], vcc
	s_cbranch_execz .LBB23_2372
; %bb.2367:                             ;   in Loop: Header=BB23_47 Depth=1
	v_lshlrev_b32_e32 v5, 6, v54
	v_and_b32_e32 v8, 63, v0
	v_sub_u32_e32 v5, v8, v5
	v_ashrrev_i32_e32 v8, 31, v5
	v_lshrrev_b32_e32 v8, 26, v8
	v_add_u32_e32 v8, v5, v8
	v_ashrrev_i32_e32 v9, 6, v8
	v_and_b32_e32 v8, 0xffffffc0, v8
	v_sub_u32_e32 v13, v5, v8
	v_sub_u32_e32 v4, v82, v12
	v_lshlrev_b32_e32 v5, 4, v13
	v_lshl_add_u32 v8, v9, 10, v5
	v_ashrrev_i32_e32 v5, 31, v4
	v_lshrrev_b32_e32 v5, 22, v5
	v_add_u32_e32 v5, v4, v5
	v_and_b32_e32 v14, 0xfffffc00, v5
	v_sub_u32_e32 v15, v4, v14
	v_ashrrev_i32_e32 v10, 10, v5
	v_cmp_lt_i32_e32 vcc, 15, v15
	v_sub_u32_e32 v17, v4, v8
	s_nop 0
	v_addc_co_u32_e64 v4, s[24:25], 0, v10, vcc
	v_sub_u32_e32 v16, v4, v9
	v_cmp_lt_i32_e64 s[24:25], 15, v17
	s_and_saveexec_b64 s[54:55], s[24:25]
	s_cbranch_execz .LBB23_2371
; %bb.2368:                             ;   in Loop: Header=BB23_47 Depth=1
	s_and_b32 s76, s49, 1
	v_add_u32_e32 v8, v8, v12
	s_cmp_eq_u64 s[76:77], 0
	v_ashrrev_i32_e32 v9, 31, v8
	s_mov_b64 s[64:65], 0
	s_cselect_b64 s[24:25], -1, 0
.LBB23_2369:                            ;   Parent Loop BB23_47 Depth=1
                                        ; =>  This Inner Loop Header: Depth=2
	v_lshl_add_u64 v[18:19], v[78:79], 0, v[8:9]
	v_lshl_add_u64 v[4:5], v[90:91], 0, v[8:9]
	global_load_dwordx4 v[18:21], v[18:19], off nt
	s_nop 0
	global_load_dwordx4 v[22:25], v[4:5], off nt
	v_sub_u32_e32 v17, v17, v100
	v_lshl_add_u64 v[10:11], v[88:89], 0, v[8:9]
	v_sub_u32_e32 v16, v16, v84
	v_lshl_add_u64 v[8:9], v[8:9], 0, v[46:47]
	s_waitcnt vmcnt(0)
	v_and_b32_e32 v4, 0xffff0000, v18
	v_and_b32_e32 v5, 0xffff0000, v22
	v_lshlrev_b32_e32 v18, 16, v18
	v_lshlrev_b32_e32 v22, 16, v22
	v_max_f32_e32 v22, v22, v22
	v_max_f32_e32 v18, v18, v18
	v_min_f32_e32 v26, v18, v22
	v_max_f32_e32 v18, v18, v22
	v_cndmask_b32_e64 v18, v18, v26, s[24:25]
	v_and_b32_e32 v22, 0x7f800000, v18
	v_cmp_eq_u32_e64 s[26:27], s97, v22
	v_bfe_u32 v22, v18, 16, 1
	v_cmp_eq_u32_sdwa s[28:29], v18, v3 src0_sel:WORD_0 src1_sel:DWORD
	v_or_b32_e32 v26, 0x10000, v18
	v_max_f32_e32 v5, v5, v5
	v_max_f32_e32 v4, v4, v4
	v_add3_u32 v22, v18, v22, s74
	v_cndmask_b32_e64 v18, v26, v18, s[28:29]
	v_min_f32_e32 v26, v4, v5
	v_max_f32_e32 v4, v4, v5
	v_cndmask_b32_e64 v4, v4, v26, s[24:25]
	v_and_b32_e32 v5, 0x7f800000, v4
	v_cmp_eq_u32_e64 s[28:29], s97, v5
	v_bfe_u32 v5, v4, 16, 1
	v_cmp_eq_u32_sdwa s[40:41], v4, v3 src0_sel:WORD_0 src1_sel:DWORD
	v_or_b32_e32 v26, 0x10000, v4
	v_add3_u32 v5, v4, v5, s74
	v_cndmask_b32_e64 v4, v26, v4, s[40:41]
	v_and_b32_e32 v26, 0xffff0000, v19
	v_and_b32_e32 v27, 0xffff0000, v23
	v_lshlrev_b32_e32 v19, 16, v19
	v_lshlrev_b32_e32 v23, 16, v23
	v_max_f32_e32 v23, v23, v23
	v_max_f32_e32 v19, v19, v19
	v_min_f32_e32 v28, v19, v23
	v_max_f32_e32 v19, v19, v23
	v_cndmask_b32_e64 v19, v19, v28, s[24:25]
	v_and_b32_e32 v23, 0x7f800000, v19
	v_cmp_eq_u32_e64 s[40:41], s97, v23
	v_bfe_u32 v23, v19, 16, 1
	v_cmp_eq_u32_sdwa s[42:43], v19, v3 src0_sel:WORD_0 src1_sel:DWORD
	v_or_b32_e32 v28, 0x10000, v19
	v_max_f32_e32 v27, v27, v27
	v_max_f32_e32 v26, v26, v26
	v_add3_u32 v23, v19, v23, s74
	v_cndmask_b32_e64 v19, v28, v19, s[42:43]
	v_min_f32_e32 v28, v26, v27
	v_max_f32_e32 v26, v26, v27
	v_cndmask_b32_e64 v26, v26, v28, s[24:25]
	v_and_b32_e32 v27, 0x7f800000, v26
	v_cmp_eq_u32_e64 s[42:43], s97, v27
	v_bfe_u32 v27, v26, 16, 1
	v_cmp_eq_u32_sdwa s[44:45], v26, v3 src0_sel:WORD_0 src1_sel:DWORD
	v_or_b32_e32 v28, 0x10000, v26
	v_add3_u32 v27, v26, v27, s74
	v_cndmask_b32_e64 v26, v28, v26, s[44:45]
	;; [unrolled: 28-line block ×3, first 2 shown]
	v_and_b32_e32 v31, 0xffff0000, v21
	v_and_b32_e32 v32, 0xffff0000, v25
	v_lshlrev_b32_e32 v21, 16, v21
	v_lshlrev_b32_e32 v25, 16, v25
	v_max_f32_e32 v25, v25, v25
	v_max_f32_e32 v21, v21, v21
	v_min_f32_e32 v33, v21, v25
	v_max_f32_e32 v21, v21, v25
	v_cndmask_b32_e64 v21, v21, v33, s[24:25]
	v_and_b32_e32 v25, 0x7f800000, v21
	v_cmp_eq_u32_e64 s[56:57], s97, v25
	v_bfe_u32 v25, v21, 16, 1
	v_cmp_eq_u32_sdwa s[58:59], v21, v3 src0_sel:WORD_0 src1_sel:DWORD
	v_or_b32_e32 v33, 0x10000, v21
	v_max_f32_e32 v32, v32, v32
	v_max_f32_e32 v31, v31, v31
	v_add3_u32 v25, v21, v25, s74
	v_cndmask_b32_e64 v21, v33, v21, s[58:59]
	v_min_f32_e32 v33, v31, v32
	v_max_f32_e32 v31, v31, v32
	v_cndmask_b32_e64 v31, v31, v33, s[24:25]
	v_cndmask_b32_e64 v4, v5, v4, s[28:29]
	;; [unrolled: 1-line block ×3, first 2 shown]
	v_and_b32_e32 v32, 0x7f800000, v31
	v_cndmask_b32_e64 v18, v22, v18, s[26:27]
	v_cndmask_b32_e64 v19, v27, v26, s[42:43]
	v_lshrrev_b32_e32 v5, 16, v5
	v_cmp_eq_u32_e64 s[58:59], s97, v32
	v_bfe_u32 v32, v31, 16, 1
	v_cmp_eq_u32_sdwa s[60:61], v31, v3 src0_sel:WORD_0 src1_sel:DWORD
	v_or_b32_e32 v33, 0x10000, v31
	v_cndmask_b32_e64 v20, v24, v20, s[44:45]
	v_and_or_b32 v19, v19, s75, v5
	v_lshrrev_b32_e32 v5, 16, v18
	v_add3_u32 v32, v31, v32, s74
	v_cndmask_b32_e64 v31, v33, v31, s[60:61]
	v_cndmask_b32_e64 v22, v29, v28, s[46:47]
	;; [unrolled: 1-line block ×3, first 2 shown]
	v_and_or_b32 v18, v4, s75, v5
	v_lshrrev_b32_e32 v4, 16, v20
	v_cndmask_b32_e64 v23, v32, v31, s[58:59]
	v_and_or_b32 v20, v22, s75, v4
	v_lshrrev_b32_e32 v4, 16, v21
	v_cmp_gt_i32_e64 s[26:27], 16, v17
	v_and_or_b32 v21, v23, s75, v4
	s_or_b64 s[64:65], s[26:27], s[64:65]
	global_store_dwordx4 v[10:11], v[18:21], off
	s_andn2_b64 exec, exec, s[64:65]
	s_cbranch_execnz .LBB23_2369
; %bb.2370:                             ;   in Loop: Header=BB23_47 Depth=1
	s_or_b64 exec, exec, s[64:65]
.LBB23_2371:                            ;   in Loop: Header=BB23_47 Depth=1
	s_or_b64 exec, exec, s[54:55]
	v_and_b32_e32 v4, 14, v82
	v_sub_u32_e32 v5, v15, v4
	v_cndmask_b32_e32 v5, 0, v5, vcc
	v_cndmask_b32_e32 v82, v15, v4, vcc
	v_cmp_lt_i32_e32 vcc, 0, v16
	v_add3_u32 v18, v14, v12, v5
	s_nop 0
	v_cndmask_b32_e32 v4, 0, v84, vcc
	v_sub_u32_e32 v4, v4, v16
	v_cmp_ne_u32_e32 vcc, 0, v82
	v_lshl_add_u32 v19, v4, 6, v13
	s_and_b64 s[24:25], vcc, exec
.LBB23_2372:                            ;   in Loop: Header=BB23_47 Depth=1
	s_or_b64 exec, exec, s[52:53]
	s_and_saveexec_b64 s[26:27], s[24:25]
	s_cbranch_execz .LBB23_2413
.LBB23_2373:                            ;   in Loop: Header=BB23_47 Depth=1
	v_ashrrev_i32_e32 v4, 31, v19
	v_lshrrev_b32_e32 v4, 26, v4
	v_add_u32_e32 v8, v19, v4
	v_ashrrev_i32_e32 v4, 31, v82
	v_lshrrev_b32_e32 v4, 22, v4
	v_add_u32_e32 v4, v82, v4
	v_ashrrev_i32_e32 v20, 6, v8
	v_ashrrev_i32_e32 v22, 10, v4
	v_sub_u32_e32 v21, v22, v20
	v_cmp_lt_i32_e32 vcc, 0, v21
	s_and_saveexec_b64 s[28:29], vcc
	s_cbranch_execz .LBB23_2409
; %bb.2374:                             ;   in Loop: Header=BB23_47 Depth=1
	v_and_b32_e32 v4, 0x7fffffc0, v8
	v_sub_u32_e32 v4, v19, v4
	v_lshlrev_b32_e32 v4, 1, v4
	v_lshlrev_b32_e32 v5, 10, v20
	s_and_b32 s76, s49, 1
	v_add3_u32 v8, v4, v18, v5
	s_cmp_eq_u64 s[76:77], 0
	v_ashrrev_i32_e32 v9, 31, v8
	s_mov_b64 s[40:41], 0
	s_cselect_b64 vcc, -1, 0
	v_mov_b64_e32 v[10:11], v[88:89]
	v_mov_b64_e32 v[12:13], v[78:79]
	;; [unrolled: 1-line block ×3, first 2 shown]
	s_branch .LBB23_2376
.LBB23_2375:                            ;   in Loop: Header=BB23_2376 Depth=2
	s_or_b64 exec, exec, s[42:43]
	v_sub_u32_e32 v21, v21, v84
	v_cmp_gt_i32_e64 s[24:25], 1, v21
	v_lshl_add_u64 v[14:15], v[14:15], 0, v[46:47]
	v_lshl_add_u64 v[12:13], v[12:13], 0, v[46:47]
	s_or_b64 s[40:41], s[24:25], s[40:41]
	v_lshl_add_u64 v[10:11], v[10:11], 0, v[46:47]
	flat_store_short_d16_hi v[16:17], v24 offset:896 nt
	s_andn2_b64 exec, exec, s[40:41]
	s_cbranch_execz .LBB23_2408
.LBB23_2376:                            ;   Parent Loop BB23_47 Depth=1
                                        ; =>  This Inner Loop Header: Depth=2
	v_lshl_add_u64 v[4:5], v[8:9], 0, v[14:15]
	v_lshl_add_u64 v[16:17], v[8:9], 0, v[12:13]
	flat_load_ushort v31, v[4:5] nt
	flat_load_ushort v35, v[16:17] offset:256 nt
	flat_load_ushort v33, v[16:17] offset:384 nt
	;; [unrolled: 1-line block ×5, first 2 shown]
	flat_load_ushort v39, v[16:17] nt
	flat_load_ushort v23, v[16:17] offset:896 nt
	flat_load_ushort v37, v[16:17] offset:128 nt
	;; [unrolled: 1-line block ×9, first 2 shown]
	s_waitcnt vmcnt(0) lgkmcnt(0)
	v_lshlrev_b32_e32 v5, 16, v31
	v_max_f32_e32 v5, v5, v5
                                        ; implicit-def: $vgpr31
	v_lshlrev_b32_e32 v4, 16, v39
	v_max_f32_e32 v4, v4, v4
	v_min_f32_e32 v16, v4, v5
	v_max_f32_e32 v4, v4, v5
	v_cndmask_b32_e32 v16, v4, v16, vcc
	v_and_b32_e32 v4, 0x7f800000, v16
	v_cmp_ne_u32_e64 s[24:25], s97, v4
	s_and_saveexec_b64 s[42:43], s[24:25]
	s_xor_b64 s[24:25], exec, s[42:43]
; %bb.2377:                             ;   in Loop: Header=BB23_2376 Depth=2
	v_bfe_u32 v4, v16, 16, 1
	v_add3_u32 v31, v16, v4, s74
                                        ; implicit-def: $vgpr16
; %bb.2378:                             ;   in Loop: Header=BB23_2376 Depth=2
	s_andn2_saveexec_b64 s[42:43], s[24:25]
; %bb.2379:                             ;   in Loop: Header=BB23_2376 Depth=2
	v_or_b32_e32 v4, 0x10000, v16
	v_cmp_eq_u32_sdwa s[24:25], v16, v3 src0_sel:WORD_0 src1_sel:DWORD
	s_nop 1
	v_cndmask_b32_e64 v31, v4, v16, s[24:25]
; %bb.2380:                             ;   in Loop: Header=BB23_2376 Depth=2
	s_or_b64 exec, exec, s[42:43]
	v_lshlrev_b32_e32 v4, 16, v37
	v_lshlrev_b32_e32 v5, 16, v38
	v_lshl_add_u64 v[16:17], v[8:9], 0, v[10:11]
	v_max_f32_e32 v5, v5, v5
	v_max_f32_e32 v4, v4, v4
	flat_store_short_d16_hi v[16:17], v31 nt
	v_min_f32_e32 v31, v4, v5
	v_max_f32_e32 v4, v4, v5
	v_cndmask_b32_e32 v31, v4, v31, vcc
	v_and_b32_e32 v4, 0x7f800000, v31
	v_cmp_ne_u32_e64 s[24:25], s97, v4
                                        ; implicit-def: $vgpr37
	s_and_saveexec_b64 s[42:43], s[24:25]
	s_xor_b64 s[24:25], exec, s[42:43]
; %bb.2381:                             ;   in Loop: Header=BB23_2376 Depth=2
	v_bfe_u32 v4, v31, 16, 1
	v_add3_u32 v37, v31, v4, s74
                                        ; implicit-def: $vgpr31
; %bb.2382:                             ;   in Loop: Header=BB23_2376 Depth=2
	s_andn2_saveexec_b64 s[42:43], s[24:25]
; %bb.2383:                             ;   in Loop: Header=BB23_2376 Depth=2
	v_or_b32_e32 v4, 0x10000, v31
	v_cmp_eq_u32_sdwa s[24:25], v31, v3 src0_sel:WORD_0 src1_sel:DWORD
	s_nop 1
	v_cndmask_b32_e64 v37, v4, v31, s[24:25]
; %bb.2384:                             ;   in Loop: Header=BB23_2376 Depth=2
	s_or_b64 exec, exec, s[42:43]
	v_lshlrev_b32_e32 v4, 16, v35
	v_lshlrev_b32_e32 v5, 16, v36
	v_max_f32_e32 v5, v5, v5
	v_max_f32_e32 v4, v4, v4
	v_min_f32_e32 v31, v4, v5
	v_max_f32_e32 v4, v4, v5
	v_cndmask_b32_e32 v31, v4, v31, vcc
	v_and_b32_e32 v4, 0x7f800000, v31
	v_cmp_ne_u32_e64 s[24:25], s97, v4
	flat_store_short_d16_hi v[16:17], v37 offset:128 nt
                                        ; implicit-def: $vgpr35
	s_and_saveexec_b64 s[42:43], s[24:25]
	s_xor_b64 s[24:25], exec, s[42:43]
; %bb.2385:                             ;   in Loop: Header=BB23_2376 Depth=2
	v_bfe_u32 v4, v31, 16, 1
	v_add3_u32 v35, v31, v4, s74
                                        ; implicit-def: $vgpr31
; %bb.2386:                             ;   in Loop: Header=BB23_2376 Depth=2
	s_andn2_saveexec_b64 s[42:43], s[24:25]
; %bb.2387:                             ;   in Loop: Header=BB23_2376 Depth=2
	v_or_b32_e32 v4, 0x10000, v31
	v_cmp_eq_u32_sdwa s[24:25], v31, v3 src0_sel:WORD_0 src1_sel:DWORD
	s_nop 1
	v_cndmask_b32_e64 v35, v4, v31, s[24:25]
; %bb.2388:                             ;   in Loop: Header=BB23_2376 Depth=2
	s_or_b64 exec, exec, s[42:43]
	v_lshlrev_b32_e32 v4, 16, v33
	v_lshlrev_b32_e32 v5, 16, v34
	v_max_f32_e32 v5, v5, v5
	v_max_f32_e32 v4, v4, v4
	v_min_f32_e32 v31, v4, v5
	v_max_f32_e32 v4, v4, v5
	v_cndmask_b32_e32 v31, v4, v31, vcc
	v_and_b32_e32 v4, 0x7f800000, v31
	v_cmp_ne_u32_e64 s[24:25], s97, v4
	flat_store_short_d16_hi v[16:17], v35 offset:256 nt
                                        ; implicit-def: $vgpr33
	s_and_saveexec_b64 s[42:43], s[24:25]
	s_xor_b64 s[24:25], exec, s[42:43]
; %bb.2389:                             ;   in Loop: Header=BB23_2376 Depth=2
	v_bfe_u32 v4, v31, 16, 1
	v_add3_u32 v33, v31, v4, s74
                                        ; implicit-def: $vgpr31
; %bb.2390:                             ;   in Loop: Header=BB23_2376 Depth=2
	s_andn2_saveexec_b64 s[42:43], s[24:25]
; %bb.2391:                             ;   in Loop: Header=BB23_2376 Depth=2
	v_or_b32_e32 v4, 0x10000, v31
	v_cmp_eq_u32_sdwa s[24:25], v31, v3 src0_sel:WORD_0 src1_sel:DWORD
	s_nop 1
	v_cndmask_b32_e64 v33, v4, v31, s[24:25]
; %bb.2392:                             ;   in Loop: Header=BB23_2376 Depth=2
	s_or_b64 exec, exec, s[42:43]
	v_lshlrev_b32_e32 v4, 16, v29
	v_lshlrev_b32_e32 v5, 16, v32
	v_max_f32_e32 v5, v5, v5
	v_max_f32_e32 v4, v4, v4
	v_min_f32_e32 v29, v4, v5
	v_max_f32_e32 v4, v4, v5
	v_cndmask_b32_e32 v29, v4, v29, vcc
	v_and_b32_e32 v4, 0x7f800000, v29
	v_cmp_ne_u32_e64 s[24:25], s97, v4
	flat_store_short_d16_hi v[16:17], v33 offset:384 nt
                                        ; implicit-def: $vgpr31
	s_and_saveexec_b64 s[42:43], s[24:25]
	s_xor_b64 s[24:25], exec, s[42:43]
; %bb.2393:                             ;   in Loop: Header=BB23_2376 Depth=2
	v_bfe_u32 v4, v29, 16, 1
	v_add3_u32 v31, v29, v4, s74
                                        ; implicit-def: $vgpr29
; %bb.2394:                             ;   in Loop: Header=BB23_2376 Depth=2
	s_andn2_saveexec_b64 s[42:43], s[24:25]
; %bb.2395:                             ;   in Loop: Header=BB23_2376 Depth=2
	v_or_b32_e32 v4, 0x10000, v29
	v_cmp_eq_u32_sdwa s[24:25], v29, v3 src0_sel:WORD_0 src1_sel:DWORD
	s_nop 1
	v_cndmask_b32_e64 v31, v4, v29, s[24:25]
; %bb.2396:                             ;   in Loop: Header=BB23_2376 Depth=2
	s_or_b64 exec, exec, s[42:43]
	v_lshlrev_b32_e32 v4, 16, v27
	v_lshlrev_b32_e32 v5, 16, v28
	v_max_f32_e32 v5, v5, v5
	v_max_f32_e32 v4, v4, v4
	v_min_f32_e32 v27, v4, v5
	v_max_f32_e32 v4, v4, v5
	v_cndmask_b32_e32 v27, v4, v27, vcc
	v_and_b32_e32 v4, 0x7f800000, v27
	v_cmp_ne_u32_e64 s[24:25], s97, v4
	flat_store_short_d16_hi v[16:17], v31 offset:512 nt
                                        ; implicit-def: $vgpr28
	s_and_saveexec_b64 s[42:43], s[24:25]
	s_xor_b64 s[24:25], exec, s[42:43]
; %bb.2397:                             ;   in Loop: Header=BB23_2376 Depth=2
	v_bfe_u32 v4, v27, 16, 1
	v_add3_u32 v28, v27, v4, s74
                                        ; implicit-def: $vgpr27
; %bb.2398:                             ;   in Loop: Header=BB23_2376 Depth=2
	s_andn2_saveexec_b64 s[42:43], s[24:25]
; %bb.2399:                             ;   in Loop: Header=BB23_2376 Depth=2
	v_or_b32_e32 v4, 0x10000, v27
	v_cmp_eq_u32_sdwa s[24:25], v27, v3 src0_sel:WORD_0 src1_sel:DWORD
	s_nop 1
	v_cndmask_b32_e64 v28, v4, v27, s[24:25]
; %bb.2400:                             ;   in Loop: Header=BB23_2376 Depth=2
	s_or_b64 exec, exec, s[42:43]
	v_lshlrev_b32_e32 v4, 16, v25
	v_lshlrev_b32_e32 v5, 16, v26
	v_max_f32_e32 v5, v5, v5
	v_max_f32_e32 v4, v4, v4
	v_min_f32_e32 v25, v4, v5
	v_max_f32_e32 v4, v4, v5
	v_cndmask_b32_e32 v25, v4, v25, vcc
	v_and_b32_e32 v4, 0x7f800000, v25
	v_cmp_ne_u32_e64 s[24:25], s97, v4
	flat_store_short_d16_hi v[16:17], v28 offset:640 nt
                                        ; implicit-def: $vgpr26
	s_and_saveexec_b64 s[42:43], s[24:25]
	s_xor_b64 s[24:25], exec, s[42:43]
; %bb.2401:                             ;   in Loop: Header=BB23_2376 Depth=2
	v_bfe_u32 v4, v25, 16, 1
	v_add3_u32 v26, v25, v4, s74
                                        ; implicit-def: $vgpr25
; %bb.2402:                             ;   in Loop: Header=BB23_2376 Depth=2
	s_andn2_saveexec_b64 s[42:43], s[24:25]
; %bb.2403:                             ;   in Loop: Header=BB23_2376 Depth=2
	v_or_b32_e32 v4, 0x10000, v25
	v_cmp_eq_u32_sdwa s[24:25], v25, v3 src0_sel:WORD_0 src1_sel:DWORD
	s_nop 1
	v_cndmask_b32_e64 v26, v4, v25, s[24:25]
; %bb.2404:                             ;   in Loop: Header=BB23_2376 Depth=2
	s_or_b64 exec, exec, s[42:43]
	v_lshlrev_b32_e32 v4, 16, v23
	v_lshlrev_b32_e32 v5, 16, v24
	v_max_f32_e32 v5, v5, v5
	v_max_f32_e32 v4, v4, v4
	v_min_f32_e32 v23, v4, v5
	v_max_f32_e32 v4, v4, v5
	v_cndmask_b32_e32 v23, v4, v23, vcc
	v_and_b32_e32 v4, 0x7f800000, v23
	v_cmp_ne_u32_e64 s[24:25], s97, v4
	flat_store_short_d16_hi v[16:17], v26 offset:768 nt
                                        ; implicit-def: $vgpr24
	s_and_saveexec_b64 s[42:43], s[24:25]
	s_xor_b64 s[24:25], exec, s[42:43]
; %bb.2405:                             ;   in Loop: Header=BB23_2376 Depth=2
	v_bfe_u32 v4, v23, 16, 1
	v_add3_u32 v24, v23, v4, s74
                                        ; implicit-def: $vgpr23
; %bb.2406:                             ;   in Loop: Header=BB23_2376 Depth=2
	s_andn2_saveexec_b64 s[42:43], s[24:25]
	s_cbranch_execz .LBB23_2375
; %bb.2407:                             ;   in Loop: Header=BB23_2376 Depth=2
	v_or_b32_e32 v4, 0x10000, v23
	v_cmp_eq_u32_sdwa s[24:25], v23, v3 src0_sel:WORD_0 src1_sel:DWORD
	s_nop 1
	v_cndmask_b32_e64 v24, v4, v23, s[24:25]
	s_branch .LBB23_2375
.LBB23_2408:                            ;   in Loop: Header=BB23_47 Depth=1
	s_or_b64 exec, exec, s[40:41]
.LBB23_2409:                            ;   in Loop: Header=BB23_47 Depth=1
	s_or_b64 exec, exec, s[28:29]
	v_lshlrev_b32_e32 v8, 10, v22
	v_cmp_ne_u32_e32 vcc, v82, v8
	s_and_b64 exec, exec, vcc
	s_cbranch_execz .LBB23_2413
; %bb.2410:                             ;   in Loop: Header=BB23_47 Depth=1
	v_lshlrev_b32_e32 v4, 6, v20
	v_sub_u32_e32 v4, v19, v4
	v_lshlrev_b32_e32 v5, 6, v21
	v_sub_u32_e32 v4, v4, v5
	v_ashrrev_i32_e32 v5, 31, v4
	v_lshrrev_b32_e32 v5, 26, v5
	v_add_u32_e32 v5, v4, v5
	v_and_b32_e32 v9, 0x7fffffc0, v5
	v_sub_u32_e32 v4, v4, v9
	v_lshlrev_b32_e32 v5, 1, v5
	v_and_b32_e32 v5, 0xffffff80, v5
	v_lshlrev_b32_e32 v4, 1, v4
	v_add3_u32 v8, v5, v4, v8
	v_sub_u32_e32 v10, v82, v8
	v_cmp_lt_i32_e32 vcc, 1, v10
	s_and_b64 exec, exec, vcc
	s_cbranch_execz .LBB23_2413
; %bb.2411:                             ;   in Loop: Header=BB23_47 Depth=1
	s_and_b32 s76, s49, 1
	v_add_u32_e32 v8, v8, v18
	s_cmp_eq_u64 s[76:77], 0
	v_ashrrev_i32_e32 v9, 31, v8
	s_mov_b64 s[28:29], 0
	s_cselect_b64 vcc, -1, 0
.LBB23_2412:                            ;   Parent Loop BB23_47 Depth=1
                                        ; =>  This Inner Loop Header: Depth=2
	v_lshl_add_u64 v[12:13], v[78:79], 0, v[8:9]
	v_lshl_add_u64 v[4:5], v[90:91], 0, v[8:9]
	flat_load_ushort v11, v[12:13] nt
	s_nop 0
	flat_load_ushort v12, v[4:5] nt
	v_sub_u32_e32 v10, v10, v114
	v_cmp_gt_i32_e64 s[24:25], 2, v10
	s_or_b64 s[28:29], s[24:25], s[28:29]
	v_lshl_add_u64 v[4:5], v[88:89], 0, v[8:9]
	v_lshl_add_u64 v[8:9], v[8:9], 0, v[56:57]
	s_waitcnt vmcnt(0) lgkmcnt(0)
	v_lshlrev_b32_e32 v11, 16, v11
	v_lshlrev_b32_e32 v12, 16, v12
	v_max_f32_e32 v12, v12, v12
	v_max_f32_e32 v11, v11, v11
	v_min_f32_e32 v13, v11, v12
	v_max_f32_e32 v11, v11, v12
	v_cndmask_b32_e32 v11, v11, v13, vcc
	v_and_b32_e32 v12, 0x7f800000, v11
	v_bfe_u32 v13, v11, 16, 1
	v_or_b32_e32 v14, 0x10000, v11
	v_cmp_eq_u32_sdwa s[24:25], v11, v3 src0_sel:WORD_0 src1_sel:DWORD
	v_add3_u32 v13, v11, v13, s74
	s_nop 0
	v_cndmask_b32_e64 v11, v14, v11, s[24:25]
	v_cmp_eq_u32_e64 s[24:25], s97, v12
	s_nop 1
	v_cndmask_b32_e64 v11, v13, v11, s[24:25]
	flat_store_short_d16_hi v[4:5], v11 nt
	s_andn2_b64 exec, exec, s[28:29]
	s_cbranch_execnz .LBB23_2412
.LBB23_2413:                            ;   in Loop: Header=BB23_47 Depth=1
	s_or_b64 exec, exec, s[26:27]
	v_cmp_lt_i32_e64 s[24:25], 0, v2
	s_and_saveexec_b64 s[26:27], s[6:7]
	s_cbranch_execz .LBB23_2230
.LBB23_2414:                            ;   in Loop: Header=BB23_47 Depth=1
	s_and_saveexec_b64 s[28:29], s[78:79]
	s_xor_b64 s[28:29], exec, s[28:29]
	s_cbranch_execz .LBB23_2429
; %bb.2415:                             ;   in Loop: Header=BB23_47 Depth=1
	s_and_saveexec_b64 s[40:41], s[14:15]
	s_cbranch_execz .LBB23_2428
; %bb.2416:                             ;   in Loop: Header=BB23_47 Depth=1
	s_mov_b64 s[44:45], exec
	v_mbcnt_lo_u32_b32 v2, s44, 0
	v_mbcnt_hi_u32_b32 v2, s45, v2
	v_cmp_eq_u32_e32 vcc, 0, v2
	s_waitcnt lgkmcnt(0)
	s_and_saveexec_b64 s[42:43], vcc
	s_cbranch_execz .LBB23_2418
; %bb.2417:                             ;   in Loop: Header=BB23_47 Depth=1
	s_bcnt1_i32_b64 s44, s[44:45]
	v_mov_b32_e32 v2, s44
	ds_add_u64 v0, v[2:3]
	s_trap 2
.LBB23_2418:                            ;   in Loop: Header=BB23_47 Depth=1
	s_or_b64 exec, exec, s[42:43]
	s_trap 2
	ds_read_b64 v[4:5], v0
	s_waitcnt lgkmcnt(0)
	v_lshl_add_u64 v[80:81], v[80:81], 0, v[84:85]
	v_cmp_lt_u64_e32 vcc, v[4:5], v[80:81]
	s_and_saveexec_b64 s[42:43], vcc
	s_cbranch_execz .LBB23_2427
; %bb.2419:                             ;   in Loop: Header=BB23_47 Depth=1
	s_mov_b32 s76, 0
	s_mov_b64 s[44:45], 0
                                        ; implicit-def: $sgpr46_sgpr47
                                        ; implicit-def: $sgpr56_sgpr57
	s_branch .LBB23_2421
.LBB23_2420:                            ;   in Loop: Header=BB23_2421 Depth=2
	s_or_b64 exec, exec, s[60:61]
	s_and_b64 s[58:59], exec, vcc
	s_or_b64 s[44:45], s[58:59], s[44:45]
	s_andn2_b64 s[46:47], s[46:47], exec
	s_and_b64 s[58:59], s[56:57], exec
	s_or_b64 s[46:47], s[46:47], s[58:59]
	s_andn2_b64 exec, exec, s[44:45]
	s_cbranch_execz .LBB23_2425
.LBB23_2421:                            ;   Parent Loop BB23_47 Depth=1
                                        ; =>  This Inner Loop Header: Depth=2
	s_add_i32 s76, s76, 1
	s_cmpk_lg_i32 s76, 0x2710
	s_cselect_b64 s[58:59], -1, 0
	s_and_b64 vcc, exec, s[58:59]
	s_cbranch_vccz .LBB23_2423
; %bb.2422:                             ;   in Loop: Header=BB23_2421 Depth=2
	s_mov_b64 vcc, -1
	s_or_b64 s[56:57], s[56:57], exec
	s_and_saveexec_b64 s[60:61], s[58:59]
	s_cbranch_execz .LBB23_2420
	s_branch .LBB23_2424
.LBB23_2423:                            ;   in Loop: Header=BB23_2421 Depth=2
	s_trap 2
	ds_read_b64 v[4:5], v0
	s_andn2_b64 s[58:59], s[58:59], exec
	s_mov_b32 s76, 0
	s_waitcnt vmcnt(0) lgkmcnt(0)
	flat_load_dword v2, v[4:5] sc0 sc1
	s_waitcnt vmcnt(0) lgkmcnt(0)
	buffer_inv sc0 sc1
	v_cmp_eq_u32_e32 vcc, 0, v2
	s_and_b64 s[60:61], vcc, exec
	s_or_b64 s[58:59], s[58:59], s[60:61]
	s_mov_b64 vcc, -1
	s_or_b64 s[56:57], s[56:57], exec
	s_and_saveexec_b64 s[60:61], s[58:59]
	s_cbranch_execz .LBB23_2420
.LBB23_2424:                            ;   in Loop: Header=BB23_2421 Depth=2
	s_sleep 1
	s_trap 2
	ds_read_b64 v[4:5], v0
	s_waitcnt lgkmcnt(0)
	s_andn2_b64 s[56:57], s[56:57], exec
	v_cmp_ge_u64_e32 vcc, v[4:5], v[80:81]
	s_orn2_b64 vcc, vcc, exec
	s_branch .LBB23_2420
.LBB23_2425:                            ;   in Loop: Header=BB23_47 Depth=1
	s_or_b64 exec, exec, s[44:45]
	s_and_saveexec_b64 s[44:45], s[46:47]
	s_xor_b64 s[44:45], exec, s[44:45]
	s_cbranch_execz .LBB23_2427
; %bb.2426:                             ;   in Loop: Header=BB23_47 Depth=1
	ds_write_b32 v0, v1
	s_trap 2
.LBB23_2427:                            ;   in Loop: Header=BB23_47 Depth=1
	s_or_b64 exec, exec, s[42:43]
	;;#ASMSTART
	s_wakeup
	;;#ASMEND
.LBB23_2428:                            ;   in Loop: Header=BB23_47 Depth=1
	s_or_b64 exec, exec, s[40:41]
.LBB23_2429:                            ;   in Loop: Header=BB23_47 Depth=1
	s_andn2_saveexec_b64 s[28:29], s[28:29]
	s_cbranch_execz .LBB23_2431
; %bb.2430:                             ;   in Loop: Header=BB23_47 Depth=1
	s_waitcnt lgkmcnt(0)
	s_barrier
.LBB23_2431:                            ;   in Loop: Header=BB23_47 Depth=1
	s_or_b64 exec, exec, s[28:29]
	s_or_b64 exec, exec, s[26:27]
	s_and_saveexec_b64 s[26:27], s[22:23]
	s_xor_b64 s[26:27], exec, s[26:27]
	s_cbranch_execnz .LBB23_2231
.LBB23_2432:                            ;   in Loop: Header=BB23_47 Depth=1
	s_andn2_saveexec_b64 s[24:25], s[26:27]
	s_cbranch_execz .LBB23_2451
.LBB23_2433:                            ;   in Loop: Header=BB23_47 Depth=1
	s_and_saveexec_b64 s[26:27], s[78:79]
	s_xor_b64 s[26:27], exec, s[26:27]
	s_cbranch_execz .LBB23_2448
; %bb.2434:                             ;   in Loop: Header=BB23_47 Depth=1
	s_and_saveexec_b64 s[28:29], s[14:15]
	s_cbranch_execz .LBB23_2447
; %bb.2435:                             ;   in Loop: Header=BB23_47 Depth=1
	s_mov_b64 s[42:43], exec
	v_mbcnt_lo_u32_b32 v2, s42, 0
	v_mbcnt_hi_u32_b32 v2, s43, v2
	v_cmp_eq_u32_e32 vcc, 0, v2
	;;#ASMSTART
	s_waitcnt lgkmcnt(0) vmcnt(0)
	;;#ASMEND
	s_and_saveexec_b64 s[40:41], vcc
	s_cbranch_execz .LBB23_2437
; %bb.2436:                             ;   in Loop: Header=BB23_47 Depth=1
	s_bcnt1_i32_b64 s42, s[42:43]
	v_mov_b32_e32 v2, s42
	s_waitcnt lgkmcnt(0)
	ds_add_u64 v0, v[2:3]
	s_trap 2
.LBB23_2437:                            ;   in Loop: Header=BB23_47 Depth=1
	s_or_b64 exec, exec, s[40:41]
	s_trap 2
	ds_read_b64 v[4:5], v0
	s_waitcnt lgkmcnt(0)
	v_lshl_add_u64 v[80:81], v[80:81], 0, v[84:85]
	v_cmp_lt_u64_e32 vcc, v[4:5], v[80:81]
	s_and_saveexec_b64 s[40:41], vcc
	s_cbranch_execz .LBB23_2446
; %bb.2438:                             ;   in Loop: Header=BB23_47 Depth=1
	s_mov_b32 s76, 0
	s_mov_b64 s[42:43], 0
                                        ; implicit-def: $sgpr44_sgpr45
                                        ; implicit-def: $sgpr46_sgpr47
	s_branch .LBB23_2440
.LBB23_2439:                            ;   in Loop: Header=BB23_2440 Depth=2
	s_or_b64 exec, exec, s[58:59]
	s_and_b64 s[56:57], exec, s[60:61]
	s_or_b64 s[42:43], s[56:57], s[42:43]
	s_andn2_b64 s[44:45], s[44:45], exec
	s_and_b64 s[56:57], s[46:47], exec
	s_or_b64 s[44:45], s[44:45], s[56:57]
	s_andn2_b64 exec, exec, s[42:43]
	s_cbranch_execz .LBB23_2444
.LBB23_2440:                            ;   Parent Loop BB23_47 Depth=1
                                        ; =>  This Inner Loop Header: Depth=2
	s_add_i32 s76, s76, 1
	s_cmpk_lg_i32 s76, 0x2710
	s_cselect_b64 s[56:57], -1, 0
	s_and_b64 vcc, exec, s[56:57]
	s_cbranch_vccz .LBB23_2442
; %bb.2441:                             ;   in Loop: Header=BB23_2440 Depth=2
	s_mov_b64 s[60:61], -1
	s_or_b64 s[46:47], s[46:47], exec
	s_and_saveexec_b64 s[58:59], s[56:57]
	s_cbranch_execz .LBB23_2439
	s_branch .LBB23_2443
.LBB23_2442:                            ;   in Loop: Header=BB23_2440 Depth=2
	s_trap 2
	ds_read_b64 v[4:5], v0
	s_andn2_b64 s[56:57], s[56:57], exec
	s_mov_b32 s76, 0
	s_waitcnt vmcnt(0) lgkmcnt(0)
	flat_load_dword v2, v[4:5] sc0 sc1
	s_waitcnt vmcnt(0) lgkmcnt(0)
	buffer_inv sc0 sc1
	v_cmp_eq_u32_e32 vcc, 0, v2
	s_and_b64 s[58:59], vcc, exec
	s_or_b64 s[56:57], s[56:57], s[58:59]
	s_mov_b64 s[60:61], -1
	s_or_b64 s[46:47], s[46:47], exec
	s_and_saveexec_b64 s[58:59], s[56:57]
	s_cbranch_execz .LBB23_2439
.LBB23_2443:                            ;   in Loop: Header=BB23_2440 Depth=2
	s_sleep 1
	s_trap 2
	ds_read_b64 v[4:5], v0
	s_waitcnt lgkmcnt(0)
	s_andn2_b64 s[46:47], s[46:47], exec
	v_cmp_ge_u64_e32 vcc, v[4:5], v[80:81]
	s_orn2_b64 s[60:61], vcc, exec
	s_branch .LBB23_2439
.LBB23_2444:                            ;   in Loop: Header=BB23_47 Depth=1
	s_or_b64 exec, exec, s[42:43]
	s_and_saveexec_b64 s[42:43], s[44:45]
	s_xor_b64 s[42:43], exec, s[42:43]
	s_cbranch_execz .LBB23_2446
; %bb.2445:                             ;   in Loop: Header=BB23_47 Depth=1
	ds_write_b32 v0, v1
	s_trap 2
.LBB23_2446:                            ;   in Loop: Header=BB23_47 Depth=1
	s_or_b64 exec, exec, s[40:41]
	;;#ASMSTART
	s_wakeup
	;;#ASMEND
.LBB23_2447:                            ;   in Loop: Header=BB23_47 Depth=1
	s_or_b64 exec, exec, s[28:29]
.LBB23_2448:                            ;   in Loop: Header=BB23_47 Depth=1
	s_andn2_saveexec_b64 s[26:27], s[26:27]
	s_cbranch_execz .LBB23_2450
; %bb.2449:                             ;   in Loop: Header=BB23_47 Depth=1
	;;#ASMSTART
	s_waitcnt lgkmcnt(0) vmcnt(0)
	;;#ASMEND
	s_barrier
.LBB23_2450:                            ;   in Loop: Header=BB23_47 Depth=1
	s_or_b64 exec, exec, s[26:27]
.LBB23_2451:                            ;   in Loop: Header=BB23_47 Depth=1
	s_or_b64 exec, exec, s[24:25]
	v_and_b32_e32 v2, 32, v110
	v_cmp_ne_u32_e32 vcc, 0, v2
	s_and_saveexec_b64 s[24:25], vcc
	s_cbranch_execz .LBB23_2453
; %bb.2452:                             ;   in Loop: Header=BB23_47 Depth=1
	v_lshl_add_u64 v[76:77], v[76:77], 0, 4
	flat_store_dwordx2 v[64:65], v[76:77] sc0 sc1
.LBB23_2453:                            ;   in Loop: Header=BB23_47 Depth=1
	s_or_b64 exec, exec, s[24:25]
	v_mov_b32_e32 v14, v106
.LBB23_2454:                            ;   in Loop: Header=BB23_47 Depth=1
	s_or_b64 exec, exec, s[50:51]
	s_mov_b64 s[26:27], exec
	s_waitcnt lgkmcnt(0)
	scratch_load_dwordx4 v[24:27], off, s33 offset:264 ; 16-byte Folded Reload
	scratch_load_dwordx2 v[16:17], off, s33 offset:280 ; 8-byte Folded Reload
	s_and_b64 s[24:25], s[26:27], s[62:63]
	s_mov_b64 exec, s[24:25]
	s_cbranch_execz .LBB23_46
; %bb.2455:                             ;   in Loop: Header=BB23_47 Depth=1
	v_and_b32_e32 v2, 4, v110
	v_cmp_ne_u32_e32 vcc, 0, v2
	s_and_saveexec_b64 s[28:29], vcc
	s_cbranch_execz .LBB23_2465
; %bb.2456:                             ;   in Loop: Header=BB23_47 Depth=1
	v_lshl_add_u64 v[8:9], v[76:77], 0, 4
	s_waitcnt vmcnt(0)
	v_cmp_lt_u64_e32 vcc, v[70:71], v[8:9]
	s_and_saveexec_b64 s[40:41], vcc
	s_cbranch_execz .LBB23_2480
; %bb.2457:                             ;   in Loop: Header=BB23_47 Depth=1
	v_and_b32_e32 v2, 64, v110
	s_mov_b32 s76, 0
	v_cmp_eq_u32_e32 vcc, 0, v2
	s_mov_b64 s[42:43], 0
                                        ; implicit-def: $sgpr44_sgpr45
                                        ; implicit-def: $sgpr46_sgpr47
                                        ; implicit-def: $sgpr56_sgpr57
	s_branch .LBB23_2461
.LBB23_2458:                            ;   in Loop: Header=BB23_2461 Depth=2
	s_waitcnt vmcnt(0) lgkmcnt(0)
	v_cmp_ge_u64_e64 s[24:25], v[70:71], v[8:9]
	s_or_b64 s[62:63], s[62:63], exec
	s_orn2_b64 s[60:61], s[24:25], exec
.LBB23_2459:                            ;   in Loop: Header=BB23_2461 Depth=2
	s_or_b64 exec, exec, s[52:53]
	s_andn2_b64 s[24:25], s[56:57], exec
	s_and_b64 s[56:57], s[62:63], exec
	s_or_b64 s[56:57], s[24:25], s[56:57]
	s_andn2_b64 s[24:25], s[46:47], exec
	s_and_b64 s[46:47], s[60:61], exec
	s_or_b64 s[46:47], s[24:25], s[46:47]
.LBB23_2460:                            ;   in Loop: Header=BB23_2461 Depth=2
	s_or_b64 exec, exec, s[58:59]
	s_and_b64 s[24:25], exec, s[46:47]
	s_or_b64 s[42:43], s[24:25], s[42:43]
	s_andn2_b64 s[24:25], s[44:45], exec
	s_and_b64 s[44:45], s[56:57], exec
	s_or_b64 s[44:45], s[24:25], s[44:45]
	s_andn2_b64 exec, exec, s[42:43]
	s_cbranch_execz .LBB23_2477
.LBB23_2461:                            ;   Parent Loop BB23_47 Depth=1
                                        ; =>  This Inner Loop Header: Depth=2
	s_sleep 1
	s_waitcnt vmcnt(0) lgkmcnt(0)
	flat_load_dwordx2 v[70:71], v[64:65] sc0 sc1
	s_or_b64 s[56:57], s[56:57], exec
	s_or_b64 s[46:47], s[46:47], exec
                                        ; implicit-def: $vgpr2
	s_and_saveexec_b64 s[58:59], vcc
	s_cbranch_execz .LBB23_2460
; %bb.2462:                             ;   in Loop: Header=BB23_2461 Depth=2
	s_cmpk_lt_i32 s76, 0x270f
	s_cselect_b64 s[50:51], -1, 0
	s_cmpk_gt_i32 s76, 0x270e
	s_mov_b64 s[60:61], -1
	s_cbranch_scc0 .LBB23_2464
; %bb.2463:                             ;   in Loop: Header=BB23_2461 Depth=2
	s_trap 2
	ds_read_b64 v[4:5], v0
	s_andn2_b64 s[50:51], s[50:51], exec
	s_mov_b32 s76, 0
	s_mov_b64 s[62:63], 0
	s_waitcnt vmcnt(0) lgkmcnt(0)
	flat_load_dword v2, v[4:5] sc0 sc1
	s_waitcnt vmcnt(0) lgkmcnt(0)
	buffer_inv sc0 sc1
	v_cmp_eq_u32_e64 s[24:25], 0, v2
	s_and_b64 s[24:25], s[24:25], exec
	s_or_b64 s[50:51], s[50:51], s[24:25]
	s_and_saveexec_b64 s[52:53], s[50:51]
	s_cbranch_execz .LBB23_2459
	s_branch .LBB23_2458
.LBB23_2464:                            ;   in Loop: Header=BB23_2461 Depth=2
	s_add_i32 s76, s76, 1
	s_mov_b64 s[62:63], -1
                                        ; implicit-def: $vgpr2
	s_and_saveexec_b64 s[52:53], s[50:51]
	s_cbranch_execz .LBB23_2459
	s_branch .LBB23_2458
.LBB23_2465:                            ;   in Loop: Header=BB23_47 Depth=1
	s_or_b64 exec, exec, s[28:29]
	s_and_saveexec_b64 s[24:25], s[6:7]
	s_cbranch_execz .LBB23_2489
.LBB23_2466:                            ;   in Loop: Header=BB23_47 Depth=1
	s_and_saveexec_b64 s[28:29], s[78:79]
	s_xor_b64 s[28:29], exec, s[28:29]
	s_cbranch_execz .LBB23_2497
; %bb.2467:                             ;   in Loop: Header=BB23_47 Depth=1
	s_and_saveexec_b64 s[40:41], s[14:15]
	s_cbranch_execz .LBB23_2496
; %bb.2468:                             ;   in Loop: Header=BB23_47 Depth=1
	s_mov_b64 s[44:45], exec
	v_mbcnt_lo_u32_b32 v2, s44, 0
	v_mbcnt_hi_u32_b32 v2, s45, v2
	v_cmp_eq_u32_e32 vcc, 0, v2
	s_waitcnt lgkmcnt(0)
	s_and_saveexec_b64 s[42:43], vcc
	s_cbranch_execz .LBB23_2470
; %bb.2469:                             ;   in Loop: Header=BB23_47 Depth=1
	s_bcnt1_i32_b64 s44, s[44:45]
	v_mov_b32_e32 v2, s44
	ds_add_u64 v0, v[2:3]
	s_trap 2
.LBB23_2470:                            ;   in Loop: Header=BB23_47 Depth=1
	s_or_b64 exec, exec, s[42:43]
	s_trap 2
	ds_read_b64 v[4:5], v0
	s_waitcnt lgkmcnt(0)
	v_lshl_add_u64 v[80:81], v[80:81], 0, v[84:85]
	v_cmp_lt_u64_e32 vcc, v[4:5], v[80:81]
	s_and_saveexec_b64 s[42:43], vcc
	s_cbranch_execz .LBB23_2495
; %bb.2471:                             ;   in Loop: Header=BB23_47 Depth=1
	s_mov_b32 s76, 0
	s_mov_b64 s[44:45], 0
                                        ; implicit-def: $sgpr46_sgpr47
                                        ; implicit-def: $sgpr56_sgpr57
	s_branch .LBB23_2473
.LBB23_2472:                            ;   in Loop: Header=BB23_2473 Depth=2
	s_or_b64 exec, exec, s[60:61]
	s_and_b64 s[58:59], exec, s[62:63]
	s_or_b64 s[44:45], s[58:59], s[44:45]
	s_andn2_b64 s[46:47], s[46:47], exec
	s_and_b64 s[58:59], s[56:57], exec
	s_or_b64 s[46:47], s[46:47], s[58:59]
	s_andn2_b64 exec, exec, s[44:45]
	s_cbranch_execz .LBB23_2493
.LBB23_2473:                            ;   Parent Loop BB23_47 Depth=1
                                        ; =>  This Inner Loop Header: Depth=2
	s_add_i32 s76, s76, 1
	s_cmpk_lg_i32 s76, 0x2710
	s_cselect_b64 s[58:59], -1, 0
	s_and_b64 vcc, exec, s[58:59]
	s_cbranch_vccz .LBB23_2475
; %bb.2474:                             ;   in Loop: Header=BB23_2473 Depth=2
	s_mov_b64 s[62:63], -1
	s_or_b64 s[56:57], s[56:57], exec
	s_and_saveexec_b64 s[60:61], s[58:59]
	s_cbranch_execz .LBB23_2472
	s_branch .LBB23_2476
.LBB23_2475:                            ;   in Loop: Header=BB23_2473 Depth=2
	s_trap 2
	ds_read_b64 v[4:5], v0
	s_andn2_b64 s[58:59], s[58:59], exec
	s_mov_b32 s76, 0
	s_waitcnt vmcnt(0) lgkmcnt(0)
	flat_load_dword v2, v[4:5] sc0 sc1
	s_waitcnt vmcnt(0) lgkmcnt(0)
	buffer_inv sc0 sc1
	v_cmp_eq_u32_e32 vcc, 0, v2
	s_and_b64 s[60:61], vcc, exec
	s_or_b64 s[58:59], s[58:59], s[60:61]
	s_mov_b64 s[62:63], -1
	s_or_b64 s[56:57], s[56:57], exec
	s_and_saveexec_b64 s[60:61], s[58:59]
	s_cbranch_execz .LBB23_2472
.LBB23_2476:                            ;   in Loop: Header=BB23_2473 Depth=2
	s_sleep 1
	s_trap 2
	ds_read_b64 v[4:5], v0
	s_waitcnt lgkmcnt(0)
	s_andn2_b64 s[56:57], s[56:57], exec
	v_cmp_ge_u64_e32 vcc, v[4:5], v[80:81]
	s_orn2_b64 s[62:63], vcc, exec
	s_branch .LBB23_2472
.LBB23_2477:                            ;   in Loop: Header=BB23_47 Depth=1
	s_or_b64 exec, exec, s[42:43]
	s_xor_b64 s[24:25], s[44:45], -1
	s_and_saveexec_b64 s[42:43], s[24:25]
	s_xor_b64 s[24:25], exec, s[42:43]
	s_cbranch_execz .LBB23_2479
; %bb.2478:                             ;   in Loop: Header=BB23_47 Depth=1
	v_or_b32_e32 v110, 64, v110
	s_waitcnt lgkmcnt(0)
	ds_write_b32 v0, v2
	s_trap 2
.LBB23_2479:                            ;   in Loop: Header=BB23_47 Depth=1
	s_or_b64 exec, exec, s[24:25]
.LBB23_2480:                            ;   in Loop: Header=BB23_47 Depth=1
	s_or_b64 exec, exec, s[40:41]
	v_and_b32_e32 v2, 0x100, v110
	v_cmp_ne_u32_e32 vcc, 0, v2
	v_and_b32_e32 v2, 7, v76
	s_mov_b64 s[24:25], -1
	;;#ASMSTART
	s_wakeup
	;;#ASMEND
                                        ; implicit-def: $vgpr10_vgpr11
	s_and_saveexec_b64 s[40:41], vcc
	s_cbranch_execz .LBB23_2484
; %bb.2481:                             ;   in Loop: Header=BB23_47 Depth=1
	v_mad_u64_u32 v[12:13], s[24:25], v2, 24, v[6:7]
	flat_load_dword v4, v[12:13]
                                        ; implicit-def: $vgpr10_vgpr11
	s_waitcnt vmcnt(0) lgkmcnt(0)
	v_cmp_ne_u32_e32 vcc, 1, v4
	v_cmp_eq_u32_e64 s[24:25], 1, v4
	s_and_saveexec_b64 s[42:43], s[24:25]
	s_cbranch_execz .LBB23_2483
; %bb.2482:                             ;   in Loop: Header=BB23_47 Depth=1
	flat_load_dword v4, v[12:13] offset:4 sc0 sc1
	s_waitcnt vmcnt(0) lgkmcnt(0)
	v_ashrrev_i32_e32 v5, 31, v4
	v_lshrrev_b64 v[10:11], 1, v[4:5]
.LBB23_2483:                            ;   in Loop: Header=BB23_47 Depth=1
	s_or_b64 exec, exec, s[42:43]
	s_orn2_b64 s[24:25], vcc, exec
.LBB23_2484:                            ;   in Loop: Header=BB23_47 Depth=1
	s_or_b64 exec, exec, s[40:41]
	s_and_saveexec_b64 s[40:41], s[24:25]
; %bb.2485:                             ;   in Loop: Header=BB23_47 Depth=1
	v_mad_i64_i32 v[10:11], s[24:25], v2, v30, 0
; %bb.2486:                             ;   in Loop: Header=BB23_47 Depth=1
	s_or_b64 exec, exec, s[40:41]
	v_and_b32_e32 v2, 0x2000, v110
	v_lshl_add_u64 v[4:5], v[10:11], 1, v[66:67]
	v_cmp_ne_u32_e32 vcc, 0, v2
	ds_write_b64 v0, v[4:5] offset:720
	s_and_saveexec_b64 s[24:25], vcc
	s_cbranch_execz .LBB23_2488
; %bb.2487:                             ;   in Loop: Header=BB23_47 Depth=1
	ds_read_b64 v[4:5], v0 offset:872
	s_waitcnt lgkmcnt(0)
	v_lshl_add_u64 v[4:5], v[4:5], 0, 1
	ds_write_b64 v0, v[4:5] offset:872
.LBB23_2488:                            ;   in Loop: Header=BB23_47 Depth=1
	s_or_b64 exec, exec, s[24:25]
	v_mov_b64_e32 v[76:77], v[8:9]
	s_or_b64 exec, exec, s[28:29]
	s_and_saveexec_b64 s[24:25], s[6:7]
	s_cbranch_execnz .LBB23_2466
.LBB23_2489:                            ;   in Loop: Header=BB23_47 Depth=1
	s_or_b64 exec, exec, s[24:25]
	s_and_saveexec_b64 s[24:25], s[22:23]
	s_xor_b64 s[24:25], exec, s[24:25]
	s_cbranch_execz .LBB23_2500
.LBB23_2490:                            ;   in Loop: Header=BB23_47 Depth=1
	s_trap 2
	ds_read_b32 v2, v0
	v_sub_u32_e32 v4, v53, v14
	v_min_i32_e32 v4, v106, v4
	v_cmp_lt_i32_e32 vcc, 0, v4
	s_waitcnt lgkmcnt(0)
	v_readfirstlane_b32 s28, v2
	s_cmp_eq_u32 s28, 0
	s_cselect_b64 s[28:29], -1, 0
	v_and_b32_e32 v2, 16, v110
	s_and_b64 s[28:29], vcc, s[28:29]
	v_cmp_ne_u32_e32 vcc, 0, v2
	s_and_b64 s[40:41], vcc, s[28:29]
	s_and_saveexec_b64 s[28:29], s[40:41]
	s_cbranch_execz .LBB23_2492
; %bb.2491:                             ;   in Loop: Header=BB23_47 Depth=1
	buffer_wbl2 sc1
	s_waitcnt vmcnt(0)
	buffer_inv sc1
.LBB23_2492:                            ;   in Loop: Header=BB23_47 Depth=1
	s_or_b64 exec, exec, s[28:29]
	s_andn2_saveexec_b64 s[24:25], s[24:25]
	s_cbranch_execz .LBB23_2519
	s_branch .LBB23_2501
.LBB23_2493:                            ;   in Loop: Header=BB23_47 Depth=1
	s_or_b64 exec, exec, s[44:45]
	s_and_saveexec_b64 s[44:45], s[46:47]
	s_xor_b64 s[44:45], exec, s[44:45]
	s_cbranch_execz .LBB23_2495
; %bb.2494:                             ;   in Loop: Header=BB23_47 Depth=1
	ds_write_b32 v0, v1
	s_trap 2
.LBB23_2495:                            ;   in Loop: Header=BB23_47 Depth=1
	s_or_b64 exec, exec, s[42:43]
	;;#ASMSTART
	s_wakeup
	;;#ASMEND
.LBB23_2496:                            ;   in Loop: Header=BB23_47 Depth=1
	s_or_b64 exec, exec, s[40:41]
.LBB23_2497:                            ;   in Loop: Header=BB23_47 Depth=1
	s_andn2_saveexec_b64 s[28:29], s[28:29]
	s_cbranch_execz .LBB23_2499
; %bb.2498:                             ;   in Loop: Header=BB23_47 Depth=1
	s_waitcnt lgkmcnt(0)
	s_barrier
.LBB23_2499:                            ;   in Loop: Header=BB23_47 Depth=1
	s_or_b64 exec, exec, s[28:29]
	s_or_b64 exec, exec, s[24:25]
	s_and_saveexec_b64 s[24:25], s[22:23]
	s_xor_b64 s[24:25], exec, s[24:25]
	s_cbranch_execnz .LBB23_2490
.LBB23_2500:                            ;   in Loop: Header=BB23_47 Depth=1
	s_andn2_saveexec_b64 s[24:25], s[24:25]
	s_cbranch_execz .LBB23_2519
.LBB23_2501:                            ;   in Loop: Header=BB23_47 Depth=1
	s_and_saveexec_b64 s[28:29], s[78:79]
	s_xor_b64 s[28:29], exec, s[28:29]
	s_cbranch_execz .LBB23_2516
; %bb.2502:                             ;   in Loop: Header=BB23_47 Depth=1
	s_and_saveexec_b64 s[40:41], s[14:15]
	s_cbranch_execz .LBB23_2515
; %bb.2503:                             ;   in Loop: Header=BB23_47 Depth=1
	s_mov_b64 s[44:45], exec
	v_mbcnt_lo_u32_b32 v2, s44, 0
	v_mbcnt_hi_u32_b32 v2, s45, v2
	v_cmp_eq_u32_e32 vcc, 0, v2
	;;#ASMSTART
	s_waitcnt lgkmcnt(0) vmcnt(0)
	;;#ASMEND
	s_and_saveexec_b64 s[42:43], vcc
	s_cbranch_execz .LBB23_2505
; %bb.2504:                             ;   in Loop: Header=BB23_47 Depth=1
	s_bcnt1_i32_b64 s44, s[44:45]
	v_mov_b32_e32 v2, s44
	s_waitcnt lgkmcnt(0)
	ds_add_u64 v0, v[2:3]
	s_trap 2
.LBB23_2505:                            ;   in Loop: Header=BB23_47 Depth=1
	s_or_b64 exec, exec, s[42:43]
	s_trap 2
	ds_read_b64 v[4:5], v0
	s_waitcnt lgkmcnt(0)
	v_lshl_add_u64 v[80:81], v[80:81], 0, v[84:85]
	v_cmp_lt_u64_e32 vcc, v[4:5], v[80:81]
	s_and_saveexec_b64 s[42:43], vcc
	s_cbranch_execz .LBB23_2514
; %bb.2506:                             ;   in Loop: Header=BB23_47 Depth=1
	s_mov_b32 s76, 0
	s_mov_b64 s[44:45], 0
                                        ; implicit-def: $sgpr46_sgpr47
                                        ; implicit-def: $sgpr56_sgpr57
	s_branch .LBB23_2508
.LBB23_2507:                            ;   in Loop: Header=BB23_2508 Depth=2
	s_or_b64 exec, exec, s[60:61]
	s_and_b64 s[58:59], exec, s[62:63]
	s_or_b64 s[44:45], s[58:59], s[44:45]
	s_andn2_b64 s[46:47], s[46:47], exec
	s_and_b64 s[58:59], s[56:57], exec
	s_or_b64 s[46:47], s[46:47], s[58:59]
	s_andn2_b64 exec, exec, s[44:45]
	s_cbranch_execz .LBB23_2512
.LBB23_2508:                            ;   Parent Loop BB23_47 Depth=1
                                        ; =>  This Inner Loop Header: Depth=2
	s_add_i32 s76, s76, 1
	s_cmpk_lg_i32 s76, 0x2710
	s_cselect_b64 s[58:59], -1, 0
	s_and_b64 vcc, exec, s[58:59]
	s_cbranch_vccz .LBB23_2510
; %bb.2509:                             ;   in Loop: Header=BB23_2508 Depth=2
	s_mov_b64 s[62:63], -1
	s_or_b64 s[56:57], s[56:57], exec
	s_and_saveexec_b64 s[60:61], s[58:59]
	s_cbranch_execz .LBB23_2507
	s_branch .LBB23_2511
.LBB23_2510:                            ;   in Loop: Header=BB23_2508 Depth=2
	s_trap 2
	ds_read_b64 v[4:5], v0
	s_andn2_b64 s[58:59], s[58:59], exec
	s_mov_b32 s76, 0
	s_waitcnt vmcnt(0) lgkmcnt(0)
	flat_load_dword v2, v[4:5] sc0 sc1
	s_waitcnt vmcnt(0) lgkmcnt(0)
	buffer_inv sc0 sc1
	v_cmp_eq_u32_e32 vcc, 0, v2
	s_and_b64 s[60:61], vcc, exec
	s_or_b64 s[58:59], s[58:59], s[60:61]
	s_mov_b64 s[62:63], -1
	s_or_b64 s[56:57], s[56:57], exec
	s_and_saveexec_b64 s[60:61], s[58:59]
	s_cbranch_execz .LBB23_2507
.LBB23_2511:                            ;   in Loop: Header=BB23_2508 Depth=2
	s_sleep 1
	s_trap 2
	ds_read_b64 v[4:5], v0
	s_waitcnt lgkmcnt(0)
	s_andn2_b64 s[56:57], s[56:57], exec
	v_cmp_ge_u64_e32 vcc, v[4:5], v[80:81]
	s_orn2_b64 s[62:63], vcc, exec
	s_branch .LBB23_2507
.LBB23_2512:                            ;   in Loop: Header=BB23_47 Depth=1
	s_or_b64 exec, exec, s[44:45]
	s_and_saveexec_b64 s[44:45], s[46:47]
	s_xor_b64 s[44:45], exec, s[44:45]
	s_cbranch_execz .LBB23_2514
; %bb.2513:                             ;   in Loop: Header=BB23_47 Depth=1
	ds_write_b32 v0, v1
	s_trap 2
.LBB23_2514:                            ;   in Loop: Header=BB23_47 Depth=1
	s_or_b64 exec, exec, s[42:43]
	;;#ASMSTART
	s_wakeup
	;;#ASMEND
.LBB23_2515:                            ;   in Loop: Header=BB23_47 Depth=1
	s_or_b64 exec, exec, s[40:41]
.LBB23_2516:                            ;   in Loop: Header=BB23_47 Depth=1
	s_andn2_saveexec_b64 s[28:29], s[28:29]
	s_cbranch_execz .LBB23_2518
; %bb.2517:                             ;   in Loop: Header=BB23_47 Depth=1
	;;#ASMSTART
	s_waitcnt lgkmcnt(0) vmcnt(0)
	;;#ASMEND
	s_barrier
.LBB23_2518:                            ;   in Loop: Header=BB23_47 Depth=1
	s_or_b64 exec, exec, s[28:29]
.LBB23_2519:                            ;   in Loop: Header=BB23_47 Depth=1
	s_or_b64 exec, exec, s[24:25]
	v_and_b32_e32 v2, 32, v110
	v_cmp_ne_u32_e32 vcc, 0, v2
	s_and_saveexec_b64 s[24:25], vcc
	s_cbranch_execz .LBB23_45
; %bb.2520:                             ;   in Loop: Header=BB23_47 Depth=1
	v_lshl_add_u64 v[76:77], v[76:77], 0, 4
	flat_store_dwordx2 v[64:65], v[76:77] sc0 sc1
	s_branch .LBB23_45
.LBB23_2521:
	s_or_b64 exec, exec, s[94:95]
	scratch_load_dword v21, off, s33 offset:312 ; 4-byte Folded Reload
	scratch_load_dword v31, off, s33 offset:316 ; 4-byte Folded Reload
	;; [unrolled: 1-line block ×3, first 2 shown]
	v_readlane_b32 s24, v126, 2
	v_readlane_b32 s25, v126, 3
.LBB23_2522:
	v_readlane_b32 s0, v126, 0
	v_readlane_b32 s1, v126, 1
	s_or_b64 exec, exec, s[0:1]
	v_and_b32_e32 v0, 0x800, v110
	v_cmp_eq_u32_e32 vcc, 0, v0
	s_and_saveexec_b64 s[2:3], vcc
	s_cbranch_execz .LBB23_2555
; %bb.2523:
	v_and_b32_e32 v0, 48, v110
	v_cmp_ne_u32_e32 vcc, 0, v0
	s_and_saveexec_b64 s[0:1], vcc
	s_cbranch_execz .LBB23_2525
; %bb.2524:
	scratch_load_dwordx2 v[0:1], off, s33 offset:304 ; 8-byte Folded Reload
	s_waitcnt vmcnt(0)
	flat_store_dwordx2 v[0:1], v[76:77] offset:104
.LBB23_2525:
	s_or_b64 exec, exec, s[0:1]
	s_movk_i32 s0, 0x88
	v_and_b32_e32 v0, 0x88, v110
	v_cmp_eq_u32_e32 vcc, s0, v0
	s_and_saveexec_b64 s[4:5], vcc
	s_cbranch_execz .LBB23_2535
; %bb.2526:
	v_bitop3_b32 v0, v76, 4, 7 bitop3:0x6c
	v_mad_u64_u32 v[2:3], s[0:1], v0, 24, v[6:7]
	flat_load_dwordx2 v[0:1], v[2:3] offset:8 sc0 sc1
	s_waitcnt vmcnt(0)
	v_and_b32_e32 v4, 64, v110
	v_cmp_eq_u32_e64 s[0:1], 0, v4
	s_mov_b32 s18, 0
	s_waitcnt lgkmcnt(0)
	v_cmp_ne_u64_e32 vcc, -1, v[0:1]
	s_and_b64 s[0:1], vcc, s[0:1]
	s_and_b64 exec, exec, s[0:1]
	s_cbranch_execz .LBB23_2535
; %bb.2527:
	s_mov_b64 s[0:1], 0
                                        ; implicit-def: $sgpr6_sgpr7
                                        ; implicit-def: $sgpr10_sgpr11
	s_branch .LBB23_2530
.LBB23_2528:                            ;   in Loop: Header=BB23_2530 Depth=1
	flat_load_dwordx2 v[4:5], v[2:3] offset:8 sc0 sc1
	s_waitcnt vmcnt(0)
	s_andn2_b64 s[10:11], s[10:11], exec
	s_waitcnt lgkmcnt(0)
	v_cmp_eq_u64_e32 vcc, -1, v[4:5]
	s_orn2_b64 s[14:15], vcc, exec
.LBB23_2529:                            ;   in Loop: Header=BB23_2530 Depth=1
	s_or_b64 exec, exec, s[16:17]
	s_and_b64 s[12:13], exec, s[14:15]
	s_or_b64 s[0:1], s[12:13], s[0:1]
	s_andn2_b64 s[6:7], s[6:7], exec
	s_and_b64 s[12:13], s[10:11], exec
	s_or_b64 s[6:7], s[6:7], s[12:13]
	s_andn2_b64 exec, exec, s[0:1]
	s_cbranch_execz .LBB23_2533
.LBB23_2530:                            ; =>This Inner Loop Header: Depth=1
	s_cmpk_lt_i32 s18, 0x270f
	s_cselect_b64 s[12:13], -1, 0
	s_and_b64 vcc, exec, s[12:13]
	s_cbranch_vccnz .LBB23_2532
; %bb.2531:                             ;   in Loop: Header=BB23_2530 Depth=1
	s_trap 2
	ds_read_b64 v[0:1], v0
	s_andn2_b64 s[12:13], s[12:13], exec
	s_mov_b32 s18, 0
	s_waitcnt lgkmcnt(0)
	flat_load_dword v0, v[0:1] sc0 sc1
	s_waitcnt vmcnt(0) lgkmcnt(0)
	buffer_inv sc0 sc1
	v_cmp_eq_u32_e32 vcc, 0, v0
	s_and_b64 s[14:15], vcc, exec
	s_or_b64 s[12:13], s[12:13], s[14:15]
	s_mov_b64 s[14:15], -1
	s_or_b64 s[10:11], s[10:11], exec
	s_and_saveexec_b64 s[16:17], s[12:13]
	s_cbranch_execz .LBB23_2529
	s_branch .LBB23_2528
.LBB23_2532:                            ;   in Loop: Header=BB23_2530 Depth=1
	s_add_i32 s18, s18, 1
                                        ; implicit-def: $vgpr0
	s_mov_b64 s[14:15], -1
	s_or_b64 s[10:11], s[10:11], exec
	s_and_saveexec_b64 s[16:17], s[12:13]
	s_cbranch_execz .LBB23_2529
	s_branch .LBB23_2528
.LBB23_2533:
	s_or_b64 exec, exec, s[0:1]
	s_and_saveexec_b64 s[0:1], s[6:7]
	s_xor_b64 s[0:1], exec, s[0:1]
	s_cbranch_execz .LBB23_2535
; %bb.2534:
	ds_write_b32 v0, v0
	s_trap 2
.LBB23_2535:
	s_or_b64 exec, exec, s[4:5]
	v_and_b32_e32 v0, 0x2000, v110
	v_cmp_ne_u32_e32 vcc, 0, v0
	s_and_saveexec_b64 s[0:1], vcc
	s_cbranch_execz .LBB23_2537
; %bb.2536:
	scratch_load_dwordx2 v[2:3], off, s33 offset:324 ; 8-byte Folded Reload
	ds_read_b64 v[0:1], v0 offset:872
	s_waitcnt vmcnt(0) lgkmcnt(0)
	flat_store_dwordx2 v[2:3], v[0:1] offset:16
.LBB23_2537:
	s_or_b64 exec, exec, s[0:1]
	s_waitcnt vmcnt(0)
	v_cmp_ne_u32_e32 vcc, 64, v21
	s_and_b64 exec, exec, vcc
	s_cbranch_execz .LBB23_2555
; %bb.2538:
	v_cmp_ne_u32_sdwa s[0:1], v21, v22 src0_sel:DWORD src1_sel:WORD_0
	s_and_saveexec_b64 s[4:5], s[0:1]
	s_xor_b64 s[0:1], exec, s[4:5]
	s_cbranch_execz .LBB23_2553
; %bb.2539:
	v_and_b32_e32 v0, 63, v31
	v_cmp_eq_u32_e32 vcc, 0, v0
	s_and_saveexec_b64 s[4:5], vcc
	s_cbranch_execz .LBB23_2552
; %bb.2540:
	s_mov_b64 s[10:11], exec
	v_mbcnt_lo_u32_b32 v0, s10, 0
	v_mbcnt_hi_u32_b32 v0, s11, v0
	v_cmp_eq_u32_e32 vcc, 0, v0
	s_waitcnt lgkmcnt(0)
	s_and_saveexec_b64 s[6:7], vcc
	s_cbranch_execz .LBB23_2542
; %bb.2541:
	s_bcnt1_i32_b64 s10, s[10:11]
	v_mov_b32_e32 v0, s10
	v_mov_b32_e32 v1, 0
	ds_add_u64 v0, v[0:1]
	s_trap 2
.LBB23_2542:
	s_or_b64 exec, exec, s[6:7]
	s_trap 2
	ds_read_b64 v[2:3], v0
	s_waitcnt lgkmcnt(0)
	v_lshrrev_b32_e32 v0, 6, v21
	v_mov_b32_e32 v1, 0
	v_lshl_add_u64 v[0:1], v[80:81], 0, v[0:1]
	v_cmp_lt_u64_e32 vcc, v[2:3], v[0:1]
	s_and_saveexec_b64 s[6:7], vcc
	s_cbranch_execz .LBB23_2551
; %bb.2543:
	s_mov_b32 s22, 0
	s_mov_b64 s[10:11], 0
                                        ; implicit-def: $sgpr12_sgpr13
                                        ; implicit-def: $sgpr14_sgpr15
	s_branch .LBB23_2545
.LBB23_2544:                            ;   in Loop: Header=BB23_2545 Depth=1
	s_or_b64 exec, exec, s[18:19]
	s_and_b64 s[16:17], exec, s[20:21]
	s_or_b64 s[10:11], s[16:17], s[10:11]
	s_andn2_b64 s[12:13], s[12:13], exec
	s_and_b64 s[16:17], s[14:15], exec
	s_or_b64 s[12:13], s[12:13], s[16:17]
	s_andn2_b64 exec, exec, s[10:11]
	s_cbranch_execz .LBB23_2549
.LBB23_2545:                            ; =>This Inner Loop Header: Depth=1
	s_add_i32 s22, s22, 1
	s_cmpk_lg_i32 s22, 0x2710
	s_cselect_b64 s[16:17], -1, 0
	s_and_b64 vcc, exec, s[16:17]
	s_cbranch_vccz .LBB23_2547
; %bb.2546:                             ;   in Loop: Header=BB23_2545 Depth=1
	s_mov_b64 s[20:21], -1
	s_or_b64 s[14:15], s[14:15], exec
	s_and_saveexec_b64 s[18:19], s[16:17]
	s_cbranch_execz .LBB23_2544
	s_branch .LBB23_2548
.LBB23_2547:                            ;   in Loop: Header=BB23_2545 Depth=1
	s_trap 2
	ds_read_b64 v[2:3], v0
	s_andn2_b64 s[16:17], s[16:17], exec
	s_mov_b32 s22, 0
	s_waitcnt lgkmcnt(0)
	flat_load_dword v2, v[2:3] sc0 sc1
	s_waitcnt vmcnt(0) lgkmcnt(0)
	buffer_inv sc0 sc1
	v_cmp_eq_u32_e32 vcc, 0, v2
	s_and_b64 s[18:19], vcc, exec
	s_or_b64 s[16:17], s[16:17], s[18:19]
	s_mov_b64 s[20:21], -1
	s_or_b64 s[14:15], s[14:15], exec
	s_and_saveexec_b64 s[18:19], s[16:17]
	s_cbranch_execz .LBB23_2544
.LBB23_2548:                            ;   in Loop: Header=BB23_2545 Depth=1
	s_sleep 1
	s_trap 2
	ds_read_b64 v[2:3], v0
	s_waitcnt lgkmcnt(0)
	s_andn2_b64 s[14:15], s[14:15], exec
	v_cmp_ge_u64_e32 vcc, v[2:3], v[0:1]
	s_orn2_b64 s[20:21], vcc, exec
	s_branch .LBB23_2544
.LBB23_2549:
	s_or_b64 exec, exec, s[10:11]
	s_and_saveexec_b64 s[10:11], s[12:13]
	s_xor_b64 s[10:11], exec, s[10:11]
	s_cbranch_execz .LBB23_2551
; %bb.2550:
	v_mov_b32_e32 v0, 1
	ds_write_b32 v0, v0
	s_trap 2
.LBB23_2551:
	s_or_b64 exec, exec, s[6:7]
	;;#ASMSTART
	s_wakeup
	;;#ASMEND
.LBB23_2552:
	s_or_b64 exec, exec, s[4:5]
.LBB23_2553:
	s_andn2_saveexec_b64 s[0:1], s[0:1]
	s_cbranch_execz .LBB23_2555
; %bb.2554:
	s_waitcnt lgkmcnt(0)
	s_barrier
.LBB23_2555:
	s_or_b64 exec, exec, s[2:3]
.LBB23_2556:
	s_andn2_saveexec_b64 s[22:23], s[24:25]
	s_cbranch_execz .LBB23_2558
; %bb.2557:
	s_getpc_b64 s[0:1]
	s_add_u32 s0, s0, __PRETTY_FUNCTION__._ZN10PrimitivesI12hip_bfloat1610FuncMinMaxIS0_E12FanSymmetricILi1EELi0E11ProtoSimpleILi1ELi4ELi1ELi2ELi0ELi0EELi0ELb0ELi0ELi1ELi1EEC2EiiPKiS9_PKvPvmhhhP15ncclDevWorkCollP14ncclDevWorkP2pii@rel32@lo+4
	s_addc_u32 s1, s1, __PRETTY_FUNCTION__._ZN10PrimitivesI12hip_bfloat1610FuncMinMaxIS0_E12FanSymmetricILi1EELi0E11ProtoSimpleILi1ELi4ELi1ELi2ELi0ELi0EELi0ELb0ELi0ELi1ELi1EEC2EiiPKiS9_PKvPvmhhhP15ncclDevWorkCollP14ncclDevWorkP2pii@rel32@hi+12
	s_getpc_b64 s[2:3]
	s_add_u32 s2, s2, __assert_fail@rel32@lo+4
	s_addc_u32 s3, s3, __assert_fail@rel32@hi+12
	v_mov_b32_e32 v0, s0
	v_mov_b32_e32 v1, s1
	s_swappc_b64 s[30:31], s[2:3]
	; divergent unreachable
.LBB23_2558:
	s_or_b64 exec, exec, s[22:23]
	scratch_load_dword v125, off, s33       ; 4-byte Folded Reload
	scratch_load_dword v124, off, s33 offset:4 ; 4-byte Folded Reload
	scratch_load_dword v123, off, s33 offset:8 ; 4-byte Folded Reload
	;; [unrolled: 1-line block ×45, first 2 shown]
	v_readlane_b32 s30, v127, 32
	v_readlane_b32 s31, v127, 33
	;; [unrolled: 1-line block ×34, first 2 shown]
	s_mov_b32 s32, s33
	v_readlane_b32 s0, v127, 34
	s_or_saveexec_b64 s[2:3], -1
	scratch_load_dword v127, off, s33 offset:332 ; 4-byte Folded Reload
	scratch_load_dword v126, off, s33 offset:336 ; 4-byte Folded Reload
	s_mov_b64 exec, s[2:3]
	s_mov_b32 s33, s0
	s_waitcnt vmcnt(0) lgkmcnt(0)
	s_setpc_b64 s[30:31]
.Lfunc_end23:
	.size	_ZN12_GLOBAL__N_17runRingI12hip_bfloat1610FuncMinMaxIS1_E11ProtoSimpleILi1ELi4ELi1ELi2ELi0ELi0EELi0ELi1ELi2ELi1EEEviiP15ncclDevWorkColl, .Lfunc_end23-_ZN12_GLOBAL__N_17runRingI12hip_bfloat1610FuncMinMaxIS1_E11ProtoSimpleILi1ELi4ELi1ELi2ELi0ELi0EELi0ELi1ELi2ELi1EEEviiP15ncclDevWorkColl
                                        ; -- End function
	.set .L_ZN12_GLOBAL__N_17runRingI12hip_bfloat1610FuncMinMaxIS1_E11ProtoSimpleILi1ELi4ELi1ELi2ELi0ELi0EELi0ELi1ELi2ELi1EEEviiP15ncclDevWorkColl.num_vgpr, max(128, .L__assert_fail.num_vgpr)
	.set .L_ZN12_GLOBAL__N_17runRingI12hip_bfloat1610FuncMinMaxIS1_E11ProtoSimpleILi1ELi4ELi1ELi2ELi0ELi0EELi0ELi1ELi2ELi1EEEviiP15ncclDevWorkColl.num_agpr, max(0, .L__assert_fail.num_agpr)
	.set .L_ZN12_GLOBAL__N_17runRingI12hip_bfloat1610FuncMinMaxIS1_E11ProtoSimpleILi1ELi4ELi1ELi2ELi0ELi0EELi0ELi1ELi2ELi1EEEviiP15ncclDevWorkColl.numbered_sgpr, max(98, .L__assert_fail.numbered_sgpr)
	.set .L_ZN12_GLOBAL__N_17runRingI12hip_bfloat1610FuncMinMaxIS1_E11ProtoSimpleILi1ELi4ELi1ELi2ELi0ELi0EELi0ELi1ELi2ELi1EEEviiP15ncclDevWorkColl.num_named_barrier, max(0, .L__assert_fail.num_named_barrier)
	.set .L_ZN12_GLOBAL__N_17runRingI12hip_bfloat1610FuncMinMaxIS1_E11ProtoSimpleILi1ELi4ELi1ELi2ELi0ELi0EELi0ELi1ELi2ELi1EEEviiP15ncclDevWorkColl.private_seg_size, 352+max(.L__assert_fail.private_seg_size)
	.set .L_ZN12_GLOBAL__N_17runRingI12hip_bfloat1610FuncMinMaxIS1_E11ProtoSimpleILi1ELi4ELi1ELi2ELi0ELi0EELi0ELi1ELi2ELi1EEEviiP15ncclDevWorkColl.uses_vcc, or(1, .L__assert_fail.uses_vcc)
	.set .L_ZN12_GLOBAL__N_17runRingI12hip_bfloat1610FuncMinMaxIS1_E11ProtoSimpleILi1ELi4ELi1ELi2ELi0ELi0EELi0ELi1ELi2ELi1EEEviiP15ncclDevWorkColl.uses_flat_scratch, or(0, .L__assert_fail.uses_flat_scratch)
	.set .L_ZN12_GLOBAL__N_17runRingI12hip_bfloat1610FuncMinMaxIS1_E11ProtoSimpleILi1ELi4ELi1ELi2ELi0ELi0EELi0ELi1ELi2ELi1EEEviiP15ncclDevWorkColl.has_dyn_sized_stack, or(0, .L__assert_fail.has_dyn_sized_stack)
	.set .L_ZN12_GLOBAL__N_17runRingI12hip_bfloat1610FuncMinMaxIS1_E11ProtoSimpleILi1ELi4ELi1ELi2ELi0ELi0EELi0ELi1ELi2ELi1EEEviiP15ncclDevWorkColl.has_recursion, or(1, .L__assert_fail.has_recursion)
	.set .L_ZN12_GLOBAL__N_17runRingI12hip_bfloat1610FuncMinMaxIS1_E11ProtoSimpleILi1ELi4ELi1ELi2ELi0ELi0EELi0ELi1ELi2ELi1EEEviiP15ncclDevWorkColl.has_indirect_call, or(0, .L__assert_fail.has_indirect_call)
	.section	.AMDGPU.csdata,"",@progbits
; Function info:
; codeLenInByte = 80992
; TotalNumSgprs: 104
; NumVgprs: 128
; NumAgprs: 0
; TotalNumVgprs: 128
; ScratchSize: 416
; MemoryBound: 1
	.text
	.p2align	2                               ; -- Begin function _ZN12_GLOBAL__N_17runRingI12hip_bfloat1610FuncMinMaxIS1_E11ProtoSimpleILi2ELi2ELi1ELi2ELi0ELi0EELi0ELi1ELi2ELi1EEEviiP15ncclDevWorkColl
	.type	_ZN12_GLOBAL__N_17runRingI12hip_bfloat1610FuncMinMaxIS1_E11ProtoSimpleILi2ELi2ELi1ELi2ELi0ELi0EELi0ELi1ELi2ELi1EEEviiP15ncclDevWorkColl,@function
_ZN12_GLOBAL__N_17runRingI12hip_bfloat1610FuncMinMaxIS1_E11ProtoSimpleILi2ELi2ELi1ELi2ELi0ELi0EELi0ELi1ELi2ELi1EEEviiP15ncclDevWorkColl: ; @_ZN12_GLOBAL__N_17runRingI12hip_bfloat1610FuncMinMaxIS1_E11ProtoSimpleILi2ELi2ELi1ELi2ELi0ELi0EELi0ELi1ELi2ELi1EEEviiP15ncclDevWorkColl
; %bb.0:
	s_waitcnt vmcnt(0) expcnt(0) lgkmcnt(0)
	s_mov_b32 s0, s33
	s_mov_b32 s33, s32
	s_or_saveexec_b64 s[2:3], -1
	scratch_store_dword off, v127, s33 offset:348 ; 4-byte Folded Spill
	scratch_store_dword off, v126, s33 offset:352 ; 4-byte Folded Spill
	s_mov_b64 exec, s[2:3]
	v_writelane_b32 v127, s0, 34
	s_addk_i32 s32, 0x170
	scratch_store_dword off, v40, s33 offset:180 ; 4-byte Folded Spill
	scratch_store_dword off, v41, s33 offset:176 ; 4-byte Folded Spill
	;; [unrolled: 1-line block ×45, first 2 shown]
	scratch_store_dword off, v125, s33      ; 4-byte Folded Spill
	v_writelane_b32 v127, s34, 0
	v_writelane_b32 v127, s35, 1
	;; [unrolled: 1-line block ×33, first 2 shown]
	s_nop 1
	v_writelane_b32 v127, s31, 33
	s_trap 2
	flat_load_dword v5, v[2:3]
	ds_read_b32 v6, v0
	v_mov_b32_e32 v20, v1
                                        ; implicit-def: $vgpr14_vgpr15
                                        ; implicit-def: $vgpr8_vgpr9
                                        ; kill: killed $vgpr8_vgpr9
                                        ; implicit-def: $vgpr22_vgpr23
	s_waitcnt lgkmcnt(0)
	v_readfirstlane_b32 s70, v6
	s_waitcnt vmcnt(0)
	v_cmp_ne_u32_sdwa s[0:1], v6, v5 src0_sel:DWORD src1_sel:BYTE_0
	s_and_saveexec_b64 s[2:3], s[0:1]
	s_xor_b64 s[0:1], exec, s[2:3]
	s_cbranch_execz .LBB24_6
; %bb.1:
	v_not_b32_sdwa v4, v5 dst_sel:DWORD dst_unused:UNUSED_PAD src0_sel:BYTE_0
	v_cmp_ne_u32_sdwa s[2:3], v6, v5 src0_sel:DWORD src1_sel:BYTE_1
                                        ; implicit-def: $vgpr14_vgpr15
                                        ; implicit-def: $vgpr8_vgpr9
                                        ; kill: killed $vgpr8_vgpr9
                                        ; implicit-def: $vgpr22_vgpr23
	s_and_saveexec_b64 s[4:5], s[2:3]
	s_xor_b64 s[2:3], exec, s[4:5]
	s_cbranch_execz .LBB24_3
; %bb.2:
	flat_load_dwordx4 v[8:11], v[2:3] offset:72
	flat_load_dwordx2 v[12:13], v[2:3] offset:96
	v_add_u32_e32 v1, v6, v4
	v_ashrrev_i32_e32 v4, 31, v1
                                        ; implicit-def: $vgpr5
	s_waitcnt vmcnt(0) lgkmcnt(0)
	v_mul_lo_u32 v4, v10, v4
	v_mad_u64_u32 v[6:7], s[4:5], v10, v1, v[8:9]
	v_mul_lo_u32 v1, v11, v1
	v_add3_u32 v7, v1, v7, v4
	v_lshrrev_b64 v[14:15], 13, v[12:13]
	scratch_store_dwordx2 off, v[6:7], s33 offset:288 ; 8-byte Folded Spill
	v_mov_b64_e32 v[22:23], v[10:11]
                                        ; implicit-def: $vgpr4
.LBB24_3:
	s_andn2_saveexec_b64 s[2:3], s[2:3]
	s_cbranch_execz .LBB24_5
; %bb.4:
	flat_load_dwordx4 v[6:9], v[2:3] offset:72
	flat_load_dwordx4 v[22:25], v[2:3] offset:88
	v_add_u32_sdwa v1, v5, v4 dst_sel:DWORD dst_unused:UNUSED_PAD src0_sel:BYTE_1 src1_sel:DWORD
	v_ashrrev_i32_e32 v4, 31, v1
	s_waitcnt vmcnt(0) lgkmcnt(0)
	v_mul_lo_u32 v4, v8, v4
	v_mad_u64_u32 v[6:7], s[4:5], v8, v1, v[6:7]
	v_mul_lo_u32 v1, v9, v1
	v_add3_u32 v7, v1, v7, v4
	v_lshrrev_b32_e32 v14, 2, v25
	scratch_store_dwordx2 off, v[6:7], s33 offset:288 ; 8-byte Folded Spill
.LBB24_5:
	s_or_b64 exec, exec, s[2:3]
.LBB24_6:
	s_andn2_saveexec_b64 s[0:1], s[0:1]
	s_cbranch_execz .LBB24_8
; %bb.7:
	flat_load_dwordx2 v[4:5], v[2:3] offset:96
	flat_load_dwordx2 v[22:23], v[2:3] offset:72
	s_waitcnt vmcnt(0) lgkmcnt(0)
	v_lshlrev_b64 v[14:15], 8, v[4:5]
	v_mov_b64_e32 v[4:5], 0
	scratch_store_dwordx2 off, v[4:5], s33 offset:288 ; 8-byte Folded Spill
.LBB24_8:
	s_or_b64 exec, exec, s[0:1]
	s_trap 2
	ds_read_b64 v[4:5], v0
	s_waitcnt lgkmcnt(0)
	v_cmp_ne_u32_e32 vcc, -1, v4
	s_nop 1
	v_cndmask_b32_e64 v15, 0, 1, vcc
	v_cmp_ne_u32_e32 vcc, -1, v5
	s_nop 1
	v_addc_co_u32_e64 v4, s[0:1], 0, v15, vcc
	v_lshlrev_b32_e32 v1, 1, v4
	v_cmp_le_u32_e64 s[0:1], v1, v20
	s_and_saveexec_b64 s[2:3], s[0:1]
	s_xor_b64 s[2:3], exec, s[2:3]
                                        ; implicit-def: $vgpr126 : SGPR spill to VGPR lane
	v_writelane_b32 v126, s2, 0
	s_nop 1
	v_writelane_b32 v126, s3, 1
	s_cbranch_execz .LBB24_2576
; %bb.9:
	flat_load_dwordx4 v[10:13], v[2:3] offset:16
	flat_load_dwordx2 v[16:17], v[2:3] offset:104
	flat_load_ushort v7, v[2:3] offset:8
	flat_load_dword v6, v[2:3] offset:4
	s_trap 2
	s_load_dword s0, s[8:9], 0x0
	v_mov_b32_e32 v1, 0
	v_mov_b32_e32 v122, 4
	s_waitcnt lgkmcnt(0)
	s_cmp_lt_u32 s12, s0
	s_cselect_b32 s0, 12, 18
	s_add_u32 s0, s8, s0
	s_addc_u32 s1, s9, 0
	global_load_ushort v21, v1, s[0:1]
	ds_read_b32 v1, v0
	v_cmp_ge_u32_e64 s[0:1], v0, v15
	s_waitcnt lgkmcnt(0)
	v_readfirstlane_b32 s20, v1
	s_and_saveexec_b64 s[2:3], s[0:1]
	s_cbranch_execz .LBB24_19
; %bb.10:
	v_cmp_ge_u32_e64 s[0:1], v0, v4
                                        ; implicit-def: $vgpr122
	s_and_saveexec_b64 s[4:5], s[0:1]
	s_xor_b64 s[0:1], exec, s[4:5]
	s_cbranch_execz .LBB24_16
; %bb.11:
	v_cndmask_b32_e64 v1, 0, 1, vcc
	v_sub_u32_e32 v1, v20, v1
	v_cmp_ge_u32_e32 vcc, v0, v1
	s_and_saveexec_b64 s[4:5], vcc
	s_xor_b64 s[4:5], exec, s[4:5]
; %bb.12:
                                        ; implicit-def: $vgpr4
; %bb.13:
	s_or_saveexec_b64 s[4:5], s[4:5]
	v_mov_b32_e32 v122, 16
	s_xor_b64 exec, exec, s[4:5]
; %bb.14:
	v_sub_u32_e32 v1, v20, v4
	v_cmp_lt_i32_e32 vcc, v0, v1
	s_nop 1
	v_cndmask_b32_e64 v122, 32, 0, vcc
; %bb.15:
	s_or_b64 exec, exec, s[4:5]
.LBB24_16:
	s_andn2_saveexec_b64 s[0:1], s[0:1]
; %bb.17:
	v_mov_b32_e32 v122, 8
; %bb.18:
	s_or_b64 exec, exec, s[0:1]
.LBB24_19:
	s_or_b64 exec, exec, s[2:3]
	v_and_b32_e32 v1, 36, v122
	v_cmp_ne_u32_e32 vcc, 0, v1
	v_mov_b32_e32 v8, -1
	s_and_saveexec_b64 s[0:1], vcc
	s_cbranch_execz .LBB24_21
; %bb.20:
	s_trap 2
	ds_read_b32 v8, v0
.LBB24_21:
	s_or_b64 exec, exec, s[0:1]
	v_and_b32_e32 v1, 24, v122
	v_cmp_ne_u32_e64 s[0:1], 0, v1
	s_and_saveexec_b64 s[2:3], s[0:1]
	s_cbranch_execz .LBB24_23
; %bb.22:
	s_trap 2
	s_waitcnt lgkmcnt(0)
	ds_read_b32 v8, v0
.LBB24_23:
	s_or_b64 exec, exec, s[2:3]
	s_waitcnt vmcnt(0)
	v_lshrrev_b64 v[4:5], 31, v[6:7]
                                        ; implicit-def: $vgpr6_vgpr7
	v_and_b32_e32 v4, 3, v4
	v_mov_b64_e32 v[24:25], 0
	s_waitcnt lgkmcnt(0)
	v_ashrrev_i32_e32 v9, 31, v8
                                        ; kill: killed $vgpr6_vgpr7
	v_mov_b64_e32 v[6:7], 0
                                        ; implicit-def: $vgpr30
                                        ; implicit-def: $vgpr76_vgpr77
                                        ; implicit-def: $vgpr66_vgpr67
                                        ; implicit-def: $vgpr80_vgpr81
                                        ; implicit-def: $vgpr64_vgpr65
	s_and_saveexec_b64 s[0:1], vcc
	s_cbranch_execz .LBB24_33
; %bb.24:
	s_trap 2
	ds_read_b64 v[6:7], v0
	v_and_b32_e32 v1, 0xffff, v4
	s_movk_i32 s2, 0xa8
	s_waitcnt lgkmcnt(0)
	v_lshl_add_u64 v[6:7], v[8:9], 3, v[6:7]
	flat_load_dwordx2 v[6:7], v[6:7]
	s_waitcnt vmcnt(0) lgkmcnt(0)
	v_mad_u64_u32 v[18:19], s[2:3], v1, s2, v[6:7]
	flat_load_dword v1, v[18:19] offset:640
                                        ; implicit-def: $vgpr6_vgpr7
                                        ; kill: killed $vgpr6_vgpr7
	s_waitcnt vmcnt(0) lgkmcnt(0)
	v_cmp_eq_u32_e32 vcc, 1, v1
	s_and_saveexec_b64 s[2:3], vcc
	s_cbranch_execz .LBB24_26
; %bb.25:
	flat_load_dwordx2 v[24:25], v[18:19] offset:648
	v_or_b32_e32 v122, 0x2000, v122
	s_waitcnt vmcnt(0) lgkmcnt(0)
	flat_load_dwordx2 v[6:7], v[24:25]
	s_trap 2
	scratch_store_dwordx2 off, v[24:25], s33 offset:340 ; 8-byte Folded Spill
	s_waitcnt vmcnt(0) lgkmcnt(0)
	ds_write_b64 v0, v[6:7]
	flat_load_dwordx2 v[6:7], v[24:25] offset:8
	s_waitcnt vmcnt(0) lgkmcnt(0)
	ds_write_b64 v0, v[6:7]
	flat_load_dwordx2 v[6:7], v[24:25] offset:16
	s_waitcnt vmcnt(0) lgkmcnt(0)
	ds_write_b64 v0, v[6:7]
.LBB24_26:
	s_or_b64 exec, exec, s[2:3]
	flat_load_dwordx2 v[6:7], v[18:19] offset:608
	v_and_b32_e32 v1, 32, v122
	v_cmp_ne_u32_e32 vcc, 0, v1
                                        ; implicit-def: $vgpr64_vgpr65
	s_waitcnt vmcnt(0) lgkmcnt(0)
	v_lshl_add_u64 v[76:77], v[6:7], 0, 3
	v_and_b32_e32 v76, -4, v76
	s_and_saveexec_b64 s[2:3], vcc
	s_cbranch_execz .LBB24_28
; %bb.27:
	flat_load_dwordx2 v[64:65], v[18:19] offset:560
	s_waitcnt vmcnt(0) lgkmcnt(0)
	flat_store_dwordx2 v[64:65], v[76:77] sc0 sc1
.LBB24_28:
	s_or_b64 exec, exec, s[2:3]
	s_mov_b64 s[2:3], 0x1f8
	v_and_b32_e32 v1, 4, v122
	v_lshl_add_u64 v[24:25], v[18:19], 0, s[2:3]
	v_cmp_ne_u32_e32 vcc, 0, v1
	v_mov_b64_e32 v[6:7], 0
                                        ; implicit-def: $vgpr30
                                        ; implicit-def: $vgpr66_vgpr67
                                        ; implicit-def: $vgpr80_vgpr81
	s_and_saveexec_b64 s[2:3], vcc
	s_cbranch_execz .LBB24_32
; %bb.29:
	v_and_b32_e32 v1, 0x800, v122
	v_cmp_eq_u32_e32 vcc, 0, v1
	s_and_saveexec_b64 s[4:5], vcc
	s_cbranch_execz .LBB24_31
; %bb.30:
	s_trap 2
	ds_write_b64 v0, v[24:25]
.LBB24_31:
	s_or_b64 exec, exec, s[4:5]
	flat_load_dwordx2 v[64:65], v[18:19] offset:552
	v_or_b32_e32 v5, 0x100, v122
	s_waitcnt vmcnt(0) lgkmcnt(0)
	flat_load_dwordx2 v[80:81], v[64:65] sc0 sc1
	flat_load_dword v1, v[18:19] offset:576
	flat_load_dwordx2 v[6:7], v[18:19] offset:600
	flat_load_dwordx2 v[66:67], v[18:19] offset:520
	s_waitcnt vmcnt(0) lgkmcnt(0)
	v_ashrrev_i32_e32 v30, 1, v1
	v_cmp_eq_u64_e32 vcc, 0, v[6:7]
	s_nop 1
	v_cndmask_b32_e32 v122, v5, v122, vcc
.LBB24_32:
	s_or_b64 exec, exec, s[2:3]
.LBB24_33:
	s_or_b64 exec, exec, s[0:1]
	v_and_b32_e32 v1, 24, v122
	v_cmp_ne_u32_e32 vcc, 0, v1
                                        ; implicit-def: $vgpr68_vgpr69
	s_and_saveexec_b64 s[0:1], vcc
	s_cbranch_execz .LBB24_41
; %bb.34:
	s_trap 2
	ds_read_b64 v[6:7], v0
	v_and_b32_e32 v1, 0xffff, v4
	s_movk_i32 s2, 0xa8
                                        ; implicit-def: $vgpr68_vgpr69
	s_waitcnt lgkmcnt(0)
	v_lshl_add_u64 v[6:7], v[8:9], 3, v[6:7]
	flat_load_dwordx2 v[6:7], v[6:7]
	s_waitcnt vmcnt(0) lgkmcnt(0)
	v_mad_u64_u32 v[24:25], s[2:3], v1, s2, v[6:7]
	flat_load_dwordx4 v[6:9], v[24:25] offset:96
	v_or_b32_e32 v1, 0x100, v122
	s_waitcnt vmcnt(0) lgkmcnt(0)
	v_cmp_eq_u64_e32 vcc, 0, v[6:7]
	s_nop 1
	v_cndmask_b32_e32 v122, v1, v122, vcc
	v_and_b32_e32 v1, 16, v122
	v_cmp_ne_u32_e32 vcc, 0, v1
	s_and_saveexec_b64 s[2:3], vcc
	s_cbranch_execz .LBB24_36
; %bb.35:
	flat_load_dwordx2 v[64:65], v[24:25] offset:48
	flat_load_dwordx2 v[68:69], v[24:25] offset:120
	;; [unrolled: 1-line block ×3, first 2 shown]
.LBB24_36:
	s_or_b64 exec, exec, s[2:3]
	v_lshl_add_u64 v[76:77], v[8:9], 0, 3
	v_and_b32_e32 v1, 8, v122
	v_and_b32_e32 v76, -4, v76
	v_cmp_ne_u32_e32 vcc, 0, v1
	s_and_saveexec_b64 s[2:3], vcc
	s_cbranch_execz .LBB24_40
; %bb.37:
	v_and_b32_e32 v1, 0x800, v122
	v_cmp_eq_u32_e32 vcc, 0, v1
	s_and_saveexec_b64 s[4:5], vcc
	s_cbranch_execz .LBB24_39
; %bb.38:
	s_trap 2
	ds_write_b64 v0, v[24:25]
.LBB24_39:
	s_or_b64 exec, exec, s[4:5]
	s_waitcnt vmcnt(0) lgkmcnt(0)
	flat_load_dwordx2 v[64:65], v[24:25] offset:56
	s_waitcnt vmcnt(0) lgkmcnt(0)
	flat_load_dwordx2 v[80:81], v[64:65] sc0 sc1
	flat_load_dword v1, v[24:25] offset:72
	flat_load_dwordx2 v[66:67], v[24:25] offset:16
	s_waitcnt vmcnt(0) lgkmcnt(0)
	v_ashrrev_i32_e32 v30, 1, v1
.LBB24_40:
	s_or_b64 exec, exec, s[2:3]
.LBB24_41:
	s_or_b64 exec, exec, s[0:1]
	v_cmp_eq_u32_e64 s[0:1], 0, v0
	s_and_saveexec_b64 s[2:3], s[0:1]
	s_cbranch_execz .LBB24_43
; %bb.42:
	flat_load_dwordx2 v[4:5], v[2:3] offset:32
	v_mov_b32_e32 v8, v12
	v_mov_b32_e32 v9, v13
	ds_write2_b64 v0, v[8:9], v[10:11] offset1:1
	s_trap 2
	s_waitcnt vmcnt(0) lgkmcnt(0)
	ds_write_b64 v0, v[4:5]
	ds_write_b64 v0, v[16:17]
.LBB24_43:
	s_or_b64 exec, exec, s[2:3]
	v_mov_b64_e32 v[70:71], 0
	v_cmp_lt_i64_e32 vcc, 0, v[22:23]
	s_mov_b64 s[2:3], exec
	v_writelane_b32 v126, s2, 2
	s_nop 1
	v_writelane_b32 v126, s3, 3
	s_and_b64 s[2:3], s[2:3], vcc
	s_mov_b64 exec, s[2:3]
	s_cbranch_execz .LBB24_2542
; %bb.44:
	flat_load_dword v4, v[2:3] offset:4
	v_writelane_b32 v126, s8, 4
	s_ashr_i32 s71, s70, 31
	v_and_b32_e32 v2, 0x1fffff00, v14
	v_writelane_b32 v126, s9, 5
	s_ashr_i32 s9, s20, 31
	s_lshr_b32 s9, s9, 29
	s_add_i32 s20, s20, s9
	s_ashr_i32 s21, s20, 4
	s_add_u32 s8, s70, -1
	s_addc_u32 s9, s71, -1
	s_add_i32 s81, s70, s70
	s_not_b32 s22, s70
	s_cmp_gt_i32 s70, 0
	s_cselect_b32 s22, s22, -1
	s_ashr_i32 s20, s20, 31
	s_lshr_b32 s20, s20, 28
	s_add_i32 s82, s22, s81
	s_add_i32 s21, s21, s20
	s_ashr_i32 s83, s82, 31
	s_ashr_i32 s84, s21, 4
	s_cmp_gt_i32 s70, 2
	v_lshrrev_b32_e32 v84, 6, v20
	v_lshlrev_b32_e32 v9, 1, v20
	s_cselect_b64 s[34:35], -1, 0
	s_add_i32 s85, s33, 0xf0
	s_add_i32 s86, s33, 0xd0
	;; [unrolled: 1-line block ×3, first 2 shown]
	v_and_b32_e32 v5, 63, v31
	v_and_b32_e32 v123, 63, v0
	v_mov_b32_e32 v8, 0xfffff000
	v_mad_i64_i32 v[16:17], s[12:13], v2, s70, 0
	v_lshlrev_b32_e32 v100, 10, v84
	v_lshlrev_b32_e32 v125, 7, v84
	;; [unrolled: 1-line block ×3, first 2 shown]
	v_and_b32_e32 v114, 0x7f80, v9
	scratch_store_dword off, v31, s33 offset:320 ; 4-byte Folded Spill
	v_lshrrev_b32_e32 v31, 6, v0
	v_cmp_eq_u32_e64 s[12:13], 0, v5
	v_lshlrev_b32_e32 v5, 4, v123
	v_lshl_add_u32 v8, v84, 12, v8
	v_add_u32_e32 v116, 0xfffffc00, v100
	v_add_u32_e32 v118, 0xffffff80, v125
	;; [unrolled: 1-line block ×4, first 2 shown]
	v_mov_b32_e32 v3, 0
	v_cmp_ge_u32_e32 vcc, v0, v20
	s_mov_b64 s[78:79], 0x1000
	s_mov_b64 s[88:89], 0x400
	;; [unrolled: 1-line block ×4, first 2 shown]
	v_lshl_or_b32 v10, v31, 12, v5
	v_ashrrev_i32_e32 v9, 31, v8
	v_ashrrev_i32_e32 v117, 31, v116
	;; [unrolled: 1-line block ×5, first 2 shown]
	s_mov_b32 s75, 0
	v_ashrrev_i32_e32 v1, 31, v30
	v_cmp_eq_u32_e64 s[2:3], 64, v20
	v_cmp_ne_u32_e64 s[4:5], 64, v20
	v_cmp_ne_u32_sdwa s[76:77], v20, v21 src0_sel:DWORD src1_sel:WORD_0
	s_movk_i32 s80, 0xff80
	s_mov_b64 s[92:93], 0
	s_waitcnt vmcnt(0) lgkmcnt(0)
	v_cmp_eq_u64_e64 s[6:7], 0, v[68:69]
	v_cmp_ne_u64_e64 s[10:11], 0, v[68:69]
	v_mov_b32_e32 v85, v3
	v_cmp_eq_u32_e64 s[14:15], 0, v123
	v_cmp_lt_u32_e64 s[16:17], v123, v15
	v_mov_b32_e32 v11, v3
	v_cmp_le_u32_e64 s[18:19], v123, v15
	v_mov_b32_e32 v103, v3
	v_mov_b32_e32 v113, v3
	v_mov_b32_e32 v101, v3
	v_lshl_or_b32 v102, v31, 11, v5
	v_lshl_add_u64 v[44:45], v[8:9], 0, s[78:79]
	v_lshl_add_u64 v[46:47], v[116:117], 0, s[88:89]
	;; [unrolled: 1-line block ×4, first 2 shown]
	v_and_b32_e32 v4, 1, v4
	v_cmp_eq_u32_e64 s[20:21], 1, v4
	s_xor_b64 s[36:37], s[20:21], -1
	s_cmp_ge_i32 s22, s70
	s_cselect_b32 s23, s70, 0
	s_sub_i32 s87, s22, s23
	v_lshl_add_u64 v[60:61], v[42:43], 0, s[90:91]
	v_mov_b32_e32 v115, v3
	s_ashr_i32 s96, s87, 31
	s_add_i32 s97, s70, -2
	v_or_b32_e32 v4, 0xc00, v10
	v_mov_b32_e32 v5, v3
	v_mov_b64_e32 v[18:19], 0
	s_xor_b64 s[38:39], vcc, -1
	v_mov_b32_e32 v52, 1
	s_movk_i32 s72, 0x108
	s_mov_b32 s73, 0x7f800000
	s_movk_i32 s62, 0x7fff
	s_mov_b32 s63, 0xffff0000
	s_mov_b64 s[48:49], 0x380
	v_mov_b32_e32 v82, v3
	v_mov_b32_e32 v83, v3
	;; [unrolled: 1-line block ×6, first 2 shown]
	v_mov_b64_e32 v[70:71], 0
	v_mov_b64_e32 v[74:75], v[2:3]
	scratch_store_dwordx2 off, v[24:25], s33 offset:332 ; 8-byte Folded Spill
	s_trap 2
	scratch_store_dword off, v21, s33 offset:328 ; 4-byte Folded Spill
	scratch_store_dword off, v20, s33 offset:324 ; 4-byte Folded Spill
	scratch_store_dwordx2 off, v[8:9], s33 offset:264 ; 8-byte Folded Spill
	scratch_store_dwordx2 off, v[10:11], s33 offset:256 ; 8-byte Folded Spill
	scratch_store_dwordx2 off, v[4:5], s33 offset:272 ; 8-byte Folded Spill
	scratch_store_dwordx4 off, v[22:25], s33 offset:296 ; 16-byte Folded Spill
	scratch_store_dwordx2 off, v[16:17], s33 offset:312 ; 8-byte Folded Spill
	s_branch .LBB24_47
.LBB24_45:                              ;   in Loop: Header=BB24_47 Depth=1
	s_or_b64 exec, exec, s[26:27]
.LBB24_46:                              ;   in Loop: Header=BB24_47 Depth=1
	s_or_b64 exec, exec, s[24:25]
	scratch_load_dwordx2 v[16:17], off, s33 offset:312 ; 8-byte Folded Reload
	scratch_load_dwordx2 v[18:19], off, s33 offset:280 ; 8-byte Folded Reload
	scratch_load_dwordx4 v[22:25], off, s33 offset:296 ; 16-byte Folded Reload
	s_waitcnt vmcnt(0)
	v_lshl_add_u64 v[18:19], v[18:19], 0, v[16:17]
	v_cmp_ge_i64_e32 vcc, v[18:19], v[22:23]
	s_or_b64 s[92:93], vcc, s[92:93]
	s_andn2_b64 exec, exec, s[92:93]
	s_cbranch_execz .LBB24_2541
.LBB24_47:                              ; =>This Loop Header: Depth=1
                                        ;     Child Loop BB24_57 Depth 2
                                        ;       Child Loop BB24_65 Depth 3
                                        ;       Child Loop BB24_89 Depth 3
	;; [unrolled: 1-line block ×9, first 2 shown]
                                        ;     Child Loop BB24_228 Depth 2
                                        ;       Child Loop BB24_234 Depth 3
                                        ;       Child Loop BB24_258 Depth 3
	;; [unrolled: 1-line block ×3, first 2 shown]
                                        ;     Child Loop BB24_300 Depth 2
                                        ;       Child Loop BB24_303 Depth 3
                                        ;         Child Loop BB24_311 Depth 4
                                        ;         Child Loop BB24_339 Depth 4
	;; [unrolled: 1-line block ×5, first 2 shown]
                                        ;           Child Loop BB24_592 Depth 5
                                        ;           Child Loop BB24_629 Depth 5
                                        ;         Child Loop BB24_706 Depth 4
                                        ;         Child Loop BB24_813 Depth 4
                                        ;           Child Loop BB24_814 Depth 5
                                        ;           Child Loop BB24_823 Depth 5
                                        ;         Child Loop BB24_842 Depth 4
                                        ;         Child Loop BB24_861 Depth 4
                                        ;       Child Loop BB24_880 Depth 3
                                        ;         Child Loop BB24_886 Depth 4
                                        ;         Child Loop BB24_914 Depth 4
	;; [unrolled: 1-line block ×3, first 2 shown]
                                        ;     Child Loop BB24_955 Depth 2
                                        ;       Child Loop BB24_963 Depth 3
                                        ;       Child Loop BB24_991 Depth 3
                                        ;       Child Loop BB24_1010 Depth 3
                                        ;       Child Loop BB24_1294 Depth 3
                                        ;       Child Loop BB24_1427 Depth 3
                                        ;       Child Loop BB24_1465 Depth 3
                                        ;       Child Loop BB24_1534 Depth 3
                                        ;       Child Loop BB24_1036 Depth 3
                                        ;       Child Loop BB24_1168 Depth 3
                                        ;         Child Loop BB24_1201 Depth 4
                                        ;       Child Loop BB24_1209 Depth 3
                                        ;       Child Loop BB24_1277 Depth 3
                                        ;         Child Loop BB24_1282 Depth 4
                                        ;       Child Loop BB24_1546 Depth 3
                                        ;       Child Loop BB24_1569 Depth 3
                                        ;     Child Loop BB24_1587 Depth 2
                                        ;       Child Loop BB24_1593 Depth 3
                                        ;       Child Loop BB24_1621 Depth 3
	;; [unrolled: 1-line block ×3, first 2 shown]
                                        ;     Child Loop BB24_1663 Depth 2
                                        ;       Child Loop BB24_1666 Depth 3
                                        ;         Child Loop BB24_1674 Depth 4
                                        ;         Child Loop BB24_1702 Depth 4
	;; [unrolled: 1-line block ×9, first 2 shown]
                                        ;           Child Loop BB24_1820 Depth 5
                                        ;         Child Loop BB24_1828 Depth 4
                                        ;         Child Loop BB24_1864 Depth 4
                                        ;           Child Loop BB24_1865 Depth 5
                                        ;         Child Loop BB24_2061 Depth 4
                                        ;         Child Loop BB24_2080 Depth 4
                                        ;       Child Loop BB24_2098 Depth 3
                                        ;         Child Loop BB24_2104 Depth 4
                                        ;         Child Loop BB24_2132 Depth 4
	;; [unrolled: 1-line block ×3, first 2 shown]
                                        ;     Child Loop BB24_2177 Depth 2
                                        ;       Child Loop BB24_2185 Depth 3
                                        ;       Child Loop BB24_2209 Depth 3
	;; [unrolled: 1-line block ×9, first 2 shown]
                                        ;     Child Loop BB24_2475 Depth 2
                                        ;       Child Loop BB24_2481 Depth 3
                                        ;       Child Loop BB24_2505 Depth 3
	;; [unrolled: 1-line block ×3, first 2 shown]
	v_sub_co_u32_e32 v78, vcc, v22, v18
	s_nop 1
	v_subb_co_u32_e32 v79, vcc, v23, v19, vcc
	v_cmp_lt_i64_e32 vcc, v[78:79], v[16:17]
	s_and_saveexec_b64 s[24:25], vcc
	s_cbranch_execz .LBB24_53
; %bb.48:                               ;   in Loop: Header=BB24_47 Depth=1
	v_lshl_add_u64 v[8:9], s[8:9], 0, v[78:79]
	v_or_b32_e32 v5, s71, v9
	v_mov_b32_e32 v4, v3
	v_cmp_ne_u64_e32 vcc, 0, v[4:5]
                                        ; implicit-def: $vgpr10_vgpr11
	s_and_saveexec_b64 s[22:23], vcc
	s_xor_b64 s[26:27], exec, s[22:23]
	s_cbranch_execz .LBB24_50
; %bb.49:                               ;   in Loop: Header=BB24_47 Depth=1
	s_ashr_i32 s28, s71, 31
	s_add_u32 s22, s70, s28
	s_mov_b32 s29, s28
	s_addc_u32 s23, s71, s28
	s_xor_b64 s[40:41], s[22:23], s[28:29]
	v_cvt_f32_u32_e32 v2, s40
	v_cvt_f32_u32_e32 v4, s41
	s_sub_u32 s29, 0, s40
	s_subb_u32 s42, 0, s41
	v_fmac_f32_e32 v2, 0x4f800000, v4
	v_rcp_f32_e32 v2, v2
	s_nop 0
	v_mul_f32_e32 v2, 0x5f7ffffc, v2
	v_mul_f32_e32 v4, 0x2f800000, v2
	v_trunc_f32_e32 v4, v4
	v_fmac_f32_e32 v2, 0xcf800000, v4
	v_cvt_u32_f32_e32 v4, v4
	v_cvt_u32_f32_e32 v2, v2
	v_readfirstlane_b32 s43, v4
	v_readfirstlane_b32 s22, v2
	s_mul_i32 s23, s29, s43
	s_mul_hi_u32 s45, s29, s22
	s_mul_i32 s44, s42, s22
	s_add_i32 s23, s45, s23
	s_add_i32 s23, s23, s44
	s_mul_i32 s46, s29, s22
	s_mul_i32 s45, s22, s23
	s_mul_hi_u32 s47, s22, s46
	s_mul_hi_u32 s44, s22, s23
	s_add_u32 s45, s47, s45
	s_addc_u32 s44, 0, s44
	s_mul_hi_u32 s56, s43, s46
	s_mul_i32 s46, s43, s46
	s_add_u32 s45, s45, s46
	s_mul_hi_u32 s47, s43, s23
	s_addc_u32 s44, s44, s56
	s_addc_u32 s45, s47, 0
	s_mul_i32 s23, s43, s23
	s_add_u32 s23, s44, s23
	s_addc_u32 s44, 0, s45
	s_add_u32 s45, s22, s23
	s_cselect_b64 s[22:23], -1, 0
	s_cmp_lg_u64 s[22:23], 0
	s_addc_u32 s43, s43, s44
	s_mul_i32 s22, s29, s43
	s_mul_hi_u32 s23, s29, s45
	s_add_i32 s22, s23, s22
	s_mul_i32 s42, s42, s45
	s_add_i32 s22, s22, s42
	s_mul_i32 s29, s29, s45
	s_mul_hi_u32 s42, s43, s29
	s_mul_i32 s44, s43, s29
	s_mul_i32 s47, s45, s22
	s_mul_hi_u32 s29, s45, s29
	s_mul_hi_u32 s46, s45, s22
	s_add_u32 s29, s29, s47
	s_addc_u32 s46, 0, s46
	s_add_u32 s29, s29, s44
	s_mul_hi_u32 s23, s43, s22
	s_addc_u32 s29, s46, s42
	s_addc_u32 s23, s23, 0
	s_mul_i32 s22, s43, s22
	s_add_u32 s22, s29, s22
	s_addc_u32 s29, 0, s23
	s_add_u32 s42, s45, s22
	v_ashrrev_i32_e32 v4, 31, v9
	s_cselect_b64 s[22:23], -1, 0
	v_mov_b32_e32 v5, v4
	s_cmp_lg_u64 s[22:23], 0
	v_lshl_add_u64 v[8:9], v[8:9], 0, v[4:5]
	s_addc_u32 s29, s43, s29
	v_xor_b32_e32 v14, v8, v4
	v_xor_b32_e32 v5, v9, v4
	v_mad_u64_u32 v[8:9], s[22:23], v14, s29, 0
	v_mul_hi_u32 v2, v14, s42
	v_lshl_add_u64 v[8:9], v[2:3], 0, v[8:9]
	v_mad_u64_u32 v[12:13], s[22:23], v5, s42, 0
	v_add_co_u32_e32 v2, vcc, v8, v12
	v_mad_u64_u32 v[10:11], s[22:23], v5, s29, 0
	s_nop 0
	v_addc_co_u32_e32 v2, vcc, v9, v13, vcc
	v_xor_b32_e32 v4, s28, v4
	s_nop 0
	v_addc_co_u32_e32 v11, vcc, 0, v11, vcc
	v_lshl_add_u64 v[8:9], v[2:3], 0, v[10:11]
	v_mul_lo_u32 v2, s41, v8
	v_mul_lo_u32 v12, s40, v9
	v_mad_u64_u32 v[10:11], s[22:23], s40, v8, 0
	v_add3_u32 v2, v11, v12, v2
	v_sub_u32_e32 v11, v5, v2
	v_mov_b32_e32 v12, s41
	v_sub_co_u32_e32 v14, vcc, v14, v10
	s_nop 1
	v_subb_co_u32_e64 v10, s[22:23], v11, v12, vcc
	v_subrev_co_u32_e64 v11, s[22:23], s40, v14
	v_subb_co_u32_e32 v2, vcc, v5, v2, vcc
	s_nop 0
	v_subbrev_co_u32_e64 v10, s[22:23], 0, v10, s[22:23]
	v_cmp_le_u32_e64 s[22:23], s41, v10
	v_cmp_le_u32_e32 vcc, s41, v2
	s_nop 0
	v_cndmask_b32_e64 v12, 0, -1, s[22:23]
	v_cmp_le_u32_e64 s[22:23], s40, v11
	v_cndmask_b32_e64 v5, 0, -1, vcc
	v_cmp_le_u32_e32 vcc, s40, v14
	v_cndmask_b32_e64 v11, 0, -1, s[22:23]
	v_cmp_eq_u32_e64 s[22:23], s41, v10
	s_nop 1
	v_cndmask_b32_e64 v15, v12, v11, s[22:23]
	v_lshl_add_u64 v[10:11], v[8:9], 0, 2
	v_lshl_add_u64 v[12:13], v[8:9], 0, 1
	v_cmp_ne_u32_e64 s[22:23], 0, v15
	s_nop 1
	v_cndmask_b32_e64 v11, v13, v11, s[22:23]
	v_cndmask_b32_e64 v13, 0, -1, vcc
	v_cmp_eq_u32_e32 vcc, s41, v2
	s_nop 1
	v_cndmask_b32_e32 v2, v5, v13, vcc
	v_cmp_ne_u32_e32 vcc, 0, v2
	v_cndmask_b32_e64 v5, v12, v10, s[22:23]
	s_nop 0
	v_cndmask_b32_e32 v5, v8, v5, vcc
	v_cndmask_b32_e32 v2, v9, v11, vcc
	v_xor_b32_e32 v5, v5, v4
	v_xor_b32_e32 v2, v2, v4
	v_sub_co_u32_e32 v10, vcc, v5, v4
                                        ; implicit-def: $vgpr8_vgpr9
	s_nop 1
	v_subb_co_u32_e32 v11, vcc, v2, v4, vcc
.LBB24_50:                              ;   in Loop: Header=BB24_47 Depth=1
	s_andn2_saveexec_b64 s[22:23], s[26:27]
	s_cbranch_execz .LBB24_52
; %bb.51:                               ;   in Loop: Header=BB24_47 Depth=1
	v_cvt_f32_u32_e32 v2, s70
	s_sub_i32 s26, 0, s70
	v_rcp_iflag_f32_e32 v2, v2
	s_nop 0
	v_mul_f32_e32 v2, 0x4f7ffffe, v2
	v_cvt_u32_f32_e32 v2, v2
	v_mul_lo_u32 v4, s26, v2
	v_mul_hi_u32 v4, v2, v4
	v_add_u32_e32 v2, v2, v4
	v_mul_hi_u32 v2, v8, v2
	v_mul_lo_u32 v4, v2, s70
	v_sub_u32_e32 v4, v8, v4
	v_add_u32_e32 v5, 1, v2
	v_subrev_u32_e32 v8, s70, v4
	v_cmp_le_u32_e32 vcc, s70, v4
	s_nop 1
	v_cndmask_b32_e32 v4, v4, v8, vcc
	v_cndmask_b32_e32 v2, v2, v5, vcc
	v_add_u32_e32 v5, 1, v2
	v_cmp_le_u32_e32 vcc, s70, v4
	s_nop 1
	v_cndmask_b32_e32 v2, v2, v5, vcc
	v_mov_b64_e32 v[10:11], v[2:3]
.LBB24_52:                              ;   in Loop: Header=BB24_47 Depth=1
	s_or_b64 exec, exec, s[22:23]
	v_lshl_add_u64 v[74:75], v[10:11], 0, 7
	v_and_b32_e32 v74, -8, v74
.LBB24_53:                              ;   in Loop: Header=BB24_47 Depth=1
	s_or_b64 exec, exec, s[24:25]
	v_mul_lo_u32 v2, v75, s82
	v_mul_lo_u32 v4, v74, s83
	s_waitcnt lgkmcnt(0)
	v_mad_u64_u32 v[94:95], s[22:23], v74, s82, 0
	v_add3_u32 v95, v95, v4, v2
	scratch_load_dwordx2 v[4:5], off, s33 offset:288 ; 8-byte Folded Reload
	v_mov_b32_e32 v2, 0
	v_mov_b32_e32 v92, 0
	scratch_store_dwordx2 off, v[18:19], s33 offset:280 ; 8-byte Folded Spill
	s_waitcnt vmcnt(1)
	v_lshl_add_u64 v[88:89], v[18:19], 0, v[4:5]
	v_sub_co_u32_e32 v4, vcc, v78, v94
	s_nop 1
	v_subb_co_u32_e32 v5, vcc, v79, v95, vcc
	v_cmp_lt_i64_e32 vcc, v[74:75], v[4:5]
	s_nop 1
	v_cndmask_b32_e32 v4, v4, v74, vcc
	v_max_i32_e32 v28, 0, v4
	v_add_u32_e32 v5, 31, v28
	v_ashrrev_i32_e32 v8, 31, v5
	v_lshrrev_b32_e32 v8, 27, v8
	v_add_u32_e32 v5, v5, v8
	v_ashrrev_i32_e32 v5, 5, v5
	v_lshlrev_b32_e32 v5, 4, v5
	v_cmp_lt_i32_e32 vcc, 0, v4
	v_max_i32_e32 v90, s84, v5
	s_and_b64 s[22:23], s[38:39], vcc
	s_and_saveexec_b64 s[24:25], s[22:23]
	s_cbranch_execz .LBB24_224
; %bb.54:                               ;   in Loop: Header=BB24_47 Depth=1
	s_mov_b32 s74, 1
	s_mov_b64 s[28:29], -1
	v_mov_b32_e32 v92, 0
	s_mov_b64 s[26:27], 0
	s_branch .LBB24_57
.LBB24_55:                              ;   in Loop: Header=BB24_57 Depth=2
	s_or_b64 exec, exec, s[40:41]
	v_lshl_add_u64 v[76:77], v[76:77], 0, 2
	flat_store_dwordx2 v[64:65], v[76:77] sc0 sc1
.LBB24_56:                              ;   in Loop: Header=BB24_57 Depth=2
	s_or_b64 exec, exec, s[22:23]
	v_add_u32_e32 v92, v90, v92
	v_cmp_ge_i32_e32 vcc, v92, v28
	s_xor_b64 s[22:23], s[28:29], -1
	s_or_b64 s[22:23], s[22:23], vcc
	s_and_b64 s[22:23], exec, s[22:23]
	s_or_b64 s[26:27], s[22:23], s[26:27]
	s_mov_b64 s[28:29], 0
	v_mov_b32_e32 v2, s74
	s_mov_b32 s74, 2
	s_andn2_b64 exec, exec, s[26:27]
	s_cbranch_execz .LBB24_223
.LBB24_57:                              ;   Parent Loop BB24_47 Depth=1
                                        ; =>  This Loop Header: Depth=2
                                        ;       Child Loop BB24_65 Depth 3
                                        ;       Child Loop BB24_89 Depth 3
                                        ;       Child Loop BB24_108 Depth 3
                                        ;       Child Loop BB24_133 Depth 3
                                        ;       Child Loop BB24_145 Depth 3
                                        ;       Child Loop BB24_161 Depth 3
                                        ;       Child Loop BB24_172 Depth 3
                                        ;       Child Loop BB24_186 Depth 3
                                        ;       Child Loop BB24_210 Depth 3
	s_and_saveexec_b64 s[22:23], s[0:1]
	s_cbranch_execz .LBB24_59
; %bb.58:                               ;   in Loop: Header=BB24_57 Depth=2
	s_trap 2
	ds_read_b64 v[4:5], v0
	v_ashrrev_i32_e32 v93, 31, v92
	s_waitcnt lgkmcnt(0)
	v_lshl_add_u64 v[4:5], v[88:89], 1, v[4:5]
	v_lshl_add_u64 v[4:5], v[94:95], 1, v[4:5]
	;; [unrolled: 1-line block ×3, first 2 shown]
	ds_write_b64 v0, v[4:5]
	ds_write_b64 v0, v[82:83]
.LBB24_59:                              ;   in Loop: Header=BB24_57 Depth=2
	s_or_b64 exec, exec, s[22:23]
	v_sub_u32_e32 v2, v28, v92
	v_min_i32_e32 v90, v90, v2
	v_and_b32_e32 v2, 8, v122
	v_cmp_ne_u32_e32 vcc, 0, v2
	s_and_saveexec_b64 s[40:41], vcc
	s_cbranch_execz .LBB24_81
; %bb.60:                               ;   in Loop: Header=BB24_57 Depth=2
	s_waitcnt vmcnt(0)
	v_lshl_add_u64 v[4:5], v[80:81], 0, 8
	v_lshl_add_u64 v[8:9], v[76:77], 0, 2
	v_cmp_lt_u64_e32 vcc, v[4:5], v[8:9]
	s_and_saveexec_b64 s[42:43], vcc
	s_cbranch_execz .LBB24_72
; %bb.61:                               ;   in Loop: Header=BB24_57 Depth=2
	v_and_b32_e32 v2, 64, v122
	s_mov_b32 s30, 0
	v_cmp_eq_u32_e32 vcc, 0, v2
	s_mov_b64 s[44:45], 0
                                        ; implicit-def: $sgpr46_sgpr47
                                        ; implicit-def: $sgpr56_sgpr57
                                        ; implicit-def: $sgpr58_sgpr59
	s_branch .LBB24_65
.LBB24_62:                              ;   in Loop: Header=BB24_65 Depth=3
	s_waitcnt vmcnt(0) lgkmcnt(0)
	v_lshl_add_u64 v[4:5], v[80:81], 0, 8
	v_cmp_ge_u64_e64 s[22:23], v[4:5], v[8:9]
	s_or_b64 s[52:53], s[52:53], exec
	s_orn2_b64 s[50:51], s[22:23], exec
.LBB24_63:                              ;   in Loop: Header=BB24_65 Depth=3
	s_or_b64 exec, exec, s[64:65]
	s_andn2_b64 s[22:23], s[58:59], exec
	s_and_b64 s[58:59], s[52:53], exec
	s_or_b64 s[58:59], s[22:23], s[58:59]
	s_andn2_b64 s[22:23], s[56:57], exec
	s_and_b64 s[56:57], s[50:51], exec
	s_or_b64 s[56:57], s[22:23], s[56:57]
.LBB24_64:                              ;   in Loop: Header=BB24_65 Depth=3
	s_or_b64 exec, exec, s[60:61]
	s_and_b64 s[22:23], exec, s[56:57]
	s_or_b64 s[44:45], s[22:23], s[44:45]
	s_andn2_b64 s[22:23], s[46:47], exec
	s_and_b64 s[46:47], s[58:59], exec
	s_or_b64 s[46:47], s[22:23], s[46:47]
	s_andn2_b64 exec, exec, s[44:45]
	s_cbranch_execz .LBB24_69
.LBB24_65:                              ;   Parent Loop BB24_47 Depth=1
                                        ;     Parent Loop BB24_57 Depth=2
                                        ; =>    This Inner Loop Header: Depth=3
	s_sleep 1
	s_waitcnt vmcnt(0) lgkmcnt(0)
	flat_load_dwordx2 v[80:81], v[64:65] sc0 sc1
	s_or_b64 s[58:59], s[58:59], exec
	s_or_b64 s[56:57], s[56:57], exec
                                        ; implicit-def: $vgpr2
	s_and_saveexec_b64 s[60:61], vcc
	s_cbranch_execz .LBB24_64
; %bb.66:                               ;   in Loop: Header=BB24_65 Depth=3
	s_cmpk_lt_i32 s30, 0x270f
	s_cselect_b64 s[54:55], -1, 0
	s_cmpk_gt_i32 s30, 0x270e
	s_mov_b64 s[50:51], -1
	s_cbranch_scc0 .LBB24_68
; %bb.67:                               ;   in Loop: Header=BB24_65 Depth=3
	s_trap 2
	ds_read_b64 v[4:5], v0
	s_andn2_b64 s[54:55], s[54:55], exec
	s_mov_b32 s30, 0
	s_mov_b64 s[52:53], 0
	s_waitcnt vmcnt(0) lgkmcnt(0)
	flat_load_dword v2, v[4:5] sc0 sc1
	s_waitcnt vmcnt(0) lgkmcnt(0)
	buffer_inv sc0 sc1
	v_cmp_eq_u32_e64 s[22:23], 0, v2
	s_and_b64 s[22:23], s[22:23], exec
	s_or_b64 s[54:55], s[54:55], s[22:23]
	s_and_saveexec_b64 s[64:65], s[54:55]
	s_cbranch_execz .LBB24_63
	s_branch .LBB24_62
.LBB24_68:                              ;   in Loop: Header=BB24_65 Depth=3
	s_add_i32 s30, s30, 1
	s_mov_b64 s[52:53], -1
                                        ; implicit-def: $vgpr2
	s_and_saveexec_b64 s[64:65], s[54:55]
	s_cbranch_execz .LBB24_63
	s_branch .LBB24_62
.LBB24_69:                              ;   in Loop: Header=BB24_57 Depth=2
	s_or_b64 exec, exec, s[44:45]
	s_xor_b64 s[22:23], s[46:47], -1
	s_and_saveexec_b64 s[44:45], s[22:23]
	s_xor_b64 s[22:23], exec, s[44:45]
	s_cbranch_execz .LBB24_71
; %bb.70:                               ;   in Loop: Header=BB24_57 Depth=2
	v_or_b32_e32 v122, 64, v122
	s_waitcnt lgkmcnt(0)
	ds_write_b32 v0, v2
	s_trap 2
.LBB24_71:                              ;   in Loop: Header=BB24_57 Depth=2
	s_or_b64 exec, exec, s[22:23]
.LBB24_72:                              ;   in Loop: Header=BB24_57 Depth=2
	s_or_b64 exec, exec, s[42:43]
	v_and_b32_e32 v2, 0x100, v122
	v_cmp_ne_u32_e32 vcc, 0, v2
	v_and_b32_e32 v2, 7, v76
	s_mov_b64 s[22:23], -1
	;;#ASMSTART
	s_wakeup
	;;#ASMEND
                                        ; implicit-def: $vgpr10_vgpr11
	s_and_saveexec_b64 s[42:43], vcc
	s_cbranch_execz .LBB24_76
; %bb.73:                               ;   in Loop: Header=BB24_57 Depth=2
	v_mad_u64_u32 v[12:13], s[22:23], v2, 24, v[6:7]
	flat_load_dword v10, v[12:13]
	v_ashrrev_i32_e32 v91, 31, v90
	v_lshlrev_b64 v[4:5], 1, v[90:91]
	flat_store_dwordx2 v[12:13], v[4:5] offset:8
	s_waitcnt vmcnt(0) lgkmcnt(0)
	v_cmp_ne_u32_e32 vcc, 1, v10
	v_cmp_eq_u32_e64 s[22:23], 1, v10
                                        ; implicit-def: $vgpr10_vgpr11
	s_and_saveexec_b64 s[44:45], s[22:23]
	s_cbranch_execz .LBB24_75
; %bb.74:                               ;   in Loop: Header=BB24_57 Depth=2
	flat_load_dword v4, v[12:13] offset:4 sc0 sc1
	s_waitcnt vmcnt(0) lgkmcnt(0)
	v_ashrrev_i32_e32 v5, 31, v4
	v_lshrrev_b64 v[10:11], 1, v[4:5]
.LBB24_75:                              ;   in Loop: Header=BB24_57 Depth=2
	s_or_b64 exec, exec, s[44:45]
	s_orn2_b64 s[22:23], vcc, exec
.LBB24_76:                              ;   in Loop: Header=BB24_57 Depth=2
	s_or_b64 exec, exec, s[42:43]
	s_and_saveexec_b64 s[42:43], s[22:23]
; %bb.77:                               ;   in Loop: Header=BB24_57 Depth=2
	v_mad_i64_i32 v[10:11], s[22:23], v2, v30, 0
; %bb.78:                               ;   in Loop: Header=BB24_57 Depth=2
	s_or_b64 exec, exec, s[42:43]
	v_and_b32_e32 v2, 0x2000, v122
	v_lshl_add_u64 v[4:5], v[10:11], 1, v[66:67]
	v_cmp_ne_u32_e32 vcc, 0, v2
	ds_write_b64 v0, v[4:5] offset:784
	s_and_saveexec_b64 s[22:23], vcc
	s_cbranch_execz .LBB24_80
; %bb.79:                               ;   in Loop: Header=BB24_57 Depth=2
	ds_read_b64 v[4:5], v0 offset:872
	s_waitcnt lgkmcnt(0)
	v_lshl_add_u64 v[4:5], v[4:5], 0, 1
	ds_write_b64 v0, v[4:5] offset:872
.LBB24_80:                              ;   in Loop: Header=BB24_57 Depth=2
	s_or_b64 exec, exec, s[22:23]
	v_mov_b64_e32 v[76:77], v[8:9]
.LBB24_81:                              ;   in Loop: Header=BB24_57 Depth=2
	s_or_b64 exec, exec, s[40:41]
	s_and_saveexec_b64 s[22:23], s[4:5]
	s_cbranch_execz .LBB24_100
; %bb.82:                               ;   in Loop: Header=BB24_57 Depth=2
	s_and_saveexec_b64 s[40:41], s[76:77]
	s_xor_b64 s[40:41], exec, s[40:41]
	s_cbranch_execz .LBB24_97
; %bb.83:                               ;   in Loop: Header=BB24_57 Depth=2
	s_and_saveexec_b64 s[42:43], s[12:13]
	s_cbranch_execz .LBB24_96
; %bb.84:                               ;   in Loop: Header=BB24_57 Depth=2
	s_mov_b64 s[46:47], exec
	v_mbcnt_lo_u32_b32 v2, s46, 0
	v_mbcnt_hi_u32_b32 v2, s47, v2
	v_cmp_eq_u32_e32 vcc, 0, v2
	s_waitcnt lgkmcnt(0)
	s_and_saveexec_b64 s[44:45], vcc
	s_cbranch_execz .LBB24_86
; %bb.85:                               ;   in Loop: Header=BB24_57 Depth=2
	s_bcnt1_i32_b64 s46, s[46:47]
	v_mov_b32_e32 v2, s46
	ds_add_u64 v0, v[2:3]
	s_trap 2
.LBB24_86:                              ;   in Loop: Header=BB24_57 Depth=2
	s_or_b64 exec, exec, s[44:45]
	s_trap 2
	ds_read_b64 v[4:5], v0
	s_waitcnt lgkmcnt(0)
	v_lshl_add_u64 v[70:71], v[70:71], 0, v[84:85]
	v_cmp_lt_u64_e32 vcc, v[4:5], v[70:71]
	s_and_saveexec_b64 s[44:45], vcc
	s_cbranch_execz .LBB24_95
; %bb.87:                               ;   in Loop: Header=BB24_57 Depth=2
	s_mov_b32 s30, 0
	s_mov_b64 s[46:47], 0
                                        ; implicit-def: $sgpr56_sgpr57
                                        ; implicit-def: $sgpr58_sgpr59
	s_branch .LBB24_89
.LBB24_88:                              ;   in Loop: Header=BB24_89 Depth=3
	s_or_b64 exec, exec, s[50:51]
	s_and_b64 s[60:61], exec, vcc
	s_or_b64 s[46:47], s[60:61], s[46:47]
	s_andn2_b64 s[56:57], s[56:57], exec
	s_and_b64 s[60:61], s[58:59], exec
	s_or_b64 s[56:57], s[56:57], s[60:61]
	s_andn2_b64 exec, exec, s[46:47]
	s_cbranch_execz .LBB24_93
.LBB24_89:                              ;   Parent Loop BB24_47 Depth=1
                                        ;     Parent Loop BB24_57 Depth=2
                                        ; =>    This Inner Loop Header: Depth=3
	s_add_i32 s30, s30, 1
	s_cmpk_lg_i32 s30, 0x2710
	s_cselect_b64 s[60:61], -1, 0
	s_and_b64 vcc, exec, s[60:61]
	s_cbranch_vccz .LBB24_91
; %bb.90:                               ;   in Loop: Header=BB24_89 Depth=3
	s_mov_b64 vcc, -1
	s_or_b64 s[58:59], s[58:59], exec
	s_and_saveexec_b64 s[50:51], s[60:61]
	s_cbranch_execz .LBB24_88
	s_branch .LBB24_92
.LBB24_91:                              ;   in Loop: Header=BB24_89 Depth=3
	s_trap 2
	ds_read_b64 v[4:5], v0
	s_andn2_b64 s[60:61], s[60:61], exec
	s_mov_b32 s30, 0
	s_waitcnt vmcnt(0) lgkmcnt(0)
	flat_load_dword v2, v[4:5] sc0 sc1
	s_waitcnt vmcnt(0) lgkmcnt(0)
	buffer_inv sc0 sc1
	v_cmp_eq_u32_e32 vcc, 0, v2
	s_and_b64 vcc, vcc, exec
	s_or_b64 s[60:61], s[60:61], vcc
	s_mov_b64 vcc, -1
	s_or_b64 s[58:59], s[58:59], exec
	s_and_saveexec_b64 s[50:51], s[60:61]
	s_cbranch_execz .LBB24_88
.LBB24_92:                              ;   in Loop: Header=BB24_89 Depth=3
	s_sleep 1
	s_trap 2
	ds_read_b64 v[4:5], v0
	s_waitcnt lgkmcnt(0)
	s_andn2_b64 s[58:59], s[58:59], exec
	v_cmp_ge_u64_e32 vcc, v[4:5], v[70:71]
	s_orn2_b64 vcc, vcc, exec
	s_branch .LBB24_88
.LBB24_93:                              ;   in Loop: Header=BB24_57 Depth=2
	s_or_b64 exec, exec, s[46:47]
	s_and_saveexec_b64 s[46:47], s[56:57]
	s_xor_b64 s[46:47], exec, s[46:47]
	s_cbranch_execz .LBB24_95
; %bb.94:                               ;   in Loop: Header=BB24_57 Depth=2
	ds_write_b32 v0, v52
	s_trap 2
.LBB24_95:                              ;   in Loop: Header=BB24_57 Depth=2
	s_or_b64 exec, exec, s[44:45]
	;;#ASMSTART
	s_wakeup
	;;#ASMEND
.LBB24_96:                              ;   in Loop: Header=BB24_57 Depth=2
	s_or_b64 exec, exec, s[42:43]
.LBB24_97:                              ;   in Loop: Header=BB24_57 Depth=2
	s_andn2_saveexec_b64 s[40:41], s[40:41]
	s_cbranch_execz .LBB24_99
; %bb.98:                               ;   in Loop: Header=BB24_57 Depth=2
	s_waitcnt lgkmcnt(0)
	s_barrier
.LBB24_99:                              ;   in Loop: Header=BB24_57 Depth=2
	s_or_b64 exec, exec, s[40:41]
.LBB24_100:                             ;   in Loop: Header=BB24_57 Depth=2
	s_or_b64 exec, exec, s[22:23]
	s_trap 2
	ds_read_b32 v4, v0
	v_and_b32_e32 v2, 0x4000, v122
	v_cmp_ne_u32_e32 vcc, 0, v2
	s_xor_b64 s[22:23], s[2:3], -1
	s_and_b64 s[40:41], s[22:23], vcc
	s_and_saveexec_b64 s[22:23], s[40:41]
	s_cbranch_execz .LBB24_119
; %bb.101:                              ;   in Loop: Header=BB24_57 Depth=2
	s_and_saveexec_b64 s[40:41], s[76:77]
	s_xor_b64 s[40:41], exec, s[40:41]
	s_cbranch_execz .LBB24_116
; %bb.102:                              ;   in Loop: Header=BB24_57 Depth=2
	s_and_saveexec_b64 s[42:43], s[12:13]
	s_cbranch_execz .LBB24_115
; %bb.103:                              ;   in Loop: Header=BB24_57 Depth=2
	s_mov_b64 s[46:47], exec
	v_mbcnt_lo_u32_b32 v2, s46, 0
	v_mbcnt_hi_u32_b32 v2, s47, v2
	v_cmp_eq_u32_e32 vcc, 0, v2
	s_waitcnt lgkmcnt(0)
	s_and_saveexec_b64 s[44:45], vcc
	s_cbranch_execz .LBB24_105
; %bb.104:                              ;   in Loop: Header=BB24_57 Depth=2
	s_bcnt1_i32_b64 s46, s[46:47]
	v_mov_b32_e32 v2, s46
	ds_add_u64 v0, v[2:3]
	s_trap 2
.LBB24_105:                             ;   in Loop: Header=BB24_57 Depth=2
	s_or_b64 exec, exec, s[44:45]
	s_trap 2
	ds_read_b64 v[8:9], v0
	s_waitcnt lgkmcnt(0)
	v_lshl_add_u64 v[70:71], v[70:71], 0, v[84:85]
	v_cmp_lt_u64_e32 vcc, v[8:9], v[70:71]
	s_and_saveexec_b64 s[44:45], vcc
	s_cbranch_execz .LBB24_114
; %bb.106:                              ;   in Loop: Header=BB24_57 Depth=2
	s_mov_b32 s30, 0
	s_mov_b64 s[46:47], 0
                                        ; implicit-def: $sgpr56_sgpr57
                                        ; implicit-def: $sgpr58_sgpr59
	s_branch .LBB24_108
.LBB24_107:                             ;   in Loop: Header=BB24_108 Depth=3
	s_or_b64 exec, exec, s[50:51]
	s_and_b64 s[60:61], exec, vcc
	s_or_b64 s[46:47], s[60:61], s[46:47]
	s_andn2_b64 s[56:57], s[56:57], exec
	s_and_b64 s[60:61], s[58:59], exec
	s_or_b64 s[56:57], s[56:57], s[60:61]
	s_andn2_b64 exec, exec, s[46:47]
	s_cbranch_execz .LBB24_112
.LBB24_108:                             ;   Parent Loop BB24_47 Depth=1
                                        ;     Parent Loop BB24_57 Depth=2
                                        ; =>    This Inner Loop Header: Depth=3
	s_add_i32 s30, s30, 1
	s_cmpk_lg_i32 s30, 0x2710
	s_cselect_b64 s[60:61], -1, 0
	s_and_b64 vcc, exec, s[60:61]
	s_cbranch_vccz .LBB24_110
; %bb.109:                              ;   in Loop: Header=BB24_108 Depth=3
	s_mov_b64 vcc, -1
	s_or_b64 s[58:59], s[58:59], exec
	s_and_saveexec_b64 s[50:51], s[60:61]
	s_cbranch_execz .LBB24_107
	s_branch .LBB24_111
.LBB24_110:                             ;   in Loop: Header=BB24_108 Depth=3
	s_trap 2
	ds_read_b64 v[8:9], v0
	s_andn2_b64 s[60:61], s[60:61], exec
	s_mov_b32 s30, 0
	s_waitcnt vmcnt(0) lgkmcnt(0)
	flat_load_dword v2, v[8:9] sc0 sc1
	s_waitcnt vmcnt(0) lgkmcnt(0)
	buffer_inv sc0 sc1
	v_cmp_eq_u32_e32 vcc, 0, v2
	s_and_b64 vcc, vcc, exec
	s_or_b64 s[60:61], s[60:61], vcc
	s_mov_b64 vcc, -1
	s_or_b64 s[58:59], s[58:59], exec
	s_and_saveexec_b64 s[50:51], s[60:61]
	s_cbranch_execz .LBB24_107
.LBB24_111:                             ;   in Loop: Header=BB24_108 Depth=3
	s_sleep 1
	s_trap 2
	ds_read_b64 v[8:9], v0
	s_waitcnt lgkmcnt(0)
	s_andn2_b64 s[58:59], s[58:59], exec
	v_cmp_ge_u64_e32 vcc, v[8:9], v[70:71]
	s_orn2_b64 vcc, vcc, exec
	s_branch .LBB24_107
.LBB24_112:                             ;   in Loop: Header=BB24_57 Depth=2
	s_or_b64 exec, exec, s[46:47]
	s_and_saveexec_b64 s[46:47], s[56:57]
	s_xor_b64 s[46:47], exec, s[46:47]
	s_cbranch_execz .LBB24_114
; %bb.113:                              ;   in Loop: Header=BB24_57 Depth=2
	ds_write_b32 v0, v52
	s_trap 2
.LBB24_114:                             ;   in Loop: Header=BB24_57 Depth=2
	s_or_b64 exec, exec, s[44:45]
	;;#ASMSTART
	s_wakeup
	;;#ASMEND
.LBB24_115:                             ;   in Loop: Header=BB24_57 Depth=2
	s_or_b64 exec, exec, s[42:43]
.LBB24_116:                             ;   in Loop: Header=BB24_57 Depth=2
	s_andn2_saveexec_b64 s[40:41], s[40:41]
	s_cbranch_execz .LBB24_118
; %bb.117:                              ;   in Loop: Header=BB24_57 Depth=2
	s_waitcnt lgkmcnt(0)
	s_barrier
.LBB24_118:                             ;   in Loop: Header=BB24_57 Depth=2
	s_or_b64 exec, exec, s[40:41]
.LBB24_119:                             ;   in Loop: Header=BB24_57 Depth=2
	s_or_b64 exec, exec, s[22:23]
	s_trap 2
	ds_read_b64 v[104:105], v0
	s_waitcnt lgkmcnt(0)
	v_cmp_eq_u64_e32 vcc, 0, v[104:105]
	s_cbranch_vccnz .LBB24_127
; %bb.120:                              ;   in Loop: Header=BB24_57 Depth=2
	s_trap 2
	ds_read_b64 v[106:107], v0
	s_waitcnt lgkmcnt(0)
	v_cmp_eq_u64_e32 vcc, 0, v[106:107]
	s_cbranch_vccnz .LBB24_127
; %bb.121:                              ;   in Loop: Header=BB24_57 Depth=2
	s_mov_b64 s[40:41], -1
	s_and_saveexec_b64 s[22:23], s[14:15]
	s_cbranch_execz .LBB24_123
; %bb.122:                              ;   in Loop: Header=BB24_57 Depth=2
	ds_read_b32 v2, v0 offset:720
	s_waitcnt lgkmcnt(0)
	v_and_b32_e32 v2, 15, v2
	v_cmp_eq_u32_e32 vcc, 0, v2
	s_orn2_b64 s[40:41], vcc, exec
.LBB24_123:                             ;   in Loop: Header=BB24_57 Depth=2
	s_or_b64 exec, exec, s[22:23]
	s_and_saveexec_b64 s[22:23], s[16:17]
	s_cbranch_execz .LBB24_125
; %bb.124:                              ;   in Loop: Header=BB24_57 Depth=2
	ds_read_b32 v2, v0 offset:784
	s_waitcnt lgkmcnt(0)
	v_and_b32_e32 v2, 15, v2
	v_cmp_eq_u32_e32 vcc, 0, v2
	s_and_b64 s[42:43], s[40:41], vcc
	s_andn2_b64 s[40:41], s[40:41], exec
	s_and_b64 s[42:43], s[42:43], exec
	s_or_b64 s[40:41], s[40:41], s[42:43]
.LBB24_125:                             ;   in Loop: Header=BB24_57 Depth=2
	s_or_b64 exec, exec, s[22:23]
	s_xor_b64 s[40:41], s[40:41], -1
	v_cndmask_b32_e64 v2, 0, 1, s[40:41]
	v_cmp_eq_u32_e64 s[22:23], 0, v4
	s_mov_b64 s[42:43], -1
	v_cmp_ne_u32_e32 vcc, 0, v2
	s_cbranch_vccz .LBB24_128
; %bb.126:                              ;   in Loop: Header=BB24_57 Depth=2
	s_mov_b64 s[42:43], 0
	s_mov_b64 s[40:41], -1
	s_branch .LBB24_129
.LBB24_127:                             ;   in Loop: Header=BB24_57 Depth=2
	s_mov_b64 s[22:23], 0
	s_and_saveexec_b64 s[40:41], s[4:5]
	s_cbranch_execnz .LBB24_179
	s_branch .LBB24_197
.LBB24_128:                             ;   in Loop: Header=BB24_57 Depth=2
	s_mov_b64 s[40:41], 0
.LBB24_129:                             ;   in Loop: Header=BB24_57 Depth=2
	v_cndmask_b32_e64 v2, 0, v90, s[22:23]
	v_lshlrev_b32_e32 v29, 1, v2
	s_andn2_b64 vcc, exec, s[42:43]
	v_mov_b32_e32 v4, 0
	s_cbranch_vccnz .LBB24_137
; %bb.130:                              ;   in Loop: Header=BB24_57 Depth=2
	scratch_load_dwordx2 v[8:9], off, s33 offset:256 ; 8-byte Folded Reload
	v_ashrrev_i32_e32 v4, 31, v29
	v_lshrrev_b32_e32 v4, 20, v4
	v_add_u32_e32 v4, v29, v4
	v_ashrrev_i32_e32 v4, 12, v4
	v_sub_u32_e32 v86, v4, v31
	v_cmp_lt_i32_e32 vcc, 0, v86
	s_mov_b64 s[42:43], 0
                                        ; implicit-def: $vgpr12_vgpr13
                                        ; implicit-def: $vgpr16_vgpr17
                                        ; implicit-def: $vgpr20_vgpr21
	s_waitcnt vmcnt(0)
	v_lshl_add_u64 v[108:109], v[106:107], 0, v[8:9]
                                        ; implicit-def: $vgpr8_vgpr9
	s_and_saveexec_b64 s[22:23], vcc
	s_cbranch_execz .LBB24_139
; %bb.131:                              ;   in Loop: Header=BB24_57 Depth=2
	scratch_load_dwordx2 v[8:9], off, s33 offset:256 ; 8-byte Folded Reload
	s_mov_b64 s[46:47], 0
                                        ; implicit-def: $sgpr44_sgpr45
                                        ; implicit-def: $vgpr12_vgpr13
                                        ; implicit-def: $vgpr16_vgpr17
                                        ; implicit-def: $vgpr20_vgpr21
	s_waitcnt vmcnt(0)
	v_lshl_add_u64 v[110:111], v[104:105], 0, v[8:9]
                                        ; implicit-def: $vgpr8_vgpr9
	s_branch .LBB24_133
.LBB24_132:                             ;   in Loop: Header=BB24_133 Depth=3
	s_or_b64 exec, exec, s[56:57]
	v_sub_u32_e32 v86, v5, v86
	v_cmp_gt_i32_e32 vcc, 1, v86
	s_or_b64 s[42:43], vcc, s[42:43]
	s_waitcnt vmcnt(3)
	global_store_dwordx4 v[108:109], v[24:27], off
	s_waitcnt vmcnt(3)
	global_store_dwordx4 v[108:109], v[32:35], off offset:1024
	s_waitcnt vmcnt(3)
	global_store_dwordx4 v[108:109], v[36:39], off offset:2048
	;; [unrolled: 2-line block ×3, first 2 shown]
	v_lshl_add_u64 v[24:25], v[108:109], 0, v[120:121]
	s_andn2_b64 s[44:45], s[44:45], exec
	s_and_b64 s[56:57], s[46:47], exec
	v_lshl_add_u64 v[108:109], v[24:25], 0, s[78:79]
	v_lshl_add_u64 v[110:111], v[110:111], 0, v[120:121]
	s_or_b64 s[44:45], s[44:45], s[56:57]
	s_andn2_b64 exec, exec, s[42:43]
	s_cbranch_execz .LBB24_138
.LBB24_133:                             ;   Parent Loop BB24_47 Depth=1
                                        ;     Parent Loop BB24_57 Depth=2
                                        ; =>    This Inner Loop Header: Depth=3
	global_load_dwordx4 v[24:27], v[110:111], off nt
	global_load_dwordx4 v[32:35], v[110:111], off offset:1024 nt
	global_load_dwordx4 v[36:39], v[110:111], off offset:2048 nt
	;; [unrolled: 1-line block ×3, first 2 shown]
	s_and_saveexec_b64 s[56:57], s[46:47]
	s_cbranch_execz .LBB24_135
; %bb.134:                              ;   in Loop: Header=BB24_133 Depth=3
	global_store_dwordx4 v[108:109], v[8:11], off
	global_store_dwordx4 v[108:109], v[12:15], off offset:1024
	global_store_dwordx4 v[108:109], v[16:19], off offset:2048
	;; [unrolled: 1-line block ×3, first 2 shown]
	v_lshl_add_u64 v[108:109], v[108:109], 0, v[44:45]
.LBB24_135:                             ;   in Loop: Header=BB24_133 Depth=3
	s_or_b64 exec, exec, s[56:57]
	v_sub_u32_e32 v5, v86, v84
	v_lshl_add_u64 v[110:111], v[110:111], 0, v[44:45]
	v_mov_b32_e32 v86, 0
	v_cmp_lt_i32_e64 s[46:47], 0, v5
	v_mov_b64_e32 v[120:121], 0
	s_and_saveexec_b64 s[56:57], s[46:47]
	s_cbranch_execz .LBB24_132
; %bb.136:                              ;   in Loop: Header=BB24_133 Depth=3
	global_load_dwordx4 v[8:11], v[110:111], off nt
	global_load_dwordx4 v[12:15], v[110:111], off offset:1024 nt
	global_load_dwordx4 v[16:19], v[110:111], off offset:2048 nt
	;; [unrolled: 1-line block ×3, first 2 shown]
	scratch_load_dwordx2 v[120:121], off, s33 offset:264 ; 8-byte Folded Reload
	v_lshl_add_u64 v[110:111], v[110:111], 0, s[78:79]
	v_mov_b32_e32 v86, v84
	s_branch .LBB24_132
.LBB24_137:                             ;   in Loop: Header=BB24_57 Depth=2
	v_mov_b32_e32 v8, v0
	v_mov_b32_e32 v5, v123
	s_and_saveexec_b64 s[22:23], s[40:41]
	s_cbranch_execnz .LBB24_158
	s_branch .LBB24_178
.LBB24_138:                             ;   in Loop: Header=BB24_57 Depth=2
	s_or_b64 exec, exec, s[42:43]
	s_and_b64 s[42:43], s[44:45], exec
.LBB24_139:                             ;   in Loop: Header=BB24_57 Depth=2
	s_or_b64 exec, exec, s[22:23]
	s_and_saveexec_b64 s[22:23], s[42:43]
	s_cbranch_execz .LBB24_141
; %bb.140:                              ;   in Loop: Header=BB24_57 Depth=2
	global_store_dwordx4 v[108:109], v[8:11], off
	global_store_dwordx4 v[108:109], v[12:15], off offset:1024
	global_store_dwordx4 v[108:109], v[16:19], off offset:2048
	;; [unrolled: 1-line block ×3, first 2 shown]
.LBB24_141:                             ;   in Loop: Header=BB24_57 Depth=2
	s_or_b64 exec, exec, s[22:23]
	s_nop 0
	v_lshlrev_b32_e32 v20, 12, v4
	v_cmp_ne_u32_e32 vcc, v29, v20
                                        ; implicit-def: $vgpr4
                                        ; implicit-def: $vgpr8
                                        ; implicit-def: $vgpr5
	s_and_saveexec_b64 s[42:43], vcc
	s_cbranch_execz .LBB24_157
; %bb.142:                              ;   in Loop: Header=BB24_57 Depth=2
	v_lshlrev_b32_e32 v4, 6, v86
	v_sub_u32_e32 v4, v123, v4
	v_ashrrev_i32_e32 v8, 31, v4
	v_lshrrev_b32_e32 v8, 26, v8
	v_add_u32_e32 v8, v4, v8
	v_sub_u32_e32 v5, v29, v20
	v_ashrrev_i32_e32 v9, 6, v8
	v_and_b32_e32 v8, 0xffffffc0, v8
	v_sub_u32_e32 v21, v4, v8
	v_ashrrev_i32_e32 v8, 31, v5
	v_lshrrev_b32_e32 v8, 22, v8
	v_add_u32_e32 v8, v5, v8
	v_lshlrev_b32_e32 v4, 4, v21
	v_and_b32_e32 v22, 0xfffffc00, v8
	v_lshl_add_u32 v4, v9, 10, v4
	v_sub_u32_e32 v24, v5, v22
	v_add_u32_e32 v10, v4, v20
	v_ashrrev_i32_e32 v11, 10, v8
	v_cmp_lt_i32_e32 vcc, 15, v24
	v_sub_u32_e32 v4, v5, v4
	s_mov_b64 s[46:47], 0
	v_addc_co_u32_e64 v5, s[22:23], 0, v11, vcc
	v_ashrrev_i32_e32 v11, 31, v10
	v_sub_u32_e32 v23, v5, v9
	v_lshl_add_u64 v[16:17], v[10:11], 0, v[106:107]
	v_cmp_lt_i32_e64 s[22:23], 15, v4
                                        ; implicit-def: $vgpr8_vgpr9
	s_and_saveexec_b64 s[44:45], s[22:23]
	s_cbranch_execz .LBB24_152
; %bb.143:                              ;   in Loop: Header=BB24_57 Depth=2
	v_lshl_add_u64 v[18:19], v[10:11], 0, v[104:105]
	s_mov_b64 s[58:59], 0
                                        ; implicit-def: $sgpr56_sgpr57
                                        ; implicit-def: $vgpr8_vgpr9
	s_branch .LBB24_145
.LBB24_144:                             ;   in Loop: Header=BB24_145 Depth=3
	s_or_b64 exec, exec, s[22:23]
	v_cmp_gt_i32_e64 s[22:23], 16, v4
	s_or_b64 s[46:47], s[22:23], s[46:47]
	s_andn2_b64 s[22:23], s[56:57], exec
	s_and_b64 s[56:57], s[58:59], exec
	s_or_b64 s[56:57], s[22:23], s[56:57]
	s_andn2_b64 exec, exec, s[46:47]
	s_cbranch_execz .LBB24_151
.LBB24_145:                             ;   Parent Loop BB24_47 Depth=1
                                        ;     Parent Loop BB24_57 Depth=2
                                        ; =>    This Inner Loop Header: Depth=3
	global_load_dwordx4 v[12:15], v[18:19], off nt
	s_and_saveexec_b64 s[22:23], s[58:59]
	s_cbranch_execz .LBB24_147
; %bb.146:                              ;   in Loop: Header=BB24_145 Depth=3
	v_lshl_add_u64 v[26:27], v[16:17], 0, v[46:47]
	global_store_dwordx4 v[16:17], v[8:11], off
	v_mov_b64_e32 v[16:17], v[26:27]
.LBB24_147:                             ;   in Loop: Header=BB24_145 Depth=3
	s_or_b64 exec, exec, s[22:23]
	v_sub_u32_e32 v4, v4, v100
	v_lshl_add_u64 v[18:19], v[18:19], 0, v[46:47]
	v_cmp_lt_i32_e64 s[58:59], 15, v4
	s_and_saveexec_b64 s[22:23], s[58:59]
	s_cbranch_execz .LBB24_149
; %bb.148:                              ;   in Loop: Header=BB24_145 Depth=3
	global_load_dwordx4 v[8:11], v[18:19], off nt
	v_lshl_add_u64 v[18:19], v[18:19], 0, s[88:89]
.LBB24_149:                             ;   in Loop: Header=BB24_145 Depth=3
	s_or_b64 exec, exec, s[22:23]
	v_sub_u32_e32 v23, v23, v84
	s_waitcnt vmcnt(0)
	global_store_dwordx4 v[16:17], v[12:15], off
	v_lshl_add_u64 v[16:17], v[16:17], 0, s[88:89]
	s_and_saveexec_b64 s[22:23], s[58:59]
	s_cbranch_execz .LBB24_144
; %bb.150:                              ;   in Loop: Header=BB24_145 Depth=3
	v_sub_u32_e32 v23, v23, v84
	v_sub_u32_e32 v4, v4, v100
	v_lshl_add_u64 v[18:19], v[18:19], 0, v[116:117]
	v_lshl_add_u64 v[16:17], v[16:17], 0, v[116:117]
	s_branch .LBB24_144
.LBB24_151:                             ;   in Loop: Header=BB24_57 Depth=2
	s_or_b64 exec, exec, s[46:47]
	s_and_b64 s[46:47], s[56:57], exec
.LBB24_152:                             ;   in Loop: Header=BB24_57 Depth=2
	s_or_b64 exec, exec, s[44:45]
	s_and_saveexec_b64 s[22:23], s[46:47]
	s_cbranch_execz .LBB24_154
; %bb.153:                              ;   in Loop: Header=BB24_57 Depth=2
	global_store_dwordx4 v[16:17], v[8:11], off
.LBB24_154:                             ;   in Loop: Header=BB24_57 Depth=2
	s_or_b64 exec, exec, s[22:23]
	s_nop 0
	v_and_b32_e32 v9, 14, v29
	v_cndmask_b32_e32 v29, v24, v9, vcc
	v_cmp_ne_u32_e64 s[22:23], 0, v29
	s_mov_b64 s[46:47], s[40:41]
                                        ; implicit-def: $vgpr4
                                        ; implicit-def: $vgpr8
                                        ; implicit-def: $vgpr5
	s_and_saveexec_b64 s[44:45], s[22:23]
	s_cbranch_execz .LBB24_156
; %bb.155:                              ;   in Loop: Header=BB24_57 Depth=2
	v_sub_u32_e32 v4, v24, v9
	v_cndmask_b32_e32 v4, 0, v4, vcc
	v_cmp_lt_i32_e32 vcc, 0, v23
	v_add3_u32 v4, v22, v20, v4
	s_or_b64 s[46:47], s[40:41], exec
	v_cndmask_b32_e32 v5, 0, v84, vcc
	v_sub_u32_e32 v5, v5, v23
	v_lshl_add_u32 v8, v5, 6, v21
	v_ashrrev_i32_e32 v5, 31, v8
	v_lshrrev_b32_e32 v5, 26, v5
	v_add_u32_e32 v5, v8, v5
	v_and_b32_e32 v5, 0xffffffc0, v5
	v_sub_u32_e32 v5, v8, v5
.LBB24_156:                             ;   in Loop: Header=BB24_57 Depth=2
	s_or_b64 exec, exec, s[44:45]
	s_andn2_b64 s[22:23], s[40:41], exec
	s_and_b64 s[40:41], s[46:47], exec
	s_or_b64 s[40:41], s[22:23], s[40:41]
.LBB24_157:                             ;   in Loop: Header=BB24_57 Depth=2
	s_or_b64 exec, exec, s[42:43]
	s_and_saveexec_b64 s[22:23], s[40:41]
	s_cbranch_execz .LBB24_178
.LBB24_158:                             ;   in Loop: Header=BB24_57 Depth=2
	v_ashrrev_i32_e32 v9, 31, v8
	v_lshrrev_b32_e32 v9, 26, v9
	v_add_u32_e32 v8, v8, v9
	v_ashrrev_i32_e32 v8, 6, v8
	v_lshlrev_b32_e32 v9, 10, v8
	v_lshlrev_b32_e32 v10, 1, v5
	v_add3_u32 v10, v4, v10, v9
	v_ashrrev_i32_e32 v9, 31, v29
	v_lshrrev_b32_e32 v9, 22, v9
	v_add_u32_e32 v9, v29, v9
	v_ashrrev_i32_e32 v14, 10, v9
	v_sub_u32_e32 v12, v14, v8
	v_ashrrev_i32_e32 v11, 31, v10
	v_lshl_add_u64 v[8:9], v[106:107], 0, v[10:11]
	v_cmp_lt_i32_e32 vcc, 0, v12
	s_mov_b64 s[42:43], 0
                                        ; implicit-def: $vgpr15
                                        ; implicit-def: $vgpr16
                                        ; implicit-def: $vgpr17
                                        ; implicit-def: $vgpr18
                                        ; implicit-def: $vgpr19
                                        ; implicit-def: $vgpr20
                                        ; implicit-def: $vgpr21
                                        ; implicit-def: $vgpr22
	s_and_saveexec_b64 s[40:41], vcc
	s_cbranch_execz .LBB24_166
; %bb.159:                              ;   in Loop: Header=BB24_57 Depth=2
	v_lshl_add_u64 v[10:11], v[10:11], 0, v[104:105]
	s_mov_b64 s[46:47], 0
                                        ; implicit-def: $sgpr44_sgpr45
                                        ; implicit-def: $vgpr15
                                        ; implicit-def: $vgpr16
                                        ; implicit-def: $vgpr17
                                        ; implicit-def: $vgpr18
                                        ; implicit-def: $vgpr19
                                        ; implicit-def: $vgpr20
                                        ; implicit-def: $vgpr21
                                        ; implicit-def: $vgpr22
	s_branch .LBB24_161
.LBB24_160:                             ;   in Loop: Header=BB24_161 Depth=3
	s_or_b64 exec, exec, s[56:57]
	s_waitcnt vmcnt(0) lgkmcnt(0)
	flat_store_short v[8:9], v23 nt
	flat_store_short v[8:9], v24 offset:128 nt
	flat_store_short v[8:9], v25 offset:256 nt
	;; [unrolled: 1-line block ×7, first 2 shown]
	v_lshl_add_u64 v[8:9], v[8:9], 0, v[12:13]
	v_lshl_add_u64 v[10:11], v[10:11], 0, v[12:13]
	v_sub_u32_e32 v12, v35, v36
	v_cmp_gt_i32_e32 vcc, 1, v12
	s_or_b64 s[42:43], vcc, s[42:43]
	s_andn2_b64 s[44:45], s[44:45], exec
	s_and_b64 s[56:57], s[46:47], exec
	v_lshl_add_u64 v[8:9], v[8:9], 0, s[88:89]
	s_or_b64 s[44:45], s[44:45], s[56:57]
	s_andn2_b64 exec, exec, s[42:43]
	s_cbranch_execz .LBB24_165
.LBB24_161:                             ;   Parent Loop BB24_47 Depth=1
                                        ;     Parent Loop BB24_57 Depth=2
                                        ; =>    This Inner Loop Header: Depth=3
	flat_load_ushort v23, v[10:11] nt
	flat_load_ushort v24, v[10:11] offset:128 nt
	flat_load_ushort v25, v[10:11] offset:256 nt
	flat_load_ushort v26, v[10:11] offset:384 nt
	flat_load_ushort v27, v[10:11] offset:512 nt
	flat_load_ushort v32, v[10:11] offset:640 nt
	flat_load_ushort v33, v[10:11] offset:768 nt
	flat_load_ushort v34, v[10:11] offset:896 nt
	s_and_saveexec_b64 s[56:57], s[46:47]
	s_cbranch_execz .LBB24_163
; %bb.162:                              ;   in Loop: Header=BB24_161 Depth=3
	flat_store_short v[8:9], v15 nt
	flat_store_short v[8:9], v16 offset:128 nt
	flat_store_short v[8:9], v17 offset:256 nt
	;; [unrolled: 1-line block ×7, first 2 shown]
	v_lshl_add_u64 v[8:9], v[8:9], 0, v[46:47]
.LBB24_163:                             ;   in Loop: Header=BB24_161 Depth=3
	s_or_b64 exec, exec, s[56:57]
	v_sub_u32_e32 v35, v12, v84
	v_lshl_add_u64 v[10:11], v[10:11], 0, v[46:47]
	v_mov_b32_e32 v36, 0
	v_cmp_lt_i32_e64 s[46:47], 0, v35
	v_mov_b64_e32 v[12:13], 0
	s_and_saveexec_b64 s[56:57], s[46:47]
	s_cbranch_execz .LBB24_160
; %bb.164:                              ;   in Loop: Header=BB24_161 Depth=3
	flat_load_ushort v15, v[10:11] nt
	flat_load_ushort v16, v[10:11] offset:128 nt
	flat_load_ushort v17, v[10:11] offset:256 nt
	;; [unrolled: 1-line block ×7, first 2 shown]
	v_lshl_add_u64 v[10:11], v[10:11], 0, s[88:89]
	v_mov_b32_e32 v36, v84
	v_mov_b64_e32 v[12:13], v[116:117]
	s_branch .LBB24_160
.LBB24_165:                             ;   in Loop: Header=BB24_57 Depth=2
	s_or_b64 exec, exec, s[42:43]
	s_and_b64 s[42:43], s[44:45], exec
.LBB24_166:                             ;   in Loop: Header=BB24_57 Depth=2
	s_or_b64 exec, exec, s[40:41]
	s_and_saveexec_b64 s[40:41], s[42:43]
	s_cbranch_execz .LBB24_168
; %bb.167:                              ;   in Loop: Header=BB24_57 Depth=2
	flat_store_short v[8:9], v15 nt
	flat_store_short v[8:9], v16 offset:128 nt
	flat_store_short v[8:9], v17 offset:256 nt
	;; [unrolled: 1-line block ×7, first 2 shown]
.LBB24_168:                             ;   in Loop: Header=BB24_57 Depth=2
	s_or_b64 exec, exec, s[40:41]
	v_lshlrev_b32_e32 v8, 10, v14
	v_cmp_ne_u32_e32 vcc, v29, v8
	s_and_b64 exec, exec, vcc
	s_cbranch_execz .LBB24_178
; %bb.169:                              ;   in Loop: Header=BB24_57 Depth=2
	v_lshlrev_b32_e32 v9, 6, v12
	v_sub_u32_e32 v5, v5, v9
	v_ashrrev_i32_e32 v9, 31, v5
	v_lshrrev_b32_e32 v9, 26, v9
	v_add_u32_e32 v9, v5, v9
	v_and_b32_e32 v10, 0x7fffffc0, v9
	v_sub_u32_e32 v5, v5, v10
	v_lshlrev_b32_e32 v9, 1, v9
	v_and_b32_e32 v9, 0xffffff80, v9
	v_lshlrev_b32_e32 v5, 1, v5
	v_add3_u32 v8, v9, v5, v8
	v_sub_u32_e32 v5, v29, v8
	v_cmp_lt_i32_e32 vcc, 1, v5
	s_and_b64 exec, exec, vcc
	s_cbranch_execz .LBB24_178
; %bb.170:                              ;   in Loop: Header=BB24_57 Depth=2
	v_add_u32_e32 v10, v8, v4
	v_ashrrev_i32_e32 v11, 31, v10
	v_lshl_add_u64 v[8:9], v[106:107], 0, v[10:11]
	v_lshl_add_u64 v[10:11], v[10:11], 0, v[104:105]
	s_mov_b64 s[44:45], 0
	s_mov_b64 s[40:41], 0
                                        ; implicit-def: $sgpr42_sgpr43
                                        ; implicit-def: $vgpr4
	s_branch .LBB24_172
.LBB24_171:                             ;   in Loop: Header=BB24_172 Depth=3
	s_or_b64 exec, exec, s[46:47]
	v_sub_u32_e32 v5, v5, v15
	v_cmp_gt_i32_e32 vcc, 2, v5
	s_or_b64 s[40:41], vcc, s[40:41]
	s_waitcnt vmcnt(0) lgkmcnt(0)
	flat_store_short v[8:9], v14 nt
	v_lshl_add_u64 v[8:9], v[8:9], 0, v[12:13]
	s_andn2_b64 s[42:43], s[42:43], exec
	s_and_b64 s[46:47], s[44:45], exec
	v_lshl_add_u64 v[10:11], v[10:11], 0, v[12:13]
	v_lshl_add_u64 v[8:9], v[8:9], 0, s[90:91]
	s_or_b64 s[42:43], s[42:43], s[46:47]
	s_andn2_b64 exec, exec, s[40:41]
	s_cbranch_execz .LBB24_176
.LBB24_172:                             ;   Parent Loop BB24_47 Depth=1
                                        ;     Parent Loop BB24_57 Depth=2
                                        ; =>    This Inner Loop Header: Depth=3
	flat_load_ushort v14, v[10:11] nt
	s_and_saveexec_b64 s[46:47], s[44:45]
	s_cbranch_execz .LBB24_174
; %bb.173:                              ;   in Loop: Header=BB24_172 Depth=3
	v_lshl_add_u64 v[12:13], v[8:9], 0, v[56:57]
	flat_store_short v[8:9], v4 nt
	v_mov_b64_e32 v[8:9], v[12:13]
.LBB24_174:                             ;   in Loop: Header=BB24_172 Depth=3
	s_or_b64 exec, exec, s[46:47]
	v_sub_u32_e32 v5, v5, v125
	v_lshl_add_u64 v[10:11], v[10:11], 0, v[56:57]
	v_cmp_lt_i32_e64 s[44:45], 1, v5
	v_mov_b64_e32 v[12:13], 0
	v_mov_b32_e32 v15, 0
	s_and_saveexec_b64 s[46:47], s[44:45]
	s_cbranch_execz .LBB24_171
; %bb.175:                              ;   in Loop: Header=BB24_172 Depth=3
	flat_load_ushort v4, v[10:11] nt
	v_lshl_add_u64 v[10:11], v[10:11], 0, s[90:91]
	v_mov_b32_e32 v15, v125
	v_mov_b64_e32 v[12:13], v[118:119]
	s_branch .LBB24_171
.LBB24_176:                             ;   in Loop: Header=BB24_57 Depth=2
	s_or_b64 exec, exec, s[40:41]
	s_and_b64 exec, exec, s[42:43]
	s_cbranch_execz .LBB24_178
; %bb.177:                              ;   in Loop: Header=BB24_57 Depth=2
	flat_store_short v[8:9], v4 nt
.LBB24_178:                             ;   in Loop: Header=BB24_57 Depth=2
	s_or_b64 exec, exec, s[22:23]
	v_cmp_lt_i32_e64 s[22:23], 0, v2
	s_and_saveexec_b64 s[40:41], s[4:5]
	s_cbranch_execz .LBB24_197
.LBB24_179:                             ;   in Loop: Header=BB24_57 Depth=2
	s_and_saveexec_b64 s[42:43], s[76:77]
	s_xor_b64 s[42:43], exec, s[42:43]
	s_cbranch_execz .LBB24_194
; %bb.180:                              ;   in Loop: Header=BB24_57 Depth=2
	s_and_saveexec_b64 s[44:45], s[12:13]
	s_cbranch_execz .LBB24_193
; %bb.181:                              ;   in Loop: Header=BB24_57 Depth=2
	s_mov_b64 s[56:57], exec
	v_mbcnt_lo_u32_b32 v2, s56, 0
	v_mbcnt_hi_u32_b32 v2, s57, v2
	v_cmp_eq_u32_e32 vcc, 0, v2
	s_waitcnt lgkmcnt(0)
	s_and_saveexec_b64 s[46:47], vcc
	s_cbranch_execz .LBB24_183
; %bb.182:                              ;   in Loop: Header=BB24_57 Depth=2
	s_bcnt1_i32_b64 s56, s[56:57]
	v_mov_b32_e32 v2, s56
	ds_add_u64 v0, v[2:3]
	s_trap 2
.LBB24_183:                             ;   in Loop: Header=BB24_57 Depth=2
	s_or_b64 exec, exec, s[46:47]
	s_trap 2
	ds_read_b64 v[4:5], v0
	s_waitcnt lgkmcnt(0)
	v_lshl_add_u64 v[70:71], v[70:71], 0, v[84:85]
	v_cmp_lt_u64_e32 vcc, v[4:5], v[70:71]
	s_and_saveexec_b64 s[46:47], vcc
	s_cbranch_execz .LBB24_192
; %bb.184:                              ;   in Loop: Header=BB24_57 Depth=2
	s_mov_b32 s30, 0
	s_mov_b64 s[56:57], 0
                                        ; implicit-def: $sgpr58_sgpr59
                                        ; implicit-def: $sgpr60_sgpr61
	s_branch .LBB24_186
.LBB24_185:                             ;   in Loop: Header=BB24_186 Depth=3
	s_or_b64 exec, exec, s[52:53]
	s_and_b64 vcc, exec, vcc
	s_or_b64 s[56:57], vcc, s[56:57]
	s_andn2_b64 s[58:59], s[58:59], exec
	s_and_b64 vcc, s[60:61], exec
	s_or_b64 s[58:59], s[58:59], vcc
	s_andn2_b64 exec, exec, s[56:57]
	s_cbranch_execz .LBB24_190
.LBB24_186:                             ;   Parent Loop BB24_47 Depth=1
                                        ;     Parent Loop BB24_57 Depth=2
                                        ; =>    This Inner Loop Header: Depth=3
	s_add_i32 s30, s30, 1
	s_cmpk_lg_i32 s30, 0x2710
	s_cselect_b64 s[50:51], -1, 0
	s_and_b64 vcc, exec, s[50:51]
	s_cbranch_vccz .LBB24_188
; %bb.187:                              ;   in Loop: Header=BB24_186 Depth=3
	s_mov_b64 vcc, -1
	s_or_b64 s[60:61], s[60:61], exec
	s_and_saveexec_b64 s[52:53], s[50:51]
	s_cbranch_execz .LBB24_185
	s_branch .LBB24_189
.LBB24_188:                             ;   in Loop: Header=BB24_186 Depth=3
	s_trap 2
	ds_read_b64 v[4:5], v0
	s_andn2_b64 s[50:51], s[50:51], exec
	s_mov_b32 s30, 0
	s_waitcnt vmcnt(0) lgkmcnt(0)
	flat_load_dword v2, v[4:5] sc0 sc1
	s_waitcnt vmcnt(0) lgkmcnt(0)
	buffer_inv sc0 sc1
	v_cmp_eq_u32_e32 vcc, 0, v2
	s_and_b64 vcc, vcc, exec
	s_or_b64 s[50:51], s[50:51], vcc
	s_mov_b64 vcc, -1
	s_or_b64 s[60:61], s[60:61], exec
	s_and_saveexec_b64 s[52:53], s[50:51]
	s_cbranch_execz .LBB24_185
.LBB24_189:                             ;   in Loop: Header=BB24_186 Depth=3
	s_sleep 1
	s_trap 2
	ds_read_b64 v[4:5], v0
	s_waitcnt lgkmcnt(0)
	s_andn2_b64 s[60:61], s[60:61], exec
	v_cmp_ge_u64_e32 vcc, v[4:5], v[70:71]
	s_orn2_b64 vcc, vcc, exec
	s_branch .LBB24_185
.LBB24_190:                             ;   in Loop: Header=BB24_57 Depth=2
	s_or_b64 exec, exec, s[56:57]
	s_and_saveexec_b64 s[56:57], s[58:59]
	s_xor_b64 s[56:57], exec, s[56:57]
	s_cbranch_execz .LBB24_192
; %bb.191:                              ;   in Loop: Header=BB24_57 Depth=2
	ds_write_b32 v0, v52
	s_trap 2
.LBB24_192:                             ;   in Loop: Header=BB24_57 Depth=2
	s_or_b64 exec, exec, s[46:47]
	;;#ASMSTART
	s_wakeup
	;;#ASMEND
.LBB24_193:                             ;   in Loop: Header=BB24_57 Depth=2
	s_or_b64 exec, exec, s[44:45]
.LBB24_194:                             ;   in Loop: Header=BB24_57 Depth=2
	s_andn2_saveexec_b64 s[42:43], s[42:43]
	s_cbranch_execz .LBB24_196
; %bb.195:                              ;   in Loop: Header=BB24_57 Depth=2
	s_waitcnt lgkmcnt(0)
	s_barrier
.LBB24_196:                             ;   in Loop: Header=BB24_57 Depth=2
	s_or_b64 exec, exec, s[42:43]
.LBB24_197:                             ;   in Loop: Header=BB24_57 Depth=2
	s_or_b64 exec, exec, s[40:41]
	v_and_b32_e32 v4, 16, v122
	s_and_saveexec_b64 s[40:41], s[20:21]
	s_xor_b64 s[40:41], exec, s[40:41]
	s_cbranch_execz .LBB24_202
; %bb.198:                              ;   in Loop: Header=BB24_57 Depth=2
	v_and_b32_e32 v2, 16, v122
	v_cmp_ne_u32_e32 vcc, 0, v2
	v_and_b32_e32 v4, 16, v122
	s_and_b64 s[42:43], vcc, s[22:23]
	s_and_saveexec_b64 s[22:23], s[42:43]
	s_cbranch_execz .LBB24_200
; %bb.199:                              ;   in Loop: Header=BB24_57 Depth=2
	v_mov_b32_e32 v4, 1
	buffer_wbl2 sc1
	s_waitcnt vmcnt(0) lgkmcnt(0)
	buffer_inv sc1
.LBB24_200:                             ;   in Loop: Header=BB24_57 Depth=2
	s_or_b64 exec, exec, s[22:23]
	s_andn2_saveexec_b64 s[22:23], s[40:41]
	s_cbranch_execnz .LBB24_203
.LBB24_201:                             ;   in Loop: Header=BB24_57 Depth=2
	s_or_b64 exec, exec, s[22:23]
	v_cmp_ne_u32_e32 vcc, 0, v4
	s_and_saveexec_b64 s[22:23], vcc
	s_cbranch_execz .LBB24_56
	s_branch .LBB24_221
.LBB24_202:                             ;   in Loop: Header=BB24_57 Depth=2
	s_andn2_saveexec_b64 s[22:23], s[40:41]
	s_cbranch_execz .LBB24_201
.LBB24_203:                             ;   in Loop: Header=BB24_57 Depth=2
	s_and_saveexec_b64 s[40:41], s[76:77]
	s_xor_b64 s[40:41], exec, s[40:41]
	s_cbranch_execz .LBB24_218
; %bb.204:                              ;   in Loop: Header=BB24_57 Depth=2
	s_and_saveexec_b64 s[42:43], s[12:13]
	s_cbranch_execz .LBB24_217
; %bb.205:                              ;   in Loop: Header=BB24_57 Depth=2
	s_mov_b64 s[46:47], exec
	v_mbcnt_lo_u32_b32 v2, s46, 0
	v_mbcnt_hi_u32_b32 v2, s47, v2
	v_cmp_eq_u32_e32 vcc, 0, v2
	;;#ASMSTART
	s_waitcnt lgkmcnt(0) vmcnt(0)
	;;#ASMEND
	s_and_saveexec_b64 s[44:45], vcc
	s_cbranch_execz .LBB24_207
; %bb.206:                              ;   in Loop: Header=BB24_57 Depth=2
	s_bcnt1_i32_b64 s46, s[46:47]
	v_mov_b32_e32 v2, s46
	s_waitcnt lgkmcnt(0)
	ds_add_u64 v0, v[2:3]
	s_trap 2
.LBB24_207:                             ;   in Loop: Header=BB24_57 Depth=2
	s_or_b64 exec, exec, s[44:45]
	s_trap 2
	ds_read_b64 v[8:9], v0
	s_waitcnt lgkmcnt(0)
	v_lshl_add_u64 v[70:71], v[70:71], 0, v[84:85]
	v_cmp_lt_u64_e32 vcc, v[8:9], v[70:71]
	s_and_saveexec_b64 s[44:45], vcc
	s_cbranch_execz .LBB24_216
; %bb.208:                              ;   in Loop: Header=BB24_57 Depth=2
	s_mov_b32 s30, 0
	s_mov_b64 s[46:47], 0
                                        ; implicit-def: $sgpr56_sgpr57
                                        ; implicit-def: $sgpr58_sgpr59
	s_branch .LBB24_210
.LBB24_209:                             ;   in Loop: Header=BB24_210 Depth=3
	s_or_b64 exec, exec, s[50:51]
	s_and_b64 s[60:61], exec, vcc
	s_or_b64 s[46:47], s[60:61], s[46:47]
	s_andn2_b64 s[56:57], s[56:57], exec
	s_and_b64 s[60:61], s[58:59], exec
	s_or_b64 s[56:57], s[56:57], s[60:61]
	s_andn2_b64 exec, exec, s[46:47]
	s_cbranch_execz .LBB24_214
.LBB24_210:                             ;   Parent Loop BB24_47 Depth=1
                                        ;     Parent Loop BB24_57 Depth=2
                                        ; =>    This Inner Loop Header: Depth=3
	s_add_i32 s30, s30, 1
	s_cmpk_lg_i32 s30, 0x2710
	s_cselect_b64 s[60:61], -1, 0
	s_and_b64 vcc, exec, s[60:61]
	s_cbranch_vccz .LBB24_212
; %bb.211:                              ;   in Loop: Header=BB24_210 Depth=3
	s_mov_b64 vcc, -1
	s_or_b64 s[58:59], s[58:59], exec
	s_and_saveexec_b64 s[50:51], s[60:61]
	s_cbranch_execz .LBB24_209
	s_branch .LBB24_213
.LBB24_212:                             ;   in Loop: Header=BB24_210 Depth=3
	s_trap 2
	ds_read_b64 v[8:9], v0
	s_andn2_b64 s[60:61], s[60:61], exec
	s_mov_b32 s30, 0
	s_waitcnt vmcnt(0) lgkmcnt(0)
	flat_load_dword v2, v[8:9] sc0 sc1
	s_waitcnt vmcnt(0) lgkmcnt(0)
	buffer_inv sc0 sc1
	v_cmp_eq_u32_e32 vcc, 0, v2
	s_and_b64 vcc, vcc, exec
	s_or_b64 s[60:61], s[60:61], vcc
	s_mov_b64 vcc, -1
	s_or_b64 s[58:59], s[58:59], exec
	s_and_saveexec_b64 s[50:51], s[60:61]
	s_cbranch_execz .LBB24_209
.LBB24_213:                             ;   in Loop: Header=BB24_210 Depth=3
	s_sleep 1
	s_trap 2
	ds_read_b64 v[8:9], v0
	s_waitcnt lgkmcnt(0)
	s_andn2_b64 s[58:59], s[58:59], exec
	v_cmp_ge_u64_e32 vcc, v[8:9], v[70:71]
	s_orn2_b64 vcc, vcc, exec
	s_branch .LBB24_209
.LBB24_214:                             ;   in Loop: Header=BB24_57 Depth=2
	s_or_b64 exec, exec, s[46:47]
	s_and_saveexec_b64 s[46:47], s[56:57]
	s_xor_b64 s[46:47], exec, s[46:47]
	s_cbranch_execz .LBB24_216
; %bb.215:                              ;   in Loop: Header=BB24_57 Depth=2
	ds_write_b32 v0, v52
	s_trap 2
.LBB24_216:                             ;   in Loop: Header=BB24_57 Depth=2
	s_or_b64 exec, exec, s[44:45]
	;;#ASMSTART
	s_wakeup
	;;#ASMEND
.LBB24_217:                             ;   in Loop: Header=BB24_57 Depth=2
	s_or_b64 exec, exec, s[42:43]
.LBB24_218:                             ;   in Loop: Header=BB24_57 Depth=2
	s_andn2_saveexec_b64 s[40:41], s[40:41]
	s_cbranch_execz .LBB24_220
; %bb.219:                              ;   in Loop: Header=BB24_57 Depth=2
	;;#ASMSTART
	s_waitcnt lgkmcnt(0) vmcnt(0)
	;;#ASMEND
	s_barrier
.LBB24_220:                             ;   in Loop: Header=BB24_57 Depth=2
	s_or_b64 exec, exec, s[40:41]
	s_or_b64 exec, exec, s[22:23]
	v_cmp_ne_u32_e32 vcc, 0, v4
	s_and_saveexec_b64 s[22:23], vcc
	s_cbranch_execz .LBB24_56
.LBB24_221:                             ;   in Loop: Header=BB24_57 Depth=2
	s_and_saveexec_b64 s[40:41], s[10:11]
	s_cbranch_execz .LBB24_55
; %bb.222:                              ;   in Loop: Header=BB24_57 Depth=2
	flat_store_dword v[68:69], v52 sc0 sc1
	s_branch .LBB24_55
.LBB24_223:                             ;   in Loop: Header=BB24_47 Depth=1
	s_or_b64 exec, exec, s[26:27]
.LBB24_224:                             ;   in Loop: Header=BB24_47 Depth=1
	s_or_b64 exec, exec, s[24:25]
	v_cmp_gt_i32_e32 vcc, 2, v2
	s_and_saveexec_b64 s[24:25], vcc
	s_cbranch_execz .LBB24_296
; %bb.225:                              ;   in Loop: Header=BB24_47 Depth=1
	v_cmp_eq_u32_e64 s[28:29], 0, v2
	s_mov_b64 s[26:27], 0
	s_branch .LBB24_228
.LBB24_226:                             ;   in Loop: Header=BB24_228 Depth=2
	s_or_b64 exec, exec, s[28:29]
	v_lshl_add_u64 v[76:77], v[76:77], 0, 2
	flat_store_dwordx2 v[64:65], v[76:77] sc0 sc1
.LBB24_227:                             ;   in Loop: Header=BB24_228 Depth=2
	s_or_b64 exec, exec, s[22:23]
	v_add_u32_e32 v92, v90, v92
	s_mov_b64 s[28:29], 0
	s_andn2_b64 exec, exec, s[26:27]
	s_cbranch_execz .LBB24_295
.LBB24_228:                             ;   Parent Loop BB24_47 Depth=1
                                        ; =>  This Loop Header: Depth=2
                                        ;       Child Loop BB24_234 Depth 3
                                        ;       Child Loop BB24_258 Depth 3
	;; [unrolled: 1-line block ×3, first 2 shown]
	v_sub_u32_e32 v2, v28, v92
	v_min_i32_e32 v90, v90, v2
	v_and_b32_e32 v2, 8, v122
	v_cmp_ne_u32_e32 vcc, 0, v2
	s_and_saveexec_b64 s[40:41], vcc
	s_cbranch_execz .LBB24_250
; %bb.229:                              ;   in Loop: Header=BB24_228 Depth=2
	s_waitcnt vmcnt(0) lgkmcnt(0)
	v_lshl_add_u64 v[4:5], v[80:81], 0, 8
	v_lshl_add_u64 v[8:9], v[76:77], 0, 2
	v_cmp_lt_u64_e32 vcc, v[4:5], v[8:9]
	s_and_saveexec_b64 s[42:43], vcc
	s_cbranch_execz .LBB24_241
; %bb.230:                              ;   in Loop: Header=BB24_228 Depth=2
	v_and_b32_e32 v2, 64, v122
	s_mov_b32 s74, 0
	v_cmp_eq_u32_e32 vcc, 0, v2
	s_mov_b64 s[44:45], 0
                                        ; implicit-def: $sgpr46_sgpr47
                                        ; implicit-def: $sgpr56_sgpr57
                                        ; implicit-def: $sgpr58_sgpr59
	s_branch .LBB24_234
.LBB24_231:                             ;   in Loop: Header=BB24_234 Depth=3
	s_waitcnt vmcnt(0) lgkmcnt(0)
	v_lshl_add_u64 v[4:5], v[80:81], 0, 8
	v_cmp_ge_u64_e64 s[22:23], v[4:5], v[8:9]
	s_or_b64 s[52:53], s[52:53], exec
	s_orn2_b64 s[50:51], s[22:23], exec
.LBB24_232:                             ;   in Loop: Header=BB24_234 Depth=3
	s_or_b64 exec, exec, s[64:65]
	s_andn2_b64 s[22:23], s[58:59], exec
	s_and_b64 s[58:59], s[52:53], exec
	s_or_b64 s[58:59], s[22:23], s[58:59]
	s_andn2_b64 s[22:23], s[56:57], exec
	s_and_b64 s[56:57], s[50:51], exec
	s_or_b64 s[56:57], s[22:23], s[56:57]
.LBB24_233:                             ;   in Loop: Header=BB24_234 Depth=3
	s_or_b64 exec, exec, s[60:61]
	s_and_b64 s[22:23], exec, s[56:57]
	s_or_b64 s[44:45], s[22:23], s[44:45]
	s_andn2_b64 s[22:23], s[46:47], exec
	s_and_b64 s[46:47], s[58:59], exec
	s_or_b64 s[46:47], s[22:23], s[46:47]
	s_andn2_b64 exec, exec, s[44:45]
	s_cbranch_execz .LBB24_238
.LBB24_234:                             ;   Parent Loop BB24_47 Depth=1
                                        ;     Parent Loop BB24_228 Depth=2
                                        ; =>    This Inner Loop Header: Depth=3
	s_sleep 1
	s_waitcnt vmcnt(0) lgkmcnt(0)
	flat_load_dwordx2 v[80:81], v[64:65] sc0 sc1
	s_or_b64 s[58:59], s[58:59], exec
	s_or_b64 s[56:57], s[56:57], exec
                                        ; implicit-def: $vgpr2
	s_and_saveexec_b64 s[60:61], vcc
	s_cbranch_execz .LBB24_233
; %bb.235:                              ;   in Loop: Header=BB24_234 Depth=3
	s_cmpk_lt_i32 s74, 0x270f
	s_cselect_b64 s[54:55], -1, 0
	s_cmpk_gt_i32 s74, 0x270e
	s_mov_b64 s[50:51], -1
	s_cbranch_scc0 .LBB24_237
; %bb.236:                              ;   in Loop: Header=BB24_234 Depth=3
	s_trap 2
	ds_read_b64 v[4:5], v0
	s_andn2_b64 s[30:31], s[54:55], exec
	s_mov_b32 s74, 0
	s_mov_b64 s[52:53], 0
	s_waitcnt vmcnt(0) lgkmcnt(0)
	flat_load_dword v2, v[4:5] sc0 sc1
	s_waitcnt vmcnt(0) lgkmcnt(0)
	buffer_inv sc0 sc1
	v_cmp_eq_u32_e64 s[22:23], 0, v2
	s_and_b64 s[22:23], s[22:23], exec
	s_or_b64 s[54:55], s[30:31], s[22:23]
	s_and_saveexec_b64 s[64:65], s[54:55]
	s_cbranch_execz .LBB24_232
	s_branch .LBB24_231
.LBB24_237:                             ;   in Loop: Header=BB24_234 Depth=3
	s_add_i32 s74, s74, 1
	s_mov_b64 s[52:53], -1
                                        ; implicit-def: $vgpr2
	s_and_saveexec_b64 s[64:65], s[54:55]
	s_cbranch_execz .LBB24_232
	s_branch .LBB24_231
.LBB24_238:                             ;   in Loop: Header=BB24_228 Depth=2
	s_or_b64 exec, exec, s[44:45]
	s_xor_b64 s[22:23], s[46:47], -1
	s_and_saveexec_b64 s[44:45], s[22:23]
	s_xor_b64 s[22:23], exec, s[44:45]
	s_cbranch_execz .LBB24_240
; %bb.239:                              ;   in Loop: Header=BB24_228 Depth=2
	v_or_b32_e32 v122, 64, v122
	s_waitcnt lgkmcnt(0)
	ds_write_b32 v0, v2
	s_trap 2
.LBB24_240:                             ;   in Loop: Header=BB24_228 Depth=2
	s_or_b64 exec, exec, s[22:23]
.LBB24_241:                             ;   in Loop: Header=BB24_228 Depth=2
	s_or_b64 exec, exec, s[42:43]
	v_and_b32_e32 v2, 0x100, v122
	v_cmp_ne_u32_e32 vcc, 0, v2
	v_and_b32_e32 v2, 7, v76
	s_mov_b64 s[22:23], -1
	;;#ASMSTART
	s_wakeup
	;;#ASMEND
                                        ; implicit-def: $vgpr10_vgpr11
	s_and_saveexec_b64 s[42:43], vcc
	s_cbranch_execz .LBB24_245
; %bb.242:                              ;   in Loop: Header=BB24_228 Depth=2
	v_mad_u64_u32 v[12:13], s[22:23], v2, 24, v[6:7]
	flat_load_dword v10, v[12:13]
	v_ashrrev_i32_e32 v91, 31, v90
	v_lshlrev_b64 v[4:5], 1, v[90:91]
	flat_store_dwordx2 v[12:13], v[4:5] offset:8
	s_waitcnt vmcnt(0) lgkmcnt(0)
	v_cmp_ne_u32_e32 vcc, 1, v10
	v_cmp_eq_u32_e64 s[22:23], 1, v10
                                        ; implicit-def: $vgpr10_vgpr11
	s_and_saveexec_b64 s[44:45], s[22:23]
	s_cbranch_execz .LBB24_244
; %bb.243:                              ;   in Loop: Header=BB24_228 Depth=2
	flat_load_dword v4, v[12:13] offset:4 sc0 sc1
	s_waitcnt vmcnt(0) lgkmcnt(0)
	v_ashrrev_i32_e32 v5, 31, v4
	v_lshrrev_b64 v[10:11], 1, v[4:5]
.LBB24_244:                             ;   in Loop: Header=BB24_228 Depth=2
	s_or_b64 exec, exec, s[44:45]
	s_orn2_b64 s[22:23], vcc, exec
.LBB24_245:                             ;   in Loop: Header=BB24_228 Depth=2
	s_or_b64 exec, exec, s[42:43]
	s_and_saveexec_b64 s[42:43], s[22:23]
; %bb.246:                              ;   in Loop: Header=BB24_228 Depth=2
	v_mad_i64_i32 v[10:11], s[22:23], v2, v30, 0
; %bb.247:                              ;   in Loop: Header=BB24_228 Depth=2
	s_or_b64 exec, exec, s[42:43]
	v_and_b32_e32 v2, 0x2000, v122
	v_lshl_add_u64 v[4:5], v[10:11], 1, v[66:67]
	v_cmp_ne_u32_e32 vcc, 0, v2
	ds_write_b64 v0, v[4:5] offset:784
	s_and_saveexec_b64 s[22:23], vcc
	s_cbranch_execz .LBB24_249
; %bb.248:                              ;   in Loop: Header=BB24_228 Depth=2
	ds_read_b64 v[4:5], v0 offset:872
	s_waitcnt lgkmcnt(0)
	v_lshl_add_u64 v[4:5], v[4:5], 0, 1
	ds_write_b64 v0, v[4:5] offset:872
.LBB24_249:                             ;   in Loop: Header=BB24_228 Depth=2
	s_or_b64 exec, exec, s[22:23]
	v_mov_b64_e32 v[76:77], v[8:9]
.LBB24_250:                             ;   in Loop: Header=BB24_228 Depth=2
	s_or_b64 exec, exec, s[40:41]
	s_xor_b64 s[22:23], s[28:29], -1
	s_and_b64 s[22:23], exec, s[22:23]
	s_or_b64 s[26:27], s[22:23], s[26:27]
	s_and_saveexec_b64 s[22:23], s[4:5]
	s_cbranch_execz .LBB24_269
; %bb.251:                              ;   in Loop: Header=BB24_228 Depth=2
	s_and_saveexec_b64 s[28:29], s[76:77]
	s_xor_b64 s[28:29], exec, s[28:29]
	s_cbranch_execz .LBB24_266
; %bb.252:                              ;   in Loop: Header=BB24_228 Depth=2
	s_and_saveexec_b64 s[40:41], s[12:13]
	s_cbranch_execz .LBB24_265
; %bb.253:                              ;   in Loop: Header=BB24_228 Depth=2
	s_mov_b64 s[44:45], exec
	v_mbcnt_lo_u32_b32 v2, s44, 0
	v_mbcnt_hi_u32_b32 v2, s45, v2
	v_cmp_eq_u32_e32 vcc, 0, v2
	s_waitcnt lgkmcnt(0)
	s_and_saveexec_b64 s[42:43], vcc
	s_cbranch_execz .LBB24_255
; %bb.254:                              ;   in Loop: Header=BB24_228 Depth=2
	s_bcnt1_i32_b64 s44, s[44:45]
	v_mov_b32_e32 v2, s44
	ds_add_u64 v0, v[2:3]
	s_trap 2
.LBB24_255:                             ;   in Loop: Header=BB24_228 Depth=2
	s_or_b64 exec, exec, s[42:43]
	s_trap 2
	ds_read_b64 v[4:5], v0
	s_waitcnt lgkmcnt(0)
	v_lshl_add_u64 v[70:71], v[70:71], 0, v[84:85]
	v_cmp_lt_u64_e32 vcc, v[4:5], v[70:71]
	s_and_saveexec_b64 s[42:43], vcc
	s_cbranch_execz .LBB24_264
; %bb.256:                              ;   in Loop: Header=BB24_228 Depth=2
	s_mov_b32 s74, 0
	s_mov_b64 s[44:45], 0
                                        ; implicit-def: $sgpr46_sgpr47
                                        ; implicit-def: $sgpr56_sgpr57
	s_branch .LBB24_258
.LBB24_257:                             ;   in Loop: Header=BB24_258 Depth=3
	s_or_b64 exec, exec, s[60:61]
	s_and_b64 s[58:59], exec, vcc
	s_or_b64 s[44:45], s[58:59], s[44:45]
	s_andn2_b64 s[46:47], s[46:47], exec
	s_and_b64 s[58:59], s[56:57], exec
	s_or_b64 s[46:47], s[46:47], s[58:59]
	s_andn2_b64 exec, exec, s[44:45]
	s_cbranch_execz .LBB24_262
.LBB24_258:                             ;   Parent Loop BB24_47 Depth=1
                                        ;     Parent Loop BB24_228 Depth=2
                                        ; =>    This Inner Loop Header: Depth=3
	s_add_i32 s74, s74, 1
	s_cmpk_lg_i32 s74, 0x2710
	s_cselect_b64 s[58:59], -1, 0
	s_and_b64 vcc, exec, s[58:59]
	s_cbranch_vccz .LBB24_260
; %bb.259:                              ;   in Loop: Header=BB24_258 Depth=3
	s_mov_b64 vcc, -1
	s_or_b64 s[56:57], s[56:57], exec
	s_and_saveexec_b64 s[60:61], s[58:59]
	s_cbranch_execz .LBB24_257
	s_branch .LBB24_261
.LBB24_260:                             ;   in Loop: Header=BB24_258 Depth=3
	s_trap 2
	ds_read_b64 v[4:5], v0
	s_andn2_b64 s[58:59], s[58:59], exec
	s_mov_b32 s74, 0
	s_waitcnt vmcnt(0) lgkmcnt(0)
	flat_load_dword v2, v[4:5] sc0 sc1
	s_waitcnt vmcnt(0) lgkmcnt(0)
	buffer_inv sc0 sc1
	v_cmp_eq_u32_e32 vcc, 0, v2
	s_and_b64 s[60:61], vcc, exec
	s_or_b64 s[58:59], s[58:59], s[60:61]
	s_mov_b64 vcc, -1
	s_or_b64 s[56:57], s[56:57], exec
	s_and_saveexec_b64 s[60:61], s[58:59]
	s_cbranch_execz .LBB24_257
.LBB24_261:                             ;   in Loop: Header=BB24_258 Depth=3
	s_sleep 1
	s_trap 2
	ds_read_b64 v[4:5], v0
	s_waitcnt lgkmcnt(0)
	s_andn2_b64 s[56:57], s[56:57], exec
	v_cmp_ge_u64_e32 vcc, v[4:5], v[70:71]
	s_orn2_b64 vcc, vcc, exec
	s_branch .LBB24_257
.LBB24_262:                             ;   in Loop: Header=BB24_228 Depth=2
	s_or_b64 exec, exec, s[44:45]
	s_and_saveexec_b64 s[44:45], s[46:47]
	s_xor_b64 s[44:45], exec, s[44:45]
	s_cbranch_execz .LBB24_264
; %bb.263:                              ;   in Loop: Header=BB24_228 Depth=2
	ds_write_b32 v0, v52
	s_trap 2
.LBB24_264:                             ;   in Loop: Header=BB24_228 Depth=2
	s_or_b64 exec, exec, s[42:43]
	;;#ASMSTART
	s_wakeup
	;;#ASMEND
.LBB24_265:                             ;   in Loop: Header=BB24_228 Depth=2
	s_or_b64 exec, exec, s[40:41]
.LBB24_266:                             ;   in Loop: Header=BB24_228 Depth=2
	s_andn2_saveexec_b64 s[28:29], s[28:29]
	s_cbranch_execz .LBB24_268
; %bb.267:                              ;   in Loop: Header=BB24_228 Depth=2
	s_waitcnt lgkmcnt(0)
	s_barrier
.LBB24_268:                             ;   in Loop: Header=BB24_228 Depth=2
	s_or_b64 exec, exec, s[28:29]
.LBB24_269:                             ;   in Loop: Header=BB24_228 Depth=2
	s_or_b64 exec, exec, s[22:23]
	v_and_b32_e32 v4, 16, v122
	s_and_saveexec_b64 s[22:23], s[20:21]
	s_xor_b64 s[22:23], exec, s[22:23]
	s_cbranch_execz .LBB24_274
; %bb.270:                              ;   in Loop: Header=BB24_228 Depth=2
	s_trap 2
	ds_read_b32 v2, v0
	v_cmp_lt_i32_e32 vcc, 0, v90
	v_and_b32_e32 v5, 16, v122
	v_and_b32_e32 v4, 16, v122
	s_waitcnt lgkmcnt(0)
	v_readfirstlane_b32 s28, v2
	s_cmp_eq_u32 s28, 0
	s_cselect_b64 s[28:29], -1, 0
	s_and_b64 s[28:29], vcc, s[28:29]
	v_cmp_ne_u32_e32 vcc, 0, v5
	s_and_b64 s[40:41], vcc, s[28:29]
	s_and_saveexec_b64 s[28:29], s[40:41]
	s_cbranch_execz .LBB24_272
; %bb.271:                              ;   in Loop: Header=BB24_228 Depth=2
	v_mov_b32_e32 v4, 1
	buffer_wbl2 sc1
	s_waitcnt vmcnt(0)
	buffer_inv sc1
.LBB24_272:                             ;   in Loop: Header=BB24_228 Depth=2
	s_or_b64 exec, exec, s[28:29]
	s_andn2_saveexec_b64 s[22:23], s[22:23]
	s_cbranch_execnz .LBB24_275
.LBB24_273:                             ;   in Loop: Header=BB24_228 Depth=2
	s_or_b64 exec, exec, s[22:23]
	v_cmp_ne_u32_e32 vcc, 0, v4
	s_and_saveexec_b64 s[22:23], vcc
	s_cbranch_execz .LBB24_227
	s_branch .LBB24_293
.LBB24_274:                             ;   in Loop: Header=BB24_228 Depth=2
	s_andn2_saveexec_b64 s[22:23], s[22:23]
	s_cbranch_execz .LBB24_273
.LBB24_275:                             ;   in Loop: Header=BB24_228 Depth=2
	s_and_saveexec_b64 s[28:29], s[76:77]
	s_xor_b64 s[28:29], exec, s[28:29]
	s_cbranch_execz .LBB24_290
; %bb.276:                              ;   in Loop: Header=BB24_228 Depth=2
	s_and_saveexec_b64 s[40:41], s[12:13]
	s_cbranch_execz .LBB24_289
; %bb.277:                              ;   in Loop: Header=BB24_228 Depth=2
	s_mov_b64 s[44:45], exec
	v_mbcnt_lo_u32_b32 v2, s44, 0
	v_mbcnt_hi_u32_b32 v2, s45, v2
	v_cmp_eq_u32_e32 vcc, 0, v2
	;;#ASMSTART
	s_waitcnt lgkmcnt(0) vmcnt(0)
	;;#ASMEND
	s_and_saveexec_b64 s[42:43], vcc
	s_cbranch_execz .LBB24_279
; %bb.278:                              ;   in Loop: Header=BB24_228 Depth=2
	s_bcnt1_i32_b64 s44, s[44:45]
	v_mov_b32_e32 v2, s44
	s_waitcnt lgkmcnt(0)
	ds_add_u64 v0, v[2:3]
	s_trap 2
.LBB24_279:                             ;   in Loop: Header=BB24_228 Depth=2
	s_or_b64 exec, exec, s[42:43]
	s_trap 2
	ds_read_b64 v[8:9], v0
	s_waitcnt lgkmcnt(0)
	v_lshl_add_u64 v[70:71], v[70:71], 0, v[84:85]
	v_cmp_lt_u64_e32 vcc, v[8:9], v[70:71]
	s_and_saveexec_b64 s[42:43], vcc
	s_cbranch_execz .LBB24_288
; %bb.280:                              ;   in Loop: Header=BB24_228 Depth=2
	s_mov_b32 s74, 0
	s_mov_b64 s[44:45], 0
                                        ; implicit-def: $sgpr46_sgpr47
                                        ; implicit-def: $sgpr56_sgpr57
	s_branch .LBB24_282
.LBB24_281:                             ;   in Loop: Header=BB24_282 Depth=3
	s_or_b64 exec, exec, s[60:61]
	s_and_b64 s[58:59], exec, vcc
	s_or_b64 s[44:45], s[58:59], s[44:45]
	s_andn2_b64 s[46:47], s[46:47], exec
	s_and_b64 s[58:59], s[56:57], exec
	s_or_b64 s[46:47], s[46:47], s[58:59]
	s_andn2_b64 exec, exec, s[44:45]
	s_cbranch_execz .LBB24_286
.LBB24_282:                             ;   Parent Loop BB24_47 Depth=1
                                        ;     Parent Loop BB24_228 Depth=2
                                        ; =>    This Inner Loop Header: Depth=3
	s_add_i32 s74, s74, 1
	s_cmpk_lg_i32 s74, 0x2710
	s_cselect_b64 s[58:59], -1, 0
	s_and_b64 vcc, exec, s[58:59]
	s_cbranch_vccz .LBB24_284
; %bb.283:                              ;   in Loop: Header=BB24_282 Depth=3
	s_mov_b64 vcc, -1
	s_or_b64 s[56:57], s[56:57], exec
	s_and_saveexec_b64 s[60:61], s[58:59]
	s_cbranch_execz .LBB24_281
	s_branch .LBB24_285
.LBB24_284:                             ;   in Loop: Header=BB24_282 Depth=3
	s_trap 2
	ds_read_b64 v[8:9], v0
	s_andn2_b64 s[58:59], s[58:59], exec
	s_mov_b32 s74, 0
	s_waitcnt vmcnt(0) lgkmcnt(0)
	flat_load_dword v2, v[8:9] sc0 sc1
	s_waitcnt vmcnt(0) lgkmcnt(0)
	buffer_inv sc0 sc1
	v_cmp_eq_u32_e32 vcc, 0, v2
	s_and_b64 s[60:61], vcc, exec
	s_or_b64 s[58:59], s[58:59], s[60:61]
	s_mov_b64 vcc, -1
	s_or_b64 s[56:57], s[56:57], exec
	s_and_saveexec_b64 s[60:61], s[58:59]
	s_cbranch_execz .LBB24_281
.LBB24_285:                             ;   in Loop: Header=BB24_282 Depth=3
	s_sleep 1
	s_trap 2
	ds_read_b64 v[8:9], v0
	s_waitcnt lgkmcnt(0)
	s_andn2_b64 s[56:57], s[56:57], exec
	v_cmp_ge_u64_e32 vcc, v[8:9], v[70:71]
	s_orn2_b64 vcc, vcc, exec
	s_branch .LBB24_281
.LBB24_286:                             ;   in Loop: Header=BB24_228 Depth=2
	s_or_b64 exec, exec, s[44:45]
	s_and_saveexec_b64 s[44:45], s[46:47]
	s_xor_b64 s[44:45], exec, s[44:45]
	s_cbranch_execz .LBB24_288
; %bb.287:                              ;   in Loop: Header=BB24_228 Depth=2
	ds_write_b32 v0, v52
	s_trap 2
.LBB24_288:                             ;   in Loop: Header=BB24_228 Depth=2
	s_or_b64 exec, exec, s[42:43]
	;;#ASMSTART
	s_wakeup
	;;#ASMEND
.LBB24_289:                             ;   in Loop: Header=BB24_228 Depth=2
	s_or_b64 exec, exec, s[40:41]
.LBB24_290:                             ;   in Loop: Header=BB24_228 Depth=2
	s_andn2_saveexec_b64 s[28:29], s[28:29]
	s_cbranch_execz .LBB24_292
; %bb.291:                              ;   in Loop: Header=BB24_228 Depth=2
	;;#ASMSTART
	s_waitcnt lgkmcnt(0) vmcnt(0)
	;;#ASMEND
	s_barrier
.LBB24_292:                             ;   in Loop: Header=BB24_228 Depth=2
	s_or_b64 exec, exec, s[28:29]
	s_or_b64 exec, exec, s[22:23]
	v_cmp_ne_u32_e32 vcc, 0, v4
	s_and_saveexec_b64 s[22:23], vcc
	s_cbranch_execz .LBB24_227
.LBB24_293:                             ;   in Loop: Header=BB24_228 Depth=2
	s_and_saveexec_b64 s[28:29], s[10:11]
	s_cbranch_execz .LBB24_226
; %bb.294:                              ;   in Loop: Header=BB24_228 Depth=2
	flat_store_dword v[68:69], v52 sc0 sc1
	s_branch .LBB24_226
.LBB24_295:                             ;   in Loop: Header=BB24_47 Depth=1
	s_or_b64 exec, exec, s[26:27]
.LBB24_296:                             ;   in Loop: Header=BB24_47 Depth=1
	s_or_b64 exec, exec, s[24:25]
	v_cndmask_b32_e64 v2, 0, 1, s[34:35]
	v_cmp_ne_u32_e64 s[22:23], 1, v2
	s_andn2_b64 vcc, exec, s[34:35]
	s_cbranch_vccnz .LBB24_952
; %bb.297:                              ;   in Loop: Header=BB24_47 Depth=1
	s_mov_b32 s74, 2
	s_branch .LBB24_300
.LBB24_298:                             ;   in Loop: Header=BB24_300 Depth=2
	s_or_b64 exec, exec, s[28:29]
.LBB24_299:                             ;   in Loop: Header=BB24_300 Depth=2
	s_or_b64 exec, exec, s[26:27]
	s_add_i32 s74, s74, 1
	s_cmp_eq_u32 s74, s70
	s_cbranch_scc1 .LBB24_952
.LBB24_300:                             ;   Parent Loop BB24_47 Depth=1
                                        ; =>  This Loop Header: Depth=2
                                        ;       Child Loop BB24_303 Depth 3
                                        ;         Child Loop BB24_311 Depth 4
                                        ;         Child Loop BB24_339 Depth 4
	;; [unrolled: 1-line block ×5, first 2 shown]
                                        ;           Child Loop BB24_592 Depth 5
                                        ;           Child Loop BB24_629 Depth 5
                                        ;         Child Loop BB24_706 Depth 4
                                        ;         Child Loop BB24_813 Depth 4
                                        ;           Child Loop BB24_814 Depth 5
                                        ;           Child Loop BB24_823 Depth 5
                                        ;         Child Loop BB24_842 Depth 4
                                        ;         Child Loop BB24_861 Depth 4
                                        ;       Child Loop BB24_880 Depth 3
                                        ;         Child Loop BB24_886 Depth 4
                                        ;         Child Loop BB24_914 Depth 4
	;; [unrolled: 1-line block ×3, first 2 shown]
	s_sub_i32 s24, s81, s74
	s_cmp_ge_i32 s24, s70
	s_cselect_b32 s25, s70, 0
	s_sub_i32 s24, s24, s25
	s_ashr_i32 s25, s24, 31
	v_mul_lo_u32 v2, v74, s25
	v_mul_lo_u32 v4, v75, s24
	v_mad_u64_u32 v[94:95], s[24:25], v74, s24, 0
	v_add3_u32 v95, v95, v2, v4
	v_sub_co_u32_e32 v4, vcc, v78, v94
	v_mov_b32_e32 v92, 0
	s_nop 0
	v_subb_co_u32_e32 v5, vcc, v79, v95, vcc
	v_cmp_lt_i64_e32 vcc, v[74:75], v[4:5]
	s_nop 1
	v_cndmask_b32_e32 v2, v4, v74, vcc
	v_max_i32_e32 v28, 0, v2
	v_add_u32_e32 v4, 31, v28
	v_ashrrev_i32_e32 v5, 31, v4
	v_lshrrev_b32_e32 v5, 27, v5
	v_add_u32_e32 v4, v4, v5
	v_ashrrev_i32_e32 v4, 5, v4
	v_lshlrev_b32_e32 v4, 4, v4
	v_cmp_lt_i32_e32 vcc, 0, v2
	v_max_i32_e32 v90, s84, v4
	s_and_b64 s[24:25], s[38:39], vcc
	v_mov_b32_e32 v2, 0
	s_and_saveexec_b64 s[40:41], s[24:25]
	s_cbranch_execz .LBB24_877
; %bb.301:                              ;   in Loop: Header=BB24_300 Depth=2
	s_mov_b32 s30, 1
	s_mov_b64 s[44:45], -1
	v_mov_b32_e32 v92, 0
	s_mov_b64 s[42:43], 0
	s_branch .LBB24_303
.LBB24_302:                             ;   in Loop: Header=BB24_303 Depth=3
	s_or_b64 exec, exec, s[24:25]
	v_add_u32_e32 v92, v90, v92
	v_cmp_ge_i32_e32 vcc, v92, v28
	s_xor_b64 s[24:25], s[44:45], -1
	s_or_b64 s[24:25], s[24:25], vcc
	s_and_b64 s[24:25], exec, s[24:25]
	s_or_b64 s[42:43], s[24:25], s[42:43]
	s_mov_b64 s[44:45], 0
	v_mov_b32_e32 v2, s30
	s_mov_b32 s30, 2
	s_andn2_b64 exec, exec, s[42:43]
	s_cbranch_execz .LBB24_876
.LBB24_303:                             ;   Parent Loop BB24_47 Depth=1
                                        ;     Parent Loop BB24_300 Depth=2
                                        ; =>    This Loop Header: Depth=3
                                        ;         Child Loop BB24_311 Depth 4
                                        ;         Child Loop BB24_339 Depth 4
	;; [unrolled: 1-line block ×5, first 2 shown]
                                        ;           Child Loop BB24_592 Depth 5
                                        ;           Child Loop BB24_629 Depth 5
                                        ;         Child Loop BB24_706 Depth 4
                                        ;         Child Loop BB24_813 Depth 4
                                        ;           Child Loop BB24_814 Depth 5
                                        ;           Child Loop BB24_823 Depth 5
                                        ;         Child Loop BB24_842 Depth 4
                                        ;         Child Loop BB24_861 Depth 4
	s_and_saveexec_b64 s[24:25], s[0:1]
	s_cbranch_execz .LBB24_305
; %bb.304:                              ;   in Loop: Header=BB24_303 Depth=3
	s_trap 2
	ds_read_b64 v[4:5], v0
	v_ashrrev_i32_e32 v93, 31, v92
	s_waitcnt lgkmcnt(0)
	v_lshl_add_u64 v[4:5], v[88:89], 1, v[4:5]
	v_lshl_add_u64 v[4:5], v[94:95], 1, v[4:5]
	;; [unrolled: 1-line block ×3, first 2 shown]
	ds_write_b64 v0, v[4:5]
	ds_write_b64 v0, v[82:83]
.LBB24_305:                             ;   in Loop: Header=BB24_303 Depth=3
	s_or_b64 exec, exec, s[24:25]
	v_sub_u32_e32 v2, v28, v92
	v_min_i32_e32 v90, v90, v2
	v_and_b32_e32 v2, 12, v122
	v_cmp_ne_u32_e32 vcc, 0, v2
	s_and_saveexec_b64 s[26:27], vcc
	s_cbranch_execz .LBB24_331
; %bb.306:                              ;   in Loop: Header=BB24_303 Depth=3
	v_and_b32_e32 v2, 8, v122
	s_waitcnt vmcnt(0) lgkmcnt(0)
	v_lshl_add_u64 v[4:5], v[80:81], 0, v[2:3]
	v_lshl_add_u64 v[8:9], v[76:77], 0, 2
	v_cmp_lt_u64_e32 vcc, v[4:5], v[8:9]
	s_and_saveexec_b64 s[28:29], vcc
	s_cbranch_execz .LBB24_318
; %bb.307:                              ;   in Loop: Header=BB24_303 Depth=3
	v_and_b32_e32 v4, 64, v122
	s_mov_b32 s31, 0
	v_cmp_eq_u32_e32 vcc, 0, v4
	s_mov_b64 s[46:47], 0
                                        ; implicit-def: $sgpr56_sgpr57
                                        ; implicit-def: $sgpr58_sgpr59
                                        ; implicit-def: $sgpr60_sgpr61
	s_branch .LBB24_311
.LBB24_308:                             ;   in Loop: Header=BB24_311 Depth=4
	s_waitcnt vmcnt(0) lgkmcnt(0)
	v_lshl_add_u64 v[10:11], v[80:81], 0, v[2:3]
	v_cmp_ge_u64_e64 s[24:25], v[10:11], v[8:9]
	s_or_b64 s[54:55], s[54:55], exec
	s_orn2_b64 s[52:53], s[24:25], exec
.LBB24_309:                             ;   in Loop: Header=BB24_311 Depth=4
	s_or_b64 exec, exec, s[66:67]
	s_andn2_b64 s[24:25], s[60:61], exec
	s_and_b64 s[60:61], s[54:55], exec
	s_or_b64 s[60:61], s[24:25], s[60:61]
	s_andn2_b64 s[24:25], s[58:59], exec
	s_and_b64 s[58:59], s[52:53], exec
	s_or_b64 s[58:59], s[24:25], s[58:59]
.LBB24_310:                             ;   in Loop: Header=BB24_311 Depth=4
	s_or_b64 exec, exec, s[50:51]
	s_and_b64 s[24:25], exec, s[58:59]
	s_or_b64 s[46:47], s[24:25], s[46:47]
	s_andn2_b64 s[24:25], s[56:57], exec
	s_and_b64 s[56:57], s[60:61], exec
	s_or_b64 s[56:57], s[24:25], s[56:57]
	s_andn2_b64 exec, exec, s[46:47]
	s_cbranch_execz .LBB24_315
.LBB24_311:                             ;   Parent Loop BB24_47 Depth=1
                                        ;     Parent Loop BB24_300 Depth=2
                                        ;       Parent Loop BB24_303 Depth=3
                                        ; =>      This Inner Loop Header: Depth=4
	s_sleep 1
	s_waitcnt vmcnt(0) lgkmcnt(0)
	flat_load_dwordx2 v[80:81], v[64:65] sc0 sc1
	s_or_b64 s[60:61], s[60:61], exec
	s_or_b64 s[58:59], s[58:59], exec
                                        ; implicit-def: $vgpr4
	s_and_saveexec_b64 s[50:51], vcc
	s_cbranch_execz .LBB24_310
; %bb.312:                              ;   in Loop: Header=BB24_311 Depth=4
	s_cmpk_lt_i32 s31, 0x270f
	s_cselect_b64 s[64:65], -1, 0
	s_cmpk_gt_i32 s31, 0x270e
	s_mov_b64 s[52:53], -1
	s_cbranch_scc0 .LBB24_314
; %bb.313:                              ;   in Loop: Header=BB24_311 Depth=4
	s_trap 2
	ds_read_b64 v[4:5], v0
	s_andn2_b64 s[64:65], s[64:65], exec
	s_mov_b32 s31, 0
	s_mov_b64 s[54:55], 0
	s_waitcnt vmcnt(0) lgkmcnt(0)
	flat_load_dword v4, v[4:5] sc0 sc1
	s_waitcnt vmcnt(0) lgkmcnt(0)
	buffer_inv sc0 sc1
	v_cmp_eq_u32_e64 s[24:25], 0, v4
	s_and_b64 s[24:25], s[24:25], exec
	s_or_b64 s[64:65], s[64:65], s[24:25]
	s_and_saveexec_b64 s[66:67], s[64:65]
	s_cbranch_execz .LBB24_309
	s_branch .LBB24_308
.LBB24_314:                             ;   in Loop: Header=BB24_311 Depth=4
	s_add_i32 s31, s31, 1
	s_mov_b64 s[54:55], -1
                                        ; implicit-def: $vgpr4
	s_and_saveexec_b64 s[66:67], s[64:65]
	s_cbranch_execz .LBB24_309
	s_branch .LBB24_308
.LBB24_315:                             ;   in Loop: Header=BB24_303 Depth=3
	s_or_b64 exec, exec, s[46:47]
	s_xor_b64 s[24:25], s[56:57], -1
	s_and_saveexec_b64 s[46:47], s[24:25]
	s_xor_b64 s[24:25], exec, s[46:47]
	s_cbranch_execz .LBB24_317
; %bb.316:                              ;   in Loop: Header=BB24_303 Depth=3
	v_or_b32_e32 v122, 64, v122
	s_waitcnt lgkmcnt(0)
	ds_write_b32 v0, v4
	s_trap 2
.LBB24_317:                             ;   in Loop: Header=BB24_303 Depth=3
	s_or_b64 exec, exec, s[24:25]
.LBB24_318:                             ;   in Loop: Header=BB24_303 Depth=3
	s_or_b64 exec, exec, s[28:29]
	v_and_b32_e32 v4, 0x108, v122
	v_cmp_ne_u32_e32 vcc, s72, v4
	;;#ASMSTART
	s_wakeup
	;;#ASMEND
                                        ; implicit-def: $vgpr10_vgpr11
	s_and_saveexec_b64 s[24:25], vcc
	s_xor_b64 s[24:25], exec, s[24:25]
; %bb.319:                              ;   in Loop: Header=BB24_303 Depth=3
	v_and_b32_e32 v10, 7, v76
	v_mov_b32_e32 v11, v3
                                        ; implicit-def: $vgpr76_vgpr77
; %bb.320:                              ;   in Loop: Header=BB24_303 Depth=3
	s_andn2_saveexec_b64 s[24:25], s[24:25]
	s_cbranch_execz .LBB24_322
; %bb.321:                              ;   in Loop: Header=BB24_303 Depth=3
	v_and_b32_e32 v10, 7, v76
	v_ashrrev_i32_e32 v91, 31, v90
	v_mov_b32_e32 v11, v3
	v_mad_u64_u32 v[4:5], s[28:29], v10, 24, v[6:7]
	v_lshlrev_b64 v[12:13], 1, v[90:91]
	flat_store_dwordx2 v[4:5], v[12:13] offset:8
.LBB24_322:                             ;   in Loop: Header=BB24_303 Depth=3
	s_or_b64 exec, exec, s[24:25]
	v_and_b32_e32 v4, 0x100, v122
	v_cmp_ne_u32_e32 vcc, 0, v4
	s_mov_b64 s[24:25], -1
                                        ; implicit-def: $vgpr12_vgpr13
	s_and_saveexec_b64 s[28:29], vcc
	s_cbranch_execz .LBB24_326
; %bb.323:                              ;   in Loop: Header=BB24_303 Depth=3
	v_mad_u64_u32 v[14:15], s[24:25], v10, 24, v[6:7]
	v_mov_b32_e32 v4, v15
	v_mad_u64_u32 v[4:5], s[24:25], v11, 24, v[4:5]
	v_mov_b32_e32 v15, v4
	flat_load_dword v4, v[14:15]
                                        ; implicit-def: $vgpr12_vgpr13
	s_waitcnt vmcnt(0) lgkmcnt(0)
	v_cmp_ne_u32_e32 vcc, 1, v4
	v_cmp_eq_u32_e64 s[24:25], 1, v4
	s_and_saveexec_b64 s[46:47], s[24:25]
	s_cbranch_execz .LBB24_325
; %bb.324:                              ;   in Loop: Header=BB24_303 Depth=3
	flat_load_dword v4, v[14:15] offset:4 sc0 sc1
	s_waitcnt vmcnt(0) lgkmcnt(0)
	v_ashrrev_i32_e32 v5, 31, v4
	v_lshrrev_b64 v[12:13], 1, v[4:5]
.LBB24_325:                             ;   in Loop: Header=BB24_303 Depth=3
	s_or_b64 exec, exec, s[46:47]
	s_orn2_b64 s[24:25], vcc, exec
.LBB24_326:                             ;   in Loop: Header=BB24_303 Depth=3
	s_or_b64 exec, exec, s[28:29]
	s_and_saveexec_b64 s[28:29], s[24:25]
; %bb.327:                              ;   in Loop: Header=BB24_303 Depth=3
	v_mul_lo_u32 v4, v11, v30
	v_mul_lo_u32 v5, v10, v1
	v_mad_u64_u32 v[12:13], s[24:25], v10, v30, 0
	v_add3_u32 v13, v13, v5, v4
; %bb.328:                              ;   in Loop: Header=BB24_303 Depth=3
	s_or_b64 exec, exec, s[28:29]
	v_cmp_eq_u32_e32 vcc, 0, v2
	v_lshl_add_u64 v[4:5], v[12:13], 1, v[66:67]
	s_nop 0
	v_cndmask_b32_e32 v2, v53, v124, vcc
	v_add_u32_e32 v2, v0, v2
	ds_write_b64 v2, v[4:5] offset:584
	v_and_b32_e32 v2, 0x2000, v122
	v_cmp_ne_u32_e32 vcc, 0, v2
	s_and_saveexec_b64 s[24:25], vcc
	s_cbranch_execz .LBB24_330
; %bb.329:                              ;   in Loop: Header=BB24_303 Depth=3
	ds_read_b64 v[4:5], v0 offset:872
	s_waitcnt lgkmcnt(0)
	v_lshl_add_u64 v[4:5], v[4:5], 0, 1
	ds_write_b64 v0, v[4:5] offset:872
.LBB24_330:                             ;   in Loop: Header=BB24_303 Depth=3
	s_or_b64 exec, exec, s[24:25]
	v_mov_b64_e32 v[76:77], v[8:9]
.LBB24_331:                             ;   in Loop: Header=BB24_303 Depth=3
	s_or_b64 exec, exec, s[26:27]
	s_and_saveexec_b64 s[24:25], s[4:5]
	s_cbranch_execz .LBB24_350
; %bb.332:                              ;   in Loop: Header=BB24_303 Depth=3
	s_and_saveexec_b64 s[26:27], s[76:77]
	s_xor_b64 s[26:27], exec, s[26:27]
	s_cbranch_execz .LBB24_347
; %bb.333:                              ;   in Loop: Header=BB24_303 Depth=3
	s_and_saveexec_b64 s[28:29], s[12:13]
	s_cbranch_execz .LBB24_346
; %bb.334:                              ;   in Loop: Header=BB24_303 Depth=3
	s_mov_b64 s[56:57], exec
	v_mbcnt_lo_u32_b32 v2, s56, 0
	v_mbcnt_hi_u32_b32 v2, s57, v2
	v_cmp_eq_u32_e32 vcc, 0, v2
	s_waitcnt lgkmcnt(0)
	s_and_saveexec_b64 s[46:47], vcc
	s_cbranch_execz .LBB24_336
; %bb.335:                              ;   in Loop: Header=BB24_303 Depth=3
	s_bcnt1_i32_b64 s56, s[56:57]
	v_mov_b32_e32 v2, s56
	ds_add_u64 v0, v[2:3]
	s_trap 2
.LBB24_336:                             ;   in Loop: Header=BB24_303 Depth=3
	s_or_b64 exec, exec, s[46:47]
	s_trap 2
	ds_read_b64 v[4:5], v0
	s_waitcnt lgkmcnt(0)
	v_lshl_add_u64 v[70:71], v[70:71], 0, v[84:85]
	v_cmp_lt_u64_e32 vcc, v[4:5], v[70:71]
	s_and_saveexec_b64 s[46:47], vcc
	s_cbranch_execz .LBB24_345
; %bb.337:                              ;   in Loop: Header=BB24_303 Depth=3
	s_mov_b32 s31, 0
	s_mov_b64 s[56:57], 0
                                        ; implicit-def: $sgpr58_sgpr59
                                        ; implicit-def: $sgpr60_sgpr61
	s_branch .LBB24_339
.LBB24_338:                             ;   in Loop: Header=BB24_339 Depth=4
	s_or_b64 exec, exec, s[52:53]
	s_and_b64 vcc, exec, vcc
	s_or_b64 s[56:57], vcc, s[56:57]
	s_andn2_b64 s[58:59], s[58:59], exec
	s_and_b64 vcc, s[60:61], exec
	s_or_b64 s[58:59], s[58:59], vcc
	s_andn2_b64 exec, exec, s[56:57]
	s_cbranch_execz .LBB24_343
.LBB24_339:                             ;   Parent Loop BB24_47 Depth=1
                                        ;     Parent Loop BB24_300 Depth=2
                                        ;       Parent Loop BB24_303 Depth=3
                                        ; =>      This Inner Loop Header: Depth=4
	s_add_i32 s31, s31, 1
	s_cmpk_lg_i32 s31, 0x2710
	s_cselect_b64 s[50:51], -1, 0
	s_and_b64 vcc, exec, s[50:51]
	s_cbranch_vccz .LBB24_341
; %bb.340:                              ;   in Loop: Header=BB24_339 Depth=4
	s_mov_b64 vcc, -1
	s_or_b64 s[60:61], s[60:61], exec
	s_and_saveexec_b64 s[52:53], s[50:51]
	s_cbranch_execz .LBB24_338
	s_branch .LBB24_342
.LBB24_341:                             ;   in Loop: Header=BB24_339 Depth=4
	s_trap 2
	ds_read_b64 v[4:5], v0
	s_andn2_b64 s[50:51], s[50:51], exec
	s_mov_b32 s31, 0
	s_waitcnt vmcnt(0) lgkmcnt(0)
	flat_load_dword v2, v[4:5] sc0 sc1
	s_waitcnt vmcnt(0) lgkmcnt(0)
	buffer_inv sc0 sc1
	v_cmp_eq_u32_e32 vcc, 0, v2
	s_and_b64 vcc, vcc, exec
	s_or_b64 s[50:51], s[50:51], vcc
	s_mov_b64 vcc, -1
	s_or_b64 s[60:61], s[60:61], exec
	s_and_saveexec_b64 s[52:53], s[50:51]
	s_cbranch_execz .LBB24_338
.LBB24_342:                             ;   in Loop: Header=BB24_339 Depth=4
	s_sleep 1
	s_trap 2
	ds_read_b64 v[4:5], v0
	s_waitcnt lgkmcnt(0)
	s_andn2_b64 s[60:61], s[60:61], exec
	v_cmp_ge_u64_e32 vcc, v[4:5], v[70:71]
	s_orn2_b64 vcc, vcc, exec
	s_branch .LBB24_338
.LBB24_343:                             ;   in Loop: Header=BB24_303 Depth=3
	s_or_b64 exec, exec, s[56:57]
	s_and_saveexec_b64 s[56:57], s[58:59]
	s_xor_b64 s[56:57], exec, s[56:57]
	s_cbranch_execz .LBB24_345
; %bb.344:                              ;   in Loop: Header=BB24_303 Depth=3
	ds_write_b32 v0, v52
	s_trap 2
.LBB24_345:                             ;   in Loop: Header=BB24_303 Depth=3
	s_or_b64 exec, exec, s[46:47]
	;;#ASMSTART
	s_wakeup
	;;#ASMEND
.LBB24_346:                             ;   in Loop: Header=BB24_303 Depth=3
	s_or_b64 exec, exec, s[28:29]
.LBB24_347:                             ;   in Loop: Header=BB24_303 Depth=3
	s_andn2_saveexec_b64 s[26:27], s[26:27]
	s_cbranch_execz .LBB24_349
; %bb.348:                              ;   in Loop: Header=BB24_303 Depth=3
	s_waitcnt lgkmcnt(0)
	s_barrier
.LBB24_349:                             ;   in Loop: Header=BB24_303 Depth=3
	s_or_b64 exec, exec, s[26:27]
.LBB24_350:                             ;   in Loop: Header=BB24_303 Depth=3
	s_or_b64 exec, exec, s[24:25]
	s_trap 2
	ds_read_b32 v4, v0
	v_and_b32_e32 v2, 0x4000, v122
	v_cmp_ne_u32_e32 vcc, 0, v2
	s_xor_b64 s[24:25], s[2:3], -1
	s_and_b64 s[26:27], s[24:25], vcc
	s_and_saveexec_b64 s[24:25], s[26:27]
	s_cbranch_execz .LBB24_369
; %bb.351:                              ;   in Loop: Header=BB24_303 Depth=3
	s_and_saveexec_b64 s[26:27], s[76:77]
	s_xor_b64 s[26:27], exec, s[26:27]
	s_cbranch_execz .LBB24_366
; %bb.352:                              ;   in Loop: Header=BB24_303 Depth=3
	s_and_saveexec_b64 s[28:29], s[12:13]
	s_cbranch_execz .LBB24_365
; %bb.353:                              ;   in Loop: Header=BB24_303 Depth=3
	s_mov_b64 s[56:57], exec
	v_mbcnt_lo_u32_b32 v2, s56, 0
	v_mbcnt_hi_u32_b32 v2, s57, v2
	v_cmp_eq_u32_e32 vcc, 0, v2
	s_waitcnt lgkmcnt(0)
	s_and_saveexec_b64 s[46:47], vcc
	s_cbranch_execz .LBB24_355
; %bb.354:                              ;   in Loop: Header=BB24_303 Depth=3
	s_bcnt1_i32_b64 s56, s[56:57]
	v_mov_b32_e32 v2, s56
	ds_add_u64 v0, v[2:3]
	s_trap 2
.LBB24_355:                             ;   in Loop: Header=BB24_303 Depth=3
	s_or_b64 exec, exec, s[46:47]
	s_trap 2
	ds_read_b64 v[8:9], v0
	s_waitcnt lgkmcnt(0)
	v_lshl_add_u64 v[70:71], v[70:71], 0, v[84:85]
	v_cmp_lt_u64_e32 vcc, v[8:9], v[70:71]
	s_and_saveexec_b64 s[46:47], vcc
	s_cbranch_execz .LBB24_364
; %bb.356:                              ;   in Loop: Header=BB24_303 Depth=3
	s_mov_b32 s31, 0
	s_mov_b64 s[56:57], 0
                                        ; implicit-def: $sgpr58_sgpr59
                                        ; implicit-def: $sgpr60_sgpr61
	s_branch .LBB24_358
.LBB24_357:                             ;   in Loop: Header=BB24_358 Depth=4
	s_or_b64 exec, exec, s[52:53]
	s_and_b64 vcc, exec, vcc
	s_or_b64 s[56:57], vcc, s[56:57]
	s_andn2_b64 s[58:59], s[58:59], exec
	s_and_b64 vcc, s[60:61], exec
	s_or_b64 s[58:59], s[58:59], vcc
	s_andn2_b64 exec, exec, s[56:57]
	s_cbranch_execz .LBB24_362
.LBB24_358:                             ;   Parent Loop BB24_47 Depth=1
                                        ;     Parent Loop BB24_300 Depth=2
                                        ;       Parent Loop BB24_303 Depth=3
                                        ; =>      This Inner Loop Header: Depth=4
	s_add_i32 s31, s31, 1
	s_cmpk_lg_i32 s31, 0x2710
	s_cselect_b64 s[50:51], -1, 0
	s_and_b64 vcc, exec, s[50:51]
	s_cbranch_vccz .LBB24_360
; %bb.359:                              ;   in Loop: Header=BB24_358 Depth=4
	s_mov_b64 vcc, -1
	s_or_b64 s[60:61], s[60:61], exec
	s_and_saveexec_b64 s[52:53], s[50:51]
	s_cbranch_execz .LBB24_357
	s_branch .LBB24_361
.LBB24_360:                             ;   in Loop: Header=BB24_358 Depth=4
	s_trap 2
	ds_read_b64 v[8:9], v0
	s_andn2_b64 s[50:51], s[50:51], exec
	s_mov_b32 s31, 0
	s_waitcnt vmcnt(0) lgkmcnt(0)
	flat_load_dword v2, v[8:9] sc0 sc1
	s_waitcnt vmcnt(0) lgkmcnt(0)
	buffer_inv sc0 sc1
	v_cmp_eq_u32_e32 vcc, 0, v2
	s_and_b64 vcc, vcc, exec
	s_or_b64 s[50:51], s[50:51], vcc
	s_mov_b64 vcc, -1
	s_or_b64 s[60:61], s[60:61], exec
	s_and_saveexec_b64 s[52:53], s[50:51]
	s_cbranch_execz .LBB24_357
.LBB24_361:                             ;   in Loop: Header=BB24_358 Depth=4
	s_sleep 1
	s_trap 2
	ds_read_b64 v[8:9], v0
	s_waitcnt lgkmcnt(0)
	s_andn2_b64 s[60:61], s[60:61], exec
	v_cmp_ge_u64_e32 vcc, v[8:9], v[70:71]
	s_orn2_b64 vcc, vcc, exec
	s_branch .LBB24_357
.LBB24_362:                             ;   in Loop: Header=BB24_303 Depth=3
	s_or_b64 exec, exec, s[56:57]
	s_and_saveexec_b64 s[56:57], s[58:59]
	s_xor_b64 s[56:57], exec, s[56:57]
	s_cbranch_execz .LBB24_364
; %bb.363:                              ;   in Loop: Header=BB24_303 Depth=3
	ds_write_b32 v0, v52
	s_trap 2
.LBB24_364:                             ;   in Loop: Header=BB24_303 Depth=3
	s_or_b64 exec, exec, s[46:47]
	;;#ASMSTART
	s_wakeup
	;;#ASMEND
.LBB24_365:                             ;   in Loop: Header=BB24_303 Depth=3
	s_or_b64 exec, exec, s[28:29]
.LBB24_366:                             ;   in Loop: Header=BB24_303 Depth=3
	s_andn2_saveexec_b64 s[26:27], s[26:27]
	s_cbranch_execz .LBB24_368
; %bb.367:                              ;   in Loop: Header=BB24_303 Depth=3
	s_waitcnt lgkmcnt(0)
	s_barrier
.LBB24_368:                             ;   in Loop: Header=BB24_303 Depth=3
	s_or_b64 exec, exec, s[26:27]
.LBB24_369:                             ;   in Loop: Header=BB24_303 Depth=3
	s_or_b64 exec, exec, s[24:25]
	s_trap 2
	ds_read_b64 v[104:105], v0
	s_waitcnt lgkmcnt(0)
	v_cmp_eq_u64_e32 vcc, 0, v[104:105]
	s_cbranch_vccnz .LBB24_377
; %bb.370:                              ;   in Loop: Header=BB24_303 Depth=3
	s_trap 2
	ds_read_b64 v[106:107], v0
	s_waitcnt lgkmcnt(0)
	v_cmp_eq_u64_e32 vcc, 0, v[106:107]
	s_cbranch_vccnz .LBB24_377
; %bb.371:                              ;   in Loop: Header=BB24_303 Depth=3
	s_trap 2
	ds_read_b64 v[8:9], v0
	s_mov_b64 s[26:27], -1
	s_waitcnt lgkmcnt(0)
	v_readfirstlane_b32 s56, v8
	s_and_saveexec_b64 s[24:25], s[18:19]
	s_cbranch_execz .LBB24_373
; %bb.372:                              ;   in Loop: Header=BB24_303 Depth=3
	ds_read_b32 v2, v0 offset:720
	s_waitcnt lgkmcnt(0)
	v_and_b32_e32 v2, 15, v2
	v_cmp_eq_u32_e32 vcc, 0, v2
	s_orn2_b64 s[26:27], vcc, exec
.LBB24_373:                             ;   in Loop: Header=BB24_303 Depth=3
	s_or_b64 exec, exec, s[24:25]
	s_and_saveexec_b64 s[24:25], s[16:17]
	s_cbranch_execz .LBB24_375
; %bb.374:                              ;   in Loop: Header=BB24_303 Depth=3
	ds_read_b32 v2, v0 offset:784
	s_waitcnt lgkmcnt(0)
	v_and_b32_e32 v2, 15, v2
	v_cmp_eq_u32_e32 vcc, 0, v2
	s_and_b64 s[28:29], s[26:27], vcc
	s_andn2_b64 s[26:27], s[26:27], exec
	s_and_b64 s[28:29], s[28:29], exec
	s_or_b64 s[26:27], s[26:27], s[28:29]
.LBB24_375:                             ;   in Loop: Header=BB24_303 Depth=3
	s_or_b64 exec, exec, s[24:25]
	s_xor_b64 s[26:27], s[26:27], -1
	v_cndmask_b32_e64 v2, 0, 1, s[26:27]
	v_cmp_eq_u32_e64 s[24:25], 0, v4
	s_mov_b64 s[28:29], -1
	v_cmp_ne_u32_e32 vcc, 0, v2
	s_cbranch_vccz .LBB24_382
; %bb.376:                              ;   in Loop: Header=BB24_303 Depth=3
	s_and_b32 s31, s56, 1
	s_mov_b64 s[28:29], 0
	s_mov_b64 s[46:47], -1
	s_branch .LBB24_383
.LBB24_377:                             ;   in Loop: Header=BB24_303 Depth=3
	s_mov_b64 s[24:25], 0
	s_and_saveexec_b64 s[26:27], s[4:5]
	s_cbranch_execnz .LBB24_835
.LBB24_378:                             ;   in Loop: Header=BB24_303 Depth=3
	s_or_b64 exec, exec, s[26:27]
                                        ; implicit-def: $vgpr2
	s_and_saveexec_b64 s[26:27], s[20:21]
	s_xor_b64 s[26:27], exec, s[26:27]
	s_cbranch_execz .LBB24_853
.LBB24_379:                             ;   in Loop: Header=BB24_303 Depth=3
	v_and_b32_e32 v4, 16, v122
	v_cmp_ne_u32_e32 vcc, 0, v4
	v_and_b32_e32 v2, 16, v122
	s_and_b64 s[28:29], vcc, s[24:25]
	s_and_saveexec_b64 s[24:25], s[28:29]
	s_cbranch_execz .LBB24_381
; %bb.380:                              ;   in Loop: Header=BB24_303 Depth=3
	v_mov_b32_e32 v2, 1
	buffer_wbl2 sc1
	s_waitcnt vmcnt(0) lgkmcnt(0)
	buffer_inv sc1
.LBB24_381:                             ;   in Loop: Header=BB24_303 Depth=3
	s_or_b64 exec, exec, s[24:25]
	s_andn2_saveexec_b64 s[24:25], s[26:27]
	s_cbranch_execz .LBB24_872
	s_branch .LBB24_854
.LBB24_382:                             ;   in Loop: Header=BB24_303 Depth=3
	s_mov_b64 s[46:47], 0
                                        ; implicit-def: $sgpr31
.LBB24_383:                             ;   in Loop: Header=BB24_303 Depth=3
	v_cndmask_b32_e64 v2, 0, v90, s[24:25]
	v_lshlrev_b32_e32 v29, 1, v2
	s_andn2_b64 vcc, exec, s[28:29]
	v_mov_b32_e32 v14, 0
	s_cbranch_vccnz .LBB24_519
; %bb.384:                              ;   in Loop: Header=BB24_303 Depth=3
	v_ashrrev_i32_e32 v4, 31, v29
	v_lshrrev_b32_e32 v4, 21, v4
	v_add_u32_e32 v4, v29, v4
	v_ashrrev_i32_e32 v91, 11, v4
	v_sub_u32_e32 v93, v91, v31
	s_and_b32 s31, s56, 1
	v_lshl_add_u64 v[108:109], v[106:107], 0, v[102:103]
	v_cmp_lt_i32_e32 vcc, 0, v93
	s_mov_b64 s[24:25], 0
                                        ; implicit-def: $vgpr20_vgpr21
                                        ; implicit-def: $vgpr12_vgpr13
                                        ; implicit-def: $vgpr16_vgpr17
                                        ; implicit-def: $vgpr8_vgpr9
	s_and_saveexec_b64 s[26:27], vcc
	s_cbranch_execz .LBB24_521
; %bb.385:                              ;   in Loop: Header=BB24_303 Depth=3
	s_trap 2
	ds_read_b64 v[4:5], v0
	s_and_b32 s24, 0xffff, s31
	s_cmp_eq_u32 s24, 0
	v_lshl_add_u64 v[110:111], v[104:105], 0, v[102:103]
	s_mov_b64 s[58:59], 0
	s_waitcnt lgkmcnt(0)
	v_lshl_add_u64 v[120:121], v[4:5], 0, v[102:103]
	s_mov_b64 s[28:29], 0
	s_cselect_b64 vcc, -1, 0
                                        ; implicit-def: $sgpr56_sgpr57
                                        ; implicit-def: $vgpr20_vgpr21
                                        ; implicit-def: $vgpr12_vgpr13
                                        ; implicit-def: $vgpr16_vgpr17
                                        ; implicit-def: $vgpr8_vgpr9
	s_branch .LBB24_387
.LBB24_386:                             ;   in Loop: Header=BB24_387 Depth=4
	s_or_b64 exec, exec, s[60:61]
	v_lshrrev_b32_e32 v4, 16, v4
	v_and_or_b32 v98, v5, s63, v4
	v_lshrrev_b32_e32 v4, 16, v38
	v_and_or_b32 v99, v39, s63, v4
	;; [unrolled: 2-line block ×6, first 2 shown]
	v_lshl_add_u64 v[4:5], v[110:111], 0, v[40:41]
	v_lshrrev_b32_e32 v35, 16, v48
	v_cndmask_b32_e64 v110, v110, v4, s[58:59]
	v_cndmask_b32_e64 v4, 0, v84, s[58:59]
	v_and_or_b32 v97, v37, s63, v35
	v_lshrrev_b32_e32 v35, 16, v87
	v_sub_u32_e32 v93, v86, v4
	v_and_or_b32 v96, v36, s63, v35
	v_cmp_gt_i32_e64 s[24:25], 1, v93
	global_store_dwordx4 v[108:109], v[96:99], off
	global_store_dwordx4 v[108:109], v[24:27], off offset:1024
	s_or_b64 s[28:29], s[24:25], s[28:29]
	s_andn2_b64 s[24:25], s[56:57], exec
	v_mov_b32_e32 v26, 0x800
	v_lshl_add_u64 v[24:25], v[120:121], 0, v[40:41]
	v_cndmask_b32_e64 v27, 0, v59, s[58:59]
	v_cndmask_b32_e64 v26, v26, v58, s[58:59]
	s_and_b64 s[56:57], s[58:59], exec
	v_lshl_add_u64 v[108:109], v[108:109], 0, v[26:27]
	v_cndmask_b32_e64 v111, v111, v5, s[58:59]
	v_cndmask_b32_e64 v121, v121, v25, s[58:59]
	;; [unrolled: 1-line block ×3, first 2 shown]
	s_or_b64 s[56:57], s[24:25], s[56:57]
	s_andn2_b64 exec, exec, s[28:29]
	s_cbranch_execz .LBB24_520
.LBB24_387:                             ;   Parent Loop BB24_47 Depth=1
                                        ;     Parent Loop BB24_300 Depth=2
                                        ;       Parent Loop BB24_303 Depth=3
                                        ; =>      This Inner Loop Header: Depth=4
	global_load_dwordx4 v[36:39], v[110:111], off nt
	global_load_dwordx4 v[24:27], v[110:111], off offset:1024 nt
	global_load_dwordx4 v[48:51], v[120:121], off nt
	global_load_dwordx4 v[32:35], v[120:121], off offset:1024 nt
	s_and_saveexec_b64 s[60:61], s[58:59]
	s_cbranch_execz .LBB24_453
; %bb.388:                              ;   in Loop: Header=BB24_387 Depth=4
	v_lshlrev_b32_e32 v4, 16, v20
	v_lshlrev_b32_e32 v5, 16, v16
	v_max_f32_e32 v5, v5, v5
	v_max_f32_e32 v4, v4, v4
	v_min_f32_e32 v86, v4, v5
	v_max_f32_e32 v4, v4, v5
	v_cndmask_b32_e32 v4, v4, v86, vcc
	v_and_b32_e32 v5, 0x7f800000, v4
	v_cmp_ne_u32_e64 s[24:25], s73, v5
                                        ; implicit-def: $vgpr86
	s_and_saveexec_b64 s[58:59], s[24:25]
	s_xor_b64 s[24:25], exec, s[58:59]
; %bb.389:                              ;   in Loop: Header=BB24_387 Depth=4
	v_bfe_u32 v5, v4, 16, 1
	v_add3_u32 v86, v4, v5, s62
                                        ; implicit-def: $vgpr4
; %bb.390:                              ;   in Loop: Header=BB24_387 Depth=4
	s_andn2_saveexec_b64 s[58:59], s[24:25]
; %bb.391:                              ;   in Loop: Header=BB24_387 Depth=4
	v_or_b32_e32 v5, 0x10000, v4
	v_cmp_eq_u32_sdwa s[24:25], v4, v3 src0_sel:WORD_0 src1_sel:DWORD
	s_nop 1
	v_cndmask_b32_e64 v86, v5, v4, s[24:25]
; %bb.392:                              ;   in Loop: Header=BB24_387 Depth=4
	s_or_b64 exec, exec, s[58:59]
	v_and_b32_e32 v4, 0xffff0000, v20
	v_and_b32_e32 v5, 0xffff0000, v16
	v_max_f32_e32 v5, v5, v5
	v_max_f32_e32 v4, v4, v4
	v_min_f32_e32 v20, v4, v5
	v_max_f32_e32 v4, v4, v5
	v_cndmask_b32_e32 v4, v4, v20, vcc
	v_and_b32_e32 v5, 0x7f800000, v4
	v_cmp_ne_u32_e64 s[24:25], s73, v5
                                        ; implicit-def: $vgpr20
	s_and_saveexec_b64 s[58:59], s[24:25]
	s_xor_b64 s[24:25], exec, s[58:59]
; %bb.393:                              ;   in Loop: Header=BB24_387 Depth=4
	v_bfe_u32 v5, v4, 16, 1
	v_add3_u32 v20, v4, v5, s62
                                        ; implicit-def: $vgpr4
; %bb.394:                              ;   in Loop: Header=BB24_387 Depth=4
	s_andn2_saveexec_b64 s[58:59], s[24:25]
; %bb.395:                              ;   in Loop: Header=BB24_387 Depth=4
	v_or_b32_e32 v5, 0x10000, v4
	v_cmp_eq_u32_sdwa s[24:25], v4, v3 src0_sel:WORD_0 src1_sel:DWORD
	s_nop 1
	v_cndmask_b32_e64 v20, v5, v4, s[24:25]
; %bb.396:                              ;   in Loop: Header=BB24_387 Depth=4
	s_or_b64 exec, exec, s[58:59]
	v_lshlrev_b32_e32 v4, 16, v21
	v_lshlrev_b32_e32 v5, 16, v17
	v_max_f32_e32 v5, v5, v5
	v_max_f32_e32 v4, v4, v4
	v_min_f32_e32 v87, v4, v5
	v_max_f32_e32 v4, v4, v5
	v_cndmask_b32_e32 v4, v4, v87, vcc
	v_and_b32_e32 v5, 0x7f800000, v4
	v_cmp_ne_u32_e64 s[24:25], s73, v5
                                        ; implicit-def: $vgpr87
	s_and_saveexec_b64 s[58:59], s[24:25]
	s_xor_b64 s[24:25], exec, s[58:59]
; %bb.397:                              ;   in Loop: Header=BB24_387 Depth=4
	v_bfe_u32 v5, v4, 16, 1
	v_add3_u32 v87, v4, v5, s62
                                        ; implicit-def: $vgpr4
; %bb.398:                              ;   in Loop: Header=BB24_387 Depth=4
	s_andn2_saveexec_b64 s[58:59], s[24:25]
; %bb.399:                              ;   in Loop: Header=BB24_387 Depth=4
	v_or_b32_e32 v5, 0x10000, v4
	v_cmp_eq_u32_sdwa s[24:25], v4, v3 src0_sel:WORD_0 src1_sel:DWORD
	s_nop 1
	v_cndmask_b32_e64 v87, v5, v4, s[24:25]
; %bb.400:                              ;   in Loop: Header=BB24_387 Depth=4
	s_or_b64 exec, exec, s[58:59]
	v_and_b32_e32 v4, 0xffff0000, v21
	v_and_b32_e32 v5, 0xffff0000, v17
	v_max_f32_e32 v5, v5, v5
	v_max_f32_e32 v4, v4, v4
	v_min_f32_e32 v21, v4, v5
	v_max_f32_e32 v4, v4, v5
	v_cndmask_b32_e32 v4, v4, v21, vcc
	v_and_b32_e32 v5, 0x7f800000, v4
	v_cmp_ne_u32_e64 s[24:25], s73, v5
                                        ; implicit-def: $vgpr21
	s_and_saveexec_b64 s[58:59], s[24:25]
	s_xor_b64 s[24:25], exec, s[58:59]
; %bb.401:                              ;   in Loop: Header=BB24_387 Depth=4
	v_bfe_u32 v5, v4, 16, 1
	v_add3_u32 v21, v4, v5, s62
                                        ; implicit-def: $vgpr4
; %bb.402:                              ;   in Loop: Header=BB24_387 Depth=4
	s_andn2_saveexec_b64 s[58:59], s[24:25]
; %bb.403:                              ;   in Loop: Header=BB24_387 Depth=4
	v_or_b32_e32 v5, 0x10000, v4
	v_cmp_eq_u32_sdwa s[24:25], v4, v3 src0_sel:WORD_0 src1_sel:DWORD
	s_nop 1
	v_cndmask_b32_e64 v21, v5, v4, s[24:25]
; %bb.404:                              ;   in Loop: Header=BB24_387 Depth=4
	s_or_b64 exec, exec, s[58:59]
	v_lshlrev_b32_e32 v4, 16, v22
	v_lshlrev_b32_e32 v5, 16, v18
	v_max_f32_e32 v5, v5, v5
	v_max_f32_e32 v4, v4, v4
	v_min_f32_e32 v96, v4, v5
	v_max_f32_e32 v4, v4, v5
	v_cndmask_b32_e32 v5, v4, v96, vcc
	v_and_b32_e32 v4, 0x7f800000, v5
	v_cmp_ne_u32_e64 s[24:25], s73, v4
                                        ; implicit-def: $vgpr4
	s_and_saveexec_b64 s[58:59], s[24:25]
	s_xor_b64 s[24:25], exec, s[58:59]
; %bb.405:                              ;   in Loop: Header=BB24_387 Depth=4
	v_bfe_u32 v4, v5, 16, 1
	v_add3_u32 v4, v5, v4, s62
                                        ; implicit-def: $vgpr5
; %bb.406:                              ;   in Loop: Header=BB24_387 Depth=4
	s_andn2_saveexec_b64 s[58:59], s[24:25]
; %bb.407:                              ;   in Loop: Header=BB24_387 Depth=4
	v_or_b32_e32 v4, 0x10000, v5
	v_cmp_eq_u32_sdwa s[24:25], v5, v3 src0_sel:WORD_0 src1_sel:DWORD
	s_nop 1
	v_cndmask_b32_e64 v4, v4, v5, s[24:25]
; %bb.408:                              ;   in Loop: Header=BB24_387 Depth=4
	s_or_b64 exec, exec, s[58:59]
	v_and_b32_e32 v5, 0xffff0000, v22
	v_and_b32_e32 v22, 0xffff0000, v18
	v_max_f32_e32 v22, v22, v22
	v_max_f32_e32 v5, v5, v5
	v_min_f32_e32 v96, v5, v22
	v_max_f32_e32 v5, v5, v22
	v_cndmask_b32_e32 v22, v5, v96, vcc
	v_and_b32_e32 v5, 0x7f800000, v22
	v_cmp_ne_u32_e64 s[24:25], s73, v5
                                        ; implicit-def: $vgpr5
	s_and_saveexec_b64 s[58:59], s[24:25]
	s_xor_b64 s[24:25], exec, s[58:59]
; %bb.409:                              ;   in Loop: Header=BB24_387 Depth=4
	v_bfe_u32 v5, v22, 16, 1
	v_add3_u32 v5, v22, v5, s62
                                        ; implicit-def: $vgpr22
; %bb.410:                              ;   in Loop: Header=BB24_387 Depth=4
	s_andn2_saveexec_b64 s[58:59], s[24:25]
; %bb.411:                              ;   in Loop: Header=BB24_387 Depth=4
	v_or_b32_e32 v5, 0x10000, v22
	v_cmp_eq_u32_sdwa s[24:25], v22, v3 src0_sel:WORD_0 src1_sel:DWORD
	s_nop 1
	v_cndmask_b32_e64 v5, v5, v22, s[24:25]
; %bb.412:                              ;   in Loop: Header=BB24_387 Depth=4
	s_or_b64 exec, exec, s[58:59]
	v_lshlrev_b32_e32 v22, 16, v23
	v_lshlrev_b32_e32 v96, 16, v19
	v_max_f32_e32 v96, v96, v96
	v_max_f32_e32 v22, v22, v22
	v_min_f32_e32 v97, v22, v96
	v_max_f32_e32 v22, v22, v96
	v_cndmask_b32_e32 v22, v22, v97, vcc
	v_and_b32_e32 v96, 0x7f800000, v22
	v_cmp_ne_u32_e64 s[24:25], s73, v96
                                        ; implicit-def: $vgpr62
	s_and_saveexec_b64 s[58:59], s[24:25]
	s_xor_b64 s[24:25], exec, s[58:59]
; %bb.413:                              ;   in Loop: Header=BB24_387 Depth=4
	v_bfe_u32 v96, v22, 16, 1
	v_add3_u32 v62, v22, v96, s62
                                        ; implicit-def: $vgpr22
; %bb.414:                              ;   in Loop: Header=BB24_387 Depth=4
	s_andn2_saveexec_b64 s[58:59], s[24:25]
; %bb.415:                              ;   in Loop: Header=BB24_387 Depth=4
	v_or_b32_e32 v96, 0x10000, v22
	v_cmp_eq_u32_sdwa s[24:25], v22, v3 src0_sel:WORD_0 src1_sel:DWORD
	s_nop 1
	v_cndmask_b32_e64 v62, v96, v22, s[24:25]
; %bb.416:                              ;   in Loop: Header=BB24_387 Depth=4
	s_or_b64 exec, exec, s[58:59]
	v_and_b32_e32 v22, 0xffff0000, v23
	v_and_b32_e32 v23, 0xffff0000, v19
	v_max_f32_e32 v23, v23, v23
	v_max_f32_e32 v22, v22, v22
	v_min_f32_e32 v96, v22, v23
	v_max_f32_e32 v22, v22, v23
	v_cndmask_b32_e32 v22, v22, v96, vcc
	v_and_b32_e32 v23, 0x7f800000, v22
	v_cmp_ne_u32_e64 s[24:25], s73, v23
                                        ; implicit-def: $vgpr23
	s_and_saveexec_b64 s[58:59], s[24:25]
	s_xor_b64 s[24:25], exec, s[58:59]
; %bb.417:                              ;   in Loop: Header=BB24_387 Depth=4
	v_bfe_u32 v23, v22, 16, 1
	v_add3_u32 v23, v22, v23, s62
                                        ; implicit-def: $vgpr22
; %bb.418:                              ;   in Loop: Header=BB24_387 Depth=4
	s_andn2_saveexec_b64 s[58:59], s[24:25]
; %bb.419:                              ;   in Loop: Header=BB24_387 Depth=4
	v_or_b32_e32 v23, 0x10000, v22
	v_cmp_eq_u32_sdwa s[24:25], v22, v3 src0_sel:WORD_0 src1_sel:DWORD
	s_nop 1
	v_cndmask_b32_e64 v23, v23, v22, s[24:25]
; %bb.420:                              ;   in Loop: Header=BB24_387 Depth=4
	s_or_b64 exec, exec, s[58:59]
	v_lshlrev_b32_e32 v22, 16, v12
	v_lshlrev_b32_e32 v96, 16, v8
	v_max_f32_e32 v96, v96, v96
	v_max_f32_e32 v22, v22, v22
	v_min_f32_e32 v97, v22, v96
	v_max_f32_e32 v22, v22, v96
	v_cndmask_b32_e32 v22, v22, v97, vcc
	v_and_b32_e32 v96, 0x7f800000, v22
	v_cmp_ne_u32_e64 s[24:25], s73, v96
                                        ; implicit-def: $vgpr63
	s_and_saveexec_b64 s[58:59], s[24:25]
	s_xor_b64 s[24:25], exec, s[58:59]
; %bb.421:                              ;   in Loop: Header=BB24_387 Depth=4
	v_bfe_u32 v96, v22, 16, 1
	v_add3_u32 v63, v22, v96, s62
                                        ; implicit-def: $vgpr22
; %bb.422:                              ;   in Loop: Header=BB24_387 Depth=4
	s_andn2_saveexec_b64 s[58:59], s[24:25]
; %bb.423:                              ;   in Loop: Header=BB24_387 Depth=4
	v_or_b32_e32 v96, 0x10000, v22
	v_cmp_eq_u32_sdwa s[24:25], v22, v3 src0_sel:WORD_0 src1_sel:DWORD
	s_nop 1
	v_cndmask_b32_e64 v63, v96, v22, s[24:25]
; %bb.424:                              ;   in Loop: Header=BB24_387 Depth=4
	s_or_b64 exec, exec, s[58:59]
	v_and_b32_e32 v12, 0xffff0000, v12
	v_and_b32_e32 v22, 0xffff0000, v8
	v_max_f32_e32 v22, v22, v22
	v_max_f32_e32 v12, v12, v12
	v_min_f32_e32 v96, v12, v22
	v_max_f32_e32 v12, v12, v22
	v_cndmask_b32_e32 v22, v12, v96, vcc
	v_and_b32_e32 v12, 0x7f800000, v22
	v_cmp_ne_u32_e64 s[24:25], s73, v12
                                        ; implicit-def: $vgpr12
	s_and_saveexec_b64 s[58:59], s[24:25]
	s_xor_b64 s[24:25], exec, s[58:59]
; %bb.425:                              ;   in Loop: Header=BB24_387 Depth=4
	v_bfe_u32 v12, v22, 16, 1
	v_add3_u32 v12, v22, v12, s62
                                        ; implicit-def: $vgpr22
; %bb.426:                              ;   in Loop: Header=BB24_387 Depth=4
	s_andn2_saveexec_b64 s[58:59], s[24:25]
; %bb.427:                              ;   in Loop: Header=BB24_387 Depth=4
	v_or_b32_e32 v12, 0x10000, v22
	v_cmp_eq_u32_sdwa s[24:25], v22, v3 src0_sel:WORD_0 src1_sel:DWORD
	s_nop 1
	v_cndmask_b32_e64 v12, v12, v22, s[24:25]
; %bb.428:                              ;   in Loop: Header=BB24_387 Depth=4
	s_or_b64 exec, exec, s[58:59]
	v_lshlrev_b32_e32 v22, 16, v13
	v_lshlrev_b32_e32 v96, 16, v9
	v_max_f32_e32 v96, v96, v96
	v_max_f32_e32 v22, v22, v22
	v_min_f32_e32 v97, v22, v96
	v_max_f32_e32 v22, v22, v96
	v_cndmask_b32_e32 v22, v22, v97, vcc
	v_and_b32_e32 v96, 0x7f800000, v22
	v_cmp_ne_u32_e64 s[24:25], s73, v96
                                        ; implicit-def: $vgpr72
	s_and_saveexec_b64 s[58:59], s[24:25]
	s_xor_b64 s[24:25], exec, s[58:59]
; %bb.429:                              ;   in Loop: Header=BB24_387 Depth=4
	v_bfe_u32 v96, v22, 16, 1
	v_add3_u32 v72, v22, v96, s62
                                        ; implicit-def: $vgpr22
; %bb.430:                              ;   in Loop: Header=BB24_387 Depth=4
	s_andn2_saveexec_b64 s[58:59], s[24:25]
; %bb.431:                              ;   in Loop: Header=BB24_387 Depth=4
	v_or_b32_e32 v96, 0x10000, v22
	v_cmp_eq_u32_sdwa s[24:25], v22, v3 src0_sel:WORD_0 src1_sel:DWORD
	s_nop 1
	v_cndmask_b32_e64 v72, v96, v22, s[24:25]
; %bb.432:                              ;   in Loop: Header=BB24_387 Depth=4
	s_or_b64 exec, exec, s[58:59]
	v_and_b32_e32 v13, 0xffff0000, v13
	v_and_b32_e32 v22, 0xffff0000, v9
	v_max_f32_e32 v22, v22, v22
	v_max_f32_e32 v13, v13, v13
	v_min_f32_e32 v96, v13, v22
	v_max_f32_e32 v13, v13, v22
	v_cndmask_b32_e32 v22, v13, v96, vcc
	v_and_b32_e32 v13, 0x7f800000, v22
	v_cmp_ne_u32_e64 s[24:25], s73, v13
                                        ; implicit-def: $vgpr13
	s_and_saveexec_b64 s[58:59], s[24:25]
	s_xor_b64 s[24:25], exec, s[58:59]
; %bb.433:                              ;   in Loop: Header=BB24_387 Depth=4
	v_bfe_u32 v13, v22, 16, 1
	v_add3_u32 v13, v22, v13, s62
                                        ; implicit-def: $vgpr22
; %bb.434:                              ;   in Loop: Header=BB24_387 Depth=4
	s_andn2_saveexec_b64 s[58:59], s[24:25]
; %bb.435:                              ;   in Loop: Header=BB24_387 Depth=4
	v_or_b32_e32 v13, 0x10000, v22
	v_cmp_eq_u32_sdwa s[24:25], v22, v3 src0_sel:WORD_0 src1_sel:DWORD
	s_nop 1
	v_cndmask_b32_e64 v13, v13, v22, s[24:25]
; %bb.436:                              ;   in Loop: Header=BB24_387 Depth=4
	s_or_b64 exec, exec, s[58:59]
	v_lshlrev_b32_e32 v22, 16, v14
	v_lshlrev_b32_e32 v96, 16, v10
	v_max_f32_e32 v96, v96, v96
	v_max_f32_e32 v22, v22, v22
	v_min_f32_e32 v97, v22, v96
	v_max_f32_e32 v22, v22, v96
	v_cndmask_b32_e32 v22, v22, v97, vcc
	v_and_b32_e32 v96, 0x7f800000, v22
	v_cmp_ne_u32_e64 s[24:25], s73, v96
                                        ; implicit-def: $vgpr73
	s_and_saveexec_b64 s[58:59], s[24:25]
	s_xor_b64 s[24:25], exec, s[58:59]
; %bb.437:                              ;   in Loop: Header=BB24_387 Depth=4
	v_bfe_u32 v96, v22, 16, 1
	v_add3_u32 v73, v22, v96, s62
                                        ; implicit-def: $vgpr22
; %bb.438:                              ;   in Loop: Header=BB24_387 Depth=4
	s_andn2_saveexec_b64 s[58:59], s[24:25]
; %bb.439:                              ;   in Loop: Header=BB24_387 Depth=4
	v_or_b32_e32 v96, 0x10000, v22
	v_cmp_eq_u32_sdwa s[24:25], v22, v3 src0_sel:WORD_0 src1_sel:DWORD
	s_nop 1
	v_cndmask_b32_e64 v73, v96, v22, s[24:25]
; %bb.440:                              ;   in Loop: Header=BB24_387 Depth=4
	s_or_b64 exec, exec, s[58:59]
	v_and_b32_e32 v14, 0xffff0000, v14
	v_and_b32_e32 v22, 0xffff0000, v10
	v_max_f32_e32 v22, v22, v22
	v_max_f32_e32 v14, v14, v14
	v_min_f32_e32 v96, v14, v22
	v_max_f32_e32 v14, v14, v22
	v_cndmask_b32_e32 v22, v14, v96, vcc
	v_and_b32_e32 v14, 0x7f800000, v22
	v_cmp_ne_u32_e64 s[24:25], s73, v14
                                        ; implicit-def: $vgpr14
	s_and_saveexec_b64 s[58:59], s[24:25]
	s_xor_b64 s[24:25], exec, s[58:59]
; %bb.441:                              ;   in Loop: Header=BB24_387 Depth=4
	v_bfe_u32 v14, v22, 16, 1
	v_add3_u32 v14, v22, v14, s62
                                        ; implicit-def: $vgpr22
; %bb.442:                              ;   in Loop: Header=BB24_387 Depth=4
	s_andn2_saveexec_b64 s[58:59], s[24:25]
; %bb.443:                              ;   in Loop: Header=BB24_387 Depth=4
	v_or_b32_e32 v14, 0x10000, v22
	v_cmp_eq_u32_sdwa s[24:25], v22, v3 src0_sel:WORD_0 src1_sel:DWORD
	s_nop 1
	v_cndmask_b32_e64 v14, v14, v22, s[24:25]
; %bb.444:                              ;   in Loop: Header=BB24_387 Depth=4
	s_or_b64 exec, exec, s[58:59]
	v_lshlrev_b32_e32 v22, 16, v15
	v_lshlrev_b32_e32 v96, 16, v11
	v_max_f32_e32 v96, v96, v96
	v_max_f32_e32 v22, v22, v22
	v_min_f32_e32 v97, v22, v96
	v_max_f32_e32 v22, v22, v96
	v_cndmask_b32_e32 v22, v22, v97, vcc
	v_and_b32_e32 v96, 0x7f800000, v22
	v_cmp_ne_u32_e64 s[24:25], s73, v96
                                        ; implicit-def: $vgpr98
	s_and_saveexec_b64 s[58:59], s[24:25]
	s_xor_b64 s[24:25], exec, s[58:59]
; %bb.445:                              ;   in Loop: Header=BB24_387 Depth=4
	v_bfe_u32 v96, v22, 16, 1
	v_add3_u32 v98, v22, v96, s62
                                        ; implicit-def: $vgpr22
; %bb.446:                              ;   in Loop: Header=BB24_387 Depth=4
	s_andn2_saveexec_b64 s[58:59], s[24:25]
; %bb.447:                              ;   in Loop: Header=BB24_387 Depth=4
	v_or_b32_e32 v96, 0x10000, v22
	v_cmp_eq_u32_sdwa s[24:25], v22, v3 src0_sel:WORD_0 src1_sel:DWORD
	s_nop 1
	v_cndmask_b32_e64 v98, v96, v22, s[24:25]
; %bb.448:                              ;   in Loop: Header=BB24_387 Depth=4
	s_or_b64 exec, exec, s[58:59]
	v_and_b32_e32 v15, 0xffff0000, v15
	v_and_b32_e32 v22, 0xffff0000, v11
	v_max_f32_e32 v22, v22, v22
	v_max_f32_e32 v15, v15, v15
	v_min_f32_e32 v96, v15, v22
	v_max_f32_e32 v15, v15, v22
	v_cndmask_b32_e32 v22, v15, v96, vcc
	v_and_b32_e32 v15, 0x7f800000, v22
	v_cmp_ne_u32_e64 s[24:25], s73, v15
                                        ; implicit-def: $vgpr15
	s_and_saveexec_b64 s[58:59], s[24:25]
	s_xor_b64 s[24:25], exec, s[58:59]
; %bb.449:                              ;   in Loop: Header=BB24_387 Depth=4
	v_bfe_u32 v15, v22, 16, 1
	v_add3_u32 v15, v22, v15, s62
                                        ; implicit-def: $vgpr22
; %bb.450:                              ;   in Loop: Header=BB24_387 Depth=4
	s_andn2_saveexec_b64 s[58:59], s[24:25]
; %bb.451:                              ;   in Loop: Header=BB24_387 Depth=4
	v_or_b32_e32 v15, 0x10000, v22
	v_cmp_eq_u32_sdwa s[24:25], v22, v3 src0_sel:WORD_0 src1_sel:DWORD
	s_nop 1
	v_cndmask_b32_e64 v15, v15, v22, s[24:25]
; %bb.452:                              ;   in Loop: Header=BB24_387 Depth=4
	s_or_b64 exec, exec, s[58:59]
	v_lshrrev_b32_e32 v22, 16, v87
	v_and_or_b32 v21, v21, s63, v22
	v_lshrrev_b32_e32 v22, 16, v86
	v_lshrrev_b32_e32 v4, 16, v4
	v_and_or_b32 v20, v20, s63, v22
	v_and_or_b32 v22, v5, s63, v4
	v_lshrrev_b32_e32 v4, 16, v62
	v_and_or_b32 v23, v23, s63, v4
	v_lshrrev_b32_e32 v4, 16, v72
	;; [unrolled: 2-line block ×5, first 2 shown]
	v_and_or_b32 v15, v15, s63, v4
	global_store_dwordx4 v[108:109], v[20:23], off
	global_store_dwordx4 v[108:109], v[12:15], off offset:1024
	v_lshl_add_u64 v[108:109], v[108:109], 0, v[58:59]
.LBB24_453:                             ;   in Loop: Header=BB24_387 Depth=4
	s_or_b64 exec, exec, s[60:61]
	v_sub_u32_e32 v86, v93, v84
	v_lshl_add_u64 v[110:111], v[110:111], 0, v[58:59]
	v_lshl_add_u64 v[120:121], v[120:121], 0, v[58:59]
	v_cmp_lt_i32_e64 s[58:59], 0, v86
	s_and_saveexec_b64 s[24:25], s[58:59]
	s_cbranch_execz .LBB24_455
; %bb.454:                              ;   in Loop: Header=BB24_387 Depth=4
	global_load_dwordx4 v[20:23], v[110:111], off nt
	global_load_dwordx4 v[12:15], v[110:111], off offset:1024 nt
	global_load_dwordx4 v[16:19], v[120:121], off nt
	global_load_dwordx4 v[8:11], v[120:121], off offset:1024 nt
	v_lshl_add_u64 v[110:111], v[110:111], 0, s[94:95]
	v_lshl_add_u64 v[120:121], v[120:121], 0, s[94:95]
.LBB24_455:                             ;   in Loop: Header=BB24_387 Depth=4
	s_or_b64 exec, exec, s[24:25]
	s_waitcnt vmcnt(0)
	v_lshlrev_b32_e32 v4, 16, v36
	v_lshlrev_b32_e32 v5, 16, v48
	v_max_f32_e32 v5, v5, v5
	v_max_f32_e32 v4, v4, v4
	v_min_f32_e32 v87, v4, v5
	v_max_f32_e32 v4, v4, v5
	v_cndmask_b32_e32 v4, v4, v87, vcc
	v_and_b32_e32 v5, 0x7f800000, v4
	v_cmp_ne_u32_e64 s[24:25], s73, v5
                                        ; implicit-def: $vgpr87
	s_and_saveexec_b64 s[60:61], s[24:25]
	s_xor_b64 s[24:25], exec, s[60:61]
; %bb.456:                              ;   in Loop: Header=BB24_387 Depth=4
	v_bfe_u32 v5, v4, 16, 1
	v_add3_u32 v87, v4, v5, s62
                                        ; implicit-def: $vgpr4
; %bb.457:                              ;   in Loop: Header=BB24_387 Depth=4
	s_andn2_saveexec_b64 s[60:61], s[24:25]
; %bb.458:                              ;   in Loop: Header=BB24_387 Depth=4
	v_or_b32_e32 v5, 0x10000, v4
	v_cmp_eq_u32_sdwa s[24:25], v4, v3 src0_sel:WORD_0 src1_sel:DWORD
	s_nop 1
	v_cndmask_b32_e64 v87, v5, v4, s[24:25]
; %bb.459:                              ;   in Loop: Header=BB24_387 Depth=4
	s_or_b64 exec, exec, s[60:61]
	v_and_b32_e32 v4, 0xffff0000, v36
	v_and_b32_e32 v5, 0xffff0000, v48
	v_max_f32_e32 v5, v5, v5
	v_max_f32_e32 v4, v4, v4
	v_min_f32_e32 v36, v4, v5
	v_max_f32_e32 v4, v4, v5
	v_cndmask_b32_e32 v4, v4, v36, vcc
	v_and_b32_e32 v5, 0x7f800000, v4
	v_cmp_ne_u32_e64 s[24:25], s73, v5
                                        ; implicit-def: $vgpr36
	s_and_saveexec_b64 s[60:61], s[24:25]
	s_xor_b64 s[24:25], exec, s[60:61]
; %bb.460:                              ;   in Loop: Header=BB24_387 Depth=4
	v_bfe_u32 v5, v4, 16, 1
	v_add3_u32 v36, v4, v5, s62
                                        ; implicit-def: $vgpr4
; %bb.461:                              ;   in Loop: Header=BB24_387 Depth=4
	s_andn2_saveexec_b64 s[60:61], s[24:25]
; %bb.462:                              ;   in Loop: Header=BB24_387 Depth=4
	v_or_b32_e32 v5, 0x10000, v4
	v_cmp_eq_u32_sdwa s[24:25], v4, v3 src0_sel:WORD_0 src1_sel:DWORD
	s_nop 1
	v_cndmask_b32_e64 v36, v5, v4, s[24:25]
; %bb.463:                              ;   in Loop: Header=BB24_387 Depth=4
	s_or_b64 exec, exec, s[60:61]
	v_lshlrev_b32_e32 v4, 16, v37
	v_lshlrev_b32_e32 v5, 16, v49
	v_max_f32_e32 v5, v5, v5
	v_max_f32_e32 v4, v4, v4
	v_min_f32_e32 v48, v4, v5
	v_max_f32_e32 v4, v4, v5
	v_cndmask_b32_e32 v4, v4, v48, vcc
	v_and_b32_e32 v5, 0x7f800000, v4
	v_cmp_ne_u32_e64 s[24:25], s73, v5
                                        ; implicit-def: $vgpr48
	s_and_saveexec_b64 s[60:61], s[24:25]
	s_xor_b64 s[24:25], exec, s[60:61]
; %bb.464:                              ;   in Loop: Header=BB24_387 Depth=4
	v_bfe_u32 v5, v4, 16, 1
	v_add3_u32 v48, v4, v5, s62
                                        ; implicit-def: $vgpr4
; %bb.465:                              ;   in Loop: Header=BB24_387 Depth=4
	s_andn2_saveexec_b64 s[60:61], s[24:25]
; %bb.466:                              ;   in Loop: Header=BB24_387 Depth=4
	v_or_b32_e32 v5, 0x10000, v4
	v_cmp_eq_u32_sdwa s[24:25], v4, v3 src0_sel:WORD_0 src1_sel:DWORD
	s_nop 1
	v_cndmask_b32_e64 v48, v5, v4, s[24:25]
; %bb.467:                              ;   in Loop: Header=BB24_387 Depth=4
	s_or_b64 exec, exec, s[60:61]
	v_and_b32_e32 v4, 0xffff0000, v37
	v_and_b32_e32 v5, 0xffff0000, v49
	v_max_f32_e32 v5, v5, v5
	v_max_f32_e32 v4, v4, v4
	v_min_f32_e32 v37, v4, v5
	v_max_f32_e32 v4, v4, v5
	v_cndmask_b32_e32 v4, v4, v37, vcc
	v_and_b32_e32 v5, 0x7f800000, v4
	v_cmp_ne_u32_e64 s[24:25], s73, v5
                                        ; implicit-def: $vgpr37
	s_and_saveexec_b64 s[60:61], s[24:25]
	s_xor_b64 s[24:25], exec, s[60:61]
; %bb.468:                              ;   in Loop: Header=BB24_387 Depth=4
	v_bfe_u32 v5, v4, 16, 1
	v_add3_u32 v37, v4, v5, s62
                                        ; implicit-def: $vgpr4
; %bb.469:                              ;   in Loop: Header=BB24_387 Depth=4
	s_andn2_saveexec_b64 s[60:61], s[24:25]
; %bb.470:                              ;   in Loop: Header=BB24_387 Depth=4
	v_or_b32_e32 v5, 0x10000, v4
	v_cmp_eq_u32_sdwa s[24:25], v4, v3 src0_sel:WORD_0 src1_sel:DWORD
	s_nop 1
	v_cndmask_b32_e64 v37, v5, v4, s[24:25]
; %bb.471:                              ;   in Loop: Header=BB24_387 Depth=4
	s_or_b64 exec, exec, s[60:61]
	v_lshlrev_b32_e32 v4, 16, v38
	v_lshlrev_b32_e32 v5, 16, v50
	v_max_f32_e32 v5, v5, v5
	v_max_f32_e32 v4, v4, v4
	v_min_f32_e32 v49, v4, v5
	v_max_f32_e32 v4, v4, v5
	v_cndmask_b32_e32 v5, v4, v49, vcc
	v_and_b32_e32 v4, 0x7f800000, v5
	v_cmp_ne_u32_e64 s[24:25], s73, v4
                                        ; implicit-def: $vgpr4
	s_and_saveexec_b64 s[60:61], s[24:25]
	s_xor_b64 s[24:25], exec, s[60:61]
; %bb.472:                              ;   in Loop: Header=BB24_387 Depth=4
	v_bfe_u32 v4, v5, 16, 1
	v_add3_u32 v4, v5, v4, s62
                                        ; implicit-def: $vgpr5
; %bb.473:                              ;   in Loop: Header=BB24_387 Depth=4
	s_andn2_saveexec_b64 s[60:61], s[24:25]
; %bb.474:                              ;   in Loop: Header=BB24_387 Depth=4
	v_or_b32_e32 v4, 0x10000, v5
	v_cmp_eq_u32_sdwa s[24:25], v5, v3 src0_sel:WORD_0 src1_sel:DWORD
	s_nop 1
	v_cndmask_b32_e64 v4, v4, v5, s[24:25]
; %bb.475:                              ;   in Loop: Header=BB24_387 Depth=4
	s_or_b64 exec, exec, s[60:61]
	v_and_b32_e32 v5, 0xffff0000, v38
	v_and_b32_e32 v38, 0xffff0000, v50
	v_max_f32_e32 v38, v38, v38
	v_max_f32_e32 v5, v5, v5
	v_min_f32_e32 v49, v5, v38
	v_max_f32_e32 v5, v5, v38
	v_cndmask_b32_e32 v38, v5, v49, vcc
	v_and_b32_e32 v5, 0x7f800000, v38
	v_cmp_ne_u32_e64 s[24:25], s73, v5
                                        ; implicit-def: $vgpr5
	s_and_saveexec_b64 s[60:61], s[24:25]
	s_xor_b64 s[24:25], exec, s[60:61]
; %bb.476:                              ;   in Loop: Header=BB24_387 Depth=4
	v_bfe_u32 v5, v38, 16, 1
	v_add3_u32 v5, v38, v5, s62
                                        ; implicit-def: $vgpr38
; %bb.477:                              ;   in Loop: Header=BB24_387 Depth=4
	s_andn2_saveexec_b64 s[60:61], s[24:25]
; %bb.478:                              ;   in Loop: Header=BB24_387 Depth=4
	v_or_b32_e32 v5, 0x10000, v38
	v_cmp_eq_u32_sdwa s[24:25], v38, v3 src0_sel:WORD_0 src1_sel:DWORD
	s_nop 1
	v_cndmask_b32_e64 v5, v5, v38, s[24:25]
; %bb.479:                              ;   in Loop: Header=BB24_387 Depth=4
	s_or_b64 exec, exec, s[60:61]
	v_lshlrev_b32_e32 v38, 16, v39
	v_lshlrev_b32_e32 v49, 16, v51
	v_max_f32_e32 v49, v49, v49
	v_max_f32_e32 v38, v38, v38
	v_min_f32_e32 v50, v38, v49
	v_max_f32_e32 v38, v38, v49
	v_cndmask_b32_e32 v49, v38, v50, vcc
	v_and_b32_e32 v38, 0x7f800000, v49
	v_cmp_ne_u32_e64 s[24:25], s73, v38
                                        ; implicit-def: $vgpr38
	s_and_saveexec_b64 s[60:61], s[24:25]
	s_xor_b64 s[24:25], exec, s[60:61]
; %bb.480:                              ;   in Loop: Header=BB24_387 Depth=4
	v_bfe_u32 v38, v49, 16, 1
	v_add3_u32 v38, v49, v38, s62
                                        ; implicit-def: $vgpr49
; %bb.481:                              ;   in Loop: Header=BB24_387 Depth=4
	s_andn2_saveexec_b64 s[60:61], s[24:25]
; %bb.482:                              ;   in Loop: Header=BB24_387 Depth=4
	v_or_b32_e32 v38, 0x10000, v49
	v_cmp_eq_u32_sdwa s[24:25], v49, v3 src0_sel:WORD_0 src1_sel:DWORD
	s_nop 1
	v_cndmask_b32_e64 v38, v38, v49, s[24:25]
; %bb.483:                              ;   in Loop: Header=BB24_387 Depth=4
	s_or_b64 exec, exec, s[60:61]
	v_and_b32_e32 v39, 0xffff0000, v39
	v_and_b32_e32 v49, 0xffff0000, v51
	v_max_f32_e32 v49, v49, v49
	v_max_f32_e32 v39, v39, v39
	v_min_f32_e32 v50, v39, v49
	v_max_f32_e32 v39, v39, v49
	v_cndmask_b32_e32 v49, v39, v50, vcc
	v_and_b32_e32 v39, 0x7f800000, v49
	v_cmp_ne_u32_e64 s[24:25], s73, v39
                                        ; implicit-def: $vgpr39
	s_and_saveexec_b64 s[60:61], s[24:25]
	s_xor_b64 s[24:25], exec, s[60:61]
; %bb.484:                              ;   in Loop: Header=BB24_387 Depth=4
	v_bfe_u32 v39, v49, 16, 1
	v_add3_u32 v39, v49, v39, s62
                                        ; implicit-def: $vgpr49
; %bb.485:                              ;   in Loop: Header=BB24_387 Depth=4
	s_andn2_saveexec_b64 s[60:61], s[24:25]
; %bb.486:                              ;   in Loop: Header=BB24_387 Depth=4
	v_or_b32_e32 v39, 0x10000, v49
	v_cmp_eq_u32_sdwa s[24:25], v49, v3 src0_sel:WORD_0 src1_sel:DWORD
	s_nop 1
	v_cndmask_b32_e64 v39, v39, v49, s[24:25]
; %bb.487:                              ;   in Loop: Header=BB24_387 Depth=4
	s_or_b64 exec, exec, s[60:61]
	v_lshlrev_b32_e32 v49, 16, v24
	v_lshlrev_b32_e32 v50, 16, v32
	v_max_f32_e32 v50, v50, v50
	v_max_f32_e32 v49, v49, v49
	v_min_f32_e32 v51, v49, v50
	v_max_f32_e32 v49, v49, v50
	v_cndmask_b32_e32 v50, v49, v51, vcc
	v_and_b32_e32 v49, 0x7f800000, v50
	v_cmp_ne_u32_e64 s[24:25], s73, v49
                                        ; implicit-def: $vgpr49
	s_and_saveexec_b64 s[60:61], s[24:25]
	s_xor_b64 s[24:25], exec, s[60:61]
; %bb.488:                              ;   in Loop: Header=BB24_387 Depth=4
	v_bfe_u32 v49, v50, 16, 1
	v_add3_u32 v49, v50, v49, s62
                                        ; implicit-def: $vgpr50
; %bb.489:                              ;   in Loop: Header=BB24_387 Depth=4
	s_andn2_saveexec_b64 s[60:61], s[24:25]
; %bb.490:                              ;   in Loop: Header=BB24_387 Depth=4
	v_or_b32_e32 v49, 0x10000, v50
	v_cmp_eq_u32_sdwa s[24:25], v50, v3 src0_sel:WORD_0 src1_sel:DWORD
	s_nop 1
	v_cndmask_b32_e64 v49, v49, v50, s[24:25]
; %bb.491:                              ;   in Loop: Header=BB24_387 Depth=4
	s_or_b64 exec, exec, s[60:61]
	v_and_b32_e32 v24, 0xffff0000, v24
	v_and_b32_e32 v32, 0xffff0000, v32
	v_max_f32_e32 v32, v32, v32
	v_max_f32_e32 v24, v24, v24
	v_min_f32_e32 v50, v24, v32
	v_max_f32_e32 v24, v24, v32
	v_cndmask_b32_e32 v32, v24, v50, vcc
	v_and_b32_e32 v24, 0x7f800000, v32
	v_cmp_ne_u32_e64 s[24:25], s73, v24
                                        ; implicit-def: $vgpr24
	s_and_saveexec_b64 s[60:61], s[24:25]
	s_xor_b64 s[24:25], exec, s[60:61]
; %bb.492:                              ;   in Loop: Header=BB24_387 Depth=4
	v_bfe_u32 v24, v32, 16, 1
	v_add3_u32 v24, v32, v24, s62
                                        ; implicit-def: $vgpr32
; %bb.493:                              ;   in Loop: Header=BB24_387 Depth=4
	s_andn2_saveexec_b64 s[60:61], s[24:25]
; %bb.494:                              ;   in Loop: Header=BB24_387 Depth=4
	v_or_b32_e32 v24, 0x10000, v32
	v_cmp_eq_u32_sdwa s[24:25], v32, v3 src0_sel:WORD_0 src1_sel:DWORD
	s_nop 1
	v_cndmask_b32_e64 v24, v24, v32, s[24:25]
; %bb.495:                              ;   in Loop: Header=BB24_387 Depth=4
	s_or_b64 exec, exec, s[60:61]
	v_lshlrev_b32_e32 v32, 16, v25
	v_lshlrev_b32_e32 v50, 16, v33
	v_max_f32_e32 v50, v50, v50
	v_max_f32_e32 v32, v32, v32
	v_min_f32_e32 v51, v32, v50
	v_max_f32_e32 v32, v32, v50
	v_cndmask_b32_e32 v50, v32, v51, vcc
	v_and_b32_e32 v32, 0x7f800000, v50
	v_cmp_ne_u32_e64 s[24:25], s73, v32
                                        ; implicit-def: $vgpr32
	s_and_saveexec_b64 s[60:61], s[24:25]
	s_xor_b64 s[24:25], exec, s[60:61]
; %bb.496:                              ;   in Loop: Header=BB24_387 Depth=4
	v_bfe_u32 v32, v50, 16, 1
	v_add3_u32 v32, v50, v32, s62
                                        ; implicit-def: $vgpr50
; %bb.497:                              ;   in Loop: Header=BB24_387 Depth=4
	s_andn2_saveexec_b64 s[60:61], s[24:25]
; %bb.498:                              ;   in Loop: Header=BB24_387 Depth=4
	v_or_b32_e32 v32, 0x10000, v50
	v_cmp_eq_u32_sdwa s[24:25], v50, v3 src0_sel:WORD_0 src1_sel:DWORD
	s_nop 1
	v_cndmask_b32_e64 v32, v32, v50, s[24:25]
; %bb.499:                              ;   in Loop: Header=BB24_387 Depth=4
	s_or_b64 exec, exec, s[60:61]
	v_and_b32_e32 v25, 0xffff0000, v25
	v_and_b32_e32 v33, 0xffff0000, v33
	v_max_f32_e32 v33, v33, v33
	v_max_f32_e32 v25, v25, v25
	v_min_f32_e32 v50, v25, v33
	v_max_f32_e32 v25, v25, v33
	v_cndmask_b32_e32 v33, v25, v50, vcc
	v_and_b32_e32 v25, 0x7f800000, v33
	v_cmp_ne_u32_e64 s[24:25], s73, v25
                                        ; implicit-def: $vgpr25
	s_and_saveexec_b64 s[60:61], s[24:25]
	s_xor_b64 s[24:25], exec, s[60:61]
; %bb.500:                              ;   in Loop: Header=BB24_387 Depth=4
	v_bfe_u32 v25, v33, 16, 1
	v_add3_u32 v25, v33, v25, s62
                                        ; implicit-def: $vgpr33
; %bb.501:                              ;   in Loop: Header=BB24_387 Depth=4
	s_andn2_saveexec_b64 s[60:61], s[24:25]
; %bb.502:                              ;   in Loop: Header=BB24_387 Depth=4
	v_or_b32_e32 v25, 0x10000, v33
	v_cmp_eq_u32_sdwa s[24:25], v33, v3 src0_sel:WORD_0 src1_sel:DWORD
	s_nop 1
	v_cndmask_b32_e64 v25, v25, v33, s[24:25]
; %bb.503:                              ;   in Loop: Header=BB24_387 Depth=4
	s_or_b64 exec, exec, s[60:61]
	v_lshlrev_b32_e32 v33, 16, v26
	v_lshlrev_b32_e32 v50, 16, v34
	v_max_f32_e32 v50, v50, v50
	v_max_f32_e32 v33, v33, v33
	v_min_f32_e32 v51, v33, v50
	v_max_f32_e32 v33, v33, v50
	v_cndmask_b32_e32 v50, v33, v51, vcc
	v_and_b32_e32 v33, 0x7f800000, v50
	v_cmp_ne_u32_e64 s[24:25], s73, v33
                                        ; implicit-def: $vgpr33
	s_and_saveexec_b64 s[60:61], s[24:25]
	s_xor_b64 s[24:25], exec, s[60:61]
; %bb.504:                              ;   in Loop: Header=BB24_387 Depth=4
	v_bfe_u32 v33, v50, 16, 1
	v_add3_u32 v33, v50, v33, s62
                                        ; implicit-def: $vgpr50
; %bb.505:                              ;   in Loop: Header=BB24_387 Depth=4
	s_andn2_saveexec_b64 s[60:61], s[24:25]
; %bb.506:                              ;   in Loop: Header=BB24_387 Depth=4
	v_or_b32_e32 v33, 0x10000, v50
	v_cmp_eq_u32_sdwa s[24:25], v50, v3 src0_sel:WORD_0 src1_sel:DWORD
	s_nop 1
	v_cndmask_b32_e64 v33, v33, v50, s[24:25]
; %bb.507:                              ;   in Loop: Header=BB24_387 Depth=4
	s_or_b64 exec, exec, s[60:61]
	v_and_b32_e32 v26, 0xffff0000, v26
	v_and_b32_e32 v34, 0xffff0000, v34
	v_max_f32_e32 v34, v34, v34
	v_max_f32_e32 v26, v26, v26
	v_min_f32_e32 v50, v26, v34
	v_max_f32_e32 v26, v26, v34
	v_cndmask_b32_e32 v34, v26, v50, vcc
	v_and_b32_e32 v26, 0x7f800000, v34
	v_cmp_ne_u32_e64 s[24:25], s73, v26
                                        ; implicit-def: $vgpr26
	s_and_saveexec_b64 s[60:61], s[24:25]
	s_xor_b64 s[24:25], exec, s[60:61]
; %bb.508:                              ;   in Loop: Header=BB24_387 Depth=4
	v_bfe_u32 v26, v34, 16, 1
	v_add3_u32 v26, v34, v26, s62
                                        ; implicit-def: $vgpr34
; %bb.509:                              ;   in Loop: Header=BB24_387 Depth=4
	s_andn2_saveexec_b64 s[60:61], s[24:25]
; %bb.510:                              ;   in Loop: Header=BB24_387 Depth=4
	v_or_b32_e32 v26, 0x10000, v34
	v_cmp_eq_u32_sdwa s[24:25], v34, v3 src0_sel:WORD_0 src1_sel:DWORD
	s_nop 1
	v_cndmask_b32_e64 v26, v26, v34, s[24:25]
; %bb.511:                              ;   in Loop: Header=BB24_387 Depth=4
	s_or_b64 exec, exec, s[60:61]
	v_lshlrev_b32_e32 v34, 16, v27
	v_lshlrev_b32_e32 v50, 16, v35
	v_max_f32_e32 v50, v50, v50
	v_max_f32_e32 v34, v34, v34
	v_min_f32_e32 v51, v34, v50
	v_max_f32_e32 v34, v34, v50
	v_cndmask_b32_e32 v50, v34, v51, vcc
	v_and_b32_e32 v34, 0x7f800000, v50
	v_cmp_ne_u32_e64 s[24:25], s73, v34
                                        ; implicit-def: $vgpr34
	s_and_saveexec_b64 s[60:61], s[24:25]
	s_xor_b64 s[24:25], exec, s[60:61]
; %bb.512:                              ;   in Loop: Header=BB24_387 Depth=4
	v_bfe_u32 v34, v50, 16, 1
	v_add3_u32 v34, v50, v34, s62
                                        ; implicit-def: $vgpr50
; %bb.513:                              ;   in Loop: Header=BB24_387 Depth=4
	s_andn2_saveexec_b64 s[60:61], s[24:25]
; %bb.514:                              ;   in Loop: Header=BB24_387 Depth=4
	v_or_b32_e32 v34, 0x10000, v50
	v_cmp_eq_u32_sdwa s[24:25], v50, v3 src0_sel:WORD_0 src1_sel:DWORD
	s_nop 1
	v_cndmask_b32_e64 v34, v34, v50, s[24:25]
; %bb.515:                              ;   in Loop: Header=BB24_387 Depth=4
	s_or_b64 exec, exec, s[60:61]
	v_and_b32_e32 v27, 0xffff0000, v27
	v_and_b32_e32 v35, 0xffff0000, v35
	v_max_f32_e32 v35, v35, v35
	v_max_f32_e32 v27, v27, v27
	v_min_f32_e32 v50, v27, v35
	v_max_f32_e32 v27, v27, v35
	v_cndmask_b32_e32 v35, v27, v50, vcc
	v_and_b32_e32 v27, 0x7f800000, v35
	v_cmp_ne_u32_e64 s[24:25], s73, v27
                                        ; implicit-def: $vgpr27
	s_and_saveexec_b64 s[60:61], s[24:25]
	s_xor_b64 s[24:25], exec, s[60:61]
; %bb.516:                              ;   in Loop: Header=BB24_387 Depth=4
	v_bfe_u32 v27, v35, 16, 1
	v_add3_u32 v27, v35, v27, s62
                                        ; implicit-def: $vgpr35
; %bb.517:                              ;   in Loop: Header=BB24_387 Depth=4
	s_andn2_saveexec_b64 s[60:61], s[24:25]
	s_cbranch_execz .LBB24_386
; %bb.518:                              ;   in Loop: Header=BB24_387 Depth=4
	v_or_b32_e32 v27, 0x10000, v35
	v_cmp_eq_u32_sdwa s[24:25], v35, v3 src0_sel:WORD_0 src1_sel:DWORD
	s_nop 1
	v_cndmask_b32_e64 v27, v27, v35, s[24:25]
	s_branch .LBB24_386
.LBB24_519:                             ;   in Loop: Header=BB24_303 Depth=3
	v_mov_b32_e32 v4, v0
	v_mov_b32_e32 v15, v123
	s_and_saveexec_b64 s[56:57], s[46:47]
	s_cbranch_execnz .LBB24_703
	s_branch .LBB24_834
.LBB24_520:                             ;   in Loop: Header=BB24_303 Depth=3
	s_or_b64 exec, exec, s[28:29]
	s_and_b64 s[24:25], s[56:57], exec
.LBB24_521:                             ;   in Loop: Header=BB24_303 Depth=3
	s_or_b64 exec, exec, s[26:27]
	s_and_saveexec_b64 s[26:27], s[24:25]
	s_cbranch_execz .LBB24_587
; %bb.522:                              ;   in Loop: Header=BB24_303 Depth=3
	s_and_b32 s24, 0xffff, s31
	v_lshlrev_b32_e32 v4, 16, v20
	v_lshlrev_b32_e32 v5, 16, v16
	s_cmp_eq_u32 s24, 0
	v_max_f32_e32 v5, v5, v5
	v_max_f32_e32 v4, v4, v4
	v_min_f32_e32 v24, v4, v5
	v_max_f32_e32 v4, v4, v5
	s_cselect_b64 vcc, -1, 0
	v_cndmask_b32_e32 v4, v4, v24, vcc
	v_and_b32_e32 v5, 0x7f800000, v4
	v_cmp_ne_u32_e64 s[24:25], s73, v5
                                        ; implicit-def: $vgpr24
	s_and_saveexec_b64 s[28:29], s[24:25]
	s_xor_b64 s[24:25], exec, s[28:29]
; %bb.523:                              ;   in Loop: Header=BB24_303 Depth=3
	v_bfe_u32 v5, v4, 16, 1
	v_add3_u32 v24, v4, v5, s62
                                        ; implicit-def: $vgpr4
; %bb.524:                              ;   in Loop: Header=BB24_303 Depth=3
	s_andn2_saveexec_b64 s[28:29], s[24:25]
; %bb.525:                              ;   in Loop: Header=BB24_303 Depth=3
	v_or_b32_e32 v5, 0x10000, v4
	v_cmp_eq_u32_sdwa s[24:25], v4, v3 src0_sel:WORD_0 src1_sel:DWORD
	s_nop 1
	v_cndmask_b32_e64 v24, v5, v4, s[24:25]
; %bb.526:                              ;   in Loop: Header=BB24_303 Depth=3
	s_or_b64 exec, exec, s[28:29]
	v_and_b32_e32 v4, 0xffff0000, v20
	v_and_b32_e32 v5, 0xffff0000, v16
	v_max_f32_e32 v5, v5, v5
	v_max_f32_e32 v4, v4, v4
	v_min_f32_e32 v16, v4, v5
	v_max_f32_e32 v4, v4, v5
	v_cndmask_b32_e32 v4, v4, v16, vcc
	v_and_b32_e32 v5, 0x7f800000, v4
	v_cmp_ne_u32_e64 s[24:25], s73, v5
                                        ; implicit-def: $vgpr16
	s_and_saveexec_b64 s[28:29], s[24:25]
	s_xor_b64 s[24:25], exec, s[28:29]
; %bb.527:                              ;   in Loop: Header=BB24_303 Depth=3
	v_bfe_u32 v5, v4, 16, 1
	v_add3_u32 v16, v4, v5, s62
                                        ; implicit-def: $vgpr4
; %bb.528:                              ;   in Loop: Header=BB24_303 Depth=3
	s_andn2_saveexec_b64 s[28:29], s[24:25]
; %bb.529:                              ;   in Loop: Header=BB24_303 Depth=3
	v_or_b32_e32 v5, 0x10000, v4
	v_cmp_eq_u32_sdwa s[24:25], v4, v3 src0_sel:WORD_0 src1_sel:DWORD
	s_nop 1
	v_cndmask_b32_e64 v16, v5, v4, s[24:25]
; %bb.530:                              ;   in Loop: Header=BB24_303 Depth=3
	s_or_b64 exec, exec, s[28:29]
	v_lshlrev_b32_e32 v4, 16, v21
	v_lshlrev_b32_e32 v5, 16, v17
	v_max_f32_e32 v5, v5, v5
	v_max_f32_e32 v4, v4, v4
	v_min_f32_e32 v20, v4, v5
	v_max_f32_e32 v4, v4, v5
	v_cndmask_b32_e32 v4, v4, v20, vcc
	v_and_b32_e32 v5, 0x7f800000, v4
	v_cmp_ne_u32_e64 s[24:25], s73, v5
                                        ; implicit-def: $vgpr20
	s_and_saveexec_b64 s[28:29], s[24:25]
	s_xor_b64 s[24:25], exec, s[28:29]
; %bb.531:                              ;   in Loop: Header=BB24_303 Depth=3
	v_bfe_u32 v5, v4, 16, 1
	v_add3_u32 v20, v4, v5, s62
                                        ; implicit-def: $vgpr4
; %bb.532:                              ;   in Loop: Header=BB24_303 Depth=3
	s_andn2_saveexec_b64 s[28:29], s[24:25]
; %bb.533:                              ;   in Loop: Header=BB24_303 Depth=3
	v_or_b32_e32 v5, 0x10000, v4
	v_cmp_eq_u32_sdwa s[24:25], v4, v3 src0_sel:WORD_0 src1_sel:DWORD
	s_nop 1
	v_cndmask_b32_e64 v20, v5, v4, s[24:25]
; %bb.534:                              ;   in Loop: Header=BB24_303 Depth=3
	s_or_b64 exec, exec, s[28:29]
	v_and_b32_e32 v4, 0xffff0000, v21
	v_and_b32_e32 v5, 0xffff0000, v17
	v_max_f32_e32 v5, v5, v5
	v_max_f32_e32 v4, v4, v4
	v_min_f32_e32 v17, v4, v5
	v_max_f32_e32 v4, v4, v5
	v_cndmask_b32_e32 v4, v4, v17, vcc
	v_and_b32_e32 v5, 0x7f800000, v4
	v_cmp_ne_u32_e64 s[24:25], s73, v5
                                        ; implicit-def: $vgpr17
	s_and_saveexec_b64 s[28:29], s[24:25]
	s_xor_b64 s[24:25], exec, s[28:29]
; %bb.535:                              ;   in Loop: Header=BB24_303 Depth=3
	v_bfe_u32 v5, v4, 16, 1
	v_add3_u32 v17, v4, v5, s62
                                        ; implicit-def: $vgpr4
; %bb.536:                              ;   in Loop: Header=BB24_303 Depth=3
	s_andn2_saveexec_b64 s[28:29], s[24:25]
; %bb.537:                              ;   in Loop: Header=BB24_303 Depth=3
	v_or_b32_e32 v5, 0x10000, v4
	v_cmp_eq_u32_sdwa s[24:25], v4, v3 src0_sel:WORD_0 src1_sel:DWORD
	s_nop 1
	v_cndmask_b32_e64 v17, v5, v4, s[24:25]
; %bb.538:                              ;   in Loop: Header=BB24_303 Depth=3
	s_or_b64 exec, exec, s[28:29]
	v_lshlrev_b32_e32 v4, 16, v22
	v_lshlrev_b32_e32 v5, 16, v18
	v_max_f32_e32 v5, v5, v5
	v_max_f32_e32 v4, v4, v4
	v_min_f32_e32 v21, v4, v5
	v_max_f32_e32 v4, v4, v5
	v_cndmask_b32_e32 v5, v4, v21, vcc
	v_and_b32_e32 v4, 0x7f800000, v5
	v_cmp_ne_u32_e64 s[24:25], s73, v4
                                        ; implicit-def: $vgpr4
	s_and_saveexec_b64 s[28:29], s[24:25]
	s_xor_b64 s[24:25], exec, s[28:29]
; %bb.539:                              ;   in Loop: Header=BB24_303 Depth=3
	v_bfe_u32 v4, v5, 16, 1
	v_add3_u32 v4, v5, v4, s62
                                        ; implicit-def: $vgpr5
; %bb.540:                              ;   in Loop: Header=BB24_303 Depth=3
	s_andn2_saveexec_b64 s[28:29], s[24:25]
; %bb.541:                              ;   in Loop: Header=BB24_303 Depth=3
	v_or_b32_e32 v4, 0x10000, v5
	v_cmp_eq_u32_sdwa s[24:25], v5, v3 src0_sel:WORD_0 src1_sel:DWORD
	s_nop 1
	v_cndmask_b32_e64 v4, v4, v5, s[24:25]
; %bb.542:                              ;   in Loop: Header=BB24_303 Depth=3
	s_or_b64 exec, exec, s[28:29]
	v_and_b32_e32 v5, 0xffff0000, v22
	v_and_b32_e32 v18, 0xffff0000, v18
	v_max_f32_e32 v18, v18, v18
	v_max_f32_e32 v5, v5, v5
	v_min_f32_e32 v21, v5, v18
	v_max_f32_e32 v5, v5, v18
	v_cndmask_b32_e32 v18, v5, v21, vcc
	v_and_b32_e32 v5, 0x7f800000, v18
	v_cmp_ne_u32_e64 s[24:25], s73, v5
                                        ; implicit-def: $vgpr5
	s_and_saveexec_b64 s[28:29], s[24:25]
	s_xor_b64 s[24:25], exec, s[28:29]
; %bb.543:                              ;   in Loop: Header=BB24_303 Depth=3
	v_bfe_u32 v5, v18, 16, 1
	v_add3_u32 v5, v18, v5, s62
                                        ; implicit-def: $vgpr18
; %bb.544:                              ;   in Loop: Header=BB24_303 Depth=3
	s_andn2_saveexec_b64 s[28:29], s[24:25]
; %bb.545:                              ;   in Loop: Header=BB24_303 Depth=3
	v_or_b32_e32 v5, 0x10000, v18
	v_cmp_eq_u32_sdwa s[24:25], v18, v3 src0_sel:WORD_0 src1_sel:DWORD
	s_nop 1
	v_cndmask_b32_e64 v5, v5, v18, s[24:25]
; %bb.546:                              ;   in Loop: Header=BB24_303 Depth=3
	s_or_b64 exec, exec, s[28:29]
	v_lshlrev_b32_e32 v18, 16, v23
	v_lshlrev_b32_e32 v21, 16, v19
	v_max_f32_e32 v21, v21, v21
	v_max_f32_e32 v18, v18, v18
	v_min_f32_e32 v22, v18, v21
	v_max_f32_e32 v18, v18, v21
	v_cndmask_b32_e32 v21, v18, v22, vcc
	v_and_b32_e32 v18, 0x7f800000, v21
	v_cmp_ne_u32_e64 s[24:25], s73, v18
                                        ; implicit-def: $vgpr18
	s_and_saveexec_b64 s[28:29], s[24:25]
	s_xor_b64 s[24:25], exec, s[28:29]
; %bb.547:                              ;   in Loop: Header=BB24_303 Depth=3
	v_bfe_u32 v18, v21, 16, 1
	v_add3_u32 v18, v21, v18, s62
                                        ; implicit-def: $vgpr21
; %bb.548:                              ;   in Loop: Header=BB24_303 Depth=3
	s_andn2_saveexec_b64 s[28:29], s[24:25]
; %bb.549:                              ;   in Loop: Header=BB24_303 Depth=3
	v_or_b32_e32 v18, 0x10000, v21
	v_cmp_eq_u32_sdwa s[24:25], v21, v3 src0_sel:WORD_0 src1_sel:DWORD
	s_nop 1
	v_cndmask_b32_e64 v18, v18, v21, s[24:25]
; %bb.550:                              ;   in Loop: Header=BB24_303 Depth=3
	s_or_b64 exec, exec, s[28:29]
	v_and_b32_e32 v21, 0xffff0000, v23
	v_and_b32_e32 v19, 0xffff0000, v19
	v_max_f32_e32 v19, v19, v19
	v_max_f32_e32 v21, v21, v21
	v_min_f32_e32 v22, v21, v19
	v_max_f32_e32 v19, v21, v19
	v_cndmask_b32_e32 v21, v19, v22, vcc
	v_and_b32_e32 v19, 0x7f800000, v21
	v_cmp_ne_u32_e64 s[24:25], s73, v19
                                        ; implicit-def: $vgpr19
	s_and_saveexec_b64 s[28:29], s[24:25]
	s_xor_b64 s[24:25], exec, s[28:29]
; %bb.551:                              ;   in Loop: Header=BB24_303 Depth=3
	v_bfe_u32 v19, v21, 16, 1
	v_add3_u32 v19, v21, v19, s62
                                        ; implicit-def: $vgpr21
; %bb.552:                              ;   in Loop: Header=BB24_303 Depth=3
	s_andn2_saveexec_b64 s[28:29], s[24:25]
; %bb.553:                              ;   in Loop: Header=BB24_303 Depth=3
	v_or_b32_e32 v19, 0x10000, v21
	v_cmp_eq_u32_sdwa s[24:25], v21, v3 src0_sel:WORD_0 src1_sel:DWORD
	s_nop 1
	v_cndmask_b32_e64 v19, v19, v21, s[24:25]
; %bb.554:                              ;   in Loop: Header=BB24_303 Depth=3
	s_or_b64 exec, exec, s[28:29]
	v_lshlrev_b32_e32 v21, 16, v12
	v_lshlrev_b32_e32 v22, 16, v8
	v_max_f32_e32 v22, v22, v22
	v_max_f32_e32 v21, v21, v21
	v_min_f32_e32 v23, v21, v22
	v_max_f32_e32 v21, v21, v22
	v_cndmask_b32_e32 v22, v21, v23, vcc
	v_and_b32_e32 v21, 0x7f800000, v22
	v_cmp_ne_u32_e64 s[24:25], s73, v21
                                        ; implicit-def: $vgpr21
	s_and_saveexec_b64 s[28:29], s[24:25]
	s_xor_b64 s[24:25], exec, s[28:29]
; %bb.555:                              ;   in Loop: Header=BB24_303 Depth=3
	v_bfe_u32 v21, v22, 16, 1
	v_add3_u32 v21, v22, v21, s62
                                        ; implicit-def: $vgpr22
; %bb.556:                              ;   in Loop: Header=BB24_303 Depth=3
	s_andn2_saveexec_b64 s[28:29], s[24:25]
; %bb.557:                              ;   in Loop: Header=BB24_303 Depth=3
	v_or_b32_e32 v21, 0x10000, v22
	v_cmp_eq_u32_sdwa s[24:25], v22, v3 src0_sel:WORD_0 src1_sel:DWORD
	s_nop 1
	v_cndmask_b32_e64 v21, v21, v22, s[24:25]
; %bb.558:                              ;   in Loop: Header=BB24_303 Depth=3
	s_or_b64 exec, exec, s[28:29]
	v_and_b32_e32 v12, 0xffff0000, v12
	v_and_b32_e32 v8, 0xffff0000, v8
	v_max_f32_e32 v8, v8, v8
	v_max_f32_e32 v12, v12, v12
	v_min_f32_e32 v22, v12, v8
	v_max_f32_e32 v8, v12, v8
	v_cndmask_b32_e32 v12, v8, v22, vcc
	v_and_b32_e32 v8, 0x7f800000, v12
	v_cmp_ne_u32_e64 s[24:25], s73, v8
                                        ; implicit-def: $vgpr8
	s_and_saveexec_b64 s[28:29], s[24:25]
	s_xor_b64 s[24:25], exec, s[28:29]
; %bb.559:                              ;   in Loop: Header=BB24_303 Depth=3
	v_bfe_u32 v8, v12, 16, 1
	v_add3_u32 v8, v12, v8, s62
                                        ; implicit-def: $vgpr12
; %bb.560:                              ;   in Loop: Header=BB24_303 Depth=3
	s_andn2_saveexec_b64 s[28:29], s[24:25]
; %bb.561:                              ;   in Loop: Header=BB24_303 Depth=3
	v_or_b32_e32 v8, 0x10000, v12
	v_cmp_eq_u32_sdwa s[24:25], v12, v3 src0_sel:WORD_0 src1_sel:DWORD
	s_nop 1
	v_cndmask_b32_e64 v8, v8, v12, s[24:25]
; %bb.562:                              ;   in Loop: Header=BB24_303 Depth=3
	s_or_b64 exec, exec, s[28:29]
	v_lshlrev_b32_e32 v12, 16, v13
	v_lshlrev_b32_e32 v22, 16, v9
	v_max_f32_e32 v22, v22, v22
	v_max_f32_e32 v12, v12, v12
	v_min_f32_e32 v23, v12, v22
	v_max_f32_e32 v12, v12, v22
	v_cndmask_b32_e32 v22, v12, v23, vcc
	v_and_b32_e32 v12, 0x7f800000, v22
	v_cmp_ne_u32_e64 s[24:25], s73, v12
                                        ; implicit-def: $vgpr12
	s_and_saveexec_b64 s[28:29], s[24:25]
	s_xor_b64 s[24:25], exec, s[28:29]
; %bb.563:                              ;   in Loop: Header=BB24_303 Depth=3
	v_bfe_u32 v12, v22, 16, 1
	v_add3_u32 v12, v22, v12, s62
                                        ; implicit-def: $vgpr22
; %bb.564:                              ;   in Loop: Header=BB24_303 Depth=3
	s_andn2_saveexec_b64 s[28:29], s[24:25]
; %bb.565:                              ;   in Loop: Header=BB24_303 Depth=3
	v_or_b32_e32 v12, 0x10000, v22
	v_cmp_eq_u32_sdwa s[24:25], v22, v3 src0_sel:WORD_0 src1_sel:DWORD
	s_nop 1
	v_cndmask_b32_e64 v12, v12, v22, s[24:25]
; %bb.566:                              ;   in Loop: Header=BB24_303 Depth=3
	s_or_b64 exec, exec, s[28:29]
	v_and_b32_e32 v13, 0xffff0000, v13
	v_and_b32_e32 v9, 0xffff0000, v9
	v_max_f32_e32 v9, v9, v9
	v_max_f32_e32 v13, v13, v13
	v_min_f32_e32 v22, v13, v9
	v_max_f32_e32 v9, v13, v9
	v_cndmask_b32_e32 v13, v9, v22, vcc
	v_and_b32_e32 v9, 0x7f800000, v13
	v_cmp_ne_u32_e64 s[24:25], s73, v9
                                        ; implicit-def: $vgpr9
	s_and_saveexec_b64 s[28:29], s[24:25]
	s_xor_b64 s[24:25], exec, s[28:29]
; %bb.567:                              ;   in Loop: Header=BB24_303 Depth=3
	v_bfe_u32 v9, v13, 16, 1
	v_add3_u32 v9, v13, v9, s62
                                        ; implicit-def: $vgpr13
; %bb.568:                              ;   in Loop: Header=BB24_303 Depth=3
	s_andn2_saveexec_b64 s[28:29], s[24:25]
; %bb.569:                              ;   in Loop: Header=BB24_303 Depth=3
	v_or_b32_e32 v9, 0x10000, v13
	v_cmp_eq_u32_sdwa s[24:25], v13, v3 src0_sel:WORD_0 src1_sel:DWORD
	s_nop 1
	v_cndmask_b32_e64 v9, v9, v13, s[24:25]
; %bb.570:                              ;   in Loop: Header=BB24_303 Depth=3
	s_or_b64 exec, exec, s[28:29]
	v_lshlrev_b32_e32 v13, 16, v14
	v_lshlrev_b32_e32 v22, 16, v10
	v_max_f32_e32 v22, v22, v22
	v_max_f32_e32 v13, v13, v13
	v_min_f32_e32 v23, v13, v22
	v_max_f32_e32 v13, v13, v22
	v_cndmask_b32_e32 v22, v13, v23, vcc
	v_and_b32_e32 v13, 0x7f800000, v22
	v_cmp_ne_u32_e64 s[24:25], s73, v13
                                        ; implicit-def: $vgpr13
	s_and_saveexec_b64 s[28:29], s[24:25]
	s_xor_b64 s[24:25], exec, s[28:29]
; %bb.571:                              ;   in Loop: Header=BB24_303 Depth=3
	v_bfe_u32 v13, v22, 16, 1
	v_add3_u32 v13, v22, v13, s62
                                        ; implicit-def: $vgpr22
; %bb.572:                              ;   in Loop: Header=BB24_303 Depth=3
	s_andn2_saveexec_b64 s[28:29], s[24:25]
; %bb.573:                              ;   in Loop: Header=BB24_303 Depth=3
	v_or_b32_e32 v13, 0x10000, v22
	v_cmp_eq_u32_sdwa s[24:25], v22, v3 src0_sel:WORD_0 src1_sel:DWORD
	s_nop 1
	v_cndmask_b32_e64 v13, v13, v22, s[24:25]
; %bb.574:                              ;   in Loop: Header=BB24_303 Depth=3
	s_or_b64 exec, exec, s[28:29]
	v_and_b32_e32 v14, 0xffff0000, v14
	v_and_b32_e32 v10, 0xffff0000, v10
	v_max_f32_e32 v10, v10, v10
	v_max_f32_e32 v14, v14, v14
	v_min_f32_e32 v22, v14, v10
	v_max_f32_e32 v10, v14, v10
	v_cndmask_b32_e32 v14, v10, v22, vcc
	v_and_b32_e32 v10, 0x7f800000, v14
	v_cmp_ne_u32_e64 s[24:25], s73, v10
                                        ; implicit-def: $vgpr10
	s_and_saveexec_b64 s[28:29], s[24:25]
	s_xor_b64 s[24:25], exec, s[28:29]
; %bb.575:                              ;   in Loop: Header=BB24_303 Depth=3
	v_bfe_u32 v10, v14, 16, 1
	v_add3_u32 v10, v14, v10, s62
                                        ; implicit-def: $vgpr14
; %bb.576:                              ;   in Loop: Header=BB24_303 Depth=3
	s_andn2_saveexec_b64 s[28:29], s[24:25]
; %bb.577:                              ;   in Loop: Header=BB24_303 Depth=3
	v_or_b32_e32 v10, 0x10000, v14
	v_cmp_eq_u32_sdwa s[24:25], v14, v3 src0_sel:WORD_0 src1_sel:DWORD
	s_nop 1
	v_cndmask_b32_e64 v10, v10, v14, s[24:25]
; %bb.578:                              ;   in Loop: Header=BB24_303 Depth=3
	s_or_b64 exec, exec, s[28:29]
	v_lshlrev_b32_e32 v14, 16, v15
	v_lshlrev_b32_e32 v22, 16, v11
	v_max_f32_e32 v22, v22, v22
	v_max_f32_e32 v14, v14, v14
	v_min_f32_e32 v23, v14, v22
	v_max_f32_e32 v14, v14, v22
	v_cndmask_b32_e32 v22, v14, v23, vcc
	v_and_b32_e32 v14, 0x7f800000, v22
	v_cmp_ne_u32_e64 s[24:25], s73, v14
                                        ; implicit-def: $vgpr14
	s_and_saveexec_b64 s[28:29], s[24:25]
	s_xor_b64 s[24:25], exec, s[28:29]
; %bb.579:                              ;   in Loop: Header=BB24_303 Depth=3
	v_bfe_u32 v14, v22, 16, 1
	v_add3_u32 v14, v22, v14, s62
                                        ; implicit-def: $vgpr22
; %bb.580:                              ;   in Loop: Header=BB24_303 Depth=3
	s_andn2_saveexec_b64 s[28:29], s[24:25]
; %bb.581:                              ;   in Loop: Header=BB24_303 Depth=3
	v_or_b32_e32 v14, 0x10000, v22
	v_cmp_eq_u32_sdwa s[24:25], v22, v3 src0_sel:WORD_0 src1_sel:DWORD
	s_nop 1
	v_cndmask_b32_e64 v14, v14, v22, s[24:25]
; %bb.582:                              ;   in Loop: Header=BB24_303 Depth=3
	s_or_b64 exec, exec, s[28:29]
	v_and_b32_e32 v15, 0xffff0000, v15
	v_and_b32_e32 v11, 0xffff0000, v11
	v_max_f32_e32 v11, v11, v11
	v_max_f32_e32 v15, v15, v15
	v_min_f32_e32 v22, v15, v11
	v_max_f32_e32 v11, v15, v11
	v_cndmask_b32_e32 v15, v11, v22, vcc
	v_and_b32_e32 v11, 0x7f800000, v15
	v_cmp_ne_u32_e32 vcc, s73, v11
                                        ; implicit-def: $vgpr11
	s_and_saveexec_b64 s[24:25], vcc
	s_xor_b64 s[24:25], exec, s[24:25]
; %bb.583:                              ;   in Loop: Header=BB24_303 Depth=3
	v_bfe_u32 v11, v15, 16, 1
	v_add3_u32 v11, v15, v11, s62
                                        ; implicit-def: $vgpr15
; %bb.584:                              ;   in Loop: Header=BB24_303 Depth=3
	s_andn2_saveexec_b64 s[24:25], s[24:25]
; %bb.585:                              ;   in Loop: Header=BB24_303 Depth=3
	v_or_b32_e32 v11, 0x10000, v15
	v_cmp_eq_u32_sdwa vcc, v15, v3 src0_sel:WORD_0 src1_sel:DWORD
	s_nop 1
	v_cndmask_b32_e32 v11, v11, v15, vcc
; %bb.586:                              ;   in Loop: Header=BB24_303 Depth=3
	s_or_b64 exec, exec, s[24:25]
	v_lshrrev_b32_e32 v15, 16, v20
	v_lshrrev_b32_e32 v4, 16, v4
	v_and_or_b32 v23, v17, s63, v15
	v_lshrrev_b32_e32 v15, 16, v24
	v_and_or_b32 v24, v5, s63, v4
	;; [unrolled: 2-line block ×6, first 2 shown]
	v_and_or_b32 v10, v10, s63, v4
	v_lshrrev_b32_e32 v4, 16, v14
	v_and_or_b32 v11, v11, s63, v4
	global_store_dwordx4 v[108:109], v[22:25], off
	global_store_dwordx4 v[108:109], v[8:11], off offset:1024
.LBB24_587:                             ;   in Loop: Header=BB24_303 Depth=3
	s_or_b64 exec, exec, s[26:27]
	v_lshlrev_b32_e32 v22, 11, v91
	v_cmp_ne_u32_e32 vcc, v29, v22
                                        ; implicit-def: $vgpr14
                                        ; implicit-def: $vgpr4
                                        ; implicit-def: $vgpr15
	s_and_saveexec_b64 s[56:57], vcc
	s_cbranch_execz .LBB24_702
; %bb.588:                              ;   in Loop: Header=BB24_303 Depth=3
	v_lshlrev_b32_e32 v5, 6, v93
	v_sub_u32_e32 v5, v123, v5
	v_ashrrev_i32_e32 v8, 31, v5
	v_lshrrev_b32_e32 v8, 26, v8
	v_add_u32_e32 v8, v5, v8
	v_ashrrev_i32_e32 v10, 6, v8
	v_and_b32_e32 v8, 0xffffffc0, v8
	v_sub_u32_e32 v23, v5, v8
	v_lshlrev_b32_e32 v5, 4, v23
	v_sub_u32_e32 v4, v29, v22
	v_lshl_add_u32 v5, v10, 10, v5
	v_add_u32_e32 v8, v5, v22
	v_sub_u32_e32 v27, v4, v5
	v_ashrrev_i32_e32 v5, 31, v4
	v_lshrrev_b32_e32 v5, 22, v5
	v_add_u32_e32 v5, v4, v5
	v_and_b32_e32 v24, 0xfffffc00, v5
	v_sub_u32_e32 v25, v4, v24
	v_ashrrev_i32_e32 v9, 10, v5
	v_cmp_lt_i32_e64 s[24:25], 15, v25
	s_mov_b64 s[26:27], 0
	s_nop 0
	v_addc_co_u32_e64 v4, vcc, 0, v9, s[24:25]
	v_ashrrev_i32_e32 v9, 31, v8
	v_sub_u32_e32 v26, v4, v10
	v_lshl_add_u64 v[16:17], v[8:9], 0, v[106:107]
	v_cmp_lt_i32_e32 vcc, 15, v27
	s_and_saveexec_b64 s[58:59], vcc
	s_cbranch_execz .LBB24_665
; %bb.589:                              ;   in Loop: Header=BB24_303 Depth=3
	s_trap 2
	ds_read_b64 v[4:5], v0
	s_and_b32 s26, 0xffff, s31
	s_cmp_eq_u32 s26, 0
	v_lshl_add_u64 v[18:19], v[8:9], 0, v[104:105]
	s_mov_b64 s[52:53], 0
	s_waitcnt lgkmcnt(0)
	v_lshl_add_u64 v[20:21], v[4:5], 0, v[8:9]
	s_mov_b64 s[60:61], 0
	s_cselect_b64 s[26:27], -1, 0
                                        ; implicit-def: $sgpr50_sgpr51
	s_branch .LBB24_591
.LBB24_590:                             ;   in Loop: Header=BB24_591 Depth=4
	s_or_b64 exec, exec, s[28:29]
	v_cmp_gt_i32_e32 vcc, 16, v27
	s_or_b64 s[60:61], vcc, s[60:61]
	s_andn2_b64 s[28:29], s[50:51], exec
	s_and_b64 vcc, s[52:53], exec
	s_or_b64 s[50:51], s[28:29], vcc
	s_andn2_b64 exec, exec, s[60:61]
	s_cbranch_execz .LBB24_664
.LBB24_591:                             ;   Parent Loop BB24_47 Depth=1
                                        ;     Parent Loop BB24_300 Depth=2
                                        ;       Parent Loop BB24_303 Depth=3
                                        ; =>      This Loop Header: Depth=4
                                        ;           Child Loop BB24_592 Depth 5
                                        ;           Child Loop BB24_629 Depth 5
	s_add_i32 s28, s33, 0xc0
	s_mov_b32 s64, s28
	s_mov_b64 s[54:55], -1
	s_mov_b64 s[28:29], 0
.LBB24_592:                             ;   Parent Loop BB24_47 Depth=1
                                        ;     Parent Loop BB24_300 Depth=2
                                        ;       Parent Loop BB24_303 Depth=3
                                        ;         Parent Loop BB24_591 Depth=4
                                        ; =>        This Inner Loop Header: Depth=5
	s_cmp_eq_u32 s28, 1
	s_cselect_b64 vcc, -1, 0
	v_cndmask_b32_e32 v5, v19, v21, vcc
	v_cndmask_b32_e32 v4, v18, v20, vcc
	global_load_dwordx4 v[8:11], v[4:5], off nt
	s_cmp_eq_u32 s28, 0
	v_lshl_add_u64 v[4:5], v[4:5], 0, s[88:89]
	s_cselect_b64 s[28:29], -1, 0
	v_cndmask_b32_e64 v19, v19, v5, s[28:29]
	v_cndmask_b32_e64 v18, v18, v4, s[28:29]
	v_cndmask_b32_e32 v21, v21, v5, vcc
	v_cndmask_b32_e32 v20, v20, v4, vcc
	s_mov_b64 s[28:29], 1
	s_and_b64 vcc, exec, s[54:55]
	s_mov_b64 s[54:55], 0
	s_waitcnt vmcnt(0)
	scratch_store_dwordx4 off, v[8:11], s64
	s_mov_b32 s64, s86
	s_cbranch_vccnz .LBB24_592
; %bb.593:                              ;   in Loop: Header=BB24_591 Depth=4
	s_and_saveexec_b64 s[28:29], s[52:53]
	s_cbranch_execz .LBB24_627
; %bb.594:                              ;   in Loop: Header=BB24_591 Depth=4
	scratch_load_dwordx4 v[8:11], off, s33 offset:224
	scratch_load_dwordx4 v[12:15], off, s33 offset:240
	s_waitcnt vmcnt(1)
	v_lshlrev_b32_e32 v4, 16, v8
	s_waitcnt vmcnt(0)
	v_lshlrev_b32_e32 v5, 16, v12
	v_max_f32_e32 v5, v5, v5
	v_max_f32_e32 v4, v4, v4
	v_min_f32_e32 v32, v4, v5
	v_max_f32_e32 v4, v4, v5
	v_cndmask_b32_e64 v5, v4, v32, s[26:27]
	v_and_b32_e32 v4, 0x7f800000, v5
	v_cmp_ne_u32_e32 vcc, s73, v4
                                        ; implicit-def: $vgpr4
	s_and_saveexec_b64 s[52:53], vcc
	s_xor_b64 vcc, exec, s[52:53]
; %bb.595:                              ;   in Loop: Header=BB24_591 Depth=4
	v_bfe_u32 v4, v5, 16, 1
	v_add3_u32 v4, v5, v4, s62
                                        ; implicit-def: $vgpr5
; %bb.596:                              ;   in Loop: Header=BB24_591 Depth=4
	s_andn2_saveexec_b64 s[52:53], vcc
; %bb.597:                              ;   in Loop: Header=BB24_591 Depth=4
	v_or_b32_e32 v4, 0x10000, v5
	v_cmp_eq_u32_sdwa vcc, v5, v3 src0_sel:WORD_0 src1_sel:DWORD
	s_nop 1
	v_cndmask_b32_e32 v4, v4, v5, vcc
; %bb.598:                              ;   in Loop: Header=BB24_591 Depth=4
	s_or_b64 exec, exec, s[52:53]
	v_and_b32_e32 v5, 0xffff0000, v8
	v_and_b32_e32 v8, 0xffff0000, v12
	v_max_f32_e32 v8, v8, v8
	v_max_f32_e32 v5, v5, v5
	v_min_f32_e32 v12, v5, v8
	v_max_f32_e32 v5, v5, v8
	v_cndmask_b32_e64 v8, v5, v12, s[26:27]
	v_and_b32_e32 v5, 0x7f800000, v8
	v_cmp_ne_u32_e32 vcc, s73, v5
                                        ; implicit-def: $vgpr5
	s_and_saveexec_b64 s[52:53], vcc
	s_xor_b64 vcc, exec, s[52:53]
; %bb.599:                              ;   in Loop: Header=BB24_591 Depth=4
	v_bfe_u32 v5, v8, 16, 1
	v_add3_u32 v5, v8, v5, s62
                                        ; implicit-def: $vgpr8
; %bb.600:                              ;   in Loop: Header=BB24_591 Depth=4
	s_andn2_saveexec_b64 s[52:53], vcc
; %bb.601:                              ;   in Loop: Header=BB24_591 Depth=4
	v_or_b32_e32 v5, 0x10000, v8
	v_cmp_eq_u32_sdwa vcc, v8, v3 src0_sel:WORD_0 src1_sel:DWORD
	s_nop 1
	v_cndmask_b32_e32 v5, v5, v8, vcc
; %bb.602:                              ;   in Loop: Header=BB24_591 Depth=4
	s_or_b64 exec, exec, s[52:53]
	v_lshlrev_b32_e32 v8, 16, v9
	v_lshlrev_b32_e32 v12, 16, v13
	v_max_f32_e32 v12, v12, v12
	v_max_f32_e32 v8, v8, v8
	v_min_f32_e32 v32, v8, v12
	v_max_f32_e32 v8, v8, v12
	v_cndmask_b32_e64 v12, v8, v32, s[26:27]
	v_and_b32_e32 v8, 0x7f800000, v12
	v_cmp_ne_u32_e32 vcc, s73, v8
                                        ; implicit-def: $vgpr8
	s_and_saveexec_b64 s[52:53], vcc
	s_xor_b64 vcc, exec, s[52:53]
; %bb.603:                              ;   in Loop: Header=BB24_591 Depth=4
	v_bfe_u32 v8, v12, 16, 1
	v_add3_u32 v8, v12, v8, s62
                                        ; implicit-def: $vgpr12
; %bb.604:                              ;   in Loop: Header=BB24_591 Depth=4
	s_andn2_saveexec_b64 s[52:53], vcc
; %bb.605:                              ;   in Loop: Header=BB24_591 Depth=4
	v_or_b32_e32 v8, 0x10000, v12
	v_cmp_eq_u32_sdwa vcc, v12, v3 src0_sel:WORD_0 src1_sel:DWORD
	s_nop 1
	v_cndmask_b32_e32 v8, v8, v12, vcc
; %bb.606:                              ;   in Loop: Header=BB24_591 Depth=4
	s_or_b64 exec, exec, s[52:53]
	v_and_b32_e32 v9, 0xffff0000, v9
	v_and_b32_e32 v12, 0xffff0000, v13
	v_max_f32_e32 v12, v12, v12
	v_max_f32_e32 v9, v9, v9
	v_min_f32_e32 v13, v9, v12
	v_max_f32_e32 v9, v9, v12
	v_cndmask_b32_e64 v12, v9, v13, s[26:27]
	v_and_b32_e32 v9, 0x7f800000, v12
	v_cmp_ne_u32_e32 vcc, s73, v9
                                        ; implicit-def: $vgpr9
	s_and_saveexec_b64 s[52:53], vcc
	s_xor_b64 vcc, exec, s[52:53]
; %bb.607:                              ;   in Loop: Header=BB24_591 Depth=4
	v_bfe_u32 v9, v12, 16, 1
	v_add3_u32 v9, v12, v9, s62
                                        ; implicit-def: $vgpr12
; %bb.608:                              ;   in Loop: Header=BB24_591 Depth=4
	s_andn2_saveexec_b64 s[52:53], vcc
; %bb.609:                              ;   in Loop: Header=BB24_591 Depth=4
	v_or_b32_e32 v9, 0x10000, v12
	v_cmp_eq_u32_sdwa vcc, v12, v3 src0_sel:WORD_0 src1_sel:DWORD
	s_nop 1
	v_cndmask_b32_e32 v9, v9, v12, vcc
; %bb.610:                              ;   in Loop: Header=BB24_591 Depth=4
	s_or_b64 exec, exec, s[52:53]
	v_lshlrev_b32_e32 v12, 16, v10
	v_lshlrev_b32_e32 v13, 16, v14
	v_max_f32_e32 v13, v13, v13
	v_max_f32_e32 v12, v12, v12
	v_min_f32_e32 v32, v12, v13
	v_max_f32_e32 v12, v12, v13
	v_cndmask_b32_e64 v13, v12, v32, s[26:27]
	v_and_b32_e32 v12, 0x7f800000, v13
	v_cmp_ne_u32_e32 vcc, s73, v12
                                        ; implicit-def: $vgpr12
	s_and_saveexec_b64 s[52:53], vcc
	s_xor_b64 vcc, exec, s[52:53]
; %bb.611:                              ;   in Loop: Header=BB24_591 Depth=4
	v_bfe_u32 v12, v13, 16, 1
	v_add3_u32 v12, v13, v12, s62
                                        ; implicit-def: $vgpr13
; %bb.612:                              ;   in Loop: Header=BB24_591 Depth=4
	s_andn2_saveexec_b64 s[52:53], vcc
; %bb.613:                              ;   in Loop: Header=BB24_591 Depth=4
	v_or_b32_e32 v12, 0x10000, v13
	v_cmp_eq_u32_sdwa vcc, v13, v3 src0_sel:WORD_0 src1_sel:DWORD
	s_nop 1
	v_cndmask_b32_e32 v12, v12, v13, vcc
; %bb.614:                              ;   in Loop: Header=BB24_591 Depth=4
	s_or_b64 exec, exec, s[52:53]
	v_and_b32_e32 v10, 0xffff0000, v10
	v_and_b32_e32 v13, 0xffff0000, v14
	v_max_f32_e32 v13, v13, v13
	v_max_f32_e32 v10, v10, v10
	v_min_f32_e32 v14, v10, v13
	v_max_f32_e32 v10, v10, v13
	v_cndmask_b32_e64 v13, v10, v14, s[26:27]
	v_and_b32_e32 v10, 0x7f800000, v13
	v_cmp_ne_u32_e32 vcc, s73, v10
                                        ; implicit-def: $vgpr10
	s_and_saveexec_b64 s[52:53], vcc
	s_xor_b64 vcc, exec, s[52:53]
; %bb.615:                              ;   in Loop: Header=BB24_591 Depth=4
	v_bfe_u32 v10, v13, 16, 1
	v_add3_u32 v10, v13, v10, s62
                                        ; implicit-def: $vgpr13
; %bb.616:                              ;   in Loop: Header=BB24_591 Depth=4
	s_andn2_saveexec_b64 s[52:53], vcc
; %bb.617:                              ;   in Loop: Header=BB24_591 Depth=4
	v_or_b32_e32 v10, 0x10000, v13
	v_cmp_eq_u32_sdwa vcc, v13, v3 src0_sel:WORD_0 src1_sel:DWORD
	s_nop 1
	v_cndmask_b32_e32 v10, v10, v13, vcc
; %bb.618:                              ;   in Loop: Header=BB24_591 Depth=4
	s_or_b64 exec, exec, s[52:53]
	v_lshlrev_b32_e32 v13, 16, v11
	v_lshlrev_b32_e32 v14, 16, v15
	v_max_f32_e32 v14, v14, v14
	v_max_f32_e32 v13, v13, v13
	v_min_f32_e32 v32, v13, v14
	v_max_f32_e32 v13, v13, v14
	v_cndmask_b32_e64 v14, v13, v32, s[26:27]
	v_and_b32_e32 v13, 0x7f800000, v14
	v_cmp_ne_u32_e32 vcc, s73, v13
                                        ; implicit-def: $vgpr13
	s_and_saveexec_b64 s[52:53], vcc
	s_xor_b64 vcc, exec, s[52:53]
; %bb.619:                              ;   in Loop: Header=BB24_591 Depth=4
	v_bfe_u32 v13, v14, 16, 1
	v_add3_u32 v13, v14, v13, s62
                                        ; implicit-def: $vgpr14
; %bb.620:                              ;   in Loop: Header=BB24_591 Depth=4
	s_andn2_saveexec_b64 s[52:53], vcc
; %bb.621:                              ;   in Loop: Header=BB24_591 Depth=4
	v_or_b32_e32 v13, 0x10000, v14
	v_cmp_eq_u32_sdwa vcc, v14, v3 src0_sel:WORD_0 src1_sel:DWORD
	s_nop 1
	v_cndmask_b32_e32 v13, v13, v14, vcc
; %bb.622:                              ;   in Loop: Header=BB24_591 Depth=4
	s_or_b64 exec, exec, s[52:53]
	v_and_b32_e32 v11, 0xffff0000, v11
	v_and_b32_e32 v14, 0xffff0000, v15
	v_max_f32_e32 v14, v14, v14
	v_max_f32_e32 v11, v11, v11
	v_min_f32_e32 v15, v11, v14
	v_max_f32_e32 v11, v11, v14
	v_cndmask_b32_e64 v14, v11, v15, s[26:27]
	v_and_b32_e32 v11, 0x7f800000, v14
	v_cmp_ne_u32_e32 vcc, s73, v11
                                        ; implicit-def: $vgpr11
	s_and_saveexec_b64 s[52:53], vcc
	s_xor_b64 vcc, exec, s[52:53]
; %bb.623:                              ;   in Loop: Header=BB24_591 Depth=4
	v_bfe_u32 v11, v14, 16, 1
	v_add3_u32 v11, v14, v11, s62
                                        ; implicit-def: $vgpr14
; %bb.624:                              ;   in Loop: Header=BB24_591 Depth=4
	s_andn2_saveexec_b64 s[52:53], vcc
; %bb.625:                              ;   in Loop: Header=BB24_591 Depth=4
	v_or_b32_e32 v11, 0x10000, v14
	v_cmp_eq_u32_sdwa vcc, v14, v3 src0_sel:WORD_0 src1_sel:DWORD
	s_nop 1
	v_cndmask_b32_e32 v11, v11, v14, vcc
; %bb.626:                              ;   in Loop: Header=BB24_591 Depth=4
	s_or_b64 exec, exec, s[52:53]
	v_lshrrev_b32_e32 v8, 16, v8
	v_lshrrev_b32_e32 v4, 16, v4
	v_and_or_b32 v9, v9, s63, v8
	v_and_or_b32 v8, v5, s63, v4
	v_lshrrev_b32_e32 v4, 16, v12
	v_and_or_b32 v10, v10, s63, v4
	v_lshrrev_b32_e32 v4, 16, v13
	v_and_or_b32 v11, v11, s63, v4
	scratch_store_dwordx4 off, v[8:11], s33 offset:224
	global_store_dwordx4 v[16:17], v[8:11], off
	v_lshl_add_u64 v[16:17], v[46:47], 0, v[16:17]
.LBB24_627:                             ;   in Loop: Header=BB24_591 Depth=4
	s_or_b64 exec, exec, s[28:29]
	v_sub_u32_e32 v27, v27, v100
	v_lshl_add_u64 v[18:19], v[18:19], 0, v[116:117]
	v_lshl_add_u64 v[20:21], v[20:21], 0, v[116:117]
	v_cmp_lt_i32_e64 s[52:53], 15, v27
	s_and_saveexec_b64 s[54:55], s[52:53]
	s_cbranch_execz .LBB24_630
; %bb.628:                              ;   in Loop: Header=BB24_591 Depth=4
	s_add_i32 s28, s33, 0xe0
	s_mov_b32 s66, s28
	s_mov_b64 s[28:29], 0
	s_mov_b64 s[64:65], -1
.LBB24_629:                             ;   Parent Loop BB24_47 Depth=1
                                        ;     Parent Loop BB24_300 Depth=2
                                        ;       Parent Loop BB24_303 Depth=3
                                        ;         Parent Loop BB24_591 Depth=4
                                        ; =>        This Inner Loop Header: Depth=5
	s_cmp_eq_u32 s28, 1
	s_cselect_b64 vcc, -1, 0
	v_cndmask_b32_e32 v5, v19, v21, vcc
	v_cndmask_b32_e32 v4, v18, v20, vcc
	global_load_dwordx4 v[8:11], v[4:5], off nt
	s_cmp_eq_u32 s28, 0
	v_lshl_add_u64 v[4:5], v[4:5], 0, s[88:89]
	s_cselect_b64 s[28:29], -1, 0
	v_cndmask_b32_e64 v19, v19, v5, s[28:29]
	v_cndmask_b32_e64 v18, v18, v4, s[28:29]
	v_cndmask_b32_e32 v21, v21, v5, vcc
	v_cndmask_b32_e32 v20, v20, v4, vcc
	s_mov_b64 s[28:29], 1
	s_and_b64 vcc, exec, s[64:65]
	s_mov_b64 s[64:65], 0
	s_waitcnt vmcnt(0)
	scratch_store_dwordx4 off, v[8:11], s66
	s_mov_b32 s66, s85
	s_cbranch_vccnz .LBB24_629
.LBB24_630:                             ;   in Loop: Header=BB24_591 Depth=4
	s_or_b64 exec, exec, s[54:55]
	scratch_load_dwordx4 v[8:11], off, s33 offset:192
	scratch_load_dwordx4 v[12:15], off, s33 offset:208
	s_waitcnt vmcnt(1)
	v_lshlrev_b32_e32 v4, 16, v8
	s_waitcnt vmcnt(0)
	v_lshlrev_b32_e32 v5, 16, v12
	v_max_f32_e32 v5, v5, v5
	v_max_f32_e32 v4, v4, v4
	v_min_f32_e32 v32, v4, v5
	v_max_f32_e32 v4, v4, v5
	v_cndmask_b32_e64 v5, v4, v32, s[26:27]
	v_and_b32_e32 v4, 0x7f800000, v5
	v_cmp_ne_u32_e32 vcc, s73, v4
                                        ; implicit-def: $vgpr4
	s_and_saveexec_b64 s[28:29], vcc
	s_xor_b64 s[28:29], exec, s[28:29]
; %bb.631:                              ;   in Loop: Header=BB24_591 Depth=4
	v_bfe_u32 v4, v5, 16, 1
	v_add3_u32 v4, v5, v4, s62
                                        ; implicit-def: $vgpr5
; %bb.632:                              ;   in Loop: Header=BB24_591 Depth=4
	s_andn2_saveexec_b64 s[28:29], s[28:29]
; %bb.633:                              ;   in Loop: Header=BB24_591 Depth=4
	v_or_b32_e32 v4, 0x10000, v5
	v_cmp_eq_u32_sdwa vcc, v5, v3 src0_sel:WORD_0 src1_sel:DWORD
	s_nop 1
	v_cndmask_b32_e32 v4, v4, v5, vcc
; %bb.634:                              ;   in Loop: Header=BB24_591 Depth=4
	s_or_b64 exec, exec, s[28:29]
	v_and_b32_e32 v5, 0xffff0000, v8
	v_and_b32_e32 v8, 0xffff0000, v12
	v_max_f32_e32 v8, v8, v8
	v_max_f32_e32 v5, v5, v5
	v_min_f32_e32 v12, v5, v8
	v_max_f32_e32 v5, v5, v8
	v_cndmask_b32_e64 v8, v5, v12, s[26:27]
	v_and_b32_e32 v5, 0x7f800000, v8
	v_cmp_ne_u32_e32 vcc, s73, v5
                                        ; implicit-def: $vgpr5
	s_and_saveexec_b64 s[28:29], vcc
	s_xor_b64 s[28:29], exec, s[28:29]
; %bb.635:                              ;   in Loop: Header=BB24_591 Depth=4
	v_bfe_u32 v5, v8, 16, 1
	v_add3_u32 v5, v8, v5, s62
                                        ; implicit-def: $vgpr8
; %bb.636:                              ;   in Loop: Header=BB24_591 Depth=4
	s_andn2_saveexec_b64 s[28:29], s[28:29]
; %bb.637:                              ;   in Loop: Header=BB24_591 Depth=4
	v_or_b32_e32 v5, 0x10000, v8
	v_cmp_eq_u32_sdwa vcc, v8, v3 src0_sel:WORD_0 src1_sel:DWORD
	s_nop 1
	v_cndmask_b32_e32 v5, v5, v8, vcc
; %bb.638:                              ;   in Loop: Header=BB24_591 Depth=4
	s_or_b64 exec, exec, s[28:29]
	v_lshlrev_b32_e32 v8, 16, v9
	v_lshlrev_b32_e32 v12, 16, v13
	v_max_f32_e32 v12, v12, v12
	v_max_f32_e32 v8, v8, v8
	v_min_f32_e32 v32, v8, v12
	v_max_f32_e32 v8, v8, v12
	v_cndmask_b32_e64 v12, v8, v32, s[26:27]
	v_and_b32_e32 v8, 0x7f800000, v12
	v_cmp_ne_u32_e32 vcc, s73, v8
                                        ; implicit-def: $vgpr8
	s_and_saveexec_b64 s[28:29], vcc
	s_xor_b64 s[28:29], exec, s[28:29]
; %bb.639:                              ;   in Loop: Header=BB24_591 Depth=4
	v_bfe_u32 v8, v12, 16, 1
	v_add3_u32 v8, v12, v8, s62
                                        ; implicit-def: $vgpr12
; %bb.640:                              ;   in Loop: Header=BB24_591 Depth=4
	s_andn2_saveexec_b64 s[28:29], s[28:29]
; %bb.641:                              ;   in Loop: Header=BB24_591 Depth=4
	v_or_b32_e32 v8, 0x10000, v12
	v_cmp_eq_u32_sdwa vcc, v12, v3 src0_sel:WORD_0 src1_sel:DWORD
	s_nop 1
	v_cndmask_b32_e32 v8, v8, v12, vcc
; %bb.642:                              ;   in Loop: Header=BB24_591 Depth=4
	s_or_b64 exec, exec, s[28:29]
	v_and_b32_e32 v9, 0xffff0000, v9
	v_and_b32_e32 v12, 0xffff0000, v13
	v_max_f32_e32 v12, v12, v12
	v_max_f32_e32 v9, v9, v9
	v_min_f32_e32 v13, v9, v12
	v_max_f32_e32 v9, v9, v12
	v_cndmask_b32_e64 v12, v9, v13, s[26:27]
	v_and_b32_e32 v9, 0x7f800000, v12
	v_cmp_ne_u32_e32 vcc, s73, v9
                                        ; implicit-def: $vgpr9
	s_and_saveexec_b64 s[28:29], vcc
	s_xor_b64 s[28:29], exec, s[28:29]
; %bb.643:                              ;   in Loop: Header=BB24_591 Depth=4
	v_bfe_u32 v9, v12, 16, 1
	v_add3_u32 v9, v12, v9, s62
                                        ; implicit-def: $vgpr12
; %bb.644:                              ;   in Loop: Header=BB24_591 Depth=4
	s_andn2_saveexec_b64 s[28:29], s[28:29]
; %bb.645:                              ;   in Loop: Header=BB24_591 Depth=4
	v_or_b32_e32 v9, 0x10000, v12
	v_cmp_eq_u32_sdwa vcc, v12, v3 src0_sel:WORD_0 src1_sel:DWORD
	s_nop 1
	v_cndmask_b32_e32 v9, v9, v12, vcc
; %bb.646:                              ;   in Loop: Header=BB24_591 Depth=4
	s_or_b64 exec, exec, s[28:29]
	v_lshlrev_b32_e32 v12, 16, v10
	v_lshlrev_b32_e32 v13, 16, v14
	v_max_f32_e32 v13, v13, v13
	v_max_f32_e32 v12, v12, v12
	v_min_f32_e32 v32, v12, v13
	v_max_f32_e32 v12, v12, v13
	v_cndmask_b32_e64 v13, v12, v32, s[26:27]
	v_and_b32_e32 v12, 0x7f800000, v13
	v_cmp_ne_u32_e32 vcc, s73, v12
                                        ; implicit-def: $vgpr12
	s_and_saveexec_b64 s[28:29], vcc
	s_xor_b64 s[28:29], exec, s[28:29]
; %bb.647:                              ;   in Loop: Header=BB24_591 Depth=4
	v_bfe_u32 v12, v13, 16, 1
	v_add3_u32 v12, v13, v12, s62
                                        ; implicit-def: $vgpr13
; %bb.648:                              ;   in Loop: Header=BB24_591 Depth=4
	s_andn2_saveexec_b64 s[28:29], s[28:29]
; %bb.649:                              ;   in Loop: Header=BB24_591 Depth=4
	v_or_b32_e32 v12, 0x10000, v13
	v_cmp_eq_u32_sdwa vcc, v13, v3 src0_sel:WORD_0 src1_sel:DWORD
	s_nop 1
	v_cndmask_b32_e32 v12, v12, v13, vcc
; %bb.650:                              ;   in Loop: Header=BB24_591 Depth=4
	s_or_b64 exec, exec, s[28:29]
	v_and_b32_e32 v10, 0xffff0000, v10
	v_and_b32_e32 v13, 0xffff0000, v14
	v_max_f32_e32 v13, v13, v13
	v_max_f32_e32 v10, v10, v10
	v_min_f32_e32 v14, v10, v13
	v_max_f32_e32 v10, v10, v13
	v_cndmask_b32_e64 v13, v10, v14, s[26:27]
	v_and_b32_e32 v10, 0x7f800000, v13
	v_cmp_ne_u32_e32 vcc, s73, v10
                                        ; implicit-def: $vgpr10
	s_and_saveexec_b64 s[28:29], vcc
	s_xor_b64 s[28:29], exec, s[28:29]
; %bb.651:                              ;   in Loop: Header=BB24_591 Depth=4
	v_bfe_u32 v10, v13, 16, 1
	v_add3_u32 v10, v13, v10, s62
                                        ; implicit-def: $vgpr13
; %bb.652:                              ;   in Loop: Header=BB24_591 Depth=4
	s_andn2_saveexec_b64 s[28:29], s[28:29]
; %bb.653:                              ;   in Loop: Header=BB24_591 Depth=4
	v_or_b32_e32 v10, 0x10000, v13
	v_cmp_eq_u32_sdwa vcc, v13, v3 src0_sel:WORD_0 src1_sel:DWORD
	s_nop 1
	v_cndmask_b32_e32 v10, v10, v13, vcc
; %bb.654:                              ;   in Loop: Header=BB24_591 Depth=4
	s_or_b64 exec, exec, s[28:29]
	v_lshlrev_b32_e32 v13, 16, v11
	v_lshlrev_b32_e32 v14, 16, v15
	v_max_f32_e32 v14, v14, v14
	v_max_f32_e32 v13, v13, v13
	v_min_f32_e32 v32, v13, v14
	v_max_f32_e32 v13, v13, v14
	v_cndmask_b32_e64 v14, v13, v32, s[26:27]
	v_and_b32_e32 v13, 0x7f800000, v14
	v_cmp_ne_u32_e32 vcc, s73, v13
                                        ; implicit-def: $vgpr13
	s_and_saveexec_b64 s[28:29], vcc
	s_xor_b64 s[28:29], exec, s[28:29]
; %bb.655:                              ;   in Loop: Header=BB24_591 Depth=4
	v_bfe_u32 v13, v14, 16, 1
	v_add3_u32 v13, v14, v13, s62
                                        ; implicit-def: $vgpr14
; %bb.656:                              ;   in Loop: Header=BB24_591 Depth=4
	s_andn2_saveexec_b64 s[28:29], s[28:29]
; %bb.657:                              ;   in Loop: Header=BB24_591 Depth=4
	v_or_b32_e32 v13, 0x10000, v14
	v_cmp_eq_u32_sdwa vcc, v14, v3 src0_sel:WORD_0 src1_sel:DWORD
	s_nop 1
	v_cndmask_b32_e32 v13, v13, v14, vcc
; %bb.658:                              ;   in Loop: Header=BB24_591 Depth=4
	s_or_b64 exec, exec, s[28:29]
	v_and_b32_e32 v11, 0xffff0000, v11
	v_and_b32_e32 v14, 0xffff0000, v15
	v_max_f32_e32 v14, v14, v14
	v_max_f32_e32 v11, v11, v11
	v_min_f32_e32 v15, v11, v14
	v_max_f32_e32 v11, v11, v14
	v_cndmask_b32_e64 v14, v11, v15, s[26:27]
	v_and_b32_e32 v11, 0x7f800000, v14
	v_cmp_ne_u32_e32 vcc, s73, v11
                                        ; implicit-def: $vgpr11
	s_and_saveexec_b64 s[28:29], vcc
	s_xor_b64 s[28:29], exec, s[28:29]
; %bb.659:                              ;   in Loop: Header=BB24_591 Depth=4
	v_bfe_u32 v11, v14, 16, 1
	v_add3_u32 v11, v14, v11, s62
                                        ; implicit-def: $vgpr14
; %bb.660:                              ;   in Loop: Header=BB24_591 Depth=4
	s_andn2_saveexec_b64 s[28:29], s[28:29]
; %bb.661:                              ;   in Loop: Header=BB24_591 Depth=4
	v_or_b32_e32 v11, 0x10000, v14
	v_cmp_eq_u32_sdwa vcc, v14, v3 src0_sel:WORD_0 src1_sel:DWORD
	s_nop 1
	v_cndmask_b32_e32 v11, v11, v14, vcc
; %bb.662:                              ;   in Loop: Header=BB24_591 Depth=4
	s_or_b64 exec, exec, s[28:29]
	v_lshrrev_b32_e32 v8, 16, v8
	v_lshrrev_b32_e32 v4, 16, v4
	v_and_or_b32 v9, v9, s63, v8
	v_and_or_b32 v8, v5, s63, v4
	v_lshrrev_b32_e32 v4, 16, v12
	v_and_or_b32 v10, v10, s63, v4
	v_lshrrev_b32_e32 v4, 16, v13
	v_and_or_b32 v11, v11, s63, v4
	v_sub_u32_e32 v26, v26, v84
	scratch_store_dwordx4 off, v[8:11], s33 offset:192
	global_store_dwordx4 v[16:17], v[8:11], off
	v_lshl_add_u64 v[16:17], v[16:17], 0, s[88:89]
	s_and_saveexec_b64 s[28:29], s[52:53]
	s_cbranch_execz .LBB24_590
; %bb.663:                              ;   in Loop: Header=BB24_591 Depth=4
	v_lshl_add_u64 v[18:19], v[18:19], 0, v[116:117]
	v_lshl_add_u64 v[20:21], v[20:21], 0, v[116:117]
	;; [unrolled: 1-line block ×3, first 2 shown]
	v_sub_u32_e32 v27, v27, v100
	v_sub_u32_e32 v26, v26, v84
	s_branch .LBB24_590
.LBB24_664:                             ;   in Loop: Header=BB24_303 Depth=3
	s_or_b64 exec, exec, s[60:61]
	s_and_b64 s[26:27], s[50:51], exec
.LBB24_665:                             ;   in Loop: Header=BB24_303 Depth=3
	s_or_b64 exec, exec, s[58:59]
	s_and_saveexec_b64 s[28:29], s[26:27]
	s_cbranch_execz .LBB24_699
; %bb.666:                              ;   in Loop: Header=BB24_303 Depth=3
	scratch_load_dwordx4 v[8:11], off, s33 offset:224
	scratch_load_dwordx4 v[12:15], off, s33 offset:240
	s_and_b32 s26, 0xffff, s31
	s_cmp_eq_u32 s26, 0
	s_cselect_b64 vcc, -1, 0
	s_waitcnt vmcnt(0)
	v_lshlrev_b32_e32 v4, 16, v8
	v_lshlrev_b32_e32 v5, 16, v12
	v_max_f32_e32 v5, v5, v5
	v_max_f32_e32 v4, v4, v4
	v_min_f32_e32 v18, v4, v5
	v_max_f32_e32 v4, v4, v5
	v_cndmask_b32_e32 v5, v4, v18, vcc
	v_and_b32_e32 v4, 0x7f800000, v5
	v_cmp_ne_u32_e64 s[26:27], s73, v4
                                        ; implicit-def: $vgpr4
	s_and_saveexec_b64 s[58:59], s[26:27]
	s_xor_b64 s[26:27], exec, s[58:59]
; %bb.667:                              ;   in Loop: Header=BB24_303 Depth=3
	v_bfe_u32 v4, v5, 16, 1
	v_add3_u32 v4, v5, v4, s62
                                        ; implicit-def: $vgpr5
; %bb.668:                              ;   in Loop: Header=BB24_303 Depth=3
	s_andn2_saveexec_b64 s[58:59], s[26:27]
; %bb.669:                              ;   in Loop: Header=BB24_303 Depth=3
	v_or_b32_e32 v4, 0x10000, v5
	v_cmp_eq_u32_sdwa s[26:27], v5, v3 src0_sel:WORD_0 src1_sel:DWORD
	s_nop 1
	v_cndmask_b32_e64 v4, v4, v5, s[26:27]
; %bb.670:                              ;   in Loop: Header=BB24_303 Depth=3
	s_or_b64 exec, exec, s[58:59]
	v_and_b32_e32 v5, 0xffff0000, v8
	v_and_b32_e32 v8, 0xffff0000, v12
	v_max_f32_e32 v8, v8, v8
	v_max_f32_e32 v5, v5, v5
	v_min_f32_e32 v12, v5, v8
	v_max_f32_e32 v5, v5, v8
	v_cndmask_b32_e32 v8, v5, v12, vcc
	v_and_b32_e32 v5, 0x7f800000, v8
	v_cmp_ne_u32_e64 s[26:27], s73, v5
                                        ; implicit-def: $vgpr5
	s_and_saveexec_b64 s[58:59], s[26:27]
	s_xor_b64 s[26:27], exec, s[58:59]
; %bb.671:                              ;   in Loop: Header=BB24_303 Depth=3
	v_bfe_u32 v5, v8, 16, 1
	v_add3_u32 v5, v8, v5, s62
                                        ; implicit-def: $vgpr8
; %bb.672:                              ;   in Loop: Header=BB24_303 Depth=3
	s_andn2_saveexec_b64 s[58:59], s[26:27]
; %bb.673:                              ;   in Loop: Header=BB24_303 Depth=3
	v_or_b32_e32 v5, 0x10000, v8
	v_cmp_eq_u32_sdwa s[26:27], v8, v3 src0_sel:WORD_0 src1_sel:DWORD
	s_nop 1
	v_cndmask_b32_e64 v5, v5, v8, s[26:27]
; %bb.674:                              ;   in Loop: Header=BB24_303 Depth=3
	s_or_b64 exec, exec, s[58:59]
	v_lshlrev_b32_e32 v8, 16, v9
	v_lshlrev_b32_e32 v12, 16, v13
	v_max_f32_e32 v12, v12, v12
	v_max_f32_e32 v8, v8, v8
	v_min_f32_e32 v18, v8, v12
	v_max_f32_e32 v8, v8, v12
	v_cndmask_b32_e32 v12, v8, v18, vcc
	v_and_b32_e32 v8, 0x7f800000, v12
	v_cmp_ne_u32_e64 s[26:27], s73, v8
                                        ; implicit-def: $vgpr8
	s_and_saveexec_b64 s[58:59], s[26:27]
	s_xor_b64 s[26:27], exec, s[58:59]
; %bb.675:                              ;   in Loop: Header=BB24_303 Depth=3
	v_bfe_u32 v8, v12, 16, 1
	v_add3_u32 v8, v12, v8, s62
                                        ; implicit-def: $vgpr12
; %bb.676:                              ;   in Loop: Header=BB24_303 Depth=3
	s_andn2_saveexec_b64 s[58:59], s[26:27]
; %bb.677:                              ;   in Loop: Header=BB24_303 Depth=3
	v_or_b32_e32 v8, 0x10000, v12
	v_cmp_eq_u32_sdwa s[26:27], v12, v3 src0_sel:WORD_0 src1_sel:DWORD
	s_nop 1
	v_cndmask_b32_e64 v8, v8, v12, s[26:27]
; %bb.678:                              ;   in Loop: Header=BB24_303 Depth=3
	s_or_b64 exec, exec, s[58:59]
	v_and_b32_e32 v9, 0xffff0000, v9
	v_and_b32_e32 v12, 0xffff0000, v13
	v_max_f32_e32 v12, v12, v12
	v_max_f32_e32 v9, v9, v9
	v_min_f32_e32 v13, v9, v12
	v_max_f32_e32 v9, v9, v12
	v_cndmask_b32_e32 v12, v9, v13, vcc
	v_and_b32_e32 v9, 0x7f800000, v12
	v_cmp_ne_u32_e64 s[26:27], s73, v9
                                        ; implicit-def: $vgpr9
	s_and_saveexec_b64 s[58:59], s[26:27]
	s_xor_b64 s[26:27], exec, s[58:59]
; %bb.679:                              ;   in Loop: Header=BB24_303 Depth=3
	v_bfe_u32 v9, v12, 16, 1
	v_add3_u32 v9, v12, v9, s62
                                        ; implicit-def: $vgpr12
; %bb.680:                              ;   in Loop: Header=BB24_303 Depth=3
	s_andn2_saveexec_b64 s[58:59], s[26:27]
; %bb.681:                              ;   in Loop: Header=BB24_303 Depth=3
	v_or_b32_e32 v9, 0x10000, v12
	v_cmp_eq_u32_sdwa s[26:27], v12, v3 src0_sel:WORD_0 src1_sel:DWORD
	s_nop 1
	v_cndmask_b32_e64 v9, v9, v12, s[26:27]
; %bb.682:                              ;   in Loop: Header=BB24_303 Depth=3
	s_or_b64 exec, exec, s[58:59]
	v_lshlrev_b32_e32 v12, 16, v10
	v_lshlrev_b32_e32 v13, 16, v14
	v_max_f32_e32 v13, v13, v13
	v_max_f32_e32 v12, v12, v12
	v_min_f32_e32 v18, v12, v13
	v_max_f32_e32 v12, v12, v13
	v_cndmask_b32_e32 v13, v12, v18, vcc
	v_and_b32_e32 v12, 0x7f800000, v13
	v_cmp_ne_u32_e64 s[26:27], s73, v12
                                        ; implicit-def: $vgpr12
	s_and_saveexec_b64 s[58:59], s[26:27]
	s_xor_b64 s[26:27], exec, s[58:59]
; %bb.683:                              ;   in Loop: Header=BB24_303 Depth=3
	v_bfe_u32 v12, v13, 16, 1
	v_add3_u32 v12, v13, v12, s62
                                        ; implicit-def: $vgpr13
; %bb.684:                              ;   in Loop: Header=BB24_303 Depth=3
	s_andn2_saveexec_b64 s[58:59], s[26:27]
; %bb.685:                              ;   in Loop: Header=BB24_303 Depth=3
	v_or_b32_e32 v12, 0x10000, v13
	v_cmp_eq_u32_sdwa s[26:27], v13, v3 src0_sel:WORD_0 src1_sel:DWORD
	s_nop 1
	v_cndmask_b32_e64 v12, v12, v13, s[26:27]
; %bb.686:                              ;   in Loop: Header=BB24_303 Depth=3
	s_or_b64 exec, exec, s[58:59]
	v_and_b32_e32 v10, 0xffff0000, v10
	v_and_b32_e32 v13, 0xffff0000, v14
	v_max_f32_e32 v13, v13, v13
	v_max_f32_e32 v10, v10, v10
	v_min_f32_e32 v14, v10, v13
	v_max_f32_e32 v10, v10, v13
	v_cndmask_b32_e32 v13, v10, v14, vcc
	v_and_b32_e32 v10, 0x7f800000, v13
	v_cmp_ne_u32_e64 s[26:27], s73, v10
                                        ; implicit-def: $vgpr10
	s_and_saveexec_b64 s[58:59], s[26:27]
	s_xor_b64 s[26:27], exec, s[58:59]
; %bb.687:                              ;   in Loop: Header=BB24_303 Depth=3
	v_bfe_u32 v10, v13, 16, 1
	v_add3_u32 v10, v13, v10, s62
                                        ; implicit-def: $vgpr13
; %bb.688:                              ;   in Loop: Header=BB24_303 Depth=3
	s_andn2_saveexec_b64 s[58:59], s[26:27]
; %bb.689:                              ;   in Loop: Header=BB24_303 Depth=3
	v_or_b32_e32 v10, 0x10000, v13
	v_cmp_eq_u32_sdwa s[26:27], v13, v3 src0_sel:WORD_0 src1_sel:DWORD
	s_nop 1
	v_cndmask_b32_e64 v10, v10, v13, s[26:27]
; %bb.690:                              ;   in Loop: Header=BB24_303 Depth=3
	s_or_b64 exec, exec, s[58:59]
	v_lshlrev_b32_e32 v13, 16, v11
	v_lshlrev_b32_e32 v14, 16, v15
	v_max_f32_e32 v14, v14, v14
	v_max_f32_e32 v13, v13, v13
	v_min_f32_e32 v18, v13, v14
	v_max_f32_e32 v13, v13, v14
	v_cndmask_b32_e32 v14, v13, v18, vcc
	v_and_b32_e32 v13, 0x7f800000, v14
	v_cmp_ne_u32_e64 s[26:27], s73, v13
                                        ; implicit-def: $vgpr13
	s_and_saveexec_b64 s[58:59], s[26:27]
	s_xor_b64 s[26:27], exec, s[58:59]
; %bb.691:                              ;   in Loop: Header=BB24_303 Depth=3
	v_bfe_u32 v13, v14, 16, 1
	v_add3_u32 v13, v14, v13, s62
                                        ; implicit-def: $vgpr14
; %bb.692:                              ;   in Loop: Header=BB24_303 Depth=3
	s_andn2_saveexec_b64 s[58:59], s[26:27]
; %bb.693:                              ;   in Loop: Header=BB24_303 Depth=3
	v_or_b32_e32 v13, 0x10000, v14
	v_cmp_eq_u32_sdwa s[26:27], v14, v3 src0_sel:WORD_0 src1_sel:DWORD
	s_nop 1
	v_cndmask_b32_e64 v13, v13, v14, s[26:27]
; %bb.694:                              ;   in Loop: Header=BB24_303 Depth=3
	s_or_b64 exec, exec, s[58:59]
	v_and_b32_e32 v11, 0xffff0000, v11
	v_and_b32_e32 v14, 0xffff0000, v15
	v_max_f32_e32 v14, v14, v14
	v_max_f32_e32 v11, v11, v11
	v_min_f32_e32 v15, v11, v14
	v_max_f32_e32 v11, v11, v14
	v_cndmask_b32_e32 v14, v11, v15, vcc
	v_and_b32_e32 v11, 0x7f800000, v14
	v_cmp_ne_u32_e32 vcc, s73, v11
                                        ; implicit-def: $vgpr11
	s_and_saveexec_b64 s[26:27], vcc
	s_xor_b64 s[26:27], exec, s[26:27]
; %bb.695:                              ;   in Loop: Header=BB24_303 Depth=3
	v_bfe_u32 v11, v14, 16, 1
	v_add3_u32 v11, v14, v11, s62
                                        ; implicit-def: $vgpr14
; %bb.696:                              ;   in Loop: Header=BB24_303 Depth=3
	s_andn2_saveexec_b64 s[26:27], s[26:27]
; %bb.697:                              ;   in Loop: Header=BB24_303 Depth=3
	v_or_b32_e32 v11, 0x10000, v14
	v_cmp_eq_u32_sdwa vcc, v14, v3 src0_sel:WORD_0 src1_sel:DWORD
	s_nop 1
	v_cndmask_b32_e32 v11, v11, v14, vcc
; %bb.698:                              ;   in Loop: Header=BB24_303 Depth=3
	s_or_b64 exec, exec, s[26:27]
	v_lshrrev_b32_e32 v8, 16, v8
	v_lshrrev_b32_e32 v4, 16, v4
	v_and_or_b32 v9, v9, s63, v8
	v_and_or_b32 v8, v5, s63, v4
	v_lshrrev_b32_e32 v4, 16, v12
	v_and_or_b32 v10, v10, s63, v4
	v_lshrrev_b32_e32 v4, 16, v13
	v_and_or_b32 v11, v11, s63, v4
	global_store_dwordx4 v[16:17], v[8:11], off
.LBB24_699:                             ;   in Loop: Header=BB24_303 Depth=3
	s_or_b64 exec, exec, s[28:29]
	v_and_b32_e32 v5, 14, v29
	v_cndmask_b32_e64 v29, v25, v5, s[24:25]
	v_cmp_ne_u32_e32 vcc, 0, v29
	s_mov_b64 s[28:29], s[46:47]
                                        ; implicit-def: $vgpr14
                                        ; implicit-def: $vgpr4
                                        ; implicit-def: $vgpr15
	s_and_saveexec_b64 s[26:27], vcc
	s_cbranch_execz .LBB24_701
; %bb.700:                              ;   in Loop: Header=BB24_303 Depth=3
	v_sub_u32_e32 v4, v25, v5
	v_cndmask_b32_e64 v4, 0, v4, s[24:25]
	v_cmp_lt_i32_e32 vcc, 0, v26
	v_add3_u32 v14, v24, v22, v4
	s_or_b64 s[28:29], s[46:47], exec
	v_cndmask_b32_e32 v4, 0, v84, vcc
	v_sub_u32_e32 v4, v4, v26
	v_lshl_add_u32 v4, v4, 6, v23
	v_ashrrev_i32_e32 v5, 31, v4
	v_lshrrev_b32_e32 v5, 26, v5
	v_add_u32_e32 v5, v4, v5
	v_and_b32_e32 v5, 0xffffffc0, v5
	v_sub_u32_e32 v15, v4, v5
.LBB24_701:                             ;   in Loop: Header=BB24_303 Depth=3
	s_or_b64 exec, exec, s[26:27]
	s_andn2_b64 s[24:25], s[46:47], exec
	s_and_b64 s[26:27], s[28:29], exec
	s_or_b64 s[46:47], s[24:25], s[26:27]
.LBB24_702:                             ;   in Loop: Header=BB24_303 Depth=3
	s_or_b64 exec, exec, s[56:57]
	s_and_saveexec_b64 s[56:57], s[46:47]
	s_cbranch_execz .LBB24_834
.LBB24_703:                             ;   in Loop: Header=BB24_303 Depth=3
	v_ashrrev_i32_e32 v5, 31, v4
	v_lshrrev_b32_e32 v5, 26, v5
	v_add_u32_e32 v4, v4, v5
	v_ashrrev_i32_e32 v4, 6, v4
	v_lshlrev_b32_e32 v5, 10, v4
	v_lshlrev_b32_e32 v8, 1, v15
	v_add3_u32 v12, v14, v8, v5
	v_ashrrev_i32_e32 v5, 31, v29
	v_lshrrev_b32_e32 v5, 22, v5
	v_add_u32_e32 v5, v29, v5
	v_ashrrev_i32_e32 v16, 10, v5
	v_ashrrev_i32_e32 v13, 31, v12
	v_sub_u32_e32 v17, v16, v4
	v_lshl_add_u64 v[8:9], v[106:107], 0, v[12:13]
	v_cmp_lt_i32_e32 vcc, 0, v17
	v_mov_b32_e32 v50, 0
	s_mov_b64 s[24:25], 0
	v_mov_b32_e32 v39, 0
	v_mov_b32_e32 v36, 0
	;; [unrolled: 1-line block ×15, first 2 shown]
	s_and_saveexec_b64 s[26:27], vcc
	s_cbranch_execz .LBB24_775
; %bb.704:                              ;   in Loop: Header=BB24_303 Depth=3
	s_trap 2
	ds_read_b64 v[4:5], v0
	s_and_b32 s24, s31, 0xff
	s_cmp_eq_u32 s24, 0
	v_lshl_add_u64 v[10:11], v[12:13], 0, v[104:105]
	s_mov_b64 s[58:59], 0
	s_waitcnt lgkmcnt(0)
	v_lshl_add_u64 v[12:13], v[4:5], 0, v[12:13]
	s_mov_b64 s[46:47], 0
	s_cselect_b64 vcc, -1, 0
                                        ; implicit-def: $sgpr28_sgpr29
                                        ; implicit-def: $vgpr93
                                        ; implicit-def: $vgpr86
                                        ; implicit-def: $vgpr49
                                        ; implicit-def: $vgpr38
                                        ; implicit-def: $vgpr35
                                        ; implicit-def: $vgpr32
                                        ; implicit-def: $vgpr27
                                        ; implicit-def: $vgpr26
                                        ; implicit-def: $vgpr18
                                        ; implicit-def: $vgpr19
                                        ; implicit-def: $vgpr20
                                        ; implicit-def: $vgpr21
                                        ; implicit-def: $vgpr22
                                        ; implicit-def: $vgpr23
                                        ; implicit-def: $vgpr24
                                        ; implicit-def: $vgpr25
	s_branch .LBB24_706
.LBB24_705:                             ;   in Loop: Header=BB24_706 Depth=4
	s_or_b64 exec, exec, s[60:61]
	flat_store_short_d16_hi v[8:9], v5 nt
	flat_store_short_d16_hi v[8:9], v17 offset:128 nt
	flat_store_short_d16_hi v[8:9], v62 offset:256 nt
	;; [unrolled: 1-line block ×7, first 2 shown]
	v_mov_b32_e32 v5, 0x400
	v_cndmask_b32_e64 v96, v5, v46, s[58:59]
	v_cndmask_b32_e64 v5, 0, v84, s[58:59]
	v_sub_u32_e32 v17, v4, v5
	v_cmp_gt_i32_e64 s[24:25], 1, v17
	s_or_b64 s[46:47], s[24:25], s[46:47]
	v_lshl_add_u64 v[36:37], v[10:11], 0, v[116:117]
	v_lshl_add_u64 v[50:51], v[12:13], 0, v[116:117]
	v_cndmask_b32_e64 v97, 0, v47, s[58:59]
	s_andn2_b64 s[24:25], s[28:29], exec
	s_and_b64 s[28:29], s[58:59], exec
	v_lshl_add_u64 v[8:9], v[8:9], 0, v[96:97]
	v_cndmask_b32_e64 v11, v11, v37, s[58:59]
	v_cndmask_b32_e64 v10, v10, v36, s[58:59]
	;; [unrolled: 1-line block ×4, first 2 shown]
	s_or_b64 s[28:29], s[24:25], s[28:29]
	s_andn2_b64 exec, exec, s[46:47]
	s_cbranch_execz .LBB24_774
.LBB24_706:                             ;   Parent Loop BB24_47 Depth=1
                                        ;     Parent Loop BB24_300 Depth=2
                                        ;       Parent Loop BB24_303 Depth=3
                                        ; =>      This Inner Loop Header: Depth=4
	flat_load_ushort v120, v[10:11] nt
	flat_load_ushort v110, v[10:11] offset:128 nt
	flat_load_ushort v108, v[10:11] offset:256 nt
	;; [unrolled: 1-line block ×7, first 2 shown]
	flat_load_ushort v121, v[12:13] nt
	flat_load_ushort v111, v[12:13] offset:128 nt
	flat_load_ushort v109, v[12:13] offset:256 nt
	;; [unrolled: 1-line block ×7, first 2 shown]
	s_and_saveexec_b64 s[60:61], s[58:59]
	s_cbranch_execz .LBB24_740
; %bb.707:                              ;   in Loop: Header=BB24_706 Depth=4
	v_lshlrev_b32_e32 v4, 16, v93
	v_lshlrev_b32_e32 v5, 16, v18
	v_max_f32_e32 v5, v5, v5
	v_max_f32_e32 v4, v4, v4
	v_min_f32_e32 v96, v4, v5
	v_max_f32_e32 v4, v4, v5
	v_cndmask_b32_e32 v5, v4, v96, vcc
	v_and_b32_e32 v4, 0x7f800000, v5
	v_cmp_ne_u32_e64 s[24:25], s73, v4
                                        ; implicit-def: $vgpr4
	s_and_saveexec_b64 s[58:59], s[24:25]
	s_xor_b64 s[24:25], exec, s[58:59]
; %bb.708:                              ;   in Loop: Header=BB24_706 Depth=4
	v_bfe_u32 v4, v5, 16, 1
	v_add3_u32 v4, v5, v4, s62
                                        ; implicit-def: $vgpr5
; %bb.709:                              ;   in Loop: Header=BB24_706 Depth=4
	s_andn2_saveexec_b64 s[58:59], s[24:25]
; %bb.710:                              ;   in Loop: Header=BB24_706 Depth=4
	v_or_b32_e32 v4, 0x10000, v5
	v_cmp_eq_u32_sdwa s[24:25], v5, v3 src0_sel:WORD_0 src1_sel:DWORD
	s_nop 1
	v_cndmask_b32_e64 v4, v4, v5, s[24:25]
; %bb.711:                              ;   in Loop: Header=BB24_706 Depth=4
	s_or_b64 exec, exec, s[58:59]
	v_lshlrev_b32_e32 v5, 16, v86
	v_lshlrev_b32_e32 v86, 16, v19
	v_max_f32_e32 v86, v86, v86
	v_max_f32_e32 v5, v5, v5
	v_min_f32_e32 v96, v5, v86
	v_max_f32_e32 v5, v5, v86
	v_cndmask_b32_e32 v86, v5, v96, vcc
	v_and_b32_e32 v5, 0x7f800000, v86
	v_cmp_ne_u32_e64 s[24:25], s73, v5
                                        ; implicit-def: $vgpr5
	s_and_saveexec_b64 s[58:59], s[24:25]
	s_xor_b64 s[24:25], exec, s[58:59]
; %bb.712:                              ;   in Loop: Header=BB24_706 Depth=4
	v_bfe_u32 v5, v86, 16, 1
	v_add3_u32 v5, v86, v5, s62
                                        ; implicit-def: $vgpr86
; %bb.713:                              ;   in Loop: Header=BB24_706 Depth=4
	s_andn2_saveexec_b64 s[58:59], s[24:25]
; %bb.714:                              ;   in Loop: Header=BB24_706 Depth=4
	v_or_b32_e32 v5, 0x10000, v86
	v_cmp_eq_u32_sdwa s[24:25], v86, v3 src0_sel:WORD_0 src1_sel:DWORD
	s_nop 1
	v_cndmask_b32_e64 v5, v5, v86, s[24:25]
; %bb.715:                              ;   in Loop: Header=BB24_706 Depth=4
	s_or_b64 exec, exec, s[58:59]
	v_lshlrev_b32_e32 v49, 16, v49
	v_lshlrev_b32_e32 v86, 16, v20
	v_max_f32_e32 v86, v86, v86
	v_max_f32_e32 v49, v49, v49
	v_min_f32_e32 v96, v49, v86
	v_max_f32_e32 v49, v49, v86
	v_cndmask_b32_e32 v86, v49, v96, vcc
	v_and_b32_e32 v49, 0x7f800000, v86
	v_cmp_ne_u32_e64 s[24:25], s73, v49
                                        ; implicit-def: $vgpr49
	s_and_saveexec_b64 s[58:59], s[24:25]
	s_xor_b64 s[24:25], exec, s[58:59]
; %bb.716:                              ;   in Loop: Header=BB24_706 Depth=4
	v_bfe_u32 v49, v86, 16, 1
	v_add3_u32 v49, v86, v49, s62
                                        ; implicit-def: $vgpr86
; %bb.717:                              ;   in Loop: Header=BB24_706 Depth=4
	s_andn2_saveexec_b64 s[58:59], s[24:25]
; %bb.718:                              ;   in Loop: Header=BB24_706 Depth=4
	v_or_b32_e32 v49, 0x10000, v86
	v_cmp_eq_u32_sdwa s[24:25], v86, v3 src0_sel:WORD_0 src1_sel:DWORD
	s_nop 1
	v_cndmask_b32_e64 v49, v49, v86, s[24:25]
; %bb.719:                              ;   in Loop: Header=BB24_706 Depth=4
	s_or_b64 exec, exec, s[58:59]
	v_lshlrev_b32_e32 v38, 16, v38
	v_lshlrev_b32_e32 v86, 16, v21
	v_max_f32_e32 v86, v86, v86
	v_max_f32_e32 v38, v38, v38
	v_min_f32_e32 v96, v38, v86
	v_max_f32_e32 v38, v38, v86
	v_cndmask_b32_e32 v86, v38, v96, vcc
	v_and_b32_e32 v38, 0x7f800000, v86
	v_cmp_ne_u32_e64 s[24:25], s73, v38
                                        ; implicit-def: $vgpr38
	s_and_saveexec_b64 s[58:59], s[24:25]
	s_xor_b64 s[24:25], exec, s[58:59]
; %bb.720:                              ;   in Loop: Header=BB24_706 Depth=4
	v_bfe_u32 v38, v86, 16, 1
	v_add3_u32 v38, v86, v38, s62
                                        ; implicit-def: $vgpr86
; %bb.721:                              ;   in Loop: Header=BB24_706 Depth=4
	s_andn2_saveexec_b64 s[58:59], s[24:25]
; %bb.722:                              ;   in Loop: Header=BB24_706 Depth=4
	v_or_b32_e32 v38, 0x10000, v86
	v_cmp_eq_u32_sdwa s[24:25], v86, v3 src0_sel:WORD_0 src1_sel:DWORD
	s_nop 1
	v_cndmask_b32_e64 v38, v38, v86, s[24:25]
; %bb.723:                              ;   in Loop: Header=BB24_706 Depth=4
	s_or_b64 exec, exec, s[58:59]
	v_lshlrev_b32_e32 v35, 16, v35
	v_lshlrev_b32_e32 v86, 16, v22
	v_max_f32_e32 v86, v86, v86
	v_max_f32_e32 v35, v35, v35
	v_min_f32_e32 v96, v35, v86
	v_max_f32_e32 v35, v35, v86
	v_cndmask_b32_e32 v86, v35, v96, vcc
	v_and_b32_e32 v35, 0x7f800000, v86
	v_cmp_ne_u32_e64 s[24:25], s73, v35
                                        ; implicit-def: $vgpr35
	s_and_saveexec_b64 s[58:59], s[24:25]
	s_xor_b64 s[24:25], exec, s[58:59]
; %bb.724:                              ;   in Loop: Header=BB24_706 Depth=4
	v_bfe_u32 v35, v86, 16, 1
	v_add3_u32 v35, v86, v35, s62
                                        ; implicit-def: $vgpr86
; %bb.725:                              ;   in Loop: Header=BB24_706 Depth=4
	s_andn2_saveexec_b64 s[58:59], s[24:25]
; %bb.726:                              ;   in Loop: Header=BB24_706 Depth=4
	v_or_b32_e32 v35, 0x10000, v86
	v_cmp_eq_u32_sdwa s[24:25], v86, v3 src0_sel:WORD_0 src1_sel:DWORD
	s_nop 1
	v_cndmask_b32_e64 v35, v35, v86, s[24:25]
; %bb.727:                              ;   in Loop: Header=BB24_706 Depth=4
	s_or_b64 exec, exec, s[58:59]
	v_lshlrev_b32_e32 v32, 16, v32
	v_lshlrev_b32_e32 v86, 16, v23
	v_max_f32_e32 v86, v86, v86
	v_max_f32_e32 v32, v32, v32
	v_min_f32_e32 v96, v32, v86
	v_max_f32_e32 v32, v32, v86
	v_cndmask_b32_e32 v86, v32, v96, vcc
	v_and_b32_e32 v32, 0x7f800000, v86
	v_cmp_ne_u32_e64 s[24:25], s73, v32
                                        ; implicit-def: $vgpr32
	s_and_saveexec_b64 s[58:59], s[24:25]
	s_xor_b64 s[24:25], exec, s[58:59]
; %bb.728:                              ;   in Loop: Header=BB24_706 Depth=4
	v_bfe_u32 v32, v86, 16, 1
	v_add3_u32 v32, v86, v32, s62
                                        ; implicit-def: $vgpr86
; %bb.729:                              ;   in Loop: Header=BB24_706 Depth=4
	s_andn2_saveexec_b64 s[58:59], s[24:25]
; %bb.730:                              ;   in Loop: Header=BB24_706 Depth=4
	v_or_b32_e32 v32, 0x10000, v86
	v_cmp_eq_u32_sdwa s[24:25], v86, v3 src0_sel:WORD_0 src1_sel:DWORD
	s_nop 1
	v_cndmask_b32_e64 v32, v32, v86, s[24:25]
; %bb.731:                              ;   in Loop: Header=BB24_706 Depth=4
	s_or_b64 exec, exec, s[58:59]
	v_lshlrev_b32_e32 v27, 16, v27
	v_lshlrev_b32_e32 v86, 16, v24
	v_max_f32_e32 v86, v86, v86
	v_max_f32_e32 v27, v27, v27
	v_min_f32_e32 v96, v27, v86
	v_max_f32_e32 v27, v27, v86
	v_cndmask_b32_e32 v86, v27, v96, vcc
	v_and_b32_e32 v27, 0x7f800000, v86
	v_cmp_ne_u32_e64 s[24:25], s73, v27
                                        ; implicit-def: $vgpr27
	s_and_saveexec_b64 s[58:59], s[24:25]
	s_xor_b64 s[24:25], exec, s[58:59]
; %bb.732:                              ;   in Loop: Header=BB24_706 Depth=4
	v_bfe_u32 v27, v86, 16, 1
	v_add3_u32 v27, v86, v27, s62
                                        ; implicit-def: $vgpr86
; %bb.733:                              ;   in Loop: Header=BB24_706 Depth=4
	s_andn2_saveexec_b64 s[58:59], s[24:25]
; %bb.734:                              ;   in Loop: Header=BB24_706 Depth=4
	v_or_b32_e32 v27, 0x10000, v86
	v_cmp_eq_u32_sdwa s[24:25], v86, v3 src0_sel:WORD_0 src1_sel:DWORD
	s_nop 1
	v_cndmask_b32_e64 v27, v27, v86, s[24:25]
; %bb.735:                              ;   in Loop: Header=BB24_706 Depth=4
	s_or_b64 exec, exec, s[58:59]
	v_lshlrev_b32_e32 v26, 16, v26
	v_lshlrev_b32_e32 v86, 16, v25
	v_max_f32_e32 v86, v86, v86
	v_max_f32_e32 v26, v26, v26
	v_min_f32_e32 v96, v26, v86
	v_max_f32_e32 v26, v26, v86
	v_cndmask_b32_e32 v86, v26, v96, vcc
	v_and_b32_e32 v26, 0x7f800000, v86
	v_cmp_ne_u32_e64 s[24:25], s73, v26
                                        ; implicit-def: $vgpr26
	s_and_saveexec_b64 s[58:59], s[24:25]
	s_xor_b64 s[24:25], exec, s[58:59]
; %bb.736:                              ;   in Loop: Header=BB24_706 Depth=4
	v_bfe_u32 v26, v86, 16, 1
	v_add3_u32 v26, v86, v26, s62
                                        ; implicit-def: $vgpr86
; %bb.737:                              ;   in Loop: Header=BB24_706 Depth=4
	s_andn2_saveexec_b64 s[58:59], s[24:25]
; %bb.738:                              ;   in Loop: Header=BB24_706 Depth=4
	v_or_b32_e32 v26, 0x10000, v86
	v_cmp_eq_u32_sdwa s[24:25], v86, v3 src0_sel:WORD_0 src1_sel:DWORD
	s_nop 1
	v_cndmask_b32_e64 v26, v26, v86, s[24:25]
; %bb.739:                              ;   in Loop: Header=BB24_706 Depth=4
	s_or_b64 exec, exec, s[58:59]
	v_lshrrev_b32_e32 v93, 16, v4
	v_lshrrev_b32_e32 v27, 16, v27
	;; [unrolled: 1-line block ×8, first 2 shown]
	flat_store_short v[8:9], v93 nt
	flat_store_short v[8:9], v86 offset:128 nt
	flat_store_short v[8:9], v49 offset:256 nt
	flat_store_short v[8:9], v38 offset:384 nt
	flat_store_short v[8:9], v35 offset:512 nt
	flat_store_short v[8:9], v32 offset:640 nt
	flat_store_short v[8:9], v27 offset:768 nt
	flat_store_short v[8:9], v26 offset:896 nt
	v_lshl_add_u64 v[8:9], v[8:9], 0, v[46:47]
.LBB24_740:                             ;   in Loop: Header=BB24_706 Depth=4
	s_or_b64 exec, exec, s[60:61]
	v_sub_u32_e32 v4, v17, v84
	v_lshl_add_u64 v[10:11], v[10:11], 0, v[46:47]
	v_lshl_add_u64 v[12:13], v[12:13], 0, v[46:47]
	v_cmp_lt_i32_e64 s[58:59], 0, v4
	s_and_saveexec_b64 s[24:25], s[58:59]
	s_cbranch_execz .LBB24_742
; %bb.741:                              ;   in Loop: Header=BB24_706 Depth=4
	flat_load_ushort v93, v[10:11] nt
	flat_load_ushort v86, v[10:11] offset:128 nt
	flat_load_ushort v49, v[10:11] offset:256 nt
	;; [unrolled: 1-line block ×7, first 2 shown]
	flat_load_ushort v18, v[12:13] nt
	flat_load_ushort v19, v[12:13] offset:128 nt
	flat_load_ushort v20, v[12:13] offset:256 nt
	;; [unrolled: 1-line block ×7, first 2 shown]
	v_lshl_add_u64 v[10:11], v[10:11], 0, s[88:89]
	v_lshl_add_u64 v[12:13], v[12:13], 0, s[88:89]
.LBB24_742:                             ;   in Loop: Header=BB24_706 Depth=4
	s_or_b64 exec, exec, s[24:25]
	s_waitcnt vmcnt(0) lgkmcnt(0)
	v_lshlrev_b32_e32 v5, 16, v120
	v_lshlrev_b32_e32 v17, 16, v121
	v_max_f32_e32 v17, v17, v17
	v_max_f32_e32 v5, v5, v5
	v_min_f32_e32 v96, v5, v17
	v_max_f32_e32 v5, v5, v17
	v_cndmask_b32_e32 v17, v5, v96, vcc
	v_and_b32_e32 v5, 0x7f800000, v17
	v_cmp_ne_u32_e64 s[24:25], s73, v5
                                        ; implicit-def: $vgpr5
	s_and_saveexec_b64 s[60:61], s[24:25]
	s_xor_b64 s[24:25], exec, s[60:61]
; %bb.743:                              ;   in Loop: Header=BB24_706 Depth=4
	v_bfe_u32 v5, v17, 16, 1
	v_add3_u32 v5, v17, v5, s62
                                        ; implicit-def: $vgpr17
; %bb.744:                              ;   in Loop: Header=BB24_706 Depth=4
	s_andn2_saveexec_b64 s[60:61], s[24:25]
; %bb.745:                              ;   in Loop: Header=BB24_706 Depth=4
	v_or_b32_e32 v5, 0x10000, v17
	v_cmp_eq_u32_sdwa s[24:25], v17, v3 src0_sel:WORD_0 src1_sel:DWORD
	s_nop 1
	v_cndmask_b32_e64 v5, v5, v17, s[24:25]
; %bb.746:                              ;   in Loop: Header=BB24_706 Depth=4
	s_or_b64 exec, exec, s[60:61]
	v_lshlrev_b32_e32 v17, 16, v110
	v_lshlrev_b32_e32 v96, 16, v111
	v_max_f32_e32 v96, v96, v96
	v_max_f32_e32 v17, v17, v17
	v_min_f32_e32 v97, v17, v96
	v_max_f32_e32 v17, v17, v96
	v_cndmask_b32_e32 v98, v17, v97, vcc
	v_and_b32_e32 v17, 0x7f800000, v98
	v_cmp_ne_u32_e64 s[24:25], s73, v17
                                        ; implicit-def: $vgpr17
	s_and_saveexec_b64 s[60:61], s[24:25]
	s_xor_b64 s[24:25], exec, s[60:61]
; %bb.747:                              ;   in Loop: Header=BB24_706 Depth=4
	v_bfe_u32 v17, v98, 16, 1
	v_add3_u32 v17, v98, v17, s62
                                        ; implicit-def: $vgpr98
; %bb.748:                              ;   in Loop: Header=BB24_706 Depth=4
	s_andn2_saveexec_b64 s[60:61], s[24:25]
; %bb.749:                              ;   in Loop: Header=BB24_706 Depth=4
	v_or_b32_e32 v17, 0x10000, v98
	v_cmp_eq_u32_sdwa s[24:25], v98, v3 src0_sel:WORD_0 src1_sel:DWORD
	s_nop 1
	v_cndmask_b32_e64 v17, v17, v98, s[24:25]
; %bb.750:                              ;   in Loop: Header=BB24_706 Depth=4
	s_or_b64 exec, exec, s[60:61]
	v_lshlrev_b32_e32 v96, 16, v108
	v_lshlrev_b32_e32 v97, 16, v109
	v_max_f32_e32 v97, v97, v97
	v_max_f32_e32 v96, v96, v96
	v_min_f32_e32 v98, v96, v97
	v_max_f32_e32 v96, v96, v97
	v_cndmask_b32_e32 v98, v96, v98, vcc
	v_and_b32_e32 v96, 0x7f800000, v98
	v_cmp_ne_u32_e64 s[24:25], s73, v96
                                        ; implicit-def: $vgpr62
	s_and_saveexec_b64 s[60:61], s[24:25]
	s_xor_b64 s[24:25], exec, s[60:61]
; %bb.751:                              ;   in Loop: Header=BB24_706 Depth=4
	v_bfe_u32 v96, v98, 16, 1
	v_add3_u32 v62, v98, v96, s62
                                        ; implicit-def: $vgpr98
; %bb.752:                              ;   in Loop: Header=BB24_706 Depth=4
	s_andn2_saveexec_b64 s[60:61], s[24:25]
; %bb.753:                              ;   in Loop: Header=BB24_706 Depth=4
	v_or_b32_e32 v96, 0x10000, v98
	v_cmp_eq_u32_sdwa s[24:25], v98, v3 src0_sel:WORD_0 src1_sel:DWORD
	s_nop 1
	v_cndmask_b32_e64 v62, v96, v98, s[24:25]
; %bb.754:                              ;   in Loop: Header=BB24_706 Depth=4
	s_or_b64 exec, exec, s[60:61]
	v_lshlrev_b32_e32 v87, 16, v87
	v_lshlrev_b32_e32 v96, 16, v91
	v_max_f32_e32 v96, v96, v96
	v_max_f32_e32 v87, v87, v87
	v_min_f32_e32 v97, v87, v96
	v_max_f32_e32 v87, v87, v96
	v_cndmask_b32_e32 v98, v87, v97, vcc
	v_and_b32_e32 v87, 0x7f800000, v98
	v_cmp_ne_u32_e64 s[24:25], s73, v87
                                        ; implicit-def: $vgpr87
	s_and_saveexec_b64 s[60:61], s[24:25]
	s_xor_b64 s[24:25], exec, s[60:61]
; %bb.755:                              ;   in Loop: Header=BB24_706 Depth=4
	v_bfe_u32 v87, v98, 16, 1
	v_add3_u32 v87, v98, v87, s62
                                        ; implicit-def: $vgpr98
; %bb.756:                              ;   in Loop: Header=BB24_706 Depth=4
	s_andn2_saveexec_b64 s[60:61], s[24:25]
; %bb.757:                              ;   in Loop: Header=BB24_706 Depth=4
	v_or_b32_e32 v87, 0x10000, v98
	v_cmp_eq_u32_sdwa s[24:25], v98, v3 src0_sel:WORD_0 src1_sel:DWORD
	s_nop 1
	v_cndmask_b32_e64 v87, v87, v98, s[24:25]
; %bb.758:                              ;   in Loop: Header=BB24_706 Depth=4
	s_or_b64 exec, exec, s[60:61]
	v_lshlrev_b32_e32 v50, 16, v50
	v_lshlrev_b32_e32 v51, 16, v51
	v_max_f32_e32 v51, v51, v51
	v_max_f32_e32 v50, v50, v50
	v_min_f32_e32 v96, v50, v51
	v_max_f32_e32 v50, v50, v51
	v_cndmask_b32_e32 v51, v50, v96, vcc
	v_and_b32_e32 v50, 0x7f800000, v51
	v_cmp_ne_u32_e64 s[24:25], s73, v50
                                        ; implicit-def: $vgpr50
	s_and_saveexec_b64 s[60:61], s[24:25]
	s_xor_b64 s[24:25], exec, s[60:61]
; %bb.759:                              ;   in Loop: Header=BB24_706 Depth=4
	v_bfe_u32 v50, v51, 16, 1
	v_add3_u32 v50, v51, v50, s62
                                        ; implicit-def: $vgpr51
; %bb.760:                              ;   in Loop: Header=BB24_706 Depth=4
	s_andn2_saveexec_b64 s[60:61], s[24:25]
; %bb.761:                              ;   in Loop: Header=BB24_706 Depth=4
	v_or_b32_e32 v50, 0x10000, v51
	v_cmp_eq_u32_sdwa s[24:25], v51, v3 src0_sel:WORD_0 src1_sel:DWORD
	s_nop 1
	v_cndmask_b32_e64 v50, v50, v51, s[24:25]
; %bb.762:                              ;   in Loop: Header=BB24_706 Depth=4
	s_or_b64 exec, exec, s[60:61]
	v_lshlrev_b32_e32 v39, 16, v39
	v_lshlrev_b32_e32 v48, 16, v48
	v_max_f32_e32 v48, v48, v48
	v_max_f32_e32 v39, v39, v39
	v_min_f32_e32 v51, v39, v48
	v_max_f32_e32 v39, v39, v48
	v_cndmask_b32_e32 v48, v39, v51, vcc
	v_and_b32_e32 v39, 0x7f800000, v48
	v_cmp_ne_u32_e64 s[24:25], s73, v39
                                        ; implicit-def: $vgpr39
	s_and_saveexec_b64 s[60:61], s[24:25]
	s_xor_b64 s[24:25], exec, s[60:61]
; %bb.763:                              ;   in Loop: Header=BB24_706 Depth=4
	v_bfe_u32 v39, v48, 16, 1
	v_add3_u32 v39, v48, v39, s62
                                        ; implicit-def: $vgpr48
; %bb.764:                              ;   in Loop: Header=BB24_706 Depth=4
	s_andn2_saveexec_b64 s[60:61], s[24:25]
; %bb.765:                              ;   in Loop: Header=BB24_706 Depth=4
	v_or_b32_e32 v39, 0x10000, v48
	v_cmp_eq_u32_sdwa s[24:25], v48, v3 src0_sel:WORD_0 src1_sel:DWORD
	s_nop 1
	v_cndmask_b32_e64 v39, v39, v48, s[24:25]
; %bb.766:                              ;   in Loop: Header=BB24_706 Depth=4
	s_or_b64 exec, exec, s[60:61]
	v_lshlrev_b32_e32 v36, 16, v36
	v_lshlrev_b32_e32 v37, 16, v37
	v_max_f32_e32 v37, v37, v37
	v_max_f32_e32 v36, v36, v36
	v_min_f32_e32 v48, v36, v37
	v_max_f32_e32 v36, v36, v37
	v_cndmask_b32_e32 v37, v36, v48, vcc
	v_and_b32_e32 v36, 0x7f800000, v37
	v_cmp_ne_u32_e64 s[24:25], s73, v36
                                        ; implicit-def: $vgpr36
	s_and_saveexec_b64 s[60:61], s[24:25]
	s_xor_b64 s[24:25], exec, s[60:61]
; %bb.767:                              ;   in Loop: Header=BB24_706 Depth=4
	v_bfe_u32 v36, v37, 16, 1
	v_add3_u32 v36, v37, v36, s62
                                        ; implicit-def: $vgpr37
; %bb.768:                              ;   in Loop: Header=BB24_706 Depth=4
	s_andn2_saveexec_b64 s[60:61], s[24:25]
; %bb.769:                              ;   in Loop: Header=BB24_706 Depth=4
	v_or_b32_e32 v36, 0x10000, v37
	v_cmp_eq_u32_sdwa s[24:25], v37, v3 src0_sel:WORD_0 src1_sel:DWORD
	s_nop 1
	v_cndmask_b32_e64 v36, v36, v37, s[24:25]
; %bb.770:                              ;   in Loop: Header=BB24_706 Depth=4
	s_or_b64 exec, exec, s[60:61]
	v_lshlrev_b32_e32 v33, 16, v33
	v_lshlrev_b32_e32 v34, 16, v34
	v_max_f32_e32 v34, v34, v34
	v_max_f32_e32 v33, v33, v33
	v_min_f32_e32 v37, v33, v34
	v_max_f32_e32 v33, v33, v34
	v_cndmask_b32_e32 v34, v33, v37, vcc
	v_and_b32_e32 v33, 0x7f800000, v34
	v_cmp_ne_u32_e64 s[24:25], s73, v33
                                        ; implicit-def: $vgpr33
	s_and_saveexec_b64 s[60:61], s[24:25]
	s_xor_b64 s[24:25], exec, s[60:61]
; %bb.771:                              ;   in Loop: Header=BB24_706 Depth=4
	v_bfe_u32 v33, v34, 16, 1
	v_add3_u32 v33, v34, v33, s62
                                        ; implicit-def: $vgpr34
; %bb.772:                              ;   in Loop: Header=BB24_706 Depth=4
	s_andn2_saveexec_b64 s[60:61], s[24:25]
	s_cbranch_execz .LBB24_705
; %bb.773:                              ;   in Loop: Header=BB24_706 Depth=4
	v_or_b32_e32 v33, 0x10000, v34
	v_cmp_eq_u32_sdwa s[24:25], v34, v3 src0_sel:WORD_0 src1_sel:DWORD
	s_nop 1
	v_cndmask_b32_e64 v33, v33, v34, s[24:25]
	s_branch .LBB24_705
.LBB24_774:                             ;   in Loop: Header=BB24_303 Depth=3
	s_or_b64 exec, exec, s[46:47]
	v_lshlrev_b32_e32 v50, 16, v93
	v_lshlrev_b32_e32 v51, 16, v18
	v_lshlrev_b32_e32 v39, 16, v86
	v_lshlrev_b32_e32 v48, 16, v19
	v_lshlrev_b32_e32 v36, 16, v49
	v_lshlrev_b32_e32 v37, 16, v20
	v_lshlrev_b32_e32 v33, 16, v38
	v_lshlrev_b32_e32 v34, 16, v21
	v_lshlrev_b32_e32 v20, 16, v35
	v_lshlrev_b32_e32 v21, 16, v22
	v_lshlrev_b32_e32 v18, 16, v32
	v_lshlrev_b32_e32 v19, 16, v23
	v_lshlrev_b32_e32 v10, 16, v27
	v_lshlrev_b32_e32 v11, 16, v24
	v_lshlrev_b32_e32 v4, 16, v26
	v_lshlrev_b32_e32 v5, 16, v25
	s_and_b64 s[24:25], s[28:29], exec
.LBB24_775:                             ;   in Loop: Header=BB24_303 Depth=3
	s_or_b64 exec, exec, s[26:27]
	s_and_saveexec_b64 s[26:27], s[24:25]
	s_cbranch_execz .LBB24_809
; %bb.776:                              ;   in Loop: Header=BB24_303 Depth=3
	s_and_b32 s24, s31, 0xff
	s_cmp_eq_u32 s24, 0
	v_max_f32_e32 v12, v51, v51
	v_max_f32_e32 v13, v50, v50
	v_min_f32_e32 v22, v13, v12
	v_max_f32_e32 v12, v13, v12
	s_cselect_b64 vcc, -1, 0
	v_cndmask_b32_e32 v13, v12, v22, vcc
	v_and_b32_e32 v12, 0x7f800000, v13
	v_cmp_ne_u32_e64 s[24:25], s73, v12
                                        ; implicit-def: $vgpr12
	s_and_saveexec_b64 s[28:29], s[24:25]
	s_xor_b64 s[24:25], exec, s[28:29]
; %bb.777:                              ;   in Loop: Header=BB24_303 Depth=3
	v_bfe_u32 v12, v13, 16, 1
	v_add3_u32 v12, v13, v12, s62
                                        ; implicit-def: $vgpr13
; %bb.778:                              ;   in Loop: Header=BB24_303 Depth=3
	s_andn2_saveexec_b64 s[28:29], s[24:25]
; %bb.779:                              ;   in Loop: Header=BB24_303 Depth=3
	v_or_b32_e32 v12, 0x10000, v13
	v_cmp_eq_u32_sdwa s[24:25], v13, v3 src0_sel:WORD_0 src1_sel:DWORD
	s_nop 1
	v_cndmask_b32_e64 v12, v12, v13, s[24:25]
; %bb.780:                              ;   in Loop: Header=BB24_303 Depth=3
	s_or_b64 exec, exec, s[28:29]
	v_max_f32_e32 v13, v48, v48
	v_max_f32_e32 v22, v39, v39
	v_min_f32_e32 v23, v22, v13
	v_max_f32_e32 v13, v22, v13
	v_cndmask_b32_e32 v22, v13, v23, vcc
	v_and_b32_e32 v13, 0x7f800000, v22
	v_cmp_ne_u32_e64 s[24:25], s73, v13
                                        ; implicit-def: $vgpr13
	s_and_saveexec_b64 s[28:29], s[24:25]
	s_xor_b64 s[24:25], exec, s[28:29]
; %bb.781:                              ;   in Loop: Header=BB24_303 Depth=3
	v_bfe_u32 v13, v22, 16, 1
	v_add3_u32 v13, v22, v13, s62
                                        ; implicit-def: $vgpr22
; %bb.782:                              ;   in Loop: Header=BB24_303 Depth=3
	s_andn2_saveexec_b64 s[28:29], s[24:25]
; %bb.783:                              ;   in Loop: Header=BB24_303 Depth=3
	v_or_b32_e32 v13, 0x10000, v22
	v_cmp_eq_u32_sdwa s[24:25], v22, v3 src0_sel:WORD_0 src1_sel:DWORD
	s_nop 1
	v_cndmask_b32_e64 v13, v13, v22, s[24:25]
; %bb.784:                              ;   in Loop: Header=BB24_303 Depth=3
	s_or_b64 exec, exec, s[28:29]
	v_max_f32_e32 v22, v37, v37
	v_max_f32_e32 v23, v36, v36
	v_min_f32_e32 v24, v23, v22
	v_max_f32_e32 v22, v23, v22
	v_cndmask_b32_e32 v23, v22, v24, vcc
	v_and_b32_e32 v22, 0x7f800000, v23
	v_cmp_ne_u32_e64 s[24:25], s73, v22
                                        ; implicit-def: $vgpr22
	s_and_saveexec_b64 s[28:29], s[24:25]
	s_xor_b64 s[24:25], exec, s[28:29]
; %bb.785:                              ;   in Loop: Header=BB24_303 Depth=3
	v_bfe_u32 v22, v23, 16, 1
	v_add3_u32 v22, v23, v22, s62
                                        ; implicit-def: $vgpr23
; %bb.786:                              ;   in Loop: Header=BB24_303 Depth=3
	s_andn2_saveexec_b64 s[28:29], s[24:25]
; %bb.787:                              ;   in Loop: Header=BB24_303 Depth=3
	v_or_b32_e32 v22, 0x10000, v23
	v_cmp_eq_u32_sdwa s[24:25], v23, v3 src0_sel:WORD_0 src1_sel:DWORD
	s_nop 1
	v_cndmask_b32_e64 v22, v22, v23, s[24:25]
; %bb.788:                              ;   in Loop: Header=BB24_303 Depth=3
	s_or_b64 exec, exec, s[28:29]
	v_max_f32_e32 v23, v34, v34
	v_max_f32_e32 v24, v33, v33
	v_min_f32_e32 v25, v24, v23
	v_max_f32_e32 v23, v24, v23
	v_cndmask_b32_e32 v24, v23, v25, vcc
	v_and_b32_e32 v23, 0x7f800000, v24
	v_cmp_ne_u32_e64 s[24:25], s73, v23
                                        ; implicit-def: $vgpr23
	s_and_saveexec_b64 s[28:29], s[24:25]
	s_xor_b64 s[24:25], exec, s[28:29]
; %bb.789:                              ;   in Loop: Header=BB24_303 Depth=3
	v_bfe_u32 v23, v24, 16, 1
	v_add3_u32 v23, v24, v23, s62
                                        ; implicit-def: $vgpr24
; %bb.790:                              ;   in Loop: Header=BB24_303 Depth=3
	s_andn2_saveexec_b64 s[28:29], s[24:25]
; %bb.791:                              ;   in Loop: Header=BB24_303 Depth=3
	v_or_b32_e32 v23, 0x10000, v24
	v_cmp_eq_u32_sdwa s[24:25], v24, v3 src0_sel:WORD_0 src1_sel:DWORD
	s_nop 1
	v_cndmask_b32_e64 v23, v23, v24, s[24:25]
; %bb.792:                              ;   in Loop: Header=BB24_303 Depth=3
	s_or_b64 exec, exec, s[28:29]
	v_max_f32_e32 v21, v21, v21
	v_max_f32_e32 v20, v20, v20
	v_min_f32_e32 v24, v20, v21
	v_max_f32_e32 v20, v20, v21
	v_cndmask_b32_e32 v21, v20, v24, vcc
	v_and_b32_e32 v20, 0x7f800000, v21
	v_cmp_ne_u32_e64 s[24:25], s73, v20
                                        ; implicit-def: $vgpr20
	s_and_saveexec_b64 s[28:29], s[24:25]
	s_xor_b64 s[24:25], exec, s[28:29]
; %bb.793:                              ;   in Loop: Header=BB24_303 Depth=3
	v_bfe_u32 v20, v21, 16, 1
	v_add3_u32 v20, v21, v20, s62
                                        ; implicit-def: $vgpr21
; %bb.794:                              ;   in Loop: Header=BB24_303 Depth=3
	s_andn2_saveexec_b64 s[28:29], s[24:25]
; %bb.795:                              ;   in Loop: Header=BB24_303 Depth=3
	v_or_b32_e32 v20, 0x10000, v21
	v_cmp_eq_u32_sdwa s[24:25], v21, v3 src0_sel:WORD_0 src1_sel:DWORD
	s_nop 1
	v_cndmask_b32_e64 v20, v20, v21, s[24:25]
; %bb.796:                              ;   in Loop: Header=BB24_303 Depth=3
	s_or_b64 exec, exec, s[28:29]
	v_max_f32_e32 v19, v19, v19
	v_max_f32_e32 v18, v18, v18
	v_min_f32_e32 v21, v18, v19
	v_max_f32_e32 v18, v18, v19
	v_cndmask_b32_e32 v19, v18, v21, vcc
	v_and_b32_e32 v18, 0x7f800000, v19
	v_cmp_ne_u32_e64 s[24:25], s73, v18
                                        ; implicit-def: $vgpr18
	s_and_saveexec_b64 s[28:29], s[24:25]
	s_xor_b64 s[24:25], exec, s[28:29]
; %bb.797:                              ;   in Loop: Header=BB24_303 Depth=3
	v_bfe_u32 v18, v19, 16, 1
	v_add3_u32 v18, v19, v18, s62
                                        ; implicit-def: $vgpr19
; %bb.798:                              ;   in Loop: Header=BB24_303 Depth=3
	s_andn2_saveexec_b64 s[28:29], s[24:25]
; %bb.799:                              ;   in Loop: Header=BB24_303 Depth=3
	v_or_b32_e32 v18, 0x10000, v19
	v_cmp_eq_u32_sdwa s[24:25], v19, v3 src0_sel:WORD_0 src1_sel:DWORD
	s_nop 1
	v_cndmask_b32_e64 v18, v18, v19, s[24:25]
; %bb.800:                              ;   in Loop: Header=BB24_303 Depth=3
	s_or_b64 exec, exec, s[28:29]
	v_max_f32_e32 v11, v11, v11
	v_max_f32_e32 v10, v10, v10
	v_min_f32_e32 v19, v10, v11
	v_max_f32_e32 v10, v10, v11
	v_cndmask_b32_e32 v11, v10, v19, vcc
	v_and_b32_e32 v10, 0x7f800000, v11
	v_cmp_ne_u32_e64 s[24:25], s73, v10
                                        ; implicit-def: $vgpr10
	s_and_saveexec_b64 s[28:29], s[24:25]
	s_xor_b64 s[24:25], exec, s[28:29]
; %bb.801:                              ;   in Loop: Header=BB24_303 Depth=3
	v_bfe_u32 v10, v11, 16, 1
	v_add3_u32 v10, v11, v10, s62
                                        ; implicit-def: $vgpr11
; %bb.802:                              ;   in Loop: Header=BB24_303 Depth=3
	s_andn2_saveexec_b64 s[28:29], s[24:25]
; %bb.803:                              ;   in Loop: Header=BB24_303 Depth=3
	v_or_b32_e32 v10, 0x10000, v11
	v_cmp_eq_u32_sdwa s[24:25], v11, v3 src0_sel:WORD_0 src1_sel:DWORD
	s_nop 1
	v_cndmask_b32_e64 v10, v10, v11, s[24:25]
; %bb.804:                              ;   in Loop: Header=BB24_303 Depth=3
	s_or_b64 exec, exec, s[28:29]
	v_max_f32_e32 v5, v5, v5
	v_max_f32_e32 v4, v4, v4
	v_min_f32_e32 v11, v4, v5
	v_max_f32_e32 v4, v4, v5
	v_cndmask_b32_e32 v5, v4, v11, vcc
	v_and_b32_e32 v4, 0x7f800000, v5
	v_cmp_ne_u32_e32 vcc, s73, v4
                                        ; implicit-def: $vgpr4
	s_and_saveexec_b64 s[24:25], vcc
	s_xor_b64 s[24:25], exec, s[24:25]
; %bb.805:                              ;   in Loop: Header=BB24_303 Depth=3
	v_bfe_u32 v4, v5, 16, 1
	v_add3_u32 v4, v5, v4, s62
                                        ; implicit-def: $vgpr5
; %bb.806:                              ;   in Loop: Header=BB24_303 Depth=3
	s_andn2_saveexec_b64 s[24:25], s[24:25]
; %bb.807:                              ;   in Loop: Header=BB24_303 Depth=3
	v_or_b32_e32 v4, 0x10000, v5
	v_cmp_eq_u32_sdwa vcc, v5, v3 src0_sel:WORD_0 src1_sel:DWORD
	s_nop 1
	v_cndmask_b32_e32 v4, v4, v5, vcc
; %bb.808:                              ;   in Loop: Header=BB24_303 Depth=3
	s_or_b64 exec, exec, s[24:25]
	flat_store_short_d16_hi v[8:9], v12 nt
	flat_store_short_d16_hi v[8:9], v13 offset:128 nt
	flat_store_short_d16_hi v[8:9], v22 offset:256 nt
	;; [unrolled: 1-line block ×7, first 2 shown]
.LBB24_809:                             ;   in Loop: Header=BB24_303 Depth=3
	s_or_b64 exec, exec, s[26:27]
	v_lshlrev_b32_e32 v4, 10, v16
	v_cmp_ne_u32_e32 vcc, v29, v4
	s_and_b64 exec, exec, vcc
	s_cbranch_execz .LBB24_834
; %bb.810:                              ;   in Loop: Header=BB24_303 Depth=3
	v_lshlrev_b32_e32 v5, 6, v17
	v_sub_u32_e32 v5, v15, v5
	v_ashrrev_i32_e32 v8, 31, v5
	v_lshrrev_b32_e32 v8, 26, v8
	v_add_u32_e32 v8, v5, v8
	v_and_b32_e32 v9, 0x7fffffc0, v8
	v_sub_u32_e32 v5, v5, v9
	v_lshlrev_b32_e32 v8, 1, v8
	v_and_b32_e32 v8, 0xffffff80, v8
	v_lshlrev_b32_e32 v5, 1, v5
	v_add3_u32 v5, v8, v5, v4
	v_sub_u32_e32 v4, v29, v5
	v_cmp_lt_i32_e32 vcc, 1, v4
	s_and_b64 exec, exec, vcc
	s_cbranch_execz .LBB24_834
; %bb.811:                              ;   in Loop: Header=BB24_303 Depth=3
	s_trap 2
	ds_read_b64 v[10:11], v0
	v_add_u32_e32 v14, v5, v14
	s_and_b32 s24, s31, 0xff
	v_ashrrev_i32_e32 v15, 31, v14
	s_cmp_eq_u32 s24, 0
	v_lshl_add_u64 v[8:9], v[106:107], 0, v[14:15]
	v_lshl_add_u64 v[12:13], v[14:15], 0, v[104:105]
	s_waitcnt lgkmcnt(0)
	v_lshl_add_u64 v[10:11], v[10:11], 0, v[14:15]
	s_mov_b64 s[60:61], 0
	s_mov_b64 s[46:47], 0
	s_cselect_b64 s[24:25], -1, 0
                                        ; implicit-def: $sgpr58_sgpr59
	s_branch .LBB24_813
.LBB24_812:                             ;   in Loop: Header=BB24_813 Depth=4
	s_or_b64 exec, exec, s[26:27]
	v_lshrrev_b32_e32 v5, 16, v14
	scratch_store_short off, v5, s33 offset:192
	flat_store_short v[8:9], v5 nt
	v_mov_b32_e32 v5, 0x80
	v_cndmask_b32_e64 v18, v5, v56, s[60:61]
	v_cndmask_b32_e64 v5, 0, v125, s[60:61]
	v_sub_u32_e32 v4, v4, v5
	v_cmp_gt_i32_e32 vcc, 2, v4
	s_or_b64 s[46:47], vcc, s[46:47]
	v_lshl_add_u64 v[14:15], v[12:13], 0, v[118:119]
	v_lshl_add_u64 v[16:17], v[10:11], 0, v[118:119]
	v_cndmask_b32_e64 v19, 0, v57, s[60:61]
	s_andn2_b64 s[26:27], s[58:59], exec
	s_and_b64 s[28:29], s[60:61], exec
	v_lshl_add_u64 v[8:9], v[8:9], 0, v[18:19]
	v_cndmask_b32_e64 v11, v11, v17, s[60:61]
	v_cndmask_b32_e64 v10, v10, v16, s[60:61]
	;; [unrolled: 1-line block ×4, first 2 shown]
	s_or_b64 s[58:59], s[26:27], s[28:29]
	s_andn2_b64 exec, exec, s[46:47]
	s_cbranch_execz .LBB24_828
.LBB24_813:                             ;   Parent Loop BB24_47 Depth=1
                                        ;     Parent Loop BB24_300 Depth=2
                                        ;       Parent Loop BB24_303 Depth=3
                                        ; =>      This Loop Header: Depth=4
                                        ;           Child Loop BB24_814 Depth 5
                                        ;           Child Loop BB24_823 Depth 5
	s_add_i32 s26, s33, 0xc0
	s_mov_b32 s31, s26
	s_mov_b64 s[50:51], -1
	s_mov_b64 s[52:53], 0
.LBB24_814:                             ;   Parent Loop BB24_47 Depth=1
                                        ;     Parent Loop BB24_300 Depth=2
                                        ;       Parent Loop BB24_303 Depth=3
                                        ;         Parent Loop BB24_813 Depth=4
                                        ; =>        This Inner Loop Header: Depth=5
	s_cmp_eq_u32 s52, 1
	s_cselect_b64 vcc, -1, 0
	v_cndmask_b32_e32 v15, v13, v11, vcc
	v_cndmask_b32_e32 v14, v12, v10, vcc
	flat_load_ushort v5, v[14:15] nt
	s_cmp_eq_u32 s52, 0
	v_lshl_add_u64 v[14:15], v[14:15], 0, s[90:91]
	s_cselect_b64 s[26:27], -1, 0
	s_and_b64 s[28:29], exec, s[50:51]
	v_cndmask_b32_e64 v13, v13, v15, s[26:27]
	v_cndmask_b32_e64 v12, v12, v14, s[26:27]
	s_add_i32 s26, s33, 0xe0
	s_mov_b64 s[52:53], 1
	s_mov_b64 s[50:51], 0
	v_cndmask_b32_e32 v11, v11, v15, vcc
	v_cndmask_b32_e32 v10, v10, v14, vcc
	s_mov_b64 vcc, s[28:29]
	s_waitcnt vmcnt(0) lgkmcnt(0)
	scratch_store_short off, v5, s31
	s_mov_b32 s31, s26
	s_cbranch_vccnz .LBB24_814
; %bb.815:                              ;   in Loop: Header=BB24_813 Depth=4
	s_and_saveexec_b64 s[26:27], s[60:61]
	s_cbranch_execz .LBB24_821
; %bb.816:                              ;   in Loop: Header=BB24_813 Depth=4
	scratch_load_ushort v5, off, s33 offset:184
	scratch_load_ushort v14, off, s33 offset:186
	s_waitcnt vmcnt(1)
	v_lshlrev_b32_e32 v5, 16, v5
	s_waitcnt vmcnt(0)
	v_lshlrev_b32_e32 v14, 16, v14
	v_max_f32_e32 v14, v14, v14
	v_max_f32_e32 v5, v5, v5
	v_min_f32_e32 v15, v5, v14
	v_max_f32_e32 v5, v5, v14
	v_cndmask_b32_e64 v5, v5, v15, s[24:25]
	v_and_b32_e32 v14, 0x7f800000, v5
	v_cmp_ne_u32_e32 vcc, s73, v14
                                        ; implicit-def: $vgpr14
	s_and_saveexec_b64 s[28:29], vcc
	s_xor_b64 s[28:29], exec, s[28:29]
; %bb.817:                              ;   in Loop: Header=BB24_813 Depth=4
	v_bfe_u32 v14, v5, 16, 1
	v_add3_u32 v14, v5, v14, s62
                                        ; implicit-def: $vgpr5
; %bb.818:                              ;   in Loop: Header=BB24_813 Depth=4
	s_andn2_saveexec_b64 s[28:29], s[28:29]
; %bb.819:                              ;   in Loop: Header=BB24_813 Depth=4
	v_or_b32_e32 v14, 0x10000, v5
	v_cmp_eq_u32_sdwa vcc, v5, v3 src0_sel:WORD_0 src1_sel:DWORD
	s_nop 1
	v_cndmask_b32_e32 v14, v14, v5, vcc
; %bb.820:                              ;   in Loop: Header=BB24_813 Depth=4
	s_or_b64 exec, exec, s[28:29]
	v_lshrrev_b32_e32 v5, 16, v14
	scratch_store_short off, v5, s33 offset:184
	flat_store_short v[8:9], v5 nt
	v_lshl_add_u64 v[8:9], v[8:9], 0, v[56:57]
.LBB24_821:                             ;   in Loop: Header=BB24_813 Depth=4
	s_or_b64 exec, exec, s[26:27]
	v_sub_u32_e32 v4, v4, v125
	v_lshl_add_u64 v[12:13], v[12:13], 0, v[118:119]
	v_lshl_add_u64 v[10:11], v[10:11], 0, v[118:119]
	v_cmp_lt_i32_e64 s[60:61], 1, v4
	s_and_saveexec_b64 s[50:51], s[60:61]
	s_cbranch_execz .LBB24_824
; %bb.822:                              ;   in Loop: Header=BB24_813 Depth=4
	s_add_i32 s26, s33, 0xb8
	s_mov_b32 s31, s26
	s_mov_b64 s[54:55], 0
	s_mov_b64 s[52:53], -1
.LBB24_823:                             ;   Parent Loop BB24_47 Depth=1
                                        ;     Parent Loop BB24_300 Depth=2
                                        ;       Parent Loop BB24_303 Depth=3
                                        ;         Parent Loop BB24_813 Depth=4
                                        ; =>        This Inner Loop Header: Depth=5
	s_cmp_eq_u32 s54, 1
	s_cselect_b64 vcc, -1, 0
	v_cndmask_b32_e32 v15, v13, v11, vcc
	v_cndmask_b32_e32 v14, v12, v10, vcc
	flat_load_ushort v5, v[14:15] nt
	s_cmp_eq_u32 s54, 0
	v_lshl_add_u64 v[14:15], v[14:15], 0, s[90:91]
	s_cselect_b64 s[26:27], -1, 0
	s_and_b64 s[28:29], exec, s[52:53]
	v_cndmask_b32_e64 v13, v13, v15, s[26:27]
	v_cndmask_b32_e64 v12, v12, v14, s[26:27]
	s_add_i32 s26, s33, 0xba
	s_mov_b64 s[54:55], 1
	s_mov_b64 s[52:53], 0
	v_cndmask_b32_e32 v11, v11, v15, vcc
	v_cndmask_b32_e32 v10, v10, v14, vcc
	s_mov_b64 vcc, s[28:29]
	s_waitcnt vmcnt(0) lgkmcnt(0)
	scratch_store_short off, v5, s31
	s_mov_b32 s31, s26
	s_cbranch_vccnz .LBB24_823
.LBB24_824:                             ;   in Loop: Header=BB24_813 Depth=4
	s_or_b64 exec, exec, s[50:51]
	scratch_load_ushort v5, off, s33 offset:192
	scratch_load_ushort v14, off, s33 offset:224
	s_waitcnt vmcnt(0)
	v_lshlrev_b32_e32 v5, 16, v5
	v_lshlrev_b32_e32 v14, 16, v14
	v_max_f32_e32 v14, v14, v14
	v_max_f32_e32 v5, v5, v5
	v_min_f32_e32 v15, v5, v14
	v_max_f32_e32 v5, v5, v14
	v_cndmask_b32_e64 v5, v5, v15, s[24:25]
	v_and_b32_e32 v14, 0x7f800000, v5
	v_cmp_ne_u32_e32 vcc, s73, v14
                                        ; implicit-def: $vgpr14
	s_and_saveexec_b64 s[26:27], vcc
	s_xor_b64 s[26:27], exec, s[26:27]
; %bb.825:                              ;   in Loop: Header=BB24_813 Depth=4
	v_bfe_u32 v14, v5, 16, 1
	v_add3_u32 v14, v5, v14, s62
                                        ; implicit-def: $vgpr5
; %bb.826:                              ;   in Loop: Header=BB24_813 Depth=4
	s_andn2_saveexec_b64 s[26:27], s[26:27]
	s_cbranch_execz .LBB24_812
; %bb.827:                              ;   in Loop: Header=BB24_813 Depth=4
	v_or_b32_e32 v14, 0x10000, v5
	v_cmp_eq_u32_sdwa vcc, v5, v3 src0_sel:WORD_0 src1_sel:DWORD
	s_nop 1
	v_cndmask_b32_e32 v14, v14, v5, vcc
	s_branch .LBB24_812
.LBB24_828:                             ;   in Loop: Header=BB24_303 Depth=3
	s_or_b64 exec, exec, s[46:47]
	s_and_b64 exec, exec, s[58:59]
	s_cbranch_execz .LBB24_834
; %bb.829:                              ;   in Loop: Header=BB24_303 Depth=3
	scratch_load_ushort v4, off, s33 offset:184
	scratch_load_ushort v5, off, s33 offset:186
	s_waitcnt vmcnt(0)
	v_lshlrev_b32_e32 v4, 16, v4
	v_lshlrev_b32_e32 v5, 16, v5
	v_max_f32_e32 v5, v5, v5
	v_max_f32_e32 v4, v4, v4
	v_min_f32_e32 v10, v4, v5
	v_max_f32_e32 v4, v4, v5
	v_cndmask_b32_e64 v4, v4, v10, s[24:25]
	v_and_b32_e32 v5, 0x7f800000, v4
	v_cmp_ne_u32_e32 vcc, s73, v5
                                        ; implicit-def: $vgpr5
	s_and_saveexec_b64 s[24:25], vcc
	s_xor_b64 s[24:25], exec, s[24:25]
; %bb.830:                              ;   in Loop: Header=BB24_303 Depth=3
	v_bfe_u32 v5, v4, 16, 1
	v_add3_u32 v5, v4, v5, s62
                                        ; implicit-def: $vgpr4
; %bb.831:                              ;   in Loop: Header=BB24_303 Depth=3
	s_andn2_saveexec_b64 s[24:25], s[24:25]
; %bb.832:                              ;   in Loop: Header=BB24_303 Depth=3
	v_or_b32_e32 v5, 0x10000, v4
	v_cmp_eq_u32_sdwa vcc, v4, v3 src0_sel:WORD_0 src1_sel:DWORD
	s_nop 1
	v_cndmask_b32_e32 v5, v5, v4, vcc
; %bb.833:                              ;   in Loop: Header=BB24_303 Depth=3
	s_or_b64 exec, exec, s[24:25]
	flat_store_short_d16_hi v[8:9], v5 nt
.LBB24_834:                             ;   in Loop: Header=BB24_303 Depth=3
	s_or_b64 exec, exec, s[56:57]
	v_cmp_lt_i32_e64 s[24:25], 0, v2
	s_and_saveexec_b64 s[26:27], s[4:5]
	s_cbranch_execz .LBB24_378
.LBB24_835:                             ;   in Loop: Header=BB24_303 Depth=3
	s_and_saveexec_b64 s[28:29], s[76:77]
	s_xor_b64 s[28:29], exec, s[28:29]
	s_cbranch_execz .LBB24_850
; %bb.836:                              ;   in Loop: Header=BB24_303 Depth=3
	s_and_saveexec_b64 s[46:47], s[12:13]
	s_cbranch_execz .LBB24_849
; %bb.837:                              ;   in Loop: Header=BB24_303 Depth=3
	s_mov_b64 s[58:59], exec
	v_mbcnt_lo_u32_b32 v2, s58, 0
	v_mbcnt_hi_u32_b32 v2, s59, v2
	v_cmp_eq_u32_e32 vcc, 0, v2
	s_waitcnt lgkmcnt(0)
	s_and_saveexec_b64 s[56:57], vcc
	s_cbranch_execz .LBB24_839
; %bb.838:                              ;   in Loop: Header=BB24_303 Depth=3
	s_bcnt1_i32_b64 s58, s[58:59]
	v_mov_b32_e32 v2, s58
	ds_add_u64 v0, v[2:3]
	s_trap 2
.LBB24_839:                             ;   in Loop: Header=BB24_303 Depth=3
	s_or_b64 exec, exec, s[56:57]
	s_trap 2
	ds_read_b64 v[4:5], v0
	s_waitcnt lgkmcnt(0)
	v_lshl_add_u64 v[70:71], v[70:71], 0, v[84:85]
	v_cmp_lt_u64_e32 vcc, v[4:5], v[70:71]
	s_and_saveexec_b64 s[56:57], vcc
	s_cbranch_execz .LBB24_848
; %bb.840:                              ;   in Loop: Header=BB24_303 Depth=3
	s_mov_b32 s31, 0
	s_mov_b64 s[58:59], 0
                                        ; implicit-def: $sgpr60_sgpr61
                                        ; implicit-def: $sgpr50_sgpr51
	s_branch .LBB24_842
.LBB24_841:                             ;   in Loop: Header=BB24_842 Depth=4
	s_or_b64 exec, exec, s[54:55]
	s_and_b64 vcc, exec, vcc
	s_or_b64 s[58:59], vcc, s[58:59]
	s_andn2_b64 s[60:61], s[60:61], exec
	s_and_b64 vcc, s[50:51], exec
	s_or_b64 s[60:61], s[60:61], vcc
	s_andn2_b64 exec, exec, s[58:59]
	s_cbranch_execz .LBB24_846
.LBB24_842:                             ;   Parent Loop BB24_47 Depth=1
                                        ;     Parent Loop BB24_300 Depth=2
                                        ;       Parent Loop BB24_303 Depth=3
                                        ; =>      This Inner Loop Header: Depth=4
	s_add_i32 s31, s31, 1
	s_cmpk_lg_i32 s31, 0x2710
	s_cselect_b64 s[52:53], -1, 0
	s_and_b64 vcc, exec, s[52:53]
	s_cbranch_vccz .LBB24_844
; %bb.843:                              ;   in Loop: Header=BB24_842 Depth=4
	s_mov_b64 vcc, -1
	s_or_b64 s[50:51], s[50:51], exec
	s_and_saveexec_b64 s[54:55], s[52:53]
	s_cbranch_execz .LBB24_841
	s_branch .LBB24_845
.LBB24_844:                             ;   in Loop: Header=BB24_842 Depth=4
	s_trap 2
	ds_read_b64 v[4:5], v0
	s_andn2_b64 s[52:53], s[52:53], exec
	s_mov_b32 s31, 0
	s_waitcnt vmcnt(0) lgkmcnt(0)
	flat_load_dword v2, v[4:5] sc0 sc1
	s_waitcnt vmcnt(0) lgkmcnt(0)
	buffer_inv sc0 sc1
	v_cmp_eq_u32_e32 vcc, 0, v2
	s_and_b64 vcc, vcc, exec
	s_or_b64 s[52:53], s[52:53], vcc
	s_mov_b64 vcc, -1
	s_or_b64 s[50:51], s[50:51], exec
	s_and_saveexec_b64 s[54:55], s[52:53]
	s_cbranch_execz .LBB24_841
.LBB24_845:                             ;   in Loop: Header=BB24_842 Depth=4
	s_sleep 1
	s_trap 2
	ds_read_b64 v[4:5], v0
	s_waitcnt lgkmcnt(0)
	s_andn2_b64 s[50:51], s[50:51], exec
	v_cmp_ge_u64_e32 vcc, v[4:5], v[70:71]
	s_orn2_b64 vcc, vcc, exec
	s_branch .LBB24_841
.LBB24_846:                             ;   in Loop: Header=BB24_303 Depth=3
	s_or_b64 exec, exec, s[58:59]
	s_and_saveexec_b64 s[58:59], s[60:61]
	s_xor_b64 s[58:59], exec, s[58:59]
	s_cbranch_execz .LBB24_848
; %bb.847:                              ;   in Loop: Header=BB24_303 Depth=3
	ds_write_b32 v0, v52
	s_trap 2
.LBB24_848:                             ;   in Loop: Header=BB24_303 Depth=3
	s_or_b64 exec, exec, s[56:57]
	;;#ASMSTART
	s_wakeup
	;;#ASMEND
.LBB24_849:                             ;   in Loop: Header=BB24_303 Depth=3
	s_or_b64 exec, exec, s[46:47]
.LBB24_850:                             ;   in Loop: Header=BB24_303 Depth=3
	s_andn2_saveexec_b64 s[28:29], s[28:29]
	s_cbranch_execz .LBB24_852
; %bb.851:                              ;   in Loop: Header=BB24_303 Depth=3
	s_waitcnt lgkmcnt(0)
	s_barrier
.LBB24_852:                             ;   in Loop: Header=BB24_303 Depth=3
	s_or_b64 exec, exec, s[28:29]
	s_or_b64 exec, exec, s[26:27]
                                        ; implicit-def: $vgpr2
	s_and_saveexec_b64 s[26:27], s[20:21]
	s_xor_b64 s[26:27], exec, s[26:27]
	s_cbranch_execnz .LBB24_379
.LBB24_853:                             ;   in Loop: Header=BB24_303 Depth=3
	s_andn2_saveexec_b64 s[24:25], s[26:27]
	s_cbranch_execz .LBB24_872
.LBB24_854:                             ;   in Loop: Header=BB24_303 Depth=3
	s_and_saveexec_b64 s[26:27], s[76:77]
	s_xor_b64 s[26:27], exec, s[26:27]
	s_cbranch_execz .LBB24_869
; %bb.855:                              ;   in Loop: Header=BB24_303 Depth=3
	s_and_saveexec_b64 s[28:29], s[12:13]
	s_cbranch_execz .LBB24_868
; %bb.856:                              ;   in Loop: Header=BB24_303 Depth=3
	s_mov_b64 s[56:57], exec
	v_mbcnt_lo_u32_b32 v2, s56, 0
	v_mbcnt_hi_u32_b32 v2, s57, v2
	v_cmp_eq_u32_e32 vcc, 0, v2
	;;#ASMSTART
	s_waitcnt lgkmcnt(0) vmcnt(0)
	;;#ASMEND
	s_and_saveexec_b64 s[46:47], vcc
	s_cbranch_execz .LBB24_858
; %bb.857:                              ;   in Loop: Header=BB24_303 Depth=3
	s_bcnt1_i32_b64 s56, s[56:57]
	v_mov_b32_e32 v2, s56
	s_waitcnt lgkmcnt(0)
	ds_add_u64 v0, v[2:3]
	s_trap 2
.LBB24_858:                             ;   in Loop: Header=BB24_303 Depth=3
	s_or_b64 exec, exec, s[46:47]
	s_trap 2
	ds_read_b64 v[4:5], v0
	s_waitcnt lgkmcnt(0)
	v_lshl_add_u64 v[70:71], v[70:71], 0, v[84:85]
	v_cmp_lt_u64_e32 vcc, v[4:5], v[70:71]
	s_and_saveexec_b64 s[46:47], vcc
	s_cbranch_execz .LBB24_867
; %bb.859:                              ;   in Loop: Header=BB24_303 Depth=3
	s_mov_b32 s31, 0
	s_mov_b64 s[56:57], 0
                                        ; implicit-def: $sgpr58_sgpr59
                                        ; implicit-def: $sgpr60_sgpr61
	s_branch .LBB24_861
.LBB24_860:                             ;   in Loop: Header=BB24_861 Depth=4
	s_or_b64 exec, exec, s[52:53]
	s_and_b64 vcc, exec, vcc
	s_or_b64 s[56:57], vcc, s[56:57]
	s_andn2_b64 s[58:59], s[58:59], exec
	s_and_b64 vcc, s[60:61], exec
	s_or_b64 s[58:59], s[58:59], vcc
	s_andn2_b64 exec, exec, s[56:57]
	s_cbranch_execz .LBB24_865
.LBB24_861:                             ;   Parent Loop BB24_47 Depth=1
                                        ;     Parent Loop BB24_300 Depth=2
                                        ;       Parent Loop BB24_303 Depth=3
                                        ; =>      This Inner Loop Header: Depth=4
	s_add_i32 s31, s31, 1
	s_cmpk_lg_i32 s31, 0x2710
	s_cselect_b64 s[50:51], -1, 0
	s_and_b64 vcc, exec, s[50:51]
	s_cbranch_vccz .LBB24_863
; %bb.862:                              ;   in Loop: Header=BB24_861 Depth=4
	s_mov_b64 vcc, -1
	s_or_b64 s[60:61], s[60:61], exec
	s_and_saveexec_b64 s[52:53], s[50:51]
	s_cbranch_execz .LBB24_860
	s_branch .LBB24_864
.LBB24_863:                             ;   in Loop: Header=BB24_861 Depth=4
	s_trap 2
	ds_read_b64 v[4:5], v0
	s_andn2_b64 s[50:51], s[50:51], exec
	s_mov_b32 s31, 0
	s_waitcnt vmcnt(0) lgkmcnt(0)
	flat_load_dword v2, v[4:5] sc0 sc1
	s_waitcnt vmcnt(0) lgkmcnt(0)
	buffer_inv sc0 sc1
	v_cmp_eq_u32_e32 vcc, 0, v2
	s_and_b64 vcc, vcc, exec
	s_or_b64 s[50:51], s[50:51], vcc
	s_mov_b64 vcc, -1
	s_or_b64 s[60:61], s[60:61], exec
	s_and_saveexec_b64 s[52:53], s[50:51]
	s_cbranch_execz .LBB24_860
.LBB24_864:                             ;   in Loop: Header=BB24_861 Depth=4
	s_sleep 1
	s_trap 2
	ds_read_b64 v[4:5], v0
	s_waitcnt lgkmcnt(0)
	s_andn2_b64 s[60:61], s[60:61], exec
	v_cmp_ge_u64_e32 vcc, v[4:5], v[70:71]
	s_orn2_b64 vcc, vcc, exec
	s_branch .LBB24_860
.LBB24_865:                             ;   in Loop: Header=BB24_303 Depth=3
	s_or_b64 exec, exec, s[56:57]
	s_and_saveexec_b64 s[56:57], s[58:59]
	s_xor_b64 s[56:57], exec, s[56:57]
	s_cbranch_execz .LBB24_867
; %bb.866:                              ;   in Loop: Header=BB24_303 Depth=3
	ds_write_b32 v0, v52
	s_trap 2
.LBB24_867:                             ;   in Loop: Header=BB24_303 Depth=3
	s_or_b64 exec, exec, s[46:47]
	;;#ASMSTART
	s_wakeup
	;;#ASMEND
.LBB24_868:                             ;   in Loop: Header=BB24_303 Depth=3
	s_or_b64 exec, exec, s[28:29]
.LBB24_869:                             ;   in Loop: Header=BB24_303 Depth=3
	s_andn2_saveexec_b64 s[26:27], s[26:27]
	s_cbranch_execz .LBB24_871
; %bb.870:                              ;   in Loop: Header=BB24_303 Depth=3
	;;#ASMSTART
	s_waitcnt lgkmcnt(0) vmcnt(0)
	;;#ASMEND
	s_barrier
.LBB24_871:                             ;   in Loop: Header=BB24_303 Depth=3
	s_or_b64 exec, exec, s[26:27]
	v_and_b32_e32 v2, 16, v122
.LBB24_872:                             ;   in Loop: Header=BB24_303 Depth=3
	s_or_b64 exec, exec, s[24:25]
	v_cmp_ne_u32_e32 vcc, 0, v2
	s_xor_b64 s[24:25], s[6:7], -1
	s_and_b64 s[26:27], vcc, s[24:25]
	s_and_saveexec_b64 s[24:25], s[26:27]
	s_cbranch_execz .LBB24_874
; %bb.873:                              ;   in Loop: Header=BB24_303 Depth=3
	flat_store_dword v[68:69], v52 sc0 sc1
.LBB24_874:                             ;   in Loop: Header=BB24_303 Depth=3
	s_or_b64 exec, exec, s[24:25]
	v_and_b32_e32 v2, 48, v122
	v_cmp_ne_u32_e32 vcc, 0, v2
	s_and_saveexec_b64 s[24:25], vcc
	s_cbranch_execz .LBB24_302
; %bb.875:                              ;   in Loop: Header=BB24_303 Depth=3
	v_lshl_add_u64 v[76:77], v[76:77], 0, 2
	flat_store_dwordx2 v[64:65], v[76:77] sc0 sc1
	s_branch .LBB24_302
.LBB24_876:                             ;   in Loop: Header=BB24_300 Depth=2
	s_or_b64 exec, exec, s[42:43]
.LBB24_877:                             ;   in Loop: Header=BB24_300 Depth=2
	s_or_b64 exec, exec, s[40:41]
	v_cmp_gt_i32_e32 vcc, 2, v2
	s_and_saveexec_b64 s[26:27], vcc
	s_cbranch_execz .LBB24_299
; %bb.878:                              ;   in Loop: Header=BB24_300 Depth=2
	v_cmp_eq_u32_e64 s[40:41], 0, v2
	s_mov_b64 s[28:29], 0
	s_branch .LBB24_880
.LBB24_879:                             ;   in Loop: Header=BB24_880 Depth=3
	s_or_b64 exec, exec, s[24:25]
	v_add_u32_e32 v92, v90, v92
	s_mov_b64 s[40:41], 0
	s_andn2_b64 exec, exec, s[28:29]
	s_cbranch_execz .LBB24_298
.LBB24_880:                             ;   Parent Loop BB24_47 Depth=1
                                        ;     Parent Loop BB24_300 Depth=2
                                        ; =>    This Loop Header: Depth=3
                                        ;         Child Loop BB24_886 Depth 4
                                        ;         Child Loop BB24_914 Depth 4
                                        ;         Child Loop BB24_933 Depth 4
	v_sub_u32_e32 v2, v28, v92
	v_min_i32_e32 v90, v90, v2
	v_and_b32_e32 v2, 12, v122
	v_cmp_ne_u32_e32 vcc, 0, v2
	s_and_saveexec_b64 s[42:43], vcc
	s_cbranch_execz .LBB24_906
; %bb.881:                              ;   in Loop: Header=BB24_880 Depth=3
	v_and_b32_e32 v2, 8, v122
	s_waitcnt vmcnt(0) lgkmcnt(0)
	v_lshl_add_u64 v[4:5], v[80:81], 0, v[2:3]
	v_lshl_add_u64 v[8:9], v[76:77], 0, 2
	v_cmp_lt_u64_e32 vcc, v[4:5], v[8:9]
	s_and_saveexec_b64 s[44:45], vcc
	s_cbranch_execz .LBB24_893
; %bb.882:                              ;   in Loop: Header=BB24_880 Depth=3
	v_and_b32_e32 v4, 64, v122
	s_mov_b32 s30, 0
	v_cmp_eq_u32_e32 vcc, 0, v4
	s_mov_b64 s[46:47], 0
                                        ; implicit-def: $sgpr56_sgpr57
                                        ; implicit-def: $sgpr58_sgpr59
                                        ; implicit-def: $sgpr60_sgpr61
	s_branch .LBB24_886
.LBB24_883:                             ;   in Loop: Header=BB24_886 Depth=4
	s_waitcnt vmcnt(0) lgkmcnt(0)
	v_lshl_add_u64 v[10:11], v[80:81], 0, v[2:3]
	v_cmp_ge_u64_e64 s[24:25], v[10:11], v[8:9]
	s_or_b64 s[54:55], s[54:55], exec
	s_orn2_b64 s[52:53], s[24:25], exec
.LBB24_884:                             ;   in Loop: Header=BB24_886 Depth=4
	s_or_b64 exec, exec, s[66:67]
	s_andn2_b64 s[24:25], s[60:61], exec
	s_and_b64 s[60:61], s[54:55], exec
	s_or_b64 s[60:61], s[24:25], s[60:61]
	s_andn2_b64 s[24:25], s[58:59], exec
	s_and_b64 s[58:59], s[52:53], exec
	s_or_b64 s[58:59], s[24:25], s[58:59]
.LBB24_885:                             ;   in Loop: Header=BB24_886 Depth=4
	s_or_b64 exec, exec, s[50:51]
	s_and_b64 s[24:25], exec, s[58:59]
	s_or_b64 s[46:47], s[24:25], s[46:47]
	s_andn2_b64 s[24:25], s[56:57], exec
	s_and_b64 s[56:57], s[60:61], exec
	s_or_b64 s[56:57], s[24:25], s[56:57]
	s_andn2_b64 exec, exec, s[46:47]
	s_cbranch_execz .LBB24_890
.LBB24_886:                             ;   Parent Loop BB24_47 Depth=1
                                        ;     Parent Loop BB24_300 Depth=2
                                        ;       Parent Loop BB24_880 Depth=3
                                        ; =>      This Inner Loop Header: Depth=4
	s_sleep 1
	s_waitcnt vmcnt(0) lgkmcnt(0)
	flat_load_dwordx2 v[80:81], v[64:65] sc0 sc1
	s_or_b64 s[60:61], s[60:61], exec
	s_or_b64 s[58:59], s[58:59], exec
                                        ; implicit-def: $vgpr4
	s_and_saveexec_b64 s[50:51], vcc
	s_cbranch_execz .LBB24_885
; %bb.887:                              ;   in Loop: Header=BB24_886 Depth=4
	s_cmpk_lt_i32 s30, 0x270f
	s_cselect_b64 s[64:65], -1, 0
	s_cmpk_gt_i32 s30, 0x270e
	s_mov_b64 s[52:53], -1
	s_cbranch_scc0 .LBB24_889
; %bb.888:                              ;   in Loop: Header=BB24_886 Depth=4
	s_trap 2
	ds_read_b64 v[4:5], v0
	s_andn2_b64 s[64:65], s[64:65], exec
	s_mov_b32 s30, 0
	s_mov_b64 s[54:55], 0
	s_waitcnt vmcnt(0) lgkmcnt(0)
	flat_load_dword v4, v[4:5] sc0 sc1
	s_waitcnt vmcnt(0) lgkmcnt(0)
	buffer_inv sc0 sc1
	v_cmp_eq_u32_e64 s[24:25], 0, v4
	s_and_b64 s[24:25], s[24:25], exec
	s_or_b64 s[64:65], s[64:65], s[24:25]
	s_and_saveexec_b64 s[66:67], s[64:65]
	s_cbranch_execz .LBB24_884
	s_branch .LBB24_883
.LBB24_889:                             ;   in Loop: Header=BB24_886 Depth=4
	s_add_i32 s30, s30, 1
	s_mov_b64 s[54:55], -1
                                        ; implicit-def: $vgpr4
	s_and_saveexec_b64 s[66:67], s[64:65]
	s_cbranch_execz .LBB24_884
	s_branch .LBB24_883
.LBB24_890:                             ;   in Loop: Header=BB24_880 Depth=3
	s_or_b64 exec, exec, s[46:47]
	s_xor_b64 s[24:25], s[56:57], -1
	s_and_saveexec_b64 s[46:47], s[24:25]
	s_xor_b64 s[24:25], exec, s[46:47]
	s_cbranch_execz .LBB24_892
; %bb.891:                              ;   in Loop: Header=BB24_880 Depth=3
	v_or_b32_e32 v122, 64, v122
	s_waitcnt lgkmcnt(0)
	ds_write_b32 v0, v4
	s_trap 2
.LBB24_892:                             ;   in Loop: Header=BB24_880 Depth=3
	s_or_b64 exec, exec, s[24:25]
.LBB24_893:                             ;   in Loop: Header=BB24_880 Depth=3
	s_or_b64 exec, exec, s[44:45]
	v_and_b32_e32 v4, 0x108, v122
	v_cmp_ne_u32_e32 vcc, s72, v4
	;;#ASMSTART
	s_wakeup
	;;#ASMEND
                                        ; implicit-def: $vgpr10_vgpr11
	s_and_saveexec_b64 s[24:25], vcc
	s_xor_b64 s[24:25], exec, s[24:25]
; %bb.894:                              ;   in Loop: Header=BB24_880 Depth=3
	v_and_b32_e32 v10, 7, v76
	v_mov_b32_e32 v11, v3
                                        ; implicit-def: $vgpr76_vgpr77
; %bb.895:                              ;   in Loop: Header=BB24_880 Depth=3
	s_andn2_saveexec_b64 s[24:25], s[24:25]
	s_cbranch_execz .LBB24_897
; %bb.896:                              ;   in Loop: Header=BB24_880 Depth=3
	v_and_b32_e32 v10, 7, v76
	v_ashrrev_i32_e32 v91, 31, v90
	v_mov_b32_e32 v11, v3
	v_mad_u64_u32 v[4:5], s[44:45], v10, 24, v[6:7]
	v_lshlrev_b64 v[12:13], 1, v[90:91]
	flat_store_dwordx2 v[4:5], v[12:13] offset:8
.LBB24_897:                             ;   in Loop: Header=BB24_880 Depth=3
	s_or_b64 exec, exec, s[24:25]
	v_and_b32_e32 v4, 0x100, v122
	v_cmp_ne_u32_e32 vcc, 0, v4
	s_mov_b64 s[24:25], -1
                                        ; implicit-def: $vgpr12_vgpr13
	s_and_saveexec_b64 s[44:45], vcc
	s_cbranch_execz .LBB24_901
; %bb.898:                              ;   in Loop: Header=BB24_880 Depth=3
	v_mad_u64_u32 v[14:15], s[24:25], v10, 24, v[6:7]
	v_mov_b32_e32 v4, v15
	v_mad_u64_u32 v[4:5], s[24:25], v11, 24, v[4:5]
	v_mov_b32_e32 v15, v4
	flat_load_dword v4, v[14:15]
                                        ; implicit-def: $vgpr12_vgpr13
	s_waitcnt vmcnt(0) lgkmcnt(0)
	v_cmp_ne_u32_e32 vcc, 1, v4
	v_cmp_eq_u32_e64 s[24:25], 1, v4
	s_and_saveexec_b64 s[46:47], s[24:25]
	s_cbranch_execz .LBB24_900
; %bb.899:                              ;   in Loop: Header=BB24_880 Depth=3
	flat_load_dword v4, v[14:15] offset:4 sc0 sc1
	s_waitcnt vmcnt(0) lgkmcnt(0)
	v_ashrrev_i32_e32 v5, 31, v4
	v_lshrrev_b64 v[12:13], 1, v[4:5]
.LBB24_900:                             ;   in Loop: Header=BB24_880 Depth=3
	s_or_b64 exec, exec, s[46:47]
	s_orn2_b64 s[24:25], vcc, exec
.LBB24_901:                             ;   in Loop: Header=BB24_880 Depth=3
	s_or_b64 exec, exec, s[44:45]
	s_and_saveexec_b64 s[44:45], s[24:25]
; %bb.902:                              ;   in Loop: Header=BB24_880 Depth=3
	v_mul_lo_u32 v4, v11, v30
	v_mul_lo_u32 v5, v10, v1
	v_mad_u64_u32 v[12:13], s[24:25], v10, v30, 0
	v_add3_u32 v13, v13, v5, v4
; %bb.903:                              ;   in Loop: Header=BB24_880 Depth=3
	s_or_b64 exec, exec, s[44:45]
	v_cmp_eq_u32_e32 vcc, 0, v2
	v_lshl_add_u64 v[4:5], v[12:13], 1, v[66:67]
	s_nop 0
	v_cndmask_b32_e32 v2, v53, v124, vcc
	v_add_u32_e32 v2, v0, v2
	ds_write_b64 v2, v[4:5] offset:584
	v_and_b32_e32 v2, 0x2000, v122
	v_cmp_ne_u32_e32 vcc, 0, v2
	s_and_saveexec_b64 s[24:25], vcc
	s_cbranch_execz .LBB24_905
; %bb.904:                              ;   in Loop: Header=BB24_880 Depth=3
	ds_read_b64 v[4:5], v0 offset:872
	s_waitcnt lgkmcnt(0)
	v_lshl_add_u64 v[4:5], v[4:5], 0, 1
	ds_write_b64 v0, v[4:5] offset:872
.LBB24_905:                             ;   in Loop: Header=BB24_880 Depth=3
	s_or_b64 exec, exec, s[24:25]
	v_mov_b64_e32 v[76:77], v[8:9]
.LBB24_906:                             ;   in Loop: Header=BB24_880 Depth=3
	s_or_b64 exec, exec, s[42:43]
	s_xor_b64 s[24:25], s[40:41], -1
	s_and_b64 s[24:25], exec, s[24:25]
	s_or_b64 s[28:29], s[24:25], s[28:29]
	s_and_saveexec_b64 s[24:25], s[4:5]
	s_cbranch_execz .LBB24_925
; %bb.907:                              ;   in Loop: Header=BB24_880 Depth=3
	s_and_saveexec_b64 s[40:41], s[76:77]
	s_xor_b64 s[40:41], exec, s[40:41]
	s_cbranch_execz .LBB24_922
; %bb.908:                              ;   in Loop: Header=BB24_880 Depth=3
	s_and_saveexec_b64 s[42:43], s[12:13]
	s_cbranch_execz .LBB24_921
; %bb.909:                              ;   in Loop: Header=BB24_880 Depth=3
	s_mov_b64 s[46:47], exec
	v_mbcnt_lo_u32_b32 v2, s46, 0
	v_mbcnt_hi_u32_b32 v2, s47, v2
	v_cmp_eq_u32_e32 vcc, 0, v2
	s_waitcnt lgkmcnt(0)
	s_and_saveexec_b64 s[44:45], vcc
	s_cbranch_execz .LBB24_911
; %bb.910:                              ;   in Loop: Header=BB24_880 Depth=3
	s_bcnt1_i32_b64 s46, s[46:47]
	v_mov_b32_e32 v2, s46
	ds_add_u64 v0, v[2:3]
	s_trap 2
.LBB24_911:                             ;   in Loop: Header=BB24_880 Depth=3
	s_or_b64 exec, exec, s[44:45]
	s_trap 2
	ds_read_b64 v[4:5], v0
	s_waitcnt lgkmcnt(0)
	v_lshl_add_u64 v[70:71], v[70:71], 0, v[84:85]
	v_cmp_lt_u64_e32 vcc, v[4:5], v[70:71]
	s_and_saveexec_b64 s[44:45], vcc
	s_cbranch_execz .LBB24_920
; %bb.912:                              ;   in Loop: Header=BB24_880 Depth=3
	s_mov_b32 s30, 0
	s_mov_b64 s[46:47], 0
                                        ; implicit-def: $sgpr56_sgpr57
                                        ; implicit-def: $sgpr58_sgpr59
	s_branch .LBB24_914
.LBB24_913:                             ;   in Loop: Header=BB24_914 Depth=4
	s_or_b64 exec, exec, s[50:51]
	s_and_b64 s[60:61], exec, vcc
	s_or_b64 s[46:47], s[60:61], s[46:47]
	s_andn2_b64 s[56:57], s[56:57], exec
	s_and_b64 s[60:61], s[58:59], exec
	s_or_b64 s[56:57], s[56:57], s[60:61]
	s_andn2_b64 exec, exec, s[46:47]
	s_cbranch_execz .LBB24_918
.LBB24_914:                             ;   Parent Loop BB24_47 Depth=1
                                        ;     Parent Loop BB24_300 Depth=2
                                        ;       Parent Loop BB24_880 Depth=3
                                        ; =>      This Inner Loop Header: Depth=4
	s_add_i32 s30, s30, 1
	s_cmpk_lg_i32 s30, 0x2710
	s_cselect_b64 s[60:61], -1, 0
	s_and_b64 vcc, exec, s[60:61]
	s_cbranch_vccz .LBB24_916
; %bb.915:                              ;   in Loop: Header=BB24_914 Depth=4
	s_mov_b64 vcc, -1
	s_or_b64 s[58:59], s[58:59], exec
	s_and_saveexec_b64 s[50:51], s[60:61]
	s_cbranch_execz .LBB24_913
	s_branch .LBB24_917
.LBB24_916:                             ;   in Loop: Header=BB24_914 Depth=4
	s_trap 2
	ds_read_b64 v[4:5], v0
	s_andn2_b64 s[60:61], s[60:61], exec
	s_mov_b32 s30, 0
	s_waitcnt vmcnt(0) lgkmcnt(0)
	flat_load_dword v2, v[4:5] sc0 sc1
	s_waitcnt vmcnt(0) lgkmcnt(0)
	buffer_inv sc0 sc1
	v_cmp_eq_u32_e32 vcc, 0, v2
	s_and_b64 vcc, vcc, exec
	s_or_b64 s[60:61], s[60:61], vcc
	s_mov_b64 vcc, -1
	s_or_b64 s[58:59], s[58:59], exec
	s_and_saveexec_b64 s[50:51], s[60:61]
	s_cbranch_execz .LBB24_913
.LBB24_917:                             ;   in Loop: Header=BB24_914 Depth=4
	s_sleep 1
	s_trap 2
	ds_read_b64 v[4:5], v0
	s_waitcnt lgkmcnt(0)
	s_andn2_b64 s[58:59], s[58:59], exec
	v_cmp_ge_u64_e32 vcc, v[4:5], v[70:71]
	s_orn2_b64 vcc, vcc, exec
	s_branch .LBB24_913
.LBB24_918:                             ;   in Loop: Header=BB24_880 Depth=3
	s_or_b64 exec, exec, s[46:47]
	s_and_saveexec_b64 s[46:47], s[56:57]
	s_xor_b64 s[46:47], exec, s[46:47]
	s_cbranch_execz .LBB24_920
; %bb.919:                              ;   in Loop: Header=BB24_880 Depth=3
	ds_write_b32 v0, v52
	s_trap 2
.LBB24_920:                             ;   in Loop: Header=BB24_880 Depth=3
	s_or_b64 exec, exec, s[44:45]
	;;#ASMSTART
	s_wakeup
	;;#ASMEND
.LBB24_921:                             ;   in Loop: Header=BB24_880 Depth=3
	s_or_b64 exec, exec, s[42:43]
.LBB24_922:                             ;   in Loop: Header=BB24_880 Depth=3
	s_andn2_saveexec_b64 s[40:41], s[40:41]
	s_cbranch_execz .LBB24_924
; %bb.923:                              ;   in Loop: Header=BB24_880 Depth=3
	s_waitcnt lgkmcnt(0)
	s_barrier
.LBB24_924:                             ;   in Loop: Header=BB24_880 Depth=3
	s_or_b64 exec, exec, s[40:41]
.LBB24_925:                             ;   in Loop: Header=BB24_880 Depth=3
	s_or_b64 exec, exec, s[24:25]
                                        ; implicit-def: $vgpr2
	s_and_saveexec_b64 s[24:25], s[36:37]
	s_xor_b64 s[24:25], exec, s[24:25]
	s_cbranch_execz .LBB24_937
; %bb.926:                              ;   in Loop: Header=BB24_880 Depth=3
	s_and_saveexec_b64 s[40:41], s[76:77]
	s_xor_b64 s[40:41], exec, s[40:41]
	s_cbranch_execz .LBB24_942
; %bb.927:                              ;   in Loop: Header=BB24_880 Depth=3
	s_and_saveexec_b64 s[42:43], s[12:13]
	s_cbranch_execz .LBB24_941
; %bb.928:                              ;   in Loop: Header=BB24_880 Depth=3
	s_mov_b64 s[46:47], exec
	v_mbcnt_lo_u32_b32 v2, s46, 0
	v_mbcnt_hi_u32_b32 v2, s47, v2
	v_cmp_eq_u32_e32 vcc, 0, v2
	;;#ASMSTART
	s_waitcnt lgkmcnt(0) vmcnt(0)
	;;#ASMEND
	s_and_saveexec_b64 s[44:45], vcc
	s_cbranch_execz .LBB24_930
; %bb.929:                              ;   in Loop: Header=BB24_880 Depth=3
	s_bcnt1_i32_b64 s46, s[46:47]
	v_mov_b32_e32 v2, s46
	s_waitcnt lgkmcnt(0)
	ds_add_u64 v0, v[2:3]
	s_trap 2
.LBB24_930:                             ;   in Loop: Header=BB24_880 Depth=3
	s_or_b64 exec, exec, s[44:45]
	s_trap 2
	ds_read_b64 v[4:5], v0
	s_waitcnt lgkmcnt(0)
	v_lshl_add_u64 v[70:71], v[70:71], 0, v[84:85]
	v_cmp_lt_u64_e32 vcc, v[4:5], v[70:71]
	s_and_saveexec_b64 s[44:45], vcc
	s_cbranch_execz .LBB24_940
; %bb.931:                              ;   in Loop: Header=BB24_880 Depth=3
	s_mov_b32 s30, 0
	s_mov_b64 s[46:47], 0
                                        ; implicit-def: $sgpr56_sgpr57
                                        ; implicit-def: $sgpr58_sgpr59
	s_branch .LBB24_933
.LBB24_932:                             ;   in Loop: Header=BB24_933 Depth=4
	s_or_b64 exec, exec, s[50:51]
	s_and_b64 s[60:61], exec, vcc
	s_or_b64 s[46:47], s[60:61], s[46:47]
	s_andn2_b64 s[56:57], s[56:57], exec
	s_and_b64 s[60:61], s[58:59], exec
	s_or_b64 s[56:57], s[56:57], s[60:61]
	s_andn2_b64 exec, exec, s[46:47]
	s_cbranch_execz .LBB24_938
.LBB24_933:                             ;   Parent Loop BB24_47 Depth=1
                                        ;     Parent Loop BB24_300 Depth=2
                                        ;       Parent Loop BB24_880 Depth=3
                                        ; =>      This Inner Loop Header: Depth=4
	s_add_i32 s30, s30, 1
	s_cmpk_lg_i32 s30, 0x2710
	s_cselect_b64 s[60:61], -1, 0
	s_and_b64 vcc, exec, s[60:61]
	s_cbranch_vccz .LBB24_935
; %bb.934:                              ;   in Loop: Header=BB24_933 Depth=4
	s_mov_b64 vcc, -1
	s_or_b64 s[58:59], s[58:59], exec
	s_and_saveexec_b64 s[50:51], s[60:61]
	s_cbranch_execz .LBB24_932
	s_branch .LBB24_936
.LBB24_935:                             ;   in Loop: Header=BB24_933 Depth=4
	s_trap 2
	ds_read_b64 v[4:5], v0
	s_andn2_b64 s[60:61], s[60:61], exec
	s_mov_b32 s30, 0
	s_waitcnt vmcnt(0) lgkmcnt(0)
	flat_load_dword v2, v[4:5] sc0 sc1
	s_waitcnt vmcnt(0) lgkmcnt(0)
	buffer_inv sc0 sc1
	v_cmp_eq_u32_e32 vcc, 0, v2
	s_and_b64 vcc, vcc, exec
	s_or_b64 s[60:61], s[60:61], vcc
	s_mov_b64 vcc, -1
	s_or_b64 s[58:59], s[58:59], exec
	s_and_saveexec_b64 s[50:51], s[60:61]
	s_cbranch_execz .LBB24_932
.LBB24_936:                             ;   in Loop: Header=BB24_933 Depth=4
	s_sleep 1
	s_trap 2
	ds_read_b64 v[4:5], v0
	s_waitcnt lgkmcnt(0)
	s_andn2_b64 s[58:59], s[58:59], exec
	v_cmp_ge_u64_e32 vcc, v[4:5], v[70:71]
	s_orn2_b64 vcc, vcc, exec
	s_branch .LBB24_932
.LBB24_937:                             ;   in Loop: Header=BB24_880 Depth=3
	s_andn2_saveexec_b64 s[24:25], s[24:25]
	s_cbranch_execnz .LBB24_945
	s_branch .LBB24_948
.LBB24_938:                             ;   in Loop: Header=BB24_880 Depth=3
	s_or_b64 exec, exec, s[46:47]
	s_and_saveexec_b64 s[46:47], s[56:57]
	s_xor_b64 s[46:47], exec, s[46:47]
	s_cbranch_execz .LBB24_940
; %bb.939:                              ;   in Loop: Header=BB24_880 Depth=3
	ds_write_b32 v0, v52
	s_trap 2
.LBB24_940:                             ;   in Loop: Header=BB24_880 Depth=3
	s_or_b64 exec, exec, s[44:45]
	;;#ASMSTART
	s_wakeup
	;;#ASMEND
.LBB24_941:                             ;   in Loop: Header=BB24_880 Depth=3
	s_or_b64 exec, exec, s[42:43]
.LBB24_942:                             ;   in Loop: Header=BB24_880 Depth=3
	s_andn2_saveexec_b64 s[40:41], s[40:41]
	s_cbranch_execz .LBB24_944
; %bb.943:                              ;   in Loop: Header=BB24_880 Depth=3
	;;#ASMSTART
	s_waitcnt lgkmcnt(0) vmcnt(0)
	;;#ASMEND
	s_barrier
.LBB24_944:                             ;   in Loop: Header=BB24_880 Depth=3
	s_or_b64 exec, exec, s[40:41]
	v_and_b32_e32 v2, 16, v122
	s_andn2_saveexec_b64 s[24:25], s[24:25]
	s_cbranch_execz .LBB24_948
.LBB24_945:                             ;   in Loop: Header=BB24_880 Depth=3
	s_trap 2
	ds_read_b32 v4, v0
	v_cmp_lt_i32_e32 vcc, 0, v90
	v_and_b32_e32 v5, 16, v122
	v_and_b32_e32 v2, 16, v122
	s_waitcnt lgkmcnt(0)
	v_readfirstlane_b32 s40, v4
	s_cmp_eq_u32 s40, 0
	s_cselect_b64 s[40:41], -1, 0
	s_and_b64 s[40:41], vcc, s[40:41]
	v_cmp_ne_u32_e32 vcc, 0, v5
	s_and_b64 s[42:43], vcc, s[40:41]
	s_and_saveexec_b64 s[40:41], s[42:43]
	s_cbranch_execz .LBB24_947
; %bb.946:                              ;   in Loop: Header=BB24_880 Depth=3
	v_mov_b32_e32 v2, 1
	buffer_wbl2 sc1
	s_waitcnt vmcnt(0)
	buffer_inv sc1
.LBB24_947:                             ;   in Loop: Header=BB24_880 Depth=3
	s_or_b64 exec, exec, s[40:41]
.LBB24_948:                             ;   in Loop: Header=BB24_880 Depth=3
	s_or_b64 exec, exec, s[24:25]
	v_cmp_ne_u32_e32 vcc, 0, v2
	s_xor_b64 s[24:25], s[6:7], -1
	s_and_b64 s[40:41], vcc, s[24:25]
	s_and_saveexec_b64 s[24:25], s[40:41]
	s_cbranch_execz .LBB24_950
; %bb.949:                              ;   in Loop: Header=BB24_880 Depth=3
	flat_store_dword v[68:69], v52 sc0 sc1
.LBB24_950:                             ;   in Loop: Header=BB24_880 Depth=3
	s_or_b64 exec, exec, s[24:25]
	v_and_b32_e32 v2, 48, v122
	v_cmp_ne_u32_e32 vcc, 0, v2
	s_and_saveexec_b64 s[24:25], vcc
	s_cbranch_execz .LBB24_879
; %bb.951:                              ;   in Loop: Header=BB24_880 Depth=3
	v_lshl_add_u64 v[76:77], v[76:77], 0, 2
	flat_store_dwordx2 v[64:65], v[76:77] sc0 sc1
	s_branch .LBB24_879
.LBB24_952:                             ;   in Loop: Header=BB24_47 Depth=1
	v_mul_lo_u32 v2, v75, s70
	v_mul_lo_u32 v4, v74, s71
	v_mad_u64_u32 v[8:9], s[24:25], v74, s70, 0
	v_add3_u32 v9, v9, v4, v2
	v_sub_co_u32_e32 v4, vcc, v78, v8
	v_mov_b32_e32 v2, 0
	s_nop 0
	v_subb_co_u32_e32 v5, vcc, v79, v9, vcc
	v_cmp_lt_i64_e32 vcc, v[74:75], v[4:5]
	v_mov_b32_e32 v38, 0
	s_nop 0
	v_cndmask_b32_e32 v4, v4, v74, vcc
	v_max_i32_e32 v28, 0, v4
	v_add_u32_e32 v5, 31, v28
	v_ashrrev_i32_e32 v10, 31, v5
	v_lshrrev_b32_e32 v10, 27, v10
	v_add_u32_e32 v5, v5, v10
	v_ashrrev_i32_e32 v5, 5, v5
	v_lshlrev_b32_e32 v5, 4, v5
	v_cmp_lt_i32_e32 vcc, 0, v4
	v_max_i32_e32 v36, s84, v5
	s_and_b64 s[24:25], s[38:39], vcc
	s_and_saveexec_b64 s[50:51], s[24:25]
	s_cbranch_execz .LBB24_1584
; %bb.953:                              ;   in Loop: Header=BB24_47 Depth=1
	v_lshl_add_u64 v[4:5], v[8:9], 0, v[88:89]
	s_mov_b32 s30, 1
	s_mov_b64 s[54:55], -1
	v_mov_b32_e32 v38, 0
	s_mov_b64 s[52:53], 0
	v_lshlrev_b64 v[48:49], 1, v[4:5]
	s_branch .LBB24_955
.LBB24_954:                             ;   in Loop: Header=BB24_955 Depth=2
	s_or_b64 exec, exec, s[24:25]
	v_add_u32_e32 v38, v36, v38
	v_cmp_ge_i32_e32 vcc, v38, v28
	s_xor_b64 s[24:25], s[54:55], -1
	s_or_b64 s[24:25], s[24:25], vcc
	s_and_b64 s[24:25], exec, s[24:25]
	s_or_b64 s[52:53], s[24:25], s[52:53]
	s_mov_b64 s[54:55], 0
	v_mov_b32_e32 v2, s30
	s_mov_b32 s30, 2
	s_andn2_b64 exec, exec, s[52:53]
	s_cbranch_execz .LBB24_1659
.LBB24_955:                             ;   Parent Loop BB24_47 Depth=1
                                        ; =>  This Loop Header: Depth=2
                                        ;       Child Loop BB24_963 Depth 3
                                        ;       Child Loop BB24_991 Depth 3
	;; [unrolled: 1-line block ×9, first 2 shown]
                                        ;         Child Loop BB24_1201 Depth 4
                                        ;       Child Loop BB24_1209 Depth 3
                                        ;       Child Loop BB24_1277 Depth 3
                                        ;         Child Loop BB24_1282 Depth 4
                                        ;       Child Loop BB24_1546 Depth 3
                                        ;       Child Loop BB24_1569 Depth 3
	s_and_saveexec_b64 s[24:25], s[0:1]
	s_cbranch_execz .LBB24_957
; %bb.956:                              ;   in Loop: Header=BB24_955 Depth=2
	s_trap 2
	ds_read2_b64 v[8:11], v0 offset1:1
	ds_read_b64 v[4:5], v0
	v_ashrrev_i32_e32 v39, 31, v38
	v_lshlrev_b64 v[12:13], 1, v[38:39]
	s_waitcnt lgkmcnt(0)
	v_lshl_add_u64 v[8:9], v[8:9], 0, v[48:49]
	v_lshl_add_u64 v[8:9], v[8:9], 0, v[12:13]
	ds_write_b64 v0, v[8:9]
	v_lshl_add_u64 v[8:9], v[10:11], 0, v[48:49]
	v_lshl_add_u64 v[8:9], v[8:9], 0, v[12:13]
	ds_write_b64 v0, v[8:9]
	v_lshl_add_u64 v[8:9], v[4:5], 0, v[48:49]
	v_lshl_add_u64 v[8:9], v[8:9], 0, v[12:13]
	v_cmp_ne_u64_e32 vcc, 0, v[4:5]
	s_nop 1
	v_cndmask_b32_e32 v5, 0, v9, vcc
	v_cndmask_b32_e32 v4, 0, v8, vcc
	ds_write_b64 v0, v[4:5]
.LBB24_957:                             ;   in Loop: Header=BB24_955 Depth=2
	s_or_b64 exec, exec, s[24:25]
	v_sub_u32_e32 v2, v28, v38
	v_min_i32_e32 v36, v36, v2
	v_and_b32_e32 v2, 12, v122
	v_cmp_ne_u32_e32 vcc, 0, v2
	s_and_saveexec_b64 s[26:27], vcc
	s_cbranch_execz .LBB24_983
; %bb.958:                              ;   in Loop: Header=BB24_955 Depth=2
	v_and_b32_e32 v2, 8, v122
	s_waitcnt vmcnt(0) lgkmcnt(0)
	v_lshl_add_u64 v[4:5], v[80:81], 0, v[2:3]
	v_lshl_add_u64 v[8:9], v[76:77], 0, 2
	v_cmp_lt_u64_e32 vcc, v[4:5], v[8:9]
	s_and_saveexec_b64 s[28:29], vcc
	s_cbranch_execz .LBB24_970
; %bb.959:                              ;   in Loop: Header=BB24_955 Depth=2
	v_and_b32_e32 v4, 64, v122
	s_mov_b32 s74, 0
	v_cmp_eq_u32_e32 vcc, 0, v4
	s_mov_b64 s[40:41], 0
                                        ; implicit-def: $sgpr42_sgpr43
                                        ; implicit-def: $sgpr44_sgpr45
                                        ; implicit-def: $sgpr46_sgpr47
	s_branch .LBB24_963
.LBB24_960:                             ;   in Loop: Header=BB24_963 Depth=3
	s_waitcnt vmcnt(0) lgkmcnt(0)
	v_lshl_add_u64 v[10:11], v[80:81], 0, v[2:3]
	v_cmp_ge_u64_e64 s[24:25], v[10:11], v[8:9]
	s_or_b64 s[60:61], s[60:61], exec
	s_orn2_b64 s[58:59], s[24:25], exec
.LBB24_961:                             ;   in Loop: Header=BB24_963 Depth=3
	s_or_b64 exec, exec, s[66:67]
	s_andn2_b64 s[24:25], s[46:47], exec
	s_and_b64 s[46:47], s[60:61], exec
	s_or_b64 s[46:47], s[24:25], s[46:47]
	s_andn2_b64 s[24:25], s[44:45], exec
	s_and_b64 s[44:45], s[58:59], exec
	s_or_b64 s[44:45], s[24:25], s[44:45]
.LBB24_962:                             ;   in Loop: Header=BB24_963 Depth=3
	s_or_b64 exec, exec, s[56:57]
	s_and_b64 s[24:25], exec, s[44:45]
	s_or_b64 s[40:41], s[24:25], s[40:41]
	s_andn2_b64 s[24:25], s[42:43], exec
	s_and_b64 s[42:43], s[46:47], exec
	s_or_b64 s[42:43], s[24:25], s[42:43]
	s_andn2_b64 exec, exec, s[40:41]
	s_cbranch_execz .LBB24_967
.LBB24_963:                             ;   Parent Loop BB24_47 Depth=1
                                        ;     Parent Loop BB24_955 Depth=2
                                        ; =>    This Inner Loop Header: Depth=3
	s_sleep 1
	s_waitcnt vmcnt(0) lgkmcnt(0)
	flat_load_dwordx2 v[80:81], v[64:65] sc0 sc1
	s_or_b64 s[46:47], s[46:47], exec
	s_or_b64 s[44:45], s[44:45], exec
                                        ; implicit-def: $vgpr4
	s_and_saveexec_b64 s[56:57], vcc
	s_cbranch_execz .LBB24_962
; %bb.964:                              ;   in Loop: Header=BB24_963 Depth=3
	s_cmpk_lt_i32 s74, 0x270f
	s_cselect_b64 s[64:65], -1, 0
	s_cmpk_gt_i32 s74, 0x270e
	s_mov_b64 s[58:59], -1
	s_cbranch_scc0 .LBB24_966
; %bb.965:                              ;   in Loop: Header=BB24_963 Depth=3
	s_trap 2
	ds_read_b64 v[4:5], v0
	s_andn2_b64 s[64:65], s[64:65], exec
	s_mov_b32 s74, 0
	s_mov_b64 s[60:61], 0
	s_waitcnt vmcnt(0) lgkmcnt(0)
	flat_load_dword v4, v[4:5] sc0 sc1
	s_waitcnt vmcnt(0) lgkmcnt(0)
	buffer_inv sc0 sc1
	v_cmp_eq_u32_e64 s[24:25], 0, v4
	s_and_b64 s[24:25], s[24:25], exec
	s_or_b64 s[64:65], s[64:65], s[24:25]
	s_and_saveexec_b64 s[66:67], s[64:65]
	s_cbranch_execz .LBB24_961
	s_branch .LBB24_960
.LBB24_966:                             ;   in Loop: Header=BB24_963 Depth=3
	s_add_i32 s74, s74, 1
	s_mov_b64 s[60:61], -1
                                        ; implicit-def: $vgpr4
	s_and_saveexec_b64 s[66:67], s[64:65]
	s_cbranch_execz .LBB24_961
	s_branch .LBB24_960
.LBB24_967:                             ;   in Loop: Header=BB24_955 Depth=2
	s_or_b64 exec, exec, s[40:41]
	s_xor_b64 s[24:25], s[42:43], -1
	s_and_saveexec_b64 s[40:41], s[24:25]
	s_xor_b64 s[24:25], exec, s[40:41]
	s_cbranch_execz .LBB24_969
; %bb.968:                              ;   in Loop: Header=BB24_955 Depth=2
	v_or_b32_e32 v122, 64, v122
	s_waitcnt lgkmcnt(0)
	ds_write_b32 v0, v4
	s_trap 2
.LBB24_969:                             ;   in Loop: Header=BB24_955 Depth=2
	s_or_b64 exec, exec, s[24:25]
.LBB24_970:                             ;   in Loop: Header=BB24_955 Depth=2
	s_or_b64 exec, exec, s[28:29]
	v_and_b32_e32 v4, 0x108, v122
	v_cmp_ne_u32_e32 vcc, s72, v4
	v_and_b32_e32 v10, 7, v76
	;;#ASMSTART
	s_wakeup
	;;#ASMEND
	s_and_saveexec_b64 s[24:25], vcc
	s_xor_b64 s[24:25], exec, s[24:25]
                                        ; implicit-def: $vgpr11
; %bb.971:                              ;   in Loop: Header=BB24_955 Depth=2
	v_mov_b32_e32 v11, v3
; %bb.972:                              ;   in Loop: Header=BB24_955 Depth=2
	s_andn2_saveexec_b64 s[24:25], s[24:25]
	s_cbranch_execz .LBB24_974
; %bb.973:                              ;   in Loop: Header=BB24_955 Depth=2
	v_ashrrev_i32_e32 v37, 31, v36
	v_mov_b32_e32 v11, v3
	v_mad_u64_u32 v[4:5], s[28:29], v10, 24, v[6:7]
	v_lshlrev_b64 v[12:13], 1, v[36:37]
	flat_store_dwordx2 v[4:5], v[12:13] offset:8
.LBB24_974:                             ;   in Loop: Header=BB24_955 Depth=2
	s_or_b64 exec, exec, s[24:25]
	v_and_b32_e32 v4, 0x100, v122
	v_cmp_ne_u32_e32 vcc, 0, v4
	s_mov_b64 s[24:25], -1
                                        ; implicit-def: $vgpr12_vgpr13
	s_and_saveexec_b64 s[28:29], vcc
	s_cbranch_execz .LBB24_978
; %bb.975:                              ;   in Loop: Header=BB24_955 Depth=2
	v_mad_u64_u32 v[14:15], s[24:25], v10, 24, v[6:7]
	v_mov_b32_e32 v4, v15
	v_mad_u64_u32 v[4:5], s[24:25], v11, 24, v[4:5]
	v_mov_b32_e32 v15, v4
	flat_load_dword v4, v[14:15]
                                        ; implicit-def: $vgpr12_vgpr13
	s_waitcnt vmcnt(0) lgkmcnt(0)
	v_cmp_ne_u32_e32 vcc, 1, v4
	v_cmp_eq_u32_e64 s[24:25], 1, v4
	s_and_saveexec_b64 s[40:41], s[24:25]
	s_cbranch_execz .LBB24_977
; %bb.976:                              ;   in Loop: Header=BB24_955 Depth=2
	flat_load_dword v4, v[14:15] offset:4 sc0 sc1
	s_waitcnt vmcnt(0) lgkmcnt(0)
	v_ashrrev_i32_e32 v5, 31, v4
	v_lshrrev_b64 v[12:13], 1, v[4:5]
.LBB24_977:                             ;   in Loop: Header=BB24_955 Depth=2
	s_or_b64 exec, exec, s[40:41]
	s_orn2_b64 s[24:25], vcc, exec
.LBB24_978:                             ;   in Loop: Header=BB24_955 Depth=2
	s_or_b64 exec, exec, s[28:29]
	s_and_saveexec_b64 s[28:29], s[24:25]
; %bb.979:                              ;   in Loop: Header=BB24_955 Depth=2
	v_mul_lo_u32 v4, v11, v30
	v_mul_lo_u32 v5, v10, v1
	v_mad_u64_u32 v[12:13], s[24:25], v10, v30, 0
	v_add3_u32 v13, v13, v5, v4
; %bb.980:                              ;   in Loop: Header=BB24_955 Depth=2
	s_or_b64 exec, exec, s[28:29]
	v_cmp_eq_u32_e32 vcc, 0, v2
	v_lshl_add_u64 v[4:5], v[12:13], 1, v[66:67]
	s_nop 0
	v_cndmask_b32_e32 v2, v54, v124, vcc
	v_add_u32_e32 v2, v0, v2
	ds_write_b64 v2, v[4:5] offset:584
	v_and_b32_e32 v2, 0x2000, v122
	v_cmp_ne_u32_e32 vcc, 0, v2
	s_and_saveexec_b64 s[24:25], vcc
	s_cbranch_execz .LBB24_982
; %bb.981:                              ;   in Loop: Header=BB24_955 Depth=2
	ds_read_b64 v[4:5], v0 offset:872
	s_waitcnt lgkmcnt(0)
	v_lshl_add_u64 v[4:5], v[4:5], 0, 1
	ds_write_b64 v0, v[4:5] offset:872
.LBB24_982:                             ;   in Loop: Header=BB24_955 Depth=2
	s_or_b64 exec, exec, s[24:25]
	v_mov_b64_e32 v[76:77], v[8:9]
.LBB24_983:                             ;   in Loop: Header=BB24_955 Depth=2
	s_or_b64 exec, exec, s[26:27]
	s_and_saveexec_b64 s[24:25], s[4:5]
	s_cbranch_execz .LBB24_1002
; %bb.984:                              ;   in Loop: Header=BB24_955 Depth=2
	s_and_saveexec_b64 s[26:27], s[76:77]
	s_xor_b64 s[26:27], exec, s[26:27]
	s_cbranch_execz .LBB24_999
; %bb.985:                              ;   in Loop: Header=BB24_955 Depth=2
	s_and_saveexec_b64 s[28:29], s[12:13]
	s_cbranch_execz .LBB24_998
; %bb.986:                              ;   in Loop: Header=BB24_955 Depth=2
	s_mov_b64 s[42:43], exec
	v_mbcnt_lo_u32_b32 v2, s42, 0
	v_mbcnt_hi_u32_b32 v2, s43, v2
	v_cmp_eq_u32_e32 vcc, 0, v2
	s_waitcnt lgkmcnt(0)
	s_and_saveexec_b64 s[40:41], vcc
	s_cbranch_execz .LBB24_988
; %bb.987:                              ;   in Loop: Header=BB24_955 Depth=2
	s_bcnt1_i32_b64 s42, s[42:43]
	v_mov_b32_e32 v2, s42
	ds_add_u64 v0, v[2:3]
	s_trap 2
.LBB24_988:                             ;   in Loop: Header=BB24_955 Depth=2
	s_or_b64 exec, exec, s[40:41]
	s_trap 2
	ds_read_b64 v[4:5], v0
	s_waitcnt lgkmcnt(0)
	v_lshl_add_u64 v[70:71], v[70:71], 0, v[84:85]
	v_cmp_lt_u64_e32 vcc, v[4:5], v[70:71]
	s_and_saveexec_b64 s[40:41], vcc
	s_cbranch_execz .LBB24_997
; %bb.989:                              ;   in Loop: Header=BB24_955 Depth=2
	s_mov_b32 s74, 0
	s_mov_b64 s[42:43], 0
                                        ; implicit-def: $sgpr44_sgpr45
                                        ; implicit-def: $sgpr46_sgpr47
	s_branch .LBB24_991
.LBB24_990:                             ;   in Loop: Header=BB24_991 Depth=3
	s_or_b64 exec, exec, s[58:59]
	s_and_b64 s[56:57], exec, s[60:61]
	s_or_b64 s[42:43], s[56:57], s[42:43]
	s_andn2_b64 s[44:45], s[44:45], exec
	s_and_b64 s[56:57], s[46:47], exec
	s_or_b64 s[44:45], s[44:45], s[56:57]
	s_andn2_b64 exec, exec, s[42:43]
	s_cbranch_execz .LBB24_995
.LBB24_991:                             ;   Parent Loop BB24_47 Depth=1
                                        ;     Parent Loop BB24_955 Depth=2
                                        ; =>    This Inner Loop Header: Depth=3
	s_add_i32 s74, s74, 1
	s_cmpk_lg_i32 s74, 0x2710
	s_cselect_b64 s[56:57], -1, 0
	s_and_b64 vcc, exec, s[56:57]
	s_cbranch_vccz .LBB24_993
; %bb.992:                              ;   in Loop: Header=BB24_991 Depth=3
	s_mov_b64 s[60:61], -1
	s_or_b64 s[46:47], s[46:47], exec
	s_and_saveexec_b64 s[58:59], s[56:57]
	s_cbranch_execz .LBB24_990
	s_branch .LBB24_994
.LBB24_993:                             ;   in Loop: Header=BB24_991 Depth=3
	s_trap 2
	ds_read_b64 v[4:5], v0
	s_andn2_b64 s[56:57], s[56:57], exec
	s_mov_b32 s74, 0
	s_waitcnt vmcnt(0) lgkmcnt(0)
	flat_load_dword v2, v[4:5] sc0 sc1
	s_waitcnt vmcnt(0) lgkmcnt(0)
	buffer_inv sc0 sc1
	v_cmp_eq_u32_e32 vcc, 0, v2
	s_and_b64 s[58:59], vcc, exec
	s_or_b64 s[56:57], s[56:57], s[58:59]
	s_mov_b64 s[60:61], -1
	s_or_b64 s[46:47], s[46:47], exec
	s_and_saveexec_b64 s[58:59], s[56:57]
	s_cbranch_execz .LBB24_990
.LBB24_994:                             ;   in Loop: Header=BB24_991 Depth=3
	s_sleep 1
	s_trap 2
	ds_read_b64 v[4:5], v0
	s_waitcnt lgkmcnt(0)
	s_andn2_b64 s[46:47], s[46:47], exec
	v_cmp_ge_u64_e32 vcc, v[4:5], v[70:71]
	s_orn2_b64 s[60:61], vcc, exec
	s_branch .LBB24_990
.LBB24_995:                             ;   in Loop: Header=BB24_955 Depth=2
	s_or_b64 exec, exec, s[42:43]
	s_and_saveexec_b64 s[42:43], s[44:45]
	s_xor_b64 s[42:43], exec, s[42:43]
	s_cbranch_execz .LBB24_997
; %bb.996:                              ;   in Loop: Header=BB24_955 Depth=2
	ds_write_b32 v0, v52
	s_trap 2
.LBB24_997:                             ;   in Loop: Header=BB24_955 Depth=2
	s_or_b64 exec, exec, s[40:41]
	;;#ASMSTART
	s_wakeup
	;;#ASMEND
.LBB24_998:                             ;   in Loop: Header=BB24_955 Depth=2
	s_or_b64 exec, exec, s[28:29]
.LBB24_999:                             ;   in Loop: Header=BB24_955 Depth=2
	s_andn2_saveexec_b64 s[26:27], s[26:27]
	s_cbranch_execz .LBB24_1001
; %bb.1000:                             ;   in Loop: Header=BB24_955 Depth=2
	s_waitcnt lgkmcnt(0)
	s_barrier
.LBB24_1001:                            ;   in Loop: Header=BB24_955 Depth=2
	s_or_b64 exec, exec, s[26:27]
.LBB24_1002:                            ;   in Loop: Header=BB24_955 Depth=2
	s_or_b64 exec, exec, s[24:25]
	s_trap 2
	ds_read_b32 v4, v0
	v_and_b32_e32 v2, 0x4000, v122
	v_cmp_ne_u32_e32 vcc, 0, v2
	s_xor_b64 s[24:25], s[2:3], -1
	s_and_b64 s[26:27], s[24:25], vcc
	s_and_saveexec_b64 s[24:25], s[26:27]
	s_cbranch_execz .LBB24_1021
; %bb.1003:                             ;   in Loop: Header=BB24_955 Depth=2
	s_and_saveexec_b64 s[26:27], s[76:77]
	s_xor_b64 s[26:27], exec, s[26:27]
	s_cbranch_execz .LBB24_1018
; %bb.1004:                             ;   in Loop: Header=BB24_955 Depth=2
	s_and_saveexec_b64 s[28:29], s[12:13]
	s_cbranch_execz .LBB24_1017
; %bb.1005:                             ;   in Loop: Header=BB24_955 Depth=2
	s_mov_b64 s[42:43], exec
	v_mbcnt_lo_u32_b32 v2, s42, 0
	v_mbcnt_hi_u32_b32 v2, s43, v2
	v_cmp_eq_u32_e32 vcc, 0, v2
	s_waitcnt lgkmcnt(0)
	s_and_saveexec_b64 s[40:41], vcc
	s_cbranch_execz .LBB24_1007
; %bb.1006:                             ;   in Loop: Header=BB24_955 Depth=2
	s_bcnt1_i32_b64 s42, s[42:43]
	v_mov_b32_e32 v2, s42
	ds_add_u64 v0, v[2:3]
	s_trap 2
.LBB24_1007:                            ;   in Loop: Header=BB24_955 Depth=2
	s_or_b64 exec, exec, s[40:41]
	s_trap 2
	ds_read_b64 v[8:9], v0
	s_waitcnt lgkmcnt(0)
	v_lshl_add_u64 v[70:71], v[70:71], 0, v[84:85]
	v_cmp_lt_u64_e32 vcc, v[8:9], v[70:71]
	s_and_saveexec_b64 s[40:41], vcc
	s_cbranch_execz .LBB24_1016
; %bb.1008:                             ;   in Loop: Header=BB24_955 Depth=2
	s_mov_b32 s74, 0
	s_mov_b64 s[42:43], 0
                                        ; implicit-def: $sgpr44_sgpr45
                                        ; implicit-def: $sgpr46_sgpr47
	s_branch .LBB24_1010
.LBB24_1009:                            ;   in Loop: Header=BB24_1010 Depth=3
	s_or_b64 exec, exec, s[58:59]
	s_and_b64 s[56:57], exec, s[60:61]
	s_or_b64 s[42:43], s[56:57], s[42:43]
	s_andn2_b64 s[44:45], s[44:45], exec
	s_and_b64 s[56:57], s[46:47], exec
	s_or_b64 s[44:45], s[44:45], s[56:57]
	s_andn2_b64 exec, exec, s[42:43]
	s_cbranch_execz .LBB24_1014
.LBB24_1010:                            ;   Parent Loop BB24_47 Depth=1
                                        ;     Parent Loop BB24_955 Depth=2
                                        ; =>    This Inner Loop Header: Depth=3
	s_add_i32 s74, s74, 1
	s_cmpk_lg_i32 s74, 0x2710
	s_cselect_b64 s[56:57], -1, 0
	s_and_b64 vcc, exec, s[56:57]
	s_cbranch_vccz .LBB24_1012
; %bb.1011:                             ;   in Loop: Header=BB24_1010 Depth=3
	s_mov_b64 s[60:61], -1
	s_or_b64 s[46:47], s[46:47], exec
	s_and_saveexec_b64 s[58:59], s[56:57]
	s_cbranch_execz .LBB24_1009
	s_branch .LBB24_1013
.LBB24_1012:                            ;   in Loop: Header=BB24_1010 Depth=3
	s_trap 2
	ds_read_b64 v[8:9], v0
	s_andn2_b64 s[56:57], s[56:57], exec
	s_mov_b32 s74, 0
	s_waitcnt vmcnt(0) lgkmcnt(0)
	flat_load_dword v2, v[8:9] sc0 sc1
	s_waitcnt vmcnt(0) lgkmcnt(0)
	buffer_inv sc0 sc1
	v_cmp_eq_u32_e32 vcc, 0, v2
	s_and_b64 s[58:59], vcc, exec
	s_or_b64 s[56:57], s[56:57], s[58:59]
	s_mov_b64 s[60:61], -1
	s_or_b64 s[46:47], s[46:47], exec
	s_and_saveexec_b64 s[58:59], s[56:57]
	s_cbranch_execz .LBB24_1009
.LBB24_1013:                            ;   in Loop: Header=BB24_1010 Depth=3
	s_sleep 1
	s_trap 2
	ds_read_b64 v[8:9], v0
	s_waitcnt lgkmcnt(0)
	s_andn2_b64 s[46:47], s[46:47], exec
	v_cmp_ge_u64_e32 vcc, v[8:9], v[70:71]
	s_orn2_b64 s[60:61], vcc, exec
	s_branch .LBB24_1009
.LBB24_1014:                            ;   in Loop: Header=BB24_955 Depth=2
	s_or_b64 exec, exec, s[42:43]
	s_and_saveexec_b64 s[42:43], s[44:45]
	s_xor_b64 s[42:43], exec, s[42:43]
	s_cbranch_execz .LBB24_1016
; %bb.1015:                             ;   in Loop: Header=BB24_955 Depth=2
	ds_write_b32 v0, v52
	s_trap 2
.LBB24_1016:                            ;   in Loop: Header=BB24_955 Depth=2
	s_or_b64 exec, exec, s[40:41]
	;;#ASMSTART
	s_wakeup
	;;#ASMEND
.LBB24_1017:                            ;   in Loop: Header=BB24_955 Depth=2
	s_or_b64 exec, exec, s[28:29]
.LBB24_1018:                            ;   in Loop: Header=BB24_955 Depth=2
	s_andn2_saveexec_b64 s[26:27], s[26:27]
	s_cbranch_execz .LBB24_1020
; %bb.1019:                             ;   in Loop: Header=BB24_955 Depth=2
	s_waitcnt lgkmcnt(0)
	s_barrier
.LBB24_1020:                            ;   in Loop: Header=BB24_955 Depth=2
	s_or_b64 exec, exec, s[26:27]
.LBB24_1021:                            ;   in Loop: Header=BB24_955 Depth=2
	s_or_b64 exec, exec, s[24:25]
	s_trap 2
	ds_read_b64 v[90:91], v0
	s_waitcnt lgkmcnt(0)
	v_cmp_eq_u64_e32 vcc, 0, v[90:91]
	s_cbranch_vccnz .LBB24_1030
; %bb.1022:                             ;   in Loop: Header=BB24_955 Depth=2
	s_trap 2
	ds_read_b64 v[50:51], v0
	s_waitcnt lgkmcnt(0)
	v_cmp_eq_u64_e32 vcc, 0, v[50:51]
	s_cbranch_vccnz .LBB24_1030
; %bb.1023:                             ;   in Loop: Header=BB24_955 Depth=2
	s_trap 2
	ds_read_b64 v[92:93], v0
	v_cmp_eq_u32_e32 vcc, 0, v4
	s_waitcnt lgkmcnt(0)
	v_readfirstlane_b32 s31, v92
	v_cndmask_b32_e32 v29, 0, v36, vcc
	v_cmp_ne_u64_e32 vcc, 0, v[92:93]
	s_cbranch_vccz .LBB24_1031
; %bb.1024:                             ;   in Loop: Header=BB24_955 Depth=2
	s_trap 2
	ds_read_b64 v[94:95], v0
	s_mov_b64 s[26:27], -1
	s_and_saveexec_b64 s[24:25], s[18:19]
	s_cbranch_execz .LBB24_1026
; %bb.1025:                             ;   in Loop: Header=BB24_955 Depth=2
	ds_read_b32 v2, v0 offset:720
	s_waitcnt lgkmcnt(0)
	v_and_b32_e32 v2, 15, v2
	v_cmp_eq_u32_e32 vcc, 0, v2
	s_orn2_b64 s[26:27], vcc, exec
.LBB24_1026:                            ;   in Loop: Header=BB24_955 Depth=2
	s_or_b64 exec, exec, s[24:25]
	s_and_saveexec_b64 s[24:25], s[18:19]
	s_cbranch_execz .LBB24_1028
; %bb.1027:                             ;   in Loop: Header=BB24_955 Depth=2
	ds_read_b32 v2, v0 offset:784
	s_waitcnt lgkmcnt(0)
	v_and_b32_e32 v2, 15, v2
	v_cmp_eq_u32_e32 vcc, 0, v2
	s_and_b64 s[28:29], s[26:27], vcc
	s_andn2_b64 s[26:27], s[26:27], exec
	s_and_b64 s[28:29], s[28:29], exec
	s_or_b64 s[26:27], s[26:27], s[28:29]
.LBB24_1028:                            ;   in Loop: Header=BB24_955 Depth=2
	s_or_b64 exec, exec, s[24:25]
	s_xor_b64 s[26:27], s[26:27], -1
	v_cndmask_b32_e64 v2, 0, 1, s[26:27]
	v_lshlrev_b32_e32 v37, 1, v29
	s_mov_b64 s[24:25], -1
	v_mov_b32_e32 v18, 0
	v_cmp_ne_u32_e32 vcc, 0, v2
	s_cbranch_vccz .LBB24_1033
; %bb.1029:                             ;   in Loop: Header=BB24_955 Depth=2
	v_mov_b32_e32 v19, v0
	s_and_saveexec_b64 s[40:41], s[24:25]
	s_cbranch_execnz .LBB24_1206
	s_branch .LBB24_1284
.LBB24_1030:                            ;   in Loop: Header=BB24_955 Depth=2
	s_mov_b64 s[24:25], 0
	s_and_saveexec_b64 s[26:27], s[4:5]
	s_cbranch_execz .LBB24_1557
	s_branch .LBB24_1539
.LBB24_1031:                            ;   in Loop: Header=BB24_955 Depth=2
	s_cbranch_execnz .LBB24_1285
.LBB24_1032:                            ;   in Loop: Header=BB24_955 Depth=2
	v_cmp_lt_i32_e64 s[24:25], 0, v29
	s_and_saveexec_b64 s[26:27], s[4:5]
	s_cbranch_execnz .LBB24_1539
	s_branch .LBB24_1557
.LBB24_1033:                            ;   in Loop: Header=BB24_955 Depth=2
	v_ashrrev_i32_e32 v2, 31, v37
	v_lshrrev_b32_e32 v2, 21, v2
	v_add_u32_e32 v2, v37, v2
	v_ashrrev_i32_e32 v39, 11, v2
	v_sub_u32_e32 v2, v39, v31
	v_cmp_lt_i32_e32 vcc, 0, v2
	s_and_saveexec_b64 s[26:27], vcc
	s_cbranch_execz .LBB24_1165
; %bb.1034:                             ;   in Loop: Header=BB24_955 Depth=2
	s_trap 2
	ds_read_b64 v[4:5], v0
	s_and_b32 s74, s31, 1
	s_cmp_eq_u64 s[74:75], 0
	s_waitcnt lgkmcnt(0)
	v_lshl_add_u64 v[104:105], v[94:95], 0, v[102:103]
	v_lshl_add_u64 v[106:107], v[50:51], 0, v[102:103]
	;; [unrolled: 1-line block ×5, first 2 shown]
	s_mov_b64 s[28:29], 0
	s_cselect_b64 vcc, -1, 0
	s_branch .LBB24_1036
.LBB24_1035:                            ;   in Loop: Header=BB24_1036 Depth=3
	s_or_b64 exec, exec, s[40:41]
	v_or_b32_sdwa v98, v4, v25 dst_sel:DWORD dst_unused:UNUSED_PAD src0_sel:DWORD src1_sel:WORD_1
	v_lshrrev_b32_e32 v4, 16, v20
	v_or_b32_sdwa v97, v13, v24 dst_sel:DWORD dst_unused:UNUSED_PAD src0_sel:DWORD src1_sel:WORD_1
	v_and_or_b32 v13, v21, s63, v4
	v_lshrrev_b32_e32 v4, 16, v14
	v_or_b32_sdwa v96, v12, v86 dst_sel:DWORD dst_unused:UNUSED_PAD src0_sel:DWORD src1_sel:WORD_1
	v_and_or_b32 v12, v15, s63, v4
	v_lshrrev_b32_e32 v4, 16, v23
	v_and_or_b32 v14, v22, s63, v4
	v_lshrrev_b32_e32 v4, 16, v32
	v_sub_u32_e32 v2, v2, v84
	v_and_or_b32 v15, v19, s63, v4
	v_cmp_gt_i32_e64 s[24:25], 1, v2
	v_or_b32_sdwa v9, v9, v16 dst_sel:DWORD dst_unused:UNUSED_PAD src0_sel:DWORD src1_sel:WORD_1
	v_or_b32_sdwa v8, v8, v27 dst_sel:DWORD dst_unused:UNUSED_PAD src0_sel:DWORD src1_sel:WORD_1
	v_or_b32_sdwa v10, v10, v17 dst_sel:DWORD dst_unused:UNUSED_PAD src0_sel:DWORD src1_sel:WORD_1
	v_or_b32_sdwa v11, v11, v18 dst_sel:DWORD dst_unused:UNUSED_PAD src0_sel:DWORD src1_sel:WORD_1
	v_or_b32_sdwa v99, v5, v26 dst_sel:DWORD dst_unused:UNUSED_PAD src0_sel:DWORD src1_sel:WORD_1
	global_store_dwordx4 v[106:107], v[12:15], off offset:1024
	global_store_dwordx4 v[108:109], v[96:99], off
	global_store_dwordx4 v[108:109], v[8:11], off offset:1024
	v_lshl_add_u64 v[110:111], v[110:111], 0, v[112:113]
	v_lshl_add_u64 v[120:121], v[120:121], 0, v[112:113]
	;; [unrolled: 1-line block ×4, first 2 shown]
	s_or_b64 s[28:29], s[24:25], s[28:29]
	v_lshl_add_u64 v[104:105], v[104:105], 0, v[112:113]
	s_andn2_b64 exec, exec, s[28:29]
	s_cbranch_execz .LBB24_1164
.LBB24_1036:                            ;   Parent Loop BB24_47 Depth=1
                                        ;     Parent Loop BB24_955 Depth=2
                                        ; =>    This Inner Loop Header: Depth=3
	global_load_dwordx4 v[24:27], v[110:111], off nt
	global_load_dwordx4 v[32:35], v[120:121], off nt
	global_load_dwordx4 v[16:19], v[110:111], off offset:1024 nt
	global_load_dwordx4 v[12:15], v[104:105], off nt
	global_load_dwordx4 v[8:11], v[104:105], off offset:1024 nt
	global_load_dwordx4 v[20:23], v[120:121], off offset:1024 nt
	s_waitcnt vmcnt(0)
	v_lshlrev_b32_e32 v4, 16, v24
	v_lshlrev_b32_e32 v5, 16, v32
	v_max_f32_e32 v5, v5, v5
	v_max_f32_e32 v4, v4, v4
	v_min_f32_e32 v86, v4, v5
	v_max_f32_e32 v4, v4, v5
	v_cndmask_b32_e32 v4, v4, v86, vcc
	v_and_b32_e32 v5, 0x7f800000, v4
	v_cmp_ne_u32_e64 s[24:25], s73, v5
                                        ; implicit-def: $vgpr86
	s_and_saveexec_b64 s[40:41], s[24:25]
	s_xor_b64 s[24:25], exec, s[40:41]
; %bb.1037:                             ;   in Loop: Header=BB24_1036 Depth=3
	v_bfe_u32 v5, v4, 16, 1
	v_add3_u32 v86, v4, v5, s62
                                        ; implicit-def: $vgpr4
; %bb.1038:                             ;   in Loop: Header=BB24_1036 Depth=3
	s_andn2_saveexec_b64 s[40:41], s[24:25]
; %bb.1039:                             ;   in Loop: Header=BB24_1036 Depth=3
	v_or_b32_e32 v5, 0x10000, v4
	v_cmp_eq_u32_sdwa s[24:25], v4, v3 src0_sel:WORD_0 src1_sel:DWORD
	s_nop 1
	v_cndmask_b32_e64 v86, v5, v4, s[24:25]
; %bb.1040:                             ;   in Loop: Header=BB24_1036 Depth=3
	s_or_b64 exec, exec, s[40:41]
	v_and_b32_e32 v4, 0xffff0000, v24
	v_and_b32_e32 v5, 0xffff0000, v32
	v_max_f32_e32 v5, v5, v5
	v_max_f32_e32 v4, v4, v4
	v_min_f32_e32 v24, v4, v5
	v_max_f32_e32 v4, v4, v5
	v_cndmask_b32_e32 v4, v4, v24, vcc
	v_and_b32_e32 v5, 0x7f800000, v4
	v_cmp_ne_u32_e64 s[24:25], s73, v5
                                        ; implicit-def: $vgpr32
	s_and_saveexec_b64 s[40:41], s[24:25]
	s_xor_b64 s[24:25], exec, s[40:41]
; %bb.1041:                             ;   in Loop: Header=BB24_1036 Depth=3
	v_bfe_u32 v5, v4, 16, 1
	v_add3_u32 v32, v4, v5, s62
                                        ; implicit-def: $vgpr4
; %bb.1042:                             ;   in Loop: Header=BB24_1036 Depth=3
	s_andn2_saveexec_b64 s[40:41], s[24:25]
; %bb.1043:                             ;   in Loop: Header=BB24_1036 Depth=3
	v_or_b32_e32 v5, 0x10000, v4
	v_cmp_eq_u32_sdwa s[24:25], v4, v3 src0_sel:WORD_0 src1_sel:DWORD
	s_nop 1
	v_cndmask_b32_e64 v32, v5, v4, s[24:25]
; %bb.1044:                             ;   in Loop: Header=BB24_1036 Depth=3
	s_or_b64 exec, exec, s[40:41]
	v_lshlrev_b32_e32 v4, 16, v25
	v_lshlrev_b32_e32 v5, 16, v33
	v_max_f32_e32 v5, v5, v5
	v_max_f32_e32 v4, v4, v4
	v_min_f32_e32 v24, v4, v5
	v_max_f32_e32 v4, v4, v5
	v_cndmask_b32_e32 v4, v4, v24, vcc
	v_and_b32_e32 v5, 0x7f800000, v4
	v_cmp_ne_u32_e64 s[24:25], s73, v5
                                        ; implicit-def: $vgpr24
	s_and_saveexec_b64 s[40:41], s[24:25]
	s_xor_b64 s[24:25], exec, s[40:41]
; %bb.1045:                             ;   in Loop: Header=BB24_1036 Depth=3
	v_bfe_u32 v5, v4, 16, 1
	v_add3_u32 v24, v4, v5, s62
                                        ; implicit-def: $vgpr4
; %bb.1046:                             ;   in Loop: Header=BB24_1036 Depth=3
	s_andn2_saveexec_b64 s[40:41], s[24:25]
; %bb.1047:                             ;   in Loop: Header=BB24_1036 Depth=3
	v_or_b32_e32 v5, 0x10000, v4
	v_cmp_eq_u32_sdwa s[24:25], v4, v3 src0_sel:WORD_0 src1_sel:DWORD
	s_nop 1
	v_cndmask_b32_e64 v24, v5, v4, s[24:25]
; %bb.1048:                             ;   in Loop: Header=BB24_1036 Depth=3
	s_or_b64 exec, exec, s[40:41]
	v_and_b32_e32 v4, 0xffff0000, v25
	v_and_b32_e32 v5, 0xffff0000, v33
	v_max_f32_e32 v5, v5, v5
	v_max_f32_e32 v4, v4, v4
	v_min_f32_e32 v25, v4, v5
	v_max_f32_e32 v4, v4, v5
	v_cndmask_b32_e32 v4, v4, v25, vcc
	v_and_b32_e32 v5, 0x7f800000, v4
	v_cmp_ne_u32_e64 s[24:25], s73, v5
                                        ; implicit-def: $vgpr33
	s_and_saveexec_b64 s[40:41], s[24:25]
	s_xor_b64 s[24:25], exec, s[40:41]
; %bb.1049:                             ;   in Loop: Header=BB24_1036 Depth=3
	v_bfe_u32 v5, v4, 16, 1
	v_add3_u32 v33, v4, v5, s62
                                        ; implicit-def: $vgpr4
; %bb.1050:                             ;   in Loop: Header=BB24_1036 Depth=3
	s_andn2_saveexec_b64 s[40:41], s[24:25]
; %bb.1051:                             ;   in Loop: Header=BB24_1036 Depth=3
	v_or_b32_e32 v5, 0x10000, v4
	v_cmp_eq_u32_sdwa s[24:25], v4, v3 src0_sel:WORD_0 src1_sel:DWORD
	s_nop 1
	v_cndmask_b32_e64 v33, v5, v4, s[24:25]
; %bb.1052:                             ;   in Loop: Header=BB24_1036 Depth=3
	s_or_b64 exec, exec, s[40:41]
	v_lshlrev_b32_e32 v4, 16, v26
	v_lshlrev_b32_e32 v5, 16, v34
	v_max_f32_e32 v5, v5, v5
	v_max_f32_e32 v4, v4, v4
	v_min_f32_e32 v25, v4, v5
	v_max_f32_e32 v4, v4, v5
	v_cndmask_b32_e32 v4, v4, v25, vcc
	v_and_b32_e32 v5, 0x7f800000, v4
	v_cmp_ne_u32_e64 s[24:25], s73, v5
                                        ; implicit-def: $vgpr25
	s_and_saveexec_b64 s[40:41], s[24:25]
	s_xor_b64 s[24:25], exec, s[40:41]
; %bb.1053:                             ;   in Loop: Header=BB24_1036 Depth=3
	v_bfe_u32 v5, v4, 16, 1
	v_add3_u32 v25, v4, v5, s62
                                        ; implicit-def: $vgpr4
; %bb.1054:                             ;   in Loop: Header=BB24_1036 Depth=3
	s_andn2_saveexec_b64 s[40:41], s[24:25]
; %bb.1055:                             ;   in Loop: Header=BB24_1036 Depth=3
	v_or_b32_e32 v5, 0x10000, v4
	v_cmp_eq_u32_sdwa s[24:25], v4, v3 src0_sel:WORD_0 src1_sel:DWORD
	s_nop 1
	v_cndmask_b32_e64 v25, v5, v4, s[24:25]
; %bb.1056:                             ;   in Loop: Header=BB24_1036 Depth=3
	s_or_b64 exec, exec, s[40:41]
	v_and_b32_e32 v4, 0xffff0000, v26
	v_and_b32_e32 v5, 0xffff0000, v34
	v_max_f32_e32 v5, v5, v5
	v_max_f32_e32 v4, v4, v4
	v_min_f32_e32 v26, v4, v5
	v_max_f32_e32 v4, v4, v5
	v_cndmask_b32_e32 v4, v4, v26, vcc
	v_and_b32_e32 v5, 0x7f800000, v4
	v_cmp_ne_u32_e64 s[24:25], s73, v5
                                        ; implicit-def: $vgpr34
	s_and_saveexec_b64 s[40:41], s[24:25]
	s_xor_b64 s[24:25], exec, s[40:41]
; %bb.1057:                             ;   in Loop: Header=BB24_1036 Depth=3
	v_bfe_u32 v5, v4, 16, 1
	v_add3_u32 v34, v4, v5, s62
                                        ; implicit-def: $vgpr4
; %bb.1058:                             ;   in Loop: Header=BB24_1036 Depth=3
	s_andn2_saveexec_b64 s[40:41], s[24:25]
; %bb.1059:                             ;   in Loop: Header=BB24_1036 Depth=3
	v_or_b32_e32 v5, 0x10000, v4
	v_cmp_eq_u32_sdwa s[24:25], v4, v3 src0_sel:WORD_0 src1_sel:DWORD
	s_nop 1
	v_cndmask_b32_e64 v34, v5, v4, s[24:25]
; %bb.1060:                             ;   in Loop: Header=BB24_1036 Depth=3
	s_or_b64 exec, exec, s[40:41]
	v_lshlrev_b32_e32 v4, 16, v27
	v_lshlrev_b32_e32 v5, 16, v35
	v_max_f32_e32 v5, v5, v5
	v_max_f32_e32 v4, v4, v4
	v_min_f32_e32 v26, v4, v5
	v_max_f32_e32 v4, v4, v5
	v_cndmask_b32_e32 v4, v4, v26, vcc
	v_and_b32_e32 v5, 0x7f800000, v4
	v_cmp_ne_u32_e64 s[24:25], s73, v5
                                        ; implicit-def: $vgpr26
	s_and_saveexec_b64 s[40:41], s[24:25]
	s_xor_b64 s[24:25], exec, s[40:41]
; %bb.1061:                             ;   in Loop: Header=BB24_1036 Depth=3
	v_bfe_u32 v5, v4, 16, 1
	v_add3_u32 v26, v4, v5, s62
                                        ; implicit-def: $vgpr4
; %bb.1062:                             ;   in Loop: Header=BB24_1036 Depth=3
	s_andn2_saveexec_b64 s[40:41], s[24:25]
; %bb.1063:                             ;   in Loop: Header=BB24_1036 Depth=3
	v_or_b32_e32 v5, 0x10000, v4
	v_cmp_eq_u32_sdwa s[24:25], v4, v3 src0_sel:WORD_0 src1_sel:DWORD
	s_nop 1
	v_cndmask_b32_e64 v26, v5, v4, s[24:25]
; %bb.1064:                             ;   in Loop: Header=BB24_1036 Depth=3
	s_or_b64 exec, exec, s[40:41]
	v_and_b32_e32 v4, 0xffff0000, v27
	v_and_b32_e32 v5, 0xffff0000, v35
	v_max_f32_e32 v5, v5, v5
	v_max_f32_e32 v4, v4, v4
	v_min_f32_e32 v27, v4, v5
	v_max_f32_e32 v4, v4, v5
	v_cndmask_b32_e32 v4, v4, v27, vcc
	v_and_b32_e32 v5, 0x7f800000, v4
	v_cmp_ne_u32_e64 s[24:25], s73, v5
                                        ; implicit-def: $vgpr35
	s_and_saveexec_b64 s[40:41], s[24:25]
	s_xor_b64 s[24:25], exec, s[40:41]
; %bb.1065:                             ;   in Loop: Header=BB24_1036 Depth=3
	v_bfe_u32 v5, v4, 16, 1
	v_add3_u32 v35, v4, v5, s62
                                        ; implicit-def: $vgpr4
; %bb.1066:                             ;   in Loop: Header=BB24_1036 Depth=3
	s_andn2_saveexec_b64 s[40:41], s[24:25]
; %bb.1067:                             ;   in Loop: Header=BB24_1036 Depth=3
	v_or_b32_e32 v5, 0x10000, v4
	v_cmp_eq_u32_sdwa s[24:25], v4, v3 src0_sel:WORD_0 src1_sel:DWORD
	s_nop 1
	v_cndmask_b32_e64 v35, v5, v4, s[24:25]
; %bb.1068:                             ;   in Loop: Header=BB24_1036 Depth=3
	s_or_b64 exec, exec, s[40:41]
	v_lshlrev_b32_e32 v4, 16, v16
	v_lshlrev_b32_e32 v5, 16, v20
	v_max_f32_e32 v5, v5, v5
	v_max_f32_e32 v4, v4, v4
	v_min_f32_e32 v27, v4, v5
	v_max_f32_e32 v4, v4, v5
	v_cndmask_b32_e32 v4, v4, v27, vcc
	v_and_b32_e32 v5, 0x7f800000, v4
	v_cmp_ne_u32_e64 s[24:25], s73, v5
                                        ; implicit-def: $vgpr27
	s_and_saveexec_b64 s[40:41], s[24:25]
	s_xor_b64 s[24:25], exec, s[40:41]
; %bb.1069:                             ;   in Loop: Header=BB24_1036 Depth=3
	v_bfe_u32 v5, v4, 16, 1
	v_add3_u32 v27, v4, v5, s62
                                        ; implicit-def: $vgpr4
; %bb.1070:                             ;   in Loop: Header=BB24_1036 Depth=3
	s_andn2_saveexec_b64 s[40:41], s[24:25]
; %bb.1071:                             ;   in Loop: Header=BB24_1036 Depth=3
	v_or_b32_e32 v5, 0x10000, v4
	v_cmp_eq_u32_sdwa s[24:25], v4, v3 src0_sel:WORD_0 src1_sel:DWORD
	s_nop 1
	v_cndmask_b32_e64 v27, v5, v4, s[24:25]
; %bb.1072:                             ;   in Loop: Header=BB24_1036 Depth=3
	s_or_b64 exec, exec, s[40:41]
	v_and_b32_e32 v4, 0xffff0000, v16
	v_and_b32_e32 v5, 0xffff0000, v20
	v_max_f32_e32 v5, v5, v5
	v_max_f32_e32 v4, v4, v4
	v_min_f32_e32 v16, v4, v5
	v_max_f32_e32 v4, v4, v5
	v_cndmask_b32_e32 v4, v4, v16, vcc
	v_and_b32_e32 v5, 0x7f800000, v4
	v_cmp_ne_u32_e64 s[24:25], s73, v5
                                        ; implicit-def: $vgpr20
	s_and_saveexec_b64 s[40:41], s[24:25]
	s_xor_b64 s[24:25], exec, s[40:41]
; %bb.1073:                             ;   in Loop: Header=BB24_1036 Depth=3
	v_bfe_u32 v5, v4, 16, 1
	v_add3_u32 v20, v4, v5, s62
                                        ; implicit-def: $vgpr4
; %bb.1074:                             ;   in Loop: Header=BB24_1036 Depth=3
	s_andn2_saveexec_b64 s[40:41], s[24:25]
; %bb.1075:                             ;   in Loop: Header=BB24_1036 Depth=3
	v_or_b32_e32 v5, 0x10000, v4
	v_cmp_eq_u32_sdwa s[24:25], v4, v3 src0_sel:WORD_0 src1_sel:DWORD
	s_nop 1
	v_cndmask_b32_e64 v20, v5, v4, s[24:25]
; %bb.1076:                             ;   in Loop: Header=BB24_1036 Depth=3
	s_or_b64 exec, exec, s[40:41]
	v_lshlrev_b32_e32 v4, 16, v17
	v_lshlrev_b32_e32 v5, 16, v21
	v_max_f32_e32 v5, v5, v5
	v_max_f32_e32 v4, v4, v4
	v_min_f32_e32 v16, v4, v5
	v_max_f32_e32 v4, v4, v5
	v_cndmask_b32_e32 v4, v4, v16, vcc
	v_and_b32_e32 v5, 0x7f800000, v4
	v_cmp_ne_u32_e64 s[24:25], s73, v5
                                        ; implicit-def: $vgpr16
	s_and_saveexec_b64 s[40:41], s[24:25]
	s_xor_b64 s[24:25], exec, s[40:41]
; %bb.1077:                             ;   in Loop: Header=BB24_1036 Depth=3
	v_bfe_u32 v5, v4, 16, 1
	v_add3_u32 v16, v4, v5, s62
                                        ; implicit-def: $vgpr4
; %bb.1078:                             ;   in Loop: Header=BB24_1036 Depth=3
	s_andn2_saveexec_b64 s[40:41], s[24:25]
; %bb.1079:                             ;   in Loop: Header=BB24_1036 Depth=3
	v_or_b32_e32 v5, 0x10000, v4
	v_cmp_eq_u32_sdwa s[24:25], v4, v3 src0_sel:WORD_0 src1_sel:DWORD
	s_nop 1
	v_cndmask_b32_e64 v16, v5, v4, s[24:25]
; %bb.1080:                             ;   in Loop: Header=BB24_1036 Depth=3
	s_or_b64 exec, exec, s[40:41]
	v_and_b32_e32 v4, 0xffff0000, v17
	v_and_b32_e32 v5, 0xffff0000, v21
	v_max_f32_e32 v5, v5, v5
	v_max_f32_e32 v4, v4, v4
	v_min_f32_e32 v17, v4, v5
	v_max_f32_e32 v4, v4, v5
	v_cndmask_b32_e32 v4, v4, v17, vcc
	v_and_b32_e32 v5, 0x7f800000, v4
	v_cmp_ne_u32_e64 s[24:25], s73, v5
                                        ; implicit-def: $vgpr21
	s_and_saveexec_b64 s[40:41], s[24:25]
	s_xor_b64 s[24:25], exec, s[40:41]
; %bb.1081:                             ;   in Loop: Header=BB24_1036 Depth=3
	v_bfe_u32 v5, v4, 16, 1
	v_add3_u32 v21, v4, v5, s62
                                        ; implicit-def: $vgpr4
; %bb.1082:                             ;   in Loop: Header=BB24_1036 Depth=3
	s_andn2_saveexec_b64 s[40:41], s[24:25]
; %bb.1083:                             ;   in Loop: Header=BB24_1036 Depth=3
	v_or_b32_e32 v5, 0x10000, v4
	v_cmp_eq_u32_sdwa s[24:25], v4, v3 src0_sel:WORD_0 src1_sel:DWORD
	s_nop 1
	v_cndmask_b32_e64 v21, v5, v4, s[24:25]
; %bb.1084:                             ;   in Loop: Header=BB24_1036 Depth=3
	s_or_b64 exec, exec, s[40:41]
	v_lshlrev_b32_e32 v4, 16, v18
	v_lshlrev_b32_e32 v5, 16, v22
	v_max_f32_e32 v5, v5, v5
	v_max_f32_e32 v4, v4, v4
	v_min_f32_e32 v17, v4, v5
	v_max_f32_e32 v4, v4, v5
	v_cndmask_b32_e32 v4, v4, v17, vcc
	v_and_b32_e32 v5, 0x7f800000, v4
	v_cmp_ne_u32_e64 s[24:25], s73, v5
                                        ; implicit-def: $vgpr17
	s_and_saveexec_b64 s[40:41], s[24:25]
	s_xor_b64 s[24:25], exec, s[40:41]
; %bb.1085:                             ;   in Loop: Header=BB24_1036 Depth=3
	v_bfe_u32 v5, v4, 16, 1
	v_add3_u32 v17, v4, v5, s62
                                        ; implicit-def: $vgpr4
; %bb.1086:                             ;   in Loop: Header=BB24_1036 Depth=3
	s_andn2_saveexec_b64 s[40:41], s[24:25]
; %bb.1087:                             ;   in Loop: Header=BB24_1036 Depth=3
	v_or_b32_e32 v5, 0x10000, v4
	v_cmp_eq_u32_sdwa s[24:25], v4, v3 src0_sel:WORD_0 src1_sel:DWORD
	s_nop 1
	v_cndmask_b32_e64 v17, v5, v4, s[24:25]
; %bb.1088:                             ;   in Loop: Header=BB24_1036 Depth=3
	s_or_b64 exec, exec, s[40:41]
	v_and_b32_e32 v4, 0xffff0000, v18
	v_and_b32_e32 v5, 0xffff0000, v22
	v_max_f32_e32 v5, v5, v5
	v_max_f32_e32 v4, v4, v4
	v_min_f32_e32 v18, v4, v5
	v_max_f32_e32 v4, v4, v5
	v_cndmask_b32_e32 v4, v4, v18, vcc
	v_and_b32_e32 v5, 0x7f800000, v4
	v_cmp_ne_u32_e64 s[24:25], s73, v5
                                        ; implicit-def: $vgpr22
	s_and_saveexec_b64 s[40:41], s[24:25]
	s_xor_b64 s[24:25], exec, s[40:41]
; %bb.1089:                             ;   in Loop: Header=BB24_1036 Depth=3
	v_bfe_u32 v5, v4, 16, 1
	v_add3_u32 v22, v4, v5, s62
                                        ; implicit-def: $vgpr4
; %bb.1090:                             ;   in Loop: Header=BB24_1036 Depth=3
	s_andn2_saveexec_b64 s[40:41], s[24:25]
; %bb.1091:                             ;   in Loop: Header=BB24_1036 Depth=3
	v_or_b32_e32 v5, 0x10000, v4
	v_cmp_eq_u32_sdwa s[24:25], v4, v3 src0_sel:WORD_0 src1_sel:DWORD
	s_nop 1
	v_cndmask_b32_e64 v22, v5, v4, s[24:25]
; %bb.1092:                             ;   in Loop: Header=BB24_1036 Depth=3
	s_or_b64 exec, exec, s[40:41]
	v_lshlrev_b32_e32 v4, 16, v19
	v_lshlrev_b32_e32 v5, 16, v23
	v_max_f32_e32 v5, v5, v5
	v_max_f32_e32 v4, v4, v4
	v_min_f32_e32 v18, v4, v5
	v_max_f32_e32 v4, v4, v5
	v_cndmask_b32_e32 v4, v4, v18, vcc
	v_and_b32_e32 v5, 0x7f800000, v4
	v_cmp_ne_u32_e64 s[24:25], s73, v5
                                        ; implicit-def: $vgpr18
	s_and_saveexec_b64 s[40:41], s[24:25]
	s_xor_b64 s[24:25], exec, s[40:41]
; %bb.1093:                             ;   in Loop: Header=BB24_1036 Depth=3
	v_bfe_u32 v5, v4, 16, 1
	v_add3_u32 v18, v4, v5, s62
                                        ; implicit-def: $vgpr4
; %bb.1094:                             ;   in Loop: Header=BB24_1036 Depth=3
	s_andn2_saveexec_b64 s[40:41], s[24:25]
; %bb.1095:                             ;   in Loop: Header=BB24_1036 Depth=3
	v_or_b32_e32 v5, 0x10000, v4
	v_cmp_eq_u32_sdwa s[24:25], v4, v3 src0_sel:WORD_0 src1_sel:DWORD
	s_nop 1
	v_cndmask_b32_e64 v18, v5, v4, s[24:25]
; %bb.1096:                             ;   in Loop: Header=BB24_1036 Depth=3
	s_or_b64 exec, exec, s[40:41]
	v_and_b32_e32 v4, 0xffff0000, v19
	v_and_b32_e32 v5, 0xffff0000, v23
	v_max_f32_e32 v5, v5, v5
	v_max_f32_e32 v4, v4, v4
	v_min_f32_e32 v19, v4, v5
	v_max_f32_e32 v4, v4, v5
	v_cndmask_b32_e32 v4, v4, v19, vcc
	v_and_b32_e32 v5, 0x7f800000, v4
	v_cmp_ne_u32_e64 s[24:25], s73, v5
                                        ; implicit-def: $vgpr19
	s_and_saveexec_b64 s[40:41], s[24:25]
	s_xor_b64 s[24:25], exec, s[40:41]
; %bb.1097:                             ;   in Loop: Header=BB24_1036 Depth=3
	v_bfe_u32 v5, v4, 16, 1
	v_add3_u32 v19, v4, v5, s62
                                        ; implicit-def: $vgpr4
; %bb.1098:                             ;   in Loop: Header=BB24_1036 Depth=3
	s_andn2_saveexec_b64 s[40:41], s[24:25]
; %bb.1099:                             ;   in Loop: Header=BB24_1036 Depth=3
	v_or_b32_e32 v5, 0x10000, v4
	v_cmp_eq_u32_sdwa s[24:25], v4, v3 src0_sel:WORD_0 src1_sel:DWORD
	s_nop 1
	v_cndmask_b32_e64 v19, v5, v4, s[24:25]
; %bb.1100:                             ;   in Loop: Header=BB24_1036 Depth=3
	s_or_b64 exec, exec, s[40:41]
	v_and_b32_e32 v4, 0xffff0000, v86
	v_lshlrev_b32_e32 v5, 16, v12
	v_max_f32_e32 v4, v4, v4
	v_max_f32_e32 v5, v5, v5
	v_min_f32_e32 v23, v4, v5
	v_max_f32_e32 v4, v4, v5
	v_cndmask_b32_e32 v4, v4, v23, vcc
	v_and_b32_e32 v5, 0x7f800000, v4
	v_cmp_ne_u32_e64 s[24:25], s73, v5
                                        ; implicit-def: $vgpr23
	s_and_saveexec_b64 s[40:41], s[24:25]
	s_xor_b64 s[24:25], exec, s[40:41]
; %bb.1101:                             ;   in Loop: Header=BB24_1036 Depth=3
	v_bfe_u32 v5, v4, 16, 1
	v_add3_u32 v23, v4, v5, s62
                                        ; implicit-def: $vgpr4
; %bb.1102:                             ;   in Loop: Header=BB24_1036 Depth=3
	s_andn2_saveexec_b64 s[40:41], s[24:25]
; %bb.1103:                             ;   in Loop: Header=BB24_1036 Depth=3
	v_or_b32_e32 v5, 0x10000, v4
	v_cmp_eq_u32_sdwa s[24:25], v4, v3 src0_sel:WORD_0 src1_sel:DWORD
	s_nop 1
	v_cndmask_b32_e64 v23, v5, v4, s[24:25]
; %bb.1104:                             ;   in Loop: Header=BB24_1036 Depth=3
	s_or_b64 exec, exec, s[40:41]
	v_and_b32_e32 v4, 0xffff0000, v12
	v_and_b32_e32 v12, 0xffff0000, v32
	v_max_f32_e32 v4, v4, v4
	v_max_f32_e32 v5, v12, v12
	v_min_f32_e32 v32, v5, v4
	v_max_f32_e32 v4, v5, v4
	v_cndmask_b32_e32 v4, v4, v32, vcc
	v_and_b32_e32 v5, 0x7f800000, v4
	v_cmp_ne_u32_e64 s[24:25], s73, v5
                                        ; implicit-def: $vgpr32
	s_and_saveexec_b64 s[40:41], s[24:25]
	s_xor_b64 s[24:25], exec, s[40:41]
; %bb.1105:                             ;   in Loop: Header=BB24_1036 Depth=3
	v_bfe_u32 v5, v4, 16, 1
	v_add3_u32 v32, v4, v5, s62
                                        ; implicit-def: $vgpr4
; %bb.1106:                             ;   in Loop: Header=BB24_1036 Depth=3
	s_andn2_saveexec_b64 s[40:41], s[24:25]
; %bb.1107:                             ;   in Loop: Header=BB24_1036 Depth=3
	v_or_b32_e32 v5, 0x10000, v4
	v_cmp_eq_u32_sdwa s[24:25], v4, v3 src0_sel:WORD_0 src1_sel:DWORD
	s_nop 1
	v_cndmask_b32_e64 v32, v5, v4, s[24:25]
; %bb.1108:                             ;   in Loop: Header=BB24_1036 Depth=3
	s_or_b64 exec, exec, s[40:41]
	v_and_b32_e32 v4, 0xffff0000, v24
	v_lshlrev_b32_e32 v5, 16, v13
	v_max_f32_e32 v4, v4, v4
	v_max_f32_e32 v5, v5, v5
	v_min_f32_e32 v87, v4, v5
	v_max_f32_e32 v4, v4, v5
	v_cndmask_b32_e32 v4, v4, v87, vcc
	v_and_b32_e32 v5, 0x7f800000, v4
	v_cmp_ne_u32_e64 s[24:25], s73, v5
                                        ; implicit-def: $vgpr87
	s_and_saveexec_b64 s[40:41], s[24:25]
	s_xor_b64 s[24:25], exec, s[40:41]
; %bb.1109:                             ;   in Loop: Header=BB24_1036 Depth=3
	v_bfe_u32 v5, v4, 16, 1
	v_add3_u32 v87, v4, v5, s62
                                        ; implicit-def: $vgpr4
; %bb.1110:                             ;   in Loop: Header=BB24_1036 Depth=3
	s_andn2_saveexec_b64 s[40:41], s[24:25]
; %bb.1111:                             ;   in Loop: Header=BB24_1036 Depth=3
	v_or_b32_e32 v5, 0x10000, v4
	v_cmp_eq_u32_sdwa s[24:25], v4, v3 src0_sel:WORD_0 src1_sel:DWORD
	s_nop 1
	v_cndmask_b32_e64 v87, v5, v4, s[24:25]
; %bb.1112:                             ;   in Loop: Header=BB24_1036 Depth=3
	s_or_b64 exec, exec, s[40:41]
	v_and_b32_e32 v4, 0xffff0000, v13
	v_and_b32_e32 v13, 0xffff0000, v33
	v_max_f32_e32 v4, v4, v4
	v_max_f32_e32 v5, v13, v13
	v_min_f32_e32 v33, v5, v4
	v_max_f32_e32 v4, v5, v4
	v_cndmask_b32_e32 v4, v4, v33, vcc
	v_and_b32_e32 v5, 0x7f800000, v4
	v_cmp_ne_u32_e64 s[24:25], s73, v5
                                        ; implicit-def: $vgpr33
	s_and_saveexec_b64 s[40:41], s[24:25]
	s_xor_b64 s[24:25], exec, s[40:41]
; %bb.1113:                             ;   in Loop: Header=BB24_1036 Depth=3
	v_bfe_u32 v5, v4, 16, 1
	v_add3_u32 v33, v4, v5, s62
                                        ; implicit-def: $vgpr4
; %bb.1114:                             ;   in Loop: Header=BB24_1036 Depth=3
	s_andn2_saveexec_b64 s[40:41], s[24:25]
; %bb.1115:                             ;   in Loop: Header=BB24_1036 Depth=3
	v_or_b32_e32 v5, 0x10000, v4
	v_cmp_eq_u32_sdwa s[24:25], v4, v3 src0_sel:WORD_0 src1_sel:DWORD
	s_nop 1
	v_cndmask_b32_e64 v33, v5, v4, s[24:25]
; %bb.1116:                             ;   in Loop: Header=BB24_1036 Depth=3
	s_or_b64 exec, exec, s[40:41]
	v_and_b32_e32 v4, 0xffff0000, v25
	v_lshlrev_b32_e32 v5, 16, v14
	v_max_f32_e32 v4, v4, v4
	v_max_f32_e32 v5, v5, v5
	v_min_f32_e32 v96, v4, v5
	v_max_f32_e32 v4, v4, v5
	v_cndmask_b32_e32 v4, v4, v96, vcc
	v_and_b32_e32 v5, 0x7f800000, v4
	v_cmp_ne_u32_e64 s[24:25], s73, v5
                                        ; implicit-def: $vgpr62
	s_and_saveexec_b64 s[40:41], s[24:25]
	s_xor_b64 s[24:25], exec, s[40:41]
; %bb.1117:                             ;   in Loop: Header=BB24_1036 Depth=3
	v_bfe_u32 v5, v4, 16, 1
	v_add3_u32 v62, v4, v5, s62
                                        ; implicit-def: $vgpr4
; %bb.1118:                             ;   in Loop: Header=BB24_1036 Depth=3
	s_andn2_saveexec_b64 s[40:41], s[24:25]
; %bb.1119:                             ;   in Loop: Header=BB24_1036 Depth=3
	v_or_b32_e32 v5, 0x10000, v4
	v_cmp_eq_u32_sdwa s[24:25], v4, v3 src0_sel:WORD_0 src1_sel:DWORD
	s_nop 1
	v_cndmask_b32_e64 v62, v5, v4, s[24:25]
; %bb.1120:                             ;   in Loop: Header=BB24_1036 Depth=3
	s_or_b64 exec, exec, s[40:41]
	v_and_b32_e32 v5, 0xffff0000, v14
	v_and_b32_e32 v4, 0xffff0000, v34
	v_max_f32_e32 v5, v5, v5
	v_max_f32_e32 v14, v4, v4
	v_min_f32_e32 v34, v14, v5
	v_max_f32_e32 v5, v14, v5
	v_cndmask_b32_e32 v5, v5, v34, vcc
	v_and_b32_e32 v14, 0x7f800000, v5
	v_cmp_ne_u32_e64 s[24:25], s73, v14
                                        ; implicit-def: $vgpr14
	s_and_saveexec_b64 s[40:41], s[24:25]
	s_xor_b64 s[24:25], exec, s[40:41]
; %bb.1121:                             ;   in Loop: Header=BB24_1036 Depth=3
	v_bfe_u32 v14, v5, 16, 1
	v_add3_u32 v14, v5, v14, s62
                                        ; implicit-def: $vgpr5
; %bb.1122:                             ;   in Loop: Header=BB24_1036 Depth=3
	s_andn2_saveexec_b64 s[40:41], s[24:25]
; %bb.1123:                             ;   in Loop: Header=BB24_1036 Depth=3
	v_or_b32_e32 v14, 0x10000, v5
	v_cmp_eq_u32_sdwa s[24:25], v5, v3 src0_sel:WORD_0 src1_sel:DWORD
	s_nop 1
	v_cndmask_b32_e64 v14, v14, v5, s[24:25]
; %bb.1124:                             ;   in Loop: Header=BB24_1036 Depth=3
	s_or_b64 exec, exec, s[40:41]
	v_and_b32_e32 v5, 0xffff0000, v26
	v_lshlrev_b32_e32 v34, 16, v15
	v_max_f32_e32 v5, v5, v5
	v_max_f32_e32 v34, v34, v34
	v_min_f32_e32 v96, v5, v34
	v_max_f32_e32 v5, v5, v34
	v_cndmask_b32_e32 v5, v5, v96, vcc
	v_and_b32_e32 v34, 0x7f800000, v5
	v_cmp_ne_u32_e64 s[24:25], s73, v34
                                        ; implicit-def: $vgpr34
	s_and_saveexec_b64 s[40:41], s[24:25]
	s_xor_b64 s[24:25], exec, s[40:41]
; %bb.1125:                             ;   in Loop: Header=BB24_1036 Depth=3
	v_bfe_u32 v34, v5, 16, 1
	v_add3_u32 v34, v5, v34, s62
                                        ; implicit-def: $vgpr5
; %bb.1126:                             ;   in Loop: Header=BB24_1036 Depth=3
	s_andn2_saveexec_b64 s[40:41], s[24:25]
; %bb.1127:                             ;   in Loop: Header=BB24_1036 Depth=3
	v_or_b32_e32 v34, 0x10000, v5
	v_cmp_eq_u32_sdwa s[24:25], v5, v3 src0_sel:WORD_0 src1_sel:DWORD
	s_nop 1
	v_cndmask_b32_e64 v34, v34, v5, s[24:25]
; %bb.1128:                             ;   in Loop: Header=BB24_1036 Depth=3
	s_or_b64 exec, exec, s[40:41]
	v_and_b32_e32 v15, 0xffff0000, v15
	v_and_b32_e32 v5, 0xffff0000, v35
	v_max_f32_e32 v15, v15, v15
	v_max_f32_e32 v35, v5, v5
	v_min_f32_e32 v96, v35, v15
	v_max_f32_e32 v15, v35, v15
	v_cndmask_b32_e32 v35, v15, v96, vcc
	v_and_b32_e32 v15, 0x7f800000, v35
	v_cmp_ne_u32_e64 s[24:25], s73, v15
                                        ; implicit-def: $vgpr15
	s_and_saveexec_b64 s[40:41], s[24:25]
	s_xor_b64 s[24:25], exec, s[40:41]
; %bb.1129:                             ;   in Loop: Header=BB24_1036 Depth=3
	v_bfe_u32 v15, v35, 16, 1
	v_add3_u32 v15, v35, v15, s62
                                        ; implicit-def: $vgpr35
; %bb.1130:                             ;   in Loop: Header=BB24_1036 Depth=3
	s_andn2_saveexec_b64 s[40:41], s[24:25]
; %bb.1131:                             ;   in Loop: Header=BB24_1036 Depth=3
	v_or_b32_e32 v15, 0x10000, v35
	v_cmp_eq_u32_sdwa s[24:25], v35, v3 src0_sel:WORD_0 src1_sel:DWORD
	s_nop 1
	v_cndmask_b32_e64 v15, v15, v35, s[24:25]
; %bb.1132:                             ;   in Loop: Header=BB24_1036 Depth=3
	s_or_b64 exec, exec, s[40:41]
	v_lshrrev_b32_e32 v23, 16, v23
	v_and_or_b32 v96, v32, s63, v23
	v_lshrrev_b32_e32 v23, 16, v62
	v_and_or_b32 v98, v14, s63, v23
	;; [unrolled: 2-line block ×3, first 2 shown]
	v_and_b32_e32 v14, 0xffff0000, v27
	v_lshlrev_b32_e32 v15, 16, v8
	v_max_f32_e32 v14, v14, v14
	v_max_f32_e32 v15, v15, v15
	v_min_f32_e32 v23, v14, v15
	v_max_f32_e32 v14, v14, v15
	v_cndmask_b32_e32 v15, v14, v23, vcc
	v_lshrrev_b32_e32 v35, 16, v87
	v_and_b32_e32 v14, 0x7f800000, v15
	v_and_or_b32 v97, v33, s63, v35
	v_cmp_ne_u32_e64 s[24:25], s73, v14
	global_store_dwordx4 v[106:107], v[96:99], off
                                        ; implicit-def: $vgpr14
	s_and_saveexec_b64 s[40:41], s[24:25]
	s_xor_b64 s[24:25], exec, s[40:41]
; %bb.1133:                             ;   in Loop: Header=BB24_1036 Depth=3
	v_bfe_u32 v14, v15, 16, 1
	v_add3_u32 v14, v15, v14, s62
                                        ; implicit-def: $vgpr15
; %bb.1134:                             ;   in Loop: Header=BB24_1036 Depth=3
	s_andn2_saveexec_b64 s[40:41], s[24:25]
; %bb.1135:                             ;   in Loop: Header=BB24_1036 Depth=3
	v_or_b32_e32 v14, 0x10000, v15
	v_cmp_eq_u32_sdwa s[24:25], v15, v3 src0_sel:WORD_0 src1_sel:DWORD
	s_nop 1
	v_cndmask_b32_e64 v14, v14, v15, s[24:25]
; %bb.1136:                             ;   in Loop: Header=BB24_1036 Depth=3
	s_or_b64 exec, exec, s[40:41]
	v_and_b32_e32 v15, 0xffff0000, v8
	v_and_b32_e32 v8, 0xffff0000, v20
	v_max_f32_e32 v15, v15, v15
	v_max_f32_e32 v20, v8, v8
	v_min_f32_e32 v23, v20, v15
	v_max_f32_e32 v15, v20, v15
	v_cndmask_b32_e32 v20, v15, v23, vcc
	v_and_b32_e32 v15, 0x7f800000, v20
	v_cmp_ne_u32_e64 s[24:25], s73, v15
                                        ; implicit-def: $vgpr15
	s_and_saveexec_b64 s[40:41], s[24:25]
	s_xor_b64 s[24:25], exec, s[40:41]
; %bb.1137:                             ;   in Loop: Header=BB24_1036 Depth=3
	v_bfe_u32 v15, v20, 16, 1
	v_add3_u32 v15, v20, v15, s62
                                        ; implicit-def: $vgpr20
; %bb.1138:                             ;   in Loop: Header=BB24_1036 Depth=3
	s_andn2_saveexec_b64 s[40:41], s[24:25]
; %bb.1139:                             ;   in Loop: Header=BB24_1036 Depth=3
	v_or_b32_e32 v15, 0x10000, v20
	v_cmp_eq_u32_sdwa s[24:25], v20, v3 src0_sel:WORD_0 src1_sel:DWORD
	s_nop 1
	v_cndmask_b32_e64 v15, v15, v20, s[24:25]
; %bb.1140:                             ;   in Loop: Header=BB24_1036 Depth=3
	s_or_b64 exec, exec, s[40:41]
	v_and_b32_e32 v20, 0xffff0000, v16
	v_lshlrev_b32_e32 v23, 16, v9
	v_max_f32_e32 v20, v20, v20
	v_max_f32_e32 v23, v23, v23
	v_min_f32_e32 v32, v20, v23
	v_max_f32_e32 v20, v20, v23
	v_cndmask_b32_e32 v23, v20, v32, vcc
	v_and_b32_e32 v20, 0x7f800000, v23
	v_cmp_ne_u32_e64 s[24:25], s73, v20
                                        ; implicit-def: $vgpr20
	s_and_saveexec_b64 s[40:41], s[24:25]
	s_xor_b64 s[24:25], exec, s[40:41]
; %bb.1141:                             ;   in Loop: Header=BB24_1036 Depth=3
	v_bfe_u32 v20, v23, 16, 1
	v_add3_u32 v20, v23, v20, s62
                                        ; implicit-def: $vgpr23
; %bb.1142:                             ;   in Loop: Header=BB24_1036 Depth=3
	s_andn2_saveexec_b64 s[40:41], s[24:25]
; %bb.1143:                             ;   in Loop: Header=BB24_1036 Depth=3
	v_or_b32_e32 v20, 0x10000, v23
	v_cmp_eq_u32_sdwa s[24:25], v23, v3 src0_sel:WORD_0 src1_sel:DWORD
	s_nop 1
	v_cndmask_b32_e64 v20, v20, v23, s[24:25]
; %bb.1144:                             ;   in Loop: Header=BB24_1036 Depth=3
	s_or_b64 exec, exec, s[40:41]
	v_and_b32_e32 v23, 0xffff0000, v9
	v_and_b32_e32 v9, 0xffff0000, v21
	v_max_f32_e32 v21, v23, v23
	v_max_f32_e32 v23, v9, v9
	v_min_f32_e32 v32, v23, v21
	v_max_f32_e32 v21, v23, v21
	v_cndmask_b32_e32 v23, v21, v32, vcc
	v_and_b32_e32 v21, 0x7f800000, v23
	v_cmp_ne_u32_e64 s[24:25], s73, v21
                                        ; implicit-def: $vgpr21
	s_and_saveexec_b64 s[40:41], s[24:25]
	s_xor_b64 s[24:25], exec, s[40:41]
; %bb.1145:                             ;   in Loop: Header=BB24_1036 Depth=3
	v_bfe_u32 v21, v23, 16, 1
	v_add3_u32 v21, v23, v21, s62
                                        ; implicit-def: $vgpr23
; %bb.1146:                             ;   in Loop: Header=BB24_1036 Depth=3
	s_andn2_saveexec_b64 s[40:41], s[24:25]
; %bb.1147:                             ;   in Loop: Header=BB24_1036 Depth=3
	v_or_b32_e32 v21, 0x10000, v23
	v_cmp_eq_u32_sdwa s[24:25], v23, v3 src0_sel:WORD_0 src1_sel:DWORD
	s_nop 1
	v_cndmask_b32_e64 v21, v21, v23, s[24:25]
; %bb.1148:                             ;   in Loop: Header=BB24_1036 Depth=3
	s_or_b64 exec, exec, s[40:41]
	v_and_b32_e32 v23, 0xffff0000, v17
	v_lshlrev_b32_e32 v32, 16, v10
	v_max_f32_e32 v23, v23, v23
	v_max_f32_e32 v32, v32, v32
	v_min_f32_e32 v33, v23, v32
	v_max_f32_e32 v23, v23, v32
	v_cndmask_b32_e32 v32, v23, v33, vcc
	v_and_b32_e32 v23, 0x7f800000, v32
	v_cmp_ne_u32_e64 s[24:25], s73, v23
                                        ; implicit-def: $vgpr23
	s_and_saveexec_b64 s[40:41], s[24:25]
	s_xor_b64 s[24:25], exec, s[40:41]
; %bb.1149:                             ;   in Loop: Header=BB24_1036 Depth=3
	v_bfe_u32 v23, v32, 16, 1
	v_add3_u32 v23, v32, v23, s62
                                        ; implicit-def: $vgpr32
; %bb.1150:                             ;   in Loop: Header=BB24_1036 Depth=3
	s_andn2_saveexec_b64 s[40:41], s[24:25]
; %bb.1151:                             ;   in Loop: Header=BB24_1036 Depth=3
	v_or_b32_e32 v23, 0x10000, v32
	v_cmp_eq_u32_sdwa s[24:25], v32, v3 src0_sel:WORD_0 src1_sel:DWORD
	s_nop 1
	v_cndmask_b32_e64 v23, v23, v32, s[24:25]
; %bb.1152:                             ;   in Loop: Header=BB24_1036 Depth=3
	s_or_b64 exec, exec, s[40:41]
	v_and_b32_e32 v32, 0xffff0000, v10
	v_and_b32_e32 v10, 0xffff0000, v22
	v_max_f32_e32 v22, v32, v32
	v_max_f32_e32 v32, v10, v10
	v_min_f32_e32 v33, v32, v22
	v_max_f32_e32 v22, v32, v22
	v_cndmask_b32_e32 v32, v22, v33, vcc
	v_and_b32_e32 v22, 0x7f800000, v32
	v_cmp_ne_u32_e64 s[24:25], s73, v22
                                        ; implicit-def: $vgpr22
	s_and_saveexec_b64 s[40:41], s[24:25]
	s_xor_b64 s[24:25], exec, s[40:41]
; %bb.1153:                             ;   in Loop: Header=BB24_1036 Depth=3
	v_bfe_u32 v22, v32, 16, 1
	v_add3_u32 v22, v32, v22, s62
                                        ; implicit-def: $vgpr32
; %bb.1154:                             ;   in Loop: Header=BB24_1036 Depth=3
	s_andn2_saveexec_b64 s[40:41], s[24:25]
; %bb.1155:                             ;   in Loop: Header=BB24_1036 Depth=3
	v_or_b32_e32 v22, 0x10000, v32
	v_cmp_eq_u32_sdwa s[24:25], v32, v3 src0_sel:WORD_0 src1_sel:DWORD
	s_nop 1
	v_cndmask_b32_e64 v22, v22, v32, s[24:25]
; %bb.1156:                             ;   in Loop: Header=BB24_1036 Depth=3
	s_or_b64 exec, exec, s[40:41]
	v_and_b32_e32 v32, 0xffff0000, v18
	v_lshlrev_b32_e32 v33, 16, v11
	v_max_f32_e32 v32, v32, v32
	v_max_f32_e32 v33, v33, v33
	v_min_f32_e32 v34, v32, v33
	v_max_f32_e32 v32, v32, v33
	v_cndmask_b32_e32 v33, v32, v34, vcc
	v_and_b32_e32 v32, 0x7f800000, v33
	v_cmp_ne_u32_e64 s[24:25], s73, v32
                                        ; implicit-def: $vgpr32
	s_and_saveexec_b64 s[40:41], s[24:25]
	s_xor_b64 s[24:25], exec, s[40:41]
; %bb.1157:                             ;   in Loop: Header=BB24_1036 Depth=3
	v_bfe_u32 v32, v33, 16, 1
	v_add3_u32 v32, v33, v32, s62
                                        ; implicit-def: $vgpr33
; %bb.1158:                             ;   in Loop: Header=BB24_1036 Depth=3
	s_andn2_saveexec_b64 s[40:41], s[24:25]
; %bb.1159:                             ;   in Loop: Header=BB24_1036 Depth=3
	v_or_b32_e32 v32, 0x10000, v33
	v_cmp_eq_u32_sdwa s[24:25], v33, v3 src0_sel:WORD_0 src1_sel:DWORD
	s_nop 1
	v_cndmask_b32_e64 v32, v32, v33, s[24:25]
; %bb.1160:                             ;   in Loop: Header=BB24_1036 Depth=3
	s_or_b64 exec, exec, s[40:41]
	v_and_b32_e32 v33, 0xffff0000, v11
	v_and_b32_e32 v11, 0xffff0000, v19
	v_max_f32_e32 v19, v33, v33
	v_max_f32_e32 v33, v11, v11
	v_min_f32_e32 v34, v33, v19
	v_max_f32_e32 v19, v33, v19
	v_cndmask_b32_e32 v33, v19, v34, vcc
	v_and_b32_e32 v19, 0x7f800000, v33
	v_cmp_ne_u32_e64 s[24:25], s73, v19
                                        ; implicit-def: $vgpr19
	s_and_saveexec_b64 s[40:41], s[24:25]
	s_xor_b64 s[24:25], exec, s[40:41]
; %bb.1161:                             ;   in Loop: Header=BB24_1036 Depth=3
	v_bfe_u32 v19, v33, 16, 1
	v_add3_u32 v19, v33, v19, s62
                                        ; implicit-def: $vgpr33
; %bb.1162:                             ;   in Loop: Header=BB24_1036 Depth=3
	s_andn2_saveexec_b64 s[40:41], s[24:25]
	s_cbranch_execz .LBB24_1035
; %bb.1163:                             ;   in Loop: Header=BB24_1036 Depth=3
	v_or_b32_e32 v19, 0x10000, v33
	v_cmp_eq_u32_sdwa s[24:25], v33, v3 src0_sel:WORD_0 src1_sel:DWORD
	s_nop 1
	v_cndmask_b32_e64 v19, v19, v33, s[24:25]
	s_branch .LBB24_1035
.LBB24_1164:                            ;   in Loop: Header=BB24_955 Depth=2
	s_or_b64 exec, exec, s[28:29]
.LBB24_1165:                            ;   in Loop: Header=BB24_955 Depth=2
	s_or_b64 exec, exec, s[26:27]
	v_lshlrev_b32_e32 v34, 11, v39
	v_cmp_ne_u32_e32 vcc, v37, v34
	s_mov_b64 s[24:25], 0
	v_mov_b32_e32 v18, 0
                                        ; implicit-def: $vgpr19
	s_and_saveexec_b64 s[64:65], vcc
	s_cbranch_execz .LBB24_1205
; %bb.1166:                             ;   in Loop: Header=BB24_955 Depth=2
	v_lshlrev_b32_e32 v2, 6, v2
	v_sub_u32_e32 v2, v123, v2
	v_ashrrev_i32_e32 v5, 31, v2
	v_lshrrev_b32_e32 v5, 26, v5
	v_add_u32_e32 v5, v2, v5
	v_sub_u32_e32 v4, v37, v34
	v_ashrrev_i32_e32 v8, 6, v5
	v_and_b32_e32 v5, 0xffffffc0, v5
	v_sub_u32_e32 v35, v2, v5
	v_ashrrev_i32_e32 v5, 31, v4
	v_lshrrev_b32_e32 v5, 22, v5
	v_add_u32_e32 v5, v4, v5
	v_and_b32_e32 v39, 0xfffffc00, v5
	v_lshlrev_b32_e32 v2, 4, v35
	v_sub_u32_e32 v86, v4, v39
	v_lshl_add_u32 v2, v8, 10, v2
	v_ashrrev_i32_e32 v9, 10, v5
	v_cmp_lt_i32_e64 s[24:25], 15, v86
	v_sub_u32_e32 v104, v4, v2
	s_nop 0
	v_addc_co_u32_e64 v4, vcc, 0, v9, s[24:25]
	v_sub_u32_e32 v87, v4, v8
	v_cmp_lt_i32_e32 vcc, 15, v104
	s_and_saveexec_b64 s[66:67], vcc
	s_cbranch_execz .LBB24_1204
; %bb.1167:                             ;   in Loop: Header=BB24_955 Depth=2
	s_trap 2
	ds_read_b64 v[8:9], v0
	v_add_u32_e32 v4, v2, v34
	s_and_b32 s74, s31, 1
	v_ashrrev_i32_e32 v5, 31, v4
	s_cmp_eq_u64 s[74:75], 0
	s_waitcnt lgkmcnt(0)
	v_lshl_add_u64 v[20:21], v[4:5], 0, v[94:95]
	v_lshl_add_u64 v[22:23], v[4:5], 0, v[50:51]
	;; [unrolled: 1-line block ×5, first 2 shown]
	s_mov_b64 s[68:69], 0
	s_cselect_b64 s[26:27], -1, 0
.LBB24_1168:                            ;   Parent Loop BB24_47 Depth=1
                                        ;     Parent Loop BB24_955 Depth=2
                                        ; =>    This Loop Header: Depth=3
                                        ;         Child Loop BB24_1201 Depth 4
	global_load_dwordx4 v[12:15], v[32:33], off nt
	global_load_dwordx4 v[16:19], v[26:27], off nt
	;; [unrolled: 1-line block ×3, first 2 shown]
	s_waitcnt vmcnt(0)
	v_lshlrev_b32_e32 v2, 16, v12
	v_lshlrev_b32_e32 v4, 16, v16
	v_max_f32_e32 v2, v2, v2
	v_max_f32_e32 v4, v4, v4
	v_min_f32_e32 v5, v4, v2
	v_max_f32_e32 v2, v4, v2
	v_cndmask_b32_e64 v2, v2, v5, s[26:27]
	v_and_b32_e32 v4, 0x7f800000, v2
	v_cmp_ne_u32_e32 vcc, s73, v4
                                        ; implicit-def: $vgpr4
	s_and_saveexec_b64 s[28:29], vcc
	s_xor_b64 s[28:29], exec, s[28:29]
; %bb.1169:                             ;   in Loop: Header=BB24_1168 Depth=3
	v_bfe_u32 v4, v2, 16, 1
	v_add3_u32 v4, v2, v4, s62
                                        ; implicit-def: $vgpr2
; %bb.1170:                             ;   in Loop: Header=BB24_1168 Depth=3
	s_andn2_saveexec_b64 s[28:29], s[28:29]
; %bb.1171:                             ;   in Loop: Header=BB24_1168 Depth=3
	v_or_b32_e32 v4, 0x10000, v2
	v_cmp_eq_u32_sdwa vcc, v2, v3 src0_sel:WORD_0 src1_sel:DWORD
	s_nop 1
	v_cndmask_b32_e32 v4, v4, v2, vcc
; %bb.1172:                             ;   in Loop: Header=BB24_1168 Depth=3
	s_or_b64 exec, exec, s[28:29]
	v_and_b32_e32 v2, 0xffff0000, v12
	v_and_b32_e32 v5, 0xffff0000, v16
	v_max_f32_e32 v2, v2, v2
	v_max_f32_e32 v5, v5, v5
	v_min_f32_e32 v12, v5, v2
	v_max_f32_e32 v2, v5, v2
	v_cndmask_b32_e64 v5, v2, v12, s[26:27]
	v_and_b32_e32 v2, 0x7f800000, v5
	v_cmp_ne_u32_e32 vcc, s73, v2
                                        ; implicit-def: $vgpr2
	s_and_saveexec_b64 s[28:29], vcc
	s_xor_b64 s[28:29], exec, s[28:29]
; %bb.1173:                             ;   in Loop: Header=BB24_1168 Depth=3
	v_bfe_u32 v2, v5, 16, 1
	v_add3_u32 v2, v5, v2, s62
                                        ; implicit-def: $vgpr5
; %bb.1174:                             ;   in Loop: Header=BB24_1168 Depth=3
	s_andn2_saveexec_b64 s[28:29], s[28:29]
; %bb.1175:                             ;   in Loop: Header=BB24_1168 Depth=3
	v_or_b32_e32 v2, 0x10000, v5
	v_cmp_eq_u32_sdwa vcc, v5, v3 src0_sel:WORD_0 src1_sel:DWORD
	s_nop 1
	v_cndmask_b32_e32 v2, v2, v5, vcc
; %bb.1176:                             ;   in Loop: Header=BB24_1168 Depth=3
	s_or_b64 exec, exec, s[28:29]
	v_lshlrev_b32_e32 v5, 16, v13
	v_lshlrev_b32_e32 v12, 16, v17
	v_max_f32_e32 v5, v5, v5
	v_max_f32_e32 v12, v12, v12
	v_min_f32_e32 v16, v12, v5
	v_max_f32_e32 v5, v12, v5
	v_cndmask_b32_e64 v12, v5, v16, s[26:27]
	v_and_b32_e32 v5, 0x7f800000, v12
	v_cmp_ne_u32_e32 vcc, s73, v5
                                        ; implicit-def: $vgpr5
	s_and_saveexec_b64 s[28:29], vcc
	s_xor_b64 s[28:29], exec, s[28:29]
; %bb.1177:                             ;   in Loop: Header=BB24_1168 Depth=3
	v_bfe_u32 v5, v12, 16, 1
	v_add3_u32 v5, v12, v5, s62
                                        ; implicit-def: $vgpr12
; %bb.1178:                             ;   in Loop: Header=BB24_1168 Depth=3
	s_andn2_saveexec_b64 s[28:29], s[28:29]
; %bb.1179:                             ;   in Loop: Header=BB24_1168 Depth=3
	v_or_b32_e32 v5, 0x10000, v12
	v_cmp_eq_u32_sdwa vcc, v12, v3 src0_sel:WORD_0 src1_sel:DWORD
	s_nop 1
	v_cndmask_b32_e32 v5, v5, v12, vcc
; %bb.1180:                             ;   in Loop: Header=BB24_1168 Depth=3
	s_or_b64 exec, exec, s[28:29]
	v_and_b32_e32 v12, 0xffff0000, v17
	v_and_b32_e32 v13, 0xffff0000, v13
	v_max_f32_e32 v13, v13, v13
	v_max_f32_e32 v12, v12, v12
	v_min_f32_e32 v16, v12, v13
	v_max_f32_e32 v12, v12, v13
	v_cndmask_b32_e64 v13, v12, v16, s[26:27]
	v_and_b32_e32 v12, 0x7f800000, v13
	v_cmp_ne_u32_e32 vcc, s73, v12
                                        ; implicit-def: $vgpr12
	s_and_saveexec_b64 s[28:29], vcc
	s_xor_b64 s[28:29], exec, s[28:29]
; %bb.1181:                             ;   in Loop: Header=BB24_1168 Depth=3
	v_bfe_u32 v12, v13, 16, 1
	v_add3_u32 v12, v13, v12, s62
                                        ; implicit-def: $vgpr13
; %bb.1182:                             ;   in Loop: Header=BB24_1168 Depth=3
	s_andn2_saveexec_b64 s[28:29], s[28:29]
; %bb.1183:                             ;   in Loop: Header=BB24_1168 Depth=3
	v_or_b32_e32 v12, 0x10000, v13
	v_cmp_eq_u32_sdwa vcc, v13, v3 src0_sel:WORD_0 src1_sel:DWORD
	s_nop 1
	v_cndmask_b32_e32 v12, v12, v13, vcc
; %bb.1184:                             ;   in Loop: Header=BB24_1168 Depth=3
	s_or_b64 exec, exec, s[28:29]
	v_lshlrev_b32_e32 v13, 16, v14
	v_lshlrev_b32_e32 v16, 16, v18
	v_max_f32_e32 v13, v13, v13
	v_max_f32_e32 v16, v16, v16
	v_min_f32_e32 v17, v16, v13
	v_max_f32_e32 v13, v16, v13
	v_cndmask_b32_e64 v13, v13, v17, s[26:27]
	v_and_b32_e32 v16, 0x7f800000, v13
	v_cmp_ne_u32_e32 vcc, s73, v16
                                        ; implicit-def: $vgpr16
	s_and_saveexec_b64 s[28:29], vcc
	s_xor_b64 s[28:29], exec, s[28:29]
; %bb.1185:                             ;   in Loop: Header=BB24_1168 Depth=3
	v_bfe_u32 v16, v13, 16, 1
	v_add3_u32 v16, v13, v16, s62
                                        ; implicit-def: $vgpr13
; %bb.1186:                             ;   in Loop: Header=BB24_1168 Depth=3
	s_andn2_saveexec_b64 s[28:29], s[28:29]
; %bb.1187:                             ;   in Loop: Header=BB24_1168 Depth=3
	v_or_b32_e32 v16, 0x10000, v13
	v_cmp_eq_u32_sdwa vcc, v13, v3 src0_sel:WORD_0 src1_sel:DWORD
	s_nop 1
	v_cndmask_b32_e32 v16, v16, v13, vcc
; %bb.1188:                             ;   in Loop: Header=BB24_1168 Depth=3
	s_or_b64 exec, exec, s[28:29]
	v_and_b32_e32 v13, 0xffff0000, v18
	v_and_b32_e32 v14, 0xffff0000, v14
	v_max_f32_e32 v14, v14, v14
	v_max_f32_e32 v13, v13, v13
	v_min_f32_e32 v17, v13, v14
	v_max_f32_e32 v13, v13, v14
	v_cndmask_b32_e64 v13, v13, v17, s[26:27]
	v_and_b32_e32 v14, 0x7f800000, v13
	v_cmp_ne_u32_e32 vcc, s73, v14
                                        ; implicit-def: $vgpr17
	s_and_saveexec_b64 s[28:29], vcc
	s_xor_b64 s[28:29], exec, s[28:29]
; %bb.1189:                             ;   in Loop: Header=BB24_1168 Depth=3
	v_bfe_u32 v14, v13, 16, 1
	v_add3_u32 v17, v13, v14, s62
                                        ; implicit-def: $vgpr13
; %bb.1190:                             ;   in Loop: Header=BB24_1168 Depth=3
	s_andn2_saveexec_b64 s[28:29], s[28:29]
; %bb.1191:                             ;   in Loop: Header=BB24_1168 Depth=3
	v_or_b32_e32 v14, 0x10000, v13
	v_cmp_eq_u32_sdwa vcc, v13, v3 src0_sel:WORD_0 src1_sel:DWORD
	s_nop 1
	v_cndmask_b32_e32 v17, v14, v13, vcc
; %bb.1192:                             ;   in Loop: Header=BB24_1168 Depth=3
	s_or_b64 exec, exec, s[28:29]
	v_lshlrev_b32_e32 v13, 16, v15
	v_lshlrev_b32_e32 v14, 16, v19
	v_max_f32_e32 v13, v13, v13
	v_max_f32_e32 v14, v14, v14
	v_min_f32_e32 v18, v14, v13
	v_max_f32_e32 v13, v14, v13
	v_cndmask_b32_e64 v13, v13, v18, s[26:27]
	v_and_b32_e32 v14, 0x7f800000, v13
	v_cmp_ne_u32_e32 vcc, s73, v14
                                        ; implicit-def: $vgpr14
	s_and_saveexec_b64 s[28:29], vcc
	s_xor_b64 s[28:29], exec, s[28:29]
; %bb.1193:                             ;   in Loop: Header=BB24_1168 Depth=3
	v_bfe_u32 v14, v13, 16, 1
	v_add3_u32 v14, v13, v14, s62
                                        ; implicit-def: $vgpr13
; %bb.1194:                             ;   in Loop: Header=BB24_1168 Depth=3
	s_andn2_saveexec_b64 s[28:29], s[28:29]
; %bb.1195:                             ;   in Loop: Header=BB24_1168 Depth=3
	v_or_b32_e32 v14, 0x10000, v13
	v_cmp_eq_u32_sdwa vcc, v13, v3 src0_sel:WORD_0 src1_sel:DWORD
	s_nop 1
	v_cndmask_b32_e32 v14, v14, v13, vcc
; %bb.1196:                             ;   in Loop: Header=BB24_1168 Depth=3
	s_or_b64 exec, exec, s[28:29]
	v_and_b32_e32 v13, 0xffff0000, v19
	v_and_b32_e32 v15, 0xffff0000, v15
	v_max_f32_e32 v15, v15, v15
	v_max_f32_e32 v13, v13, v13
	v_min_f32_e32 v18, v13, v15
	v_max_f32_e32 v13, v13, v15
	v_cndmask_b32_e64 v13, v13, v18, s[26:27]
	v_and_b32_e32 v15, 0x7f800000, v13
	v_cmp_ne_u32_e32 vcc, s73, v15
                                        ; implicit-def: $vgpr15
	s_and_saveexec_b64 s[28:29], vcc
	s_xor_b64 s[28:29], exec, s[28:29]
; %bb.1197:                             ;   in Loop: Header=BB24_1168 Depth=3
	v_bfe_u32 v15, v13, 16, 1
	v_add3_u32 v15, v13, v15, s62
                                        ; implicit-def: $vgpr13
; %bb.1198:                             ;   in Loop: Header=BB24_1168 Depth=3
	s_andn2_saveexec_b64 s[28:29], s[28:29]
; %bb.1199:                             ;   in Loop: Header=BB24_1168 Depth=3
	v_or_b32_e32 v15, 0x10000, v13
	v_cmp_eq_u32_sdwa vcc, v13, v3 src0_sel:WORD_0 src1_sel:DWORD
	s_nop 1
	v_cndmask_b32_e32 v15, v15, v13, vcc
; %bb.1200:                             ;   in Loop: Header=BB24_1168 Depth=3
	s_or_b64 exec, exec, s[28:29]
	v_and_b32_e32 v19, 0xffff0000, v2
	v_or_b32_sdwa v2, v19, v4 dst_sel:DWORD dst_unused:UNUSED_PAD src0_sel:DWORD src1_sel:WORD_1
	v_and_b32_e32 v97, 0xffff0000, v8
	v_and_b32_e32 v4, 0xffff0000, v4
	v_lshlrev_b32_e32 v8, 16, v8
	v_max_f32_e32 v4, v4, v4
	v_max_f32_e32 v8, v8, v8
	v_min_f32_e32 v98, v4, v8
	v_max_f32_e32 v4, v4, v8
	v_cndmask_b32_e64 v4, v4, v98, s[26:27]
	v_and_b32_e32 v8, 0x7f800000, v4
	v_cmp_eq_u32_e32 vcc, s73, v8
	v_bfe_u32 v8, v4, 16, 1
	v_cmp_eq_u32_sdwa s[28:29], v4, v3 src0_sel:WORD_0 src1_sel:DWORD
	v_or_b32_e32 v98, 0x10000, v4
	v_max_f32_e32 v19, v19, v19
	v_max_f32_e32 v97, v97, v97
	v_add3_u32 v8, v4, v8, s62
	v_cndmask_b32_e64 v4, v98, v4, s[28:29]
	v_min_f32_e32 v98, v19, v97
	v_max_f32_e32 v19, v19, v97
	v_cndmask_b32_e64 v19, v19, v98, s[26:27]
	v_and_b32_e32 v97, 0x7f800000, v19
	v_and_b32_e32 v18, 0xffff0000, v12
	v_cmp_eq_u32_e64 s[28:29], s73, v97
	v_bfe_u32 v97, v19, 16, 1
	v_cmp_eq_u32_sdwa s[40:41], v19, v3 src0_sel:WORD_0 src1_sel:DWORD
	v_or_b32_e32 v98, 0x10000, v19
	v_or_b32_sdwa v13, v18, v5 dst_sel:DWORD dst_unused:UNUSED_PAD src0_sel:DWORD src1_sel:WORD_1
	v_add3_u32 v97, v19, v97, s62
	v_cndmask_b32_e64 v19, v98, v19, s[40:41]
	v_and_b32_e32 v98, 0xffff0000, v9
	v_and_b32_e32 v5, 0xffff0000, v5
	v_lshlrev_b32_e32 v9, 16, v9
	v_max_f32_e32 v5, v5, v5
	v_max_f32_e32 v9, v9, v9
	v_min_f32_e32 v99, v5, v9
	v_max_f32_e32 v5, v5, v9
	v_cndmask_b32_e64 v5, v5, v99, s[26:27]
	v_and_b32_e32 v9, 0x7f800000, v5
	v_cmp_eq_u32_e64 s[40:41], s73, v9
	v_bfe_u32 v9, v5, 16, 1
	v_cmp_eq_u32_sdwa s[42:43], v5, v3 src0_sel:WORD_0 src1_sel:DWORD
	v_or_b32_e32 v99, 0x10000, v5
	v_max_f32_e32 v18, v18, v18
	v_max_f32_e32 v98, v98, v98
	v_add3_u32 v9, v5, v9, s62
	v_cndmask_b32_e64 v5, v99, v5, s[42:43]
	v_min_f32_e32 v99, v18, v98
	v_max_f32_e32 v18, v18, v98
	v_cndmask_b32_e64 v18, v18, v99, s[26:27]
	v_and_b32_e32 v98, 0x7f800000, v18
	v_and_b32_e32 v17, 0xffff0000, v17
	v_cmp_eq_u32_e64 s[42:43], s73, v98
	v_bfe_u32 v98, v18, 16, 1
	v_cmp_eq_u32_sdwa s[44:45], v18, v3 src0_sel:WORD_0 src1_sel:DWORD
	v_or_b32_e32 v99, 0x10000, v18
	v_or_b32_sdwa v12, v17, v16 dst_sel:DWORD dst_unused:UNUSED_PAD src0_sel:DWORD src1_sel:WORD_1
	v_add3_u32 v98, v18, v98, s62
	v_cndmask_b32_e64 v18, v99, v18, s[44:45]
	v_and_b32_e32 v99, 0xffff0000, v10
	v_and_b32_e32 v16, 0xffff0000, v16
	v_lshlrev_b32_e32 v10, 16, v10
	v_max_f32_e32 v16, v16, v16
	v_max_f32_e32 v10, v10, v10
	v_min_f32_e32 v62, v16, v10
	v_max_f32_e32 v10, v16, v10
	v_cndmask_b32_e64 v10, v10, v62, s[26:27]
	v_and_b32_e32 v16, 0x7f800000, v10
	v_cmp_eq_u32_e64 s[44:45], s73, v16
	;; [unrolled: 29-line block ×3, first 2 shown]
	v_bfe_u32 v14, v11, 16, 1
	v_cmp_eq_u32_sdwa s[58:59], v11, v3 src0_sel:WORD_0 src1_sel:DWORD
	v_or_b32_e32 v63, 0x10000, v11
	v_max_f32_e32 v96, v96, v96
	v_max_f32_e32 v62, v62, v62
	v_add3_u32 v14, v11, v14, s62
	v_cndmask_b32_e64 v11, v63, v11, s[58:59]
	v_min_f32_e32 v63, v96, v62
	v_max_f32_e32 v96, v96, v62
	v_cndmask_b32_e64 v96, v96, v63, s[26:27]
	v_and_b32_e32 v62, 0x7f800000, v96
	v_cndmask_b32_e32 v4, v8, v4, vcc
	v_cmp_eq_u32_e64 s[58:59], s73, v62
	v_bfe_u32 v62, v96, 16, 1
	v_cmp_eq_u32_sdwa s[60:61], v96, v3 src0_sel:WORD_0 src1_sel:DWORD
	v_or_b32_e32 v63, 0x10000, v96
	v_cndmask_b32_e64 v8, v97, v19, s[28:29]
	v_cndmask_b32_e64 v10, v16, v10, s[44:45]
	v_lshrrev_b32_e32 v4, 16, v4
	v_add3_u32 v62, v96, v62, s62
	v_cndmask_b32_e64 v96, v63, v96, s[60:61]
	v_cndmask_b32_e64 v5, v9, v5, s[40:41]
	;; [unrolled: 1-line block ×4, first 2 shown]
	v_and_or_b32 v8, v8, s63, v4
	v_lshrrev_b32_e32 v4, 16, v10
	v_cndmask_b32_e64 v9, v98, v18, s[42:43]
	v_cndmask_b32_e64 v14, v62, v96, s[58:59]
	v_lshrrev_b32_e32 v5, 16, v5
	v_and_or_b32 v10, v16, s63, v4
	v_lshrrev_b32_e32 v4, 16, v11
	v_and_or_b32 v9, v9, s63, v5
	v_and_or_b32 v11, v14, s63, v4
	s_mov_b64 s[40:41], 0
	s_mov_b64 s[28:29], -1
.LBB24_1201:                            ;   Parent Loop BB24_47 Depth=1
                                        ;     Parent Loop BB24_955 Depth=2
                                        ;       Parent Loop BB24_1168 Depth=3
                                        ; =>      This Inner Loop Header: Depth=4
	v_cndmask_b32_e64 v4, 0, 1, s[28:29]
	v_cmp_ne_u32_e32 vcc, 1, v4
	s_cmp_eq_u32 s40, 1
	v_cndmask_b32_e64 v17, v13, v9, s[28:29]
	v_cndmask_b32_e64 v16, v2, v8, s[28:29]
	;; [unrolled: 1-line block ×4, first 2 shown]
	v_cndmask_b32_e32 v5, v23, v25, vcc
	v_cndmask_b32_e32 v4, v22, v24, vcc
	s_cselect_b64 vcc, -1, 0
	global_store_dwordx4 v[4:5], v[16:19], off
	v_cndmask_b32_e32 v5, v23, v25, vcc
	v_cndmask_b32_e32 v4, v22, v24, vcc
	v_lshl_add_u64 v[4:5], v[4:5], 0, s[88:89]
	s_cmp_eq_u32 s40, 0
	v_cndmask_b32_e32 v25, v25, v5, vcc
	v_cndmask_b32_e32 v24, v24, v4, vcc
	s_cselect_b64 vcc, -1, 0
	v_cndmask_b32_e32 v23, v23, v5, vcc
	v_cndmask_b32_e32 v22, v22, v4, vcc
	s_mov_b64 s[40:41], 1
	s_and_b64 vcc, exec, s[28:29]
	s_mov_b64 s[28:29], 0
	s_cbranch_vccnz .LBB24_1201
; %bb.1202:                             ;   in Loop: Header=BB24_1168 Depth=3
	v_sub_u32_e32 v104, v104, v100
	v_cmp_gt_i32_e32 vcc, 16, v104
	v_lshl_add_u64 v[26:27], v[26:27], 0, v[46:47]
	v_lshl_add_u64 v[32:33], v[32:33], 0, v[46:47]
	;; [unrolled: 1-line block ×5, first 2 shown]
	s_or_b64 s[68:69], vcc, s[68:69]
	v_sub_u32_e32 v87, v87, v84
	s_andn2_b64 exec, exec, s[68:69]
	s_cbranch_execnz .LBB24_1168
; %bb.1203:                             ;   in Loop: Header=BB24_955 Depth=2
	s_or_b64 exec, exec, s[68:69]
.LBB24_1204:                            ;   in Loop: Header=BB24_955 Depth=2
	s_or_b64 exec, exec, s[66:67]
	v_and_b32_e32 v2, 14, v37
	v_cmp_lt_i32_e32 vcc, 0, v87
	v_sub_u32_e32 v4, v86, v2
	v_cndmask_b32_e64 v37, v86, v2, s[24:25]
	v_cndmask_b32_e32 v2, 0, v84, vcc
	v_cndmask_b32_e64 v4, 0, v4, s[24:25]
	v_sub_u32_e32 v2, v2, v87
	v_cmp_ne_u32_e32 vcc, 0, v37
	v_add3_u32 v18, v39, v34, v4
	v_lshl_add_u32 v19, v2, 6, v35
	s_and_b64 s[24:25], vcc, exec
.LBB24_1205:                            ;   in Loop: Header=BB24_955 Depth=2
	s_or_b64 exec, exec, s[64:65]
	s_and_saveexec_b64 s[40:41], s[24:25]
	s_cbranch_execz .LBB24_1284
.LBB24_1206:                            ;   in Loop: Header=BB24_955 Depth=2
	v_ashrrev_i32_e32 v2, 31, v19
	v_ashrrev_i32_e32 v5, 31, v37
	v_lshrrev_b32_e32 v2, 26, v2
	v_lshrrev_b32_e32 v5, 22, v5
	v_add_u32_e32 v4, v19, v2
	v_add_u32_e32 v5, v37, v5
	v_ashrrev_i32_e32 v2, 6, v4
	v_ashrrev_i32_e32 v21, 10, v5
	v_sub_u32_e32 v20, v21, v2
	v_cmp_lt_i32_e32 vcc, 0, v20
	s_and_saveexec_b64 s[26:27], vcc
	s_cbranch_execz .LBB24_1274
; %bb.1207:                             ;   in Loop: Header=BB24_955 Depth=2
	v_and_b32_e32 v4, 0x7fffffc0, v4
	s_trap 2
	ds_read_b64 v[14:15], v0
	v_sub_u32_e32 v4, v19, v4
	v_lshlrev_b32_e32 v4, 1, v4
	v_lshlrev_b32_e32 v5, 10, v2
	v_add3_u32 v4, v4, v18, v5
	s_and_b32 s74, s31, 1
	v_ashrrev_i32_e32 v5, 31, v4
	s_cmp_eq_u64 s[74:75], 0
	s_waitcnt lgkmcnt(0)
	v_lshl_add_u64 v[16:17], v[94:95], 0, s[48:49]
	v_lshl_add_u64 v[8:9], v[4:5], 0, v[50:51]
	;; [unrolled: 1-line block ×5, first 2 shown]
	s_mov_b64 s[28:29], 0
	s_cselect_b64 s[24:25], -1, 0
	v_lshl_add_u64 v[16:17], v[16:17], 0, v[4:5]
	s_branch .LBB24_1209
.LBB24_1208:                            ;   in Loop: Header=BB24_1209 Depth=3
	s_or_b64 exec, exec, s[42:43]
	v_sub_u32_e32 v20, v20, v84
	v_cmp_gt_i32_e32 vcc, 1, v20
	flat_store_short_d16_hi v[8:9], v23 offset:896 nt
	flat_store_short_d16_hi v[10:11], v26 nt
	flat_store_short_d16_hi v[10:11], v32 offset:128 nt
	flat_store_short_d16_hi v[10:11], v35 offset:256 nt
	;; [unrolled: 1-line block ×7, first 2 shown]
	v_lshl_add_u64 v[12:13], v[12:13], 0, v[100:101]
	v_lshl_add_u64 v[14:15], v[14:15], 0, v[100:101]
	;; [unrolled: 1-line block ×4, first 2 shown]
	s_or_b64 s[28:29], vcc, s[28:29]
	v_lshl_add_u64 v[16:17], v[16:17], 0, v[46:47]
	s_andn2_b64 exec, exec, s[28:29]
	s_cbranch_execz .LBB24_1273
.LBB24_1209:                            ;   Parent Loop BB24_47 Depth=1
                                        ;     Parent Loop BB24_955 Depth=2
                                        ; =>    This Inner Loop Header: Depth=3
	v_add_co_u32_e32 v4, vcc, 0xfffffc80, v16
	s_nop 1
	v_addc_co_u32_e32 v5, vcc, -1, v17, vcc
	flat_load_ushort v39, v[4:5] nt
	flat_load_ushort v32, v[12:13] offset:128 nt
	v_add_co_u32_e32 v4, vcc, 0xfffffd00, v16
	s_nop 1
	v_addc_co_u32_e32 v5, vcc, -1, v17, vcc
	flat_load_ushort v34, v[4:5] nt
	flat_load_ushort v35, v[12:13] offset:256 nt
	;; [unrolled: 5-line block ×4, first 2 shown]
	v_add_co_u32_e32 v4, vcc, 0xfffffe80, v16
	s_nop 1
	v_addc_co_u32_e32 v5, vcc, -1, v17, vcc
	v_add_co_u32_e32 v22, vcc, 0xffffff00, v16
	flat_load_ushort v25, v[4:5] nt
	s_nop 0
	flat_load_ushort v4, v[12:13] offset:640 nt
	v_addc_co_u32_e32 v23, vcc, -1, v17, vcc
	flat_load_ushort v24, v[22:23] nt
	flat_load_ushort v5, v[12:13] offset:768 nt
	v_add_co_u32_e32 v22, vcc, s80, v16
	s_nop 1
	v_addc_co_u32_e32 v23, vcc, -1, v17, vcc
	flat_load_ushort v23, v[22:23] nt
	s_nop 0
	flat_load_ushort v62, v[12:13] offset:896 nt
	flat_load_ushort v22, v[16:17] nt
	flat_load_ushort v107, v[14:15] offset:128 nt
	flat_load_ushort v73, v[14:15] offset:256 nt
	;; [unrolled: 1-line block ×7, first 2 shown]
	flat_load_ushort v26, v[12:13] nt
	flat_load_ushort v96, v[14:15] nt
	s_waitcnt vmcnt(0) lgkmcnt(0)
	v_lshlrev_b32_e32 v26, 16, v26
	v_lshlrev_b32_e32 v96, 16, v96
	v_max_f32_e32 v96, v96, v96
	v_max_f32_e32 v26, v26, v26
	v_min_f32_e32 v97, v26, v96
	v_max_f32_e32 v26, v26, v96
	v_cndmask_b32_e64 v98, v26, v97, s[24:25]
	v_and_b32_e32 v26, 0x7f800000, v98
	v_cmp_ne_u32_e32 vcc, s73, v26
                                        ; implicit-def: $vgpr26
	s_and_saveexec_b64 s[42:43], vcc
	s_xor_b64 s[42:43], exec, s[42:43]
; %bb.1210:                             ;   in Loop: Header=BB24_1209 Depth=3
	v_bfe_u32 v26, v98, 16, 1
	v_add3_u32 v26, v98, v26, s62
                                        ; implicit-def: $vgpr98
; %bb.1211:                             ;   in Loop: Header=BB24_1209 Depth=3
	s_andn2_saveexec_b64 s[42:43], s[42:43]
; %bb.1212:                             ;   in Loop: Header=BB24_1209 Depth=3
	v_or_b32_e32 v26, 0x10000, v98
	v_cmp_eq_u32_sdwa vcc, v98, v3 src0_sel:WORD_0 src1_sel:DWORD
	s_nop 1
	v_cndmask_b32_e32 v26, v26, v98, vcc
; %bb.1213:                             ;   in Loop: Header=BB24_1209 Depth=3
	s_or_b64 exec, exec, s[42:43]
	v_lshlrev_b32_e32 v32, 16, v32
	v_lshlrev_b32_e32 v96, 16, v107
	v_max_f32_e32 v96, v96, v96
	v_max_f32_e32 v32, v32, v32
	v_min_f32_e32 v97, v32, v96
	v_max_f32_e32 v32, v32, v96
	v_cndmask_b32_e64 v98, v32, v97, s[24:25]
	v_and_b32_e32 v32, 0x7f800000, v98
	v_cmp_ne_u32_e32 vcc, s73, v32
                                        ; implicit-def: $vgpr32
	s_and_saveexec_b64 s[42:43], vcc
	s_xor_b64 s[42:43], exec, s[42:43]
; %bb.1214:                             ;   in Loop: Header=BB24_1209 Depth=3
	v_bfe_u32 v32, v98, 16, 1
	v_add3_u32 v32, v98, v32, s62
                                        ; implicit-def: $vgpr98
; %bb.1215:                             ;   in Loop: Header=BB24_1209 Depth=3
	s_andn2_saveexec_b64 s[42:43], s[42:43]
; %bb.1216:                             ;   in Loop: Header=BB24_1209 Depth=3
	v_or_b32_e32 v32, 0x10000, v98
	v_cmp_eq_u32_sdwa vcc, v98, v3 src0_sel:WORD_0 src1_sel:DWORD
	s_nop 1
	v_cndmask_b32_e32 v32, v32, v98, vcc
; %bb.1217:                             ;   in Loop: Header=BB24_1209 Depth=3
	s_or_b64 exec, exec, s[42:43]
	v_lshlrev_b32_e32 v35, 16, v35
	v_lshlrev_b32_e32 v96, 16, v73
	v_max_f32_e32 v96, v96, v96
	v_max_f32_e32 v35, v35, v35
	v_min_f32_e32 v97, v35, v96
	v_max_f32_e32 v35, v35, v96
	v_cndmask_b32_e64 v98, v35, v97, s[24:25]
	v_and_b32_e32 v35, 0x7f800000, v98
	v_cmp_ne_u32_e32 vcc, s73, v35
                                        ; implicit-def: $vgpr35
	s_and_saveexec_b64 s[42:43], vcc
	s_xor_b64 s[42:43], exec, s[42:43]
; %bb.1218:                             ;   in Loop: Header=BB24_1209 Depth=3
	v_bfe_u32 v35, v98, 16, 1
	v_add3_u32 v35, v98, v35, s62
                                        ; implicit-def: $vgpr98
; %bb.1219:                             ;   in Loop: Header=BB24_1209 Depth=3
	s_andn2_saveexec_b64 s[42:43], s[42:43]
; %bb.1220:                             ;   in Loop: Header=BB24_1209 Depth=3
	v_or_b32_e32 v35, 0x10000, v98
	v_cmp_eq_u32_sdwa vcc, v98, v3 src0_sel:WORD_0 src1_sel:DWORD
	s_nop 1
	v_cndmask_b32_e32 v35, v35, v98, vcc
; %bb.1221:                             ;   in Loop: Header=BB24_1209 Depth=3
	s_or_b64 exec, exec, s[42:43]
	v_lshlrev_b32_e32 v86, 16, v86
	v_lshlrev_b32_e32 v96, 16, v72
	v_max_f32_e32 v96, v96, v96
	v_max_f32_e32 v86, v86, v86
	v_min_f32_e32 v97, v86, v96
	v_max_f32_e32 v86, v86, v96
	v_cndmask_b32_e64 v98, v86, v97, s[24:25]
	v_and_b32_e32 v86, 0x7f800000, v98
	v_cmp_ne_u32_e32 vcc, s73, v86
                                        ; implicit-def: $vgpr86
	s_and_saveexec_b64 s[42:43], vcc
	s_xor_b64 s[42:43], exec, s[42:43]
; %bb.1222:                             ;   in Loop: Header=BB24_1209 Depth=3
	v_bfe_u32 v86, v98, 16, 1
	v_add3_u32 v86, v98, v86, s62
                                        ; implicit-def: $vgpr98
; %bb.1223:                             ;   in Loop: Header=BB24_1209 Depth=3
	s_andn2_saveexec_b64 s[42:43], s[42:43]
; %bb.1224:                             ;   in Loop: Header=BB24_1209 Depth=3
	v_or_b32_e32 v86, 0x10000, v98
	v_cmp_eq_u32_sdwa vcc, v98, v3 src0_sel:WORD_0 src1_sel:DWORD
	s_nop 1
	v_cndmask_b32_e32 v86, v86, v98, vcc
; %bb.1225:                             ;   in Loop: Header=BB24_1209 Depth=3
	s_or_b64 exec, exec, s[42:43]
	v_lshlrev_b32_e32 v87, 16, v87
	v_lshlrev_b32_e32 v96, 16, v106
	v_max_f32_e32 v96, v96, v96
	v_max_f32_e32 v87, v87, v87
	v_min_f32_e32 v97, v87, v96
	v_max_f32_e32 v87, v87, v96
	v_cndmask_b32_e64 v98, v87, v97, s[24:25]
	v_and_b32_e32 v87, 0x7f800000, v98
	v_cmp_ne_u32_e32 vcc, s73, v87
                                        ; implicit-def: $vgpr87
	s_and_saveexec_b64 s[42:43], vcc
	s_xor_b64 s[42:43], exec, s[42:43]
; %bb.1226:                             ;   in Loop: Header=BB24_1209 Depth=3
	v_bfe_u32 v87, v98, 16, 1
	v_add3_u32 v87, v98, v87, s62
                                        ; implicit-def: $vgpr98
; %bb.1227:                             ;   in Loop: Header=BB24_1209 Depth=3
	s_andn2_saveexec_b64 s[42:43], s[42:43]
; %bb.1228:                             ;   in Loop: Header=BB24_1209 Depth=3
	v_or_b32_e32 v87, 0x10000, v98
	v_cmp_eq_u32_sdwa vcc, v98, v3 src0_sel:WORD_0 src1_sel:DWORD
	s_nop 1
	v_cndmask_b32_e32 v87, v87, v98, vcc
; %bb.1229:                             ;   in Loop: Header=BB24_1209 Depth=3
	s_or_b64 exec, exec, s[42:43]
	v_lshlrev_b32_e32 v4, 16, v4
	v_lshlrev_b32_e32 v96, 16, v105
	v_max_f32_e32 v96, v96, v96
	v_max_f32_e32 v4, v4, v4
	v_min_f32_e32 v97, v4, v96
	v_max_f32_e32 v4, v4, v96
	v_cndmask_b32_e64 v98, v4, v97, s[24:25]
	v_and_b32_e32 v4, 0x7f800000, v98
	v_cmp_ne_u32_e32 vcc, s73, v4
                                        ; implicit-def: $vgpr4
	s_and_saveexec_b64 s[42:43], vcc
	s_xor_b64 s[42:43], exec, s[42:43]
; %bb.1230:                             ;   in Loop: Header=BB24_1209 Depth=3
	v_bfe_u32 v4, v98, 16, 1
	v_add3_u32 v4, v98, v4, s62
                                        ; implicit-def: $vgpr98
; %bb.1231:                             ;   in Loop: Header=BB24_1209 Depth=3
	s_andn2_saveexec_b64 s[42:43], s[42:43]
; %bb.1232:                             ;   in Loop: Header=BB24_1209 Depth=3
	v_or_b32_e32 v4, 0x10000, v98
	v_cmp_eq_u32_sdwa vcc, v98, v3 src0_sel:WORD_0 src1_sel:DWORD
	s_nop 1
	v_cndmask_b32_e32 v4, v4, v98, vcc
; %bb.1233:                             ;   in Loop: Header=BB24_1209 Depth=3
	s_or_b64 exec, exec, s[42:43]
	v_lshlrev_b32_e32 v5, 16, v5
	v_lshlrev_b32_e32 v96, 16, v104
	v_max_f32_e32 v96, v96, v96
	v_max_f32_e32 v5, v5, v5
	v_min_f32_e32 v97, v5, v96
	v_max_f32_e32 v5, v5, v96
	v_cndmask_b32_e64 v98, v5, v97, s[24:25]
	v_and_b32_e32 v5, 0x7f800000, v98
	v_cmp_ne_u32_e32 vcc, s73, v5
                                        ; implicit-def: $vgpr5
	s_and_saveexec_b64 s[42:43], vcc
	s_xor_b64 s[42:43], exec, s[42:43]
; %bb.1234:                             ;   in Loop: Header=BB24_1209 Depth=3
	v_bfe_u32 v5, v98, 16, 1
	v_add3_u32 v5, v98, v5, s62
                                        ; implicit-def: $vgpr98
; %bb.1235:                             ;   in Loop: Header=BB24_1209 Depth=3
	s_andn2_saveexec_b64 s[42:43], s[42:43]
; %bb.1236:                             ;   in Loop: Header=BB24_1209 Depth=3
	v_or_b32_e32 v5, 0x10000, v98
	v_cmp_eq_u32_sdwa vcc, v98, v3 src0_sel:WORD_0 src1_sel:DWORD
	s_nop 1
	v_cndmask_b32_e32 v5, v5, v98, vcc
; %bb.1237:                             ;   in Loop: Header=BB24_1209 Depth=3
	s_or_b64 exec, exec, s[42:43]
	v_lshlrev_b32_e32 v96, 16, v62
	v_lshlrev_b32_e32 v97, 16, v63
	v_max_f32_e32 v97, v97, v97
	v_max_f32_e32 v96, v96, v96
	v_min_f32_e32 v98, v96, v97
	v_max_f32_e32 v96, v96, v97
	v_cndmask_b32_e64 v98, v96, v98, s[24:25]
	v_and_b32_e32 v96, 0x7f800000, v98
	v_cmp_ne_u32_e32 vcc, s73, v96
                                        ; implicit-def: $vgpr62
	s_and_saveexec_b64 s[42:43], vcc
	s_xor_b64 s[42:43], exec, s[42:43]
; %bb.1238:                             ;   in Loop: Header=BB24_1209 Depth=3
	v_bfe_u32 v96, v98, 16, 1
	v_add3_u32 v62, v98, v96, s62
                                        ; implicit-def: $vgpr98
; %bb.1239:                             ;   in Loop: Header=BB24_1209 Depth=3
	s_andn2_saveexec_b64 s[42:43], s[42:43]
; %bb.1240:                             ;   in Loop: Header=BB24_1209 Depth=3
	v_or_b32_e32 v96, 0x10000, v98
	v_cmp_eq_u32_sdwa vcc, v98, v3 src0_sel:WORD_0 src1_sel:DWORD
	s_nop 1
	v_cndmask_b32_e32 v62, v96, v98, vcc
; %bb.1241:                             ;   in Loop: Header=BB24_1209 Depth=3
	s_or_b64 exec, exec, s[42:43]
	v_and_b32_e32 v96, 0xffff0000, v26
	v_lshlrev_b32_e32 v39, 16, v39
	v_max_f32_e32 v96, v96, v96
	v_max_f32_e32 v39, v39, v39
	v_min_f32_e32 v97, v96, v39
	v_max_f32_e32 v39, v96, v39
	v_cndmask_b32_e64 v39, v39, v97, s[24:25]
	v_and_b32_e32 v96, 0x7f800000, v39
	v_cmp_ne_u32_e32 vcc, s73, v96
                                        ; implicit-def: $vgpr98
	s_and_saveexec_b64 s[42:43], vcc
	s_xor_b64 s[42:43], exec, s[42:43]
; %bb.1242:                             ;   in Loop: Header=BB24_1209 Depth=3
	v_bfe_u32 v96, v39, 16, 1
	v_add3_u32 v98, v39, v96, s62
                                        ; implicit-def: $vgpr39
; %bb.1243:                             ;   in Loop: Header=BB24_1209 Depth=3
	s_andn2_saveexec_b64 s[42:43], s[42:43]
; %bb.1244:                             ;   in Loop: Header=BB24_1209 Depth=3
	v_or_b32_e32 v96, 0x10000, v39
	v_cmp_eq_u32_sdwa vcc, v39, v3 src0_sel:WORD_0 src1_sel:DWORD
	s_nop 1
	v_cndmask_b32_e32 v98, v96, v39, vcc
; %bb.1245:                             ;   in Loop: Header=BB24_1209 Depth=3
	s_or_b64 exec, exec, s[42:43]
	v_and_b32_e32 v39, 0xffff0000, v32
	v_lshlrev_b32_e32 v34, 16, v34
	v_max_f32_e32 v39, v39, v39
	v_max_f32_e32 v34, v34, v34
	v_min_f32_e32 v96, v39, v34
	v_max_f32_e32 v34, v39, v34
	v_cndmask_b32_e64 v34, v34, v96, s[24:25]
	v_and_b32_e32 v39, 0x7f800000, v34
	v_cmp_ne_u32_e32 vcc, s73, v39
	flat_store_short_d16_hi v[8:9], v98 nt
                                        ; implicit-def: $vgpr39
	s_and_saveexec_b64 s[42:43], vcc
	s_xor_b64 s[42:43], exec, s[42:43]
; %bb.1246:                             ;   in Loop: Header=BB24_1209 Depth=3
	v_bfe_u32 v39, v34, 16, 1
	v_add3_u32 v39, v34, v39, s62
                                        ; implicit-def: $vgpr34
; %bb.1247:                             ;   in Loop: Header=BB24_1209 Depth=3
	s_andn2_saveexec_b64 s[42:43], s[42:43]
; %bb.1248:                             ;   in Loop: Header=BB24_1209 Depth=3
	v_or_b32_e32 v39, 0x10000, v34
	v_cmp_eq_u32_sdwa vcc, v34, v3 src0_sel:WORD_0 src1_sel:DWORD
	s_nop 1
	v_cndmask_b32_e32 v39, v39, v34, vcc
; %bb.1249:                             ;   in Loop: Header=BB24_1209 Depth=3
	s_or_b64 exec, exec, s[42:43]
	v_and_b32_e32 v34, 0xffff0000, v35
	v_lshlrev_b32_e32 v33, 16, v33
	v_max_f32_e32 v34, v34, v34
	v_max_f32_e32 v33, v33, v33
	flat_store_short_d16_hi v[8:9], v39 offset:128 nt
	v_min_f32_e32 v39, v34, v33
	v_max_f32_e32 v33, v34, v33
	v_cndmask_b32_e64 v33, v33, v39, s[24:25]
	v_and_b32_e32 v34, 0x7f800000, v33
	v_cmp_ne_u32_e32 vcc, s73, v34
                                        ; implicit-def: $vgpr34
	s_and_saveexec_b64 s[42:43], vcc
	s_xor_b64 s[42:43], exec, s[42:43]
; %bb.1250:                             ;   in Loop: Header=BB24_1209 Depth=3
	v_bfe_u32 v34, v33, 16, 1
	v_add3_u32 v34, v33, v34, s62
                                        ; implicit-def: $vgpr33
; %bb.1251:                             ;   in Loop: Header=BB24_1209 Depth=3
	s_andn2_saveexec_b64 s[42:43], s[42:43]
; %bb.1252:                             ;   in Loop: Header=BB24_1209 Depth=3
	v_or_b32_e32 v34, 0x10000, v33
	v_cmp_eq_u32_sdwa vcc, v33, v3 src0_sel:WORD_0 src1_sel:DWORD
	s_nop 1
	v_cndmask_b32_e32 v34, v34, v33, vcc
; %bb.1253:                             ;   in Loop: Header=BB24_1209 Depth=3
	s_or_b64 exec, exec, s[42:43]
	v_and_b32_e32 v33, 0xffff0000, v86
	v_lshlrev_b32_e32 v27, 16, v27
	v_max_f32_e32 v33, v33, v33
	v_max_f32_e32 v27, v27, v27
	flat_store_short_d16_hi v[8:9], v34 offset:256 nt
	v_min_f32_e32 v34, v33, v27
	v_max_f32_e32 v27, v33, v27
	v_cndmask_b32_e64 v27, v27, v34, s[24:25]
	v_and_b32_e32 v33, 0x7f800000, v27
	v_cmp_ne_u32_e32 vcc, s73, v33
                                        ; implicit-def: $vgpr33
	s_and_saveexec_b64 s[42:43], vcc
	s_xor_b64 s[42:43], exec, s[42:43]
; %bb.1254:                             ;   in Loop: Header=BB24_1209 Depth=3
	v_bfe_u32 v33, v27, 16, 1
	v_add3_u32 v33, v27, v33, s62
                                        ; implicit-def: $vgpr27
; %bb.1255:                             ;   in Loop: Header=BB24_1209 Depth=3
	s_andn2_saveexec_b64 s[42:43], s[42:43]
; %bb.1256:                             ;   in Loop: Header=BB24_1209 Depth=3
	v_or_b32_e32 v33, 0x10000, v27
	v_cmp_eq_u32_sdwa vcc, v27, v3 src0_sel:WORD_0 src1_sel:DWORD
	s_nop 1
	v_cndmask_b32_e32 v33, v33, v27, vcc
; %bb.1257:                             ;   in Loop: Header=BB24_1209 Depth=3
	s_or_b64 exec, exec, s[42:43]
	v_and_b32_e32 v27, 0xffff0000, v87
	v_lshlrev_b32_e32 v25, 16, v25
	v_max_f32_e32 v27, v27, v27
	v_max_f32_e32 v25, v25, v25
	flat_store_short_d16_hi v[8:9], v33 offset:384 nt
	v_min_f32_e32 v33, v27, v25
	v_max_f32_e32 v25, v27, v25
	v_cndmask_b32_e64 v25, v25, v33, s[24:25]
	v_and_b32_e32 v27, 0x7f800000, v25
	v_cmp_ne_u32_e32 vcc, s73, v27
                                        ; implicit-def: $vgpr27
	s_and_saveexec_b64 s[42:43], vcc
	s_xor_b64 s[42:43], exec, s[42:43]
; %bb.1258:                             ;   in Loop: Header=BB24_1209 Depth=3
	v_bfe_u32 v27, v25, 16, 1
	v_add3_u32 v27, v25, v27, s62
                                        ; implicit-def: $vgpr25
; %bb.1259:                             ;   in Loop: Header=BB24_1209 Depth=3
	s_andn2_saveexec_b64 s[42:43], s[42:43]
; %bb.1260:                             ;   in Loop: Header=BB24_1209 Depth=3
	v_or_b32_e32 v27, 0x10000, v25
	v_cmp_eq_u32_sdwa vcc, v25, v3 src0_sel:WORD_0 src1_sel:DWORD
	s_nop 1
	v_cndmask_b32_e32 v27, v27, v25, vcc
; %bb.1261:                             ;   in Loop: Header=BB24_1209 Depth=3
	s_or_b64 exec, exec, s[42:43]
	v_and_b32_e32 v25, 0xffff0000, v4
	v_lshlrev_b32_e32 v24, 16, v24
	v_max_f32_e32 v25, v25, v25
	v_max_f32_e32 v24, v24, v24
	flat_store_short_d16_hi v[8:9], v27 offset:512 nt
	v_min_f32_e32 v27, v25, v24
	v_max_f32_e32 v24, v25, v24
	v_cndmask_b32_e64 v24, v24, v27, s[24:25]
	v_and_b32_e32 v25, 0x7f800000, v24
	v_cmp_ne_u32_e32 vcc, s73, v25
                                        ; implicit-def: $vgpr25
	s_and_saveexec_b64 s[42:43], vcc
	s_xor_b64 s[42:43], exec, s[42:43]
; %bb.1262:                             ;   in Loop: Header=BB24_1209 Depth=3
	v_bfe_u32 v25, v24, 16, 1
	v_add3_u32 v25, v24, v25, s62
                                        ; implicit-def: $vgpr24
; %bb.1263:                             ;   in Loop: Header=BB24_1209 Depth=3
	s_andn2_saveexec_b64 s[42:43], s[42:43]
; %bb.1264:                             ;   in Loop: Header=BB24_1209 Depth=3
	v_or_b32_e32 v25, 0x10000, v24
	v_cmp_eq_u32_sdwa vcc, v24, v3 src0_sel:WORD_0 src1_sel:DWORD
	s_nop 1
	v_cndmask_b32_e32 v25, v25, v24, vcc
; %bb.1265:                             ;   in Loop: Header=BB24_1209 Depth=3
	s_or_b64 exec, exec, s[42:43]
	v_and_b32_e32 v24, 0xffff0000, v5
	v_lshlrev_b32_e32 v23, 16, v23
	v_max_f32_e32 v24, v24, v24
	v_max_f32_e32 v23, v23, v23
	flat_store_short_d16_hi v[8:9], v25 offset:640 nt
	v_min_f32_e32 v25, v24, v23
	v_max_f32_e32 v23, v24, v23
	v_cndmask_b32_e64 v23, v23, v25, s[24:25]
	v_and_b32_e32 v24, 0x7f800000, v23
	v_cmp_ne_u32_e32 vcc, s73, v24
                                        ; implicit-def: $vgpr24
	s_and_saveexec_b64 s[42:43], vcc
	s_xor_b64 s[42:43], exec, s[42:43]
; %bb.1266:                             ;   in Loop: Header=BB24_1209 Depth=3
	v_bfe_u32 v24, v23, 16, 1
	v_add3_u32 v24, v23, v24, s62
                                        ; implicit-def: $vgpr23
; %bb.1267:                             ;   in Loop: Header=BB24_1209 Depth=3
	s_andn2_saveexec_b64 s[42:43], s[42:43]
; %bb.1268:                             ;   in Loop: Header=BB24_1209 Depth=3
	v_or_b32_e32 v24, 0x10000, v23
	v_cmp_eq_u32_sdwa vcc, v23, v3 src0_sel:WORD_0 src1_sel:DWORD
	s_nop 1
	v_cndmask_b32_e32 v24, v24, v23, vcc
; %bb.1269:                             ;   in Loop: Header=BB24_1209 Depth=3
	s_or_b64 exec, exec, s[42:43]
	v_and_b32_e32 v23, 0xffff0000, v62
	v_lshlrev_b32_e32 v22, 16, v22
	v_max_f32_e32 v23, v23, v23
	v_max_f32_e32 v22, v22, v22
	flat_store_short_d16_hi v[8:9], v24 offset:768 nt
	v_min_f32_e32 v24, v23, v22
	v_max_f32_e32 v22, v23, v22
	v_cndmask_b32_e64 v22, v22, v24, s[24:25]
	v_and_b32_e32 v23, 0x7f800000, v22
	v_cmp_ne_u32_e32 vcc, s73, v23
                                        ; implicit-def: $vgpr23
	s_and_saveexec_b64 s[42:43], vcc
	s_xor_b64 s[42:43], exec, s[42:43]
; %bb.1270:                             ;   in Loop: Header=BB24_1209 Depth=3
	v_bfe_u32 v23, v22, 16, 1
	v_add3_u32 v23, v22, v23, s62
                                        ; implicit-def: $vgpr22
; %bb.1271:                             ;   in Loop: Header=BB24_1209 Depth=3
	s_andn2_saveexec_b64 s[42:43], s[42:43]
	s_cbranch_execz .LBB24_1208
; %bb.1272:                             ;   in Loop: Header=BB24_1209 Depth=3
	v_or_b32_e32 v23, 0x10000, v22
	v_cmp_eq_u32_sdwa vcc, v22, v3 src0_sel:WORD_0 src1_sel:DWORD
	s_nop 1
	v_cndmask_b32_e32 v23, v23, v22, vcc
	s_branch .LBB24_1208
.LBB24_1273:                            ;   in Loop: Header=BB24_955 Depth=2
	s_or_b64 exec, exec, s[28:29]
.LBB24_1274:                            ;   in Loop: Header=BB24_955 Depth=2
	s_or_b64 exec, exec, s[26:27]
	v_lshlrev_b32_e32 v4, 10, v21
	v_cmp_ne_u32_e32 vcc, v37, v4
	s_and_b64 exec, exec, vcc
	s_cbranch_execz .LBB24_1284
; %bb.1275:                             ;   in Loop: Header=BB24_955 Depth=2
	v_lshlrev_b32_e32 v2, 6, v2
	v_sub_u32_e32 v2, v19, v2
	v_lshlrev_b32_e32 v5, 6, v20
	v_sub_u32_e32 v2, v2, v5
	v_ashrrev_i32_e32 v5, 31, v2
	v_lshrrev_b32_e32 v5, 26, v5
	v_add_u32_e32 v5, v2, v5
	v_and_b32_e32 v8, 0x7fffffc0, v5
	v_sub_u32_e32 v2, v2, v8
	v_lshlrev_b32_e32 v5, 1, v5
	v_and_b32_e32 v5, 0xffffff80, v5
	v_lshlrev_b32_e32 v2, 1, v2
	v_add3_u32 v4, v5, v2, v4
	v_sub_u32_e32 v2, v37, v4
	v_cmp_lt_i32_e32 vcc, 1, v2
	s_and_b64 exec, exec, vcc
	s_cbranch_execz .LBB24_1284
; %bb.1276:                             ;   in Loop: Header=BB24_955 Depth=2
	s_trap 2
	ds_read_b64 v[16:17], v0
	v_add_u32_e32 v4, v4, v18
	s_and_b32 s74, s31, 1
	v_ashrrev_i32_e32 v5, 31, v4
	s_cmp_eq_u64 s[74:75], 0
	s_waitcnt lgkmcnt(0)
	v_lshl_add_u64 v[8:9], v[4:5], 0, v[94:95]
	v_lshl_add_u64 v[10:11], v[4:5], 0, v[50:51]
	;; [unrolled: 1-line block ×5, first 2 shown]
	s_mov_b64 s[42:43], 0
	s_cselect_b64 s[24:25], -1, 0
.LBB24_1277:                            ;   Parent Loop BB24_47 Depth=1
                                        ;     Parent Loop BB24_955 Depth=2
                                        ; =>    This Loop Header: Depth=3
                                        ;         Child Loop BB24_1282 Depth 4
	flat_load_ushort v4, v[16:17] nt
	flat_load_ushort v18, v[14:15] nt
	;; [unrolled: 1-line block ×3, first 2 shown]
	s_waitcnt vmcnt(0) lgkmcnt(0)
	v_lshlrev_b32_e32 v4, 16, v4
	v_lshlrev_b32_e32 v18, 16, v18
	v_max_f32_e32 v4, v4, v4
	v_max_f32_e32 v18, v18, v18
	v_min_f32_e32 v19, v18, v4
	v_max_f32_e32 v4, v18, v4
	v_cndmask_b32_e64 v18, v4, v19, s[24:25]
	v_and_b32_e32 v4, 0x7f800000, v18
	v_cmp_ne_u32_e32 vcc, s73, v4
                                        ; implicit-def: $vgpr4
	s_and_saveexec_b64 s[26:27], vcc
	s_xor_b64 s[26:27], exec, s[26:27]
; %bb.1278:                             ;   in Loop: Header=BB24_1277 Depth=3
	v_bfe_u32 v4, v18, 16, 1
	v_add3_u32 v4, v18, v4, s62
                                        ; implicit-def: $vgpr18
; %bb.1279:                             ;   in Loop: Header=BB24_1277 Depth=3
	s_andn2_saveexec_b64 s[26:27], s[26:27]
; %bb.1280:                             ;   in Loop: Header=BB24_1277 Depth=3
	v_or_b32_e32 v4, 0x10000, v18
	v_cmp_eq_u32_sdwa vcc, v18, v3 src0_sel:WORD_0 src1_sel:DWORD
	s_nop 1
	v_cndmask_b32_e32 v4, v4, v18, vcc
; %bb.1281:                             ;   in Loop: Header=BB24_1277 Depth=3
	s_or_b64 exec, exec, s[26:27]
	v_and_b32_e32 v18, 0xffff0000, v4
	v_lshlrev_b32_e32 v5, 16, v5
	v_max_f32_e32 v18, v18, v18
	v_max_f32_e32 v5, v5, v5
	v_min_f32_e32 v19, v18, v5
	v_max_f32_e32 v5, v18, v5
	v_cndmask_b32_e64 v5, v5, v19, s[24:25]
	v_and_b32_e32 v18, 0x7f800000, v5
	v_bfe_u32 v19, v5, 16, 1
	v_or_b32_e32 v20, 0x10000, v5
	v_cmp_eq_u32_sdwa vcc, v5, v3 src0_sel:WORD_0 src1_sel:DWORD
	v_add3_u32 v19, v5, v19, s62
	s_mov_b64 s[46:47], 0
	v_cndmask_b32_e32 v5, v20, v5, vcc
	v_cmp_eq_u32_e32 vcc, s73, v18
	s_mov_b64 s[44:45], -1
	s_nop 0
	v_cndmask_b32_e32 v5, v19, v5, vcc
.LBB24_1282:                            ;   Parent Loop BB24_47 Depth=1
                                        ;     Parent Loop BB24_955 Depth=2
                                        ;       Parent Loop BB24_1277 Depth=3
                                        ; =>      This Inner Loop Header: Depth=4
	v_cndmask_b32_e64 v18, 0, 1, s[44:45]
	s_cmp_eq_u32 s46, 1
	v_cmp_ne_u32_e32 vcc, 1, v18
	s_cselect_b64 s[26:27], -1, 0
	v_cndmask_b32_e64 v22, v4, v5, s[44:45]
	v_cndmask_b32_e32 v19, v11, v13, vcc
	v_cndmask_b32_e64 v21, v11, v13, s[26:27]
	s_cmp_eq_u32 s46, 0
	v_cndmask_b32_e32 v18, v10, v12, vcc
	v_cndmask_b32_e64 v20, v10, v12, s[26:27]
	flat_store_short_d16_hi v[18:19], v22 nt
	v_lshl_add_u64 v[18:19], v[20:21], 0, s[90:91]
	s_cselect_b64 vcc, -1, 0
	s_and_b64 s[28:29], exec, s[44:45]
	s_mov_b64 s[46:47], 1
	s_mov_b64 s[44:45], 0
	v_cndmask_b32_e64 v13, v13, v19, s[26:27]
	v_cndmask_b32_e64 v12, v12, v18, s[26:27]
	v_cndmask_b32_e32 v11, v11, v19, vcc
	v_cndmask_b32_e32 v10, v10, v18, vcc
	s_mov_b64 vcc, s[28:29]
	s_cbranch_vccnz .LBB24_1282
; %bb.1283:                             ;   in Loop: Header=BB24_1277 Depth=3
	v_sub_u32_e32 v2, v2, v114
	v_cmp_gt_i32_e32 vcc, 2, v2
	v_lshl_add_u64 v[14:15], v[14:15], 0, v[60:61]
	v_lshl_add_u64 v[16:17], v[16:17], 0, v[60:61]
	;; [unrolled: 1-line block ×4, first 2 shown]
	s_or_b64 s[42:43], vcc, s[42:43]
	v_lshl_add_u64 v[8:9], v[8:9], 0, v[60:61]
	s_andn2_b64 exec, exec, s[42:43]
	s_cbranch_execnz .LBB24_1277
.LBB24_1284:                            ;   in Loop: Header=BB24_955 Depth=2
	s_or_b64 exec, exec, s[40:41]
	s_branch .LBB24_1032
.LBB24_1285:                            ;   in Loop: Header=BB24_955 Depth=2
	s_mov_b64 s[26:27], -1
	s_and_saveexec_b64 s[24:25], s[18:19]
	s_cbranch_execz .LBB24_1287
; %bb.1286:                             ;   in Loop: Header=BB24_955 Depth=2
	ds_read_b32 v2, v0 offset:720
	s_waitcnt lgkmcnt(0)
	v_and_b32_e32 v2, 15, v2
	v_cmp_eq_u32_e32 vcc, 0, v2
	s_orn2_b64 s[26:27], vcc, exec
.LBB24_1287:                            ;   in Loop: Header=BB24_955 Depth=2
	s_or_b64 exec, exec, s[24:25]
	s_and_saveexec_b64 s[24:25], s[14:15]
	s_cbranch_execz .LBB24_1289
; %bb.1288:                             ;   in Loop: Header=BB24_955 Depth=2
	ds_read_b32 v2, v0 offset:784
	s_waitcnt lgkmcnt(0)
	v_and_b32_e32 v2, 15, v2
	v_cmp_eq_u32_e32 vcc, 0, v2
	s_and_b64 s[28:29], s[26:27], vcc
	s_andn2_b64 s[26:27], s[26:27], exec
	s_and_b64 s[28:29], s[28:29], exec
	s_or_b64 s[26:27], s[26:27], s[28:29]
.LBB24_1289:                            ;   in Loop: Header=BB24_955 Depth=2
	s_or_b64 exec, exec, s[24:25]
	s_xor_b64 s[26:27], s[26:27], -1
	v_cndmask_b32_e64 v4, 0, 1, s[26:27]
	v_lshlrev_b32_e32 v2, 1, v29
	s_mov_b64 s[24:25], -1
	v_mov_b32_e32 v16, 0
	v_cmp_ne_u32_e32 vcc, 0, v4
	s_cbranch_vccz .LBB24_1291
; %bb.1290:                             ;   in Loop: Header=BB24_955 Depth=2
	v_mov_b32_e32 v17, v0
	s_and_saveexec_b64 s[26:27], s[24:25]
	s_cbranch_execnz .LBB24_1462
	s_branch .LBB24_1538
.LBB24_1291:                            ;   in Loop: Header=BB24_955 Depth=2
	v_ashrrev_i32_e32 v4, 31, v2
	v_lshrrev_b32_e32 v4, 21, v4
	v_add_u32_e32 v4, v2, v4
	v_ashrrev_i32_e32 v39, 11, v4
	v_sub_u32_e32 v37, v39, v31
	v_cmp_lt_i32_e32 vcc, 0, v37
	s_and_saveexec_b64 s[26:27], vcc
	s_cbranch_execz .LBB24_1423
; %bb.1292:                             ;   in Loop: Header=BB24_955 Depth=2
	s_trap 2
	ds_read_b64 v[4:5], v0
	s_and_b32 s74, s31, 1
	s_cmp_eq_u64 s[74:75], 0
	v_lshl_add_u64 v[92:93], v[90:91], 0, v[102:103]
	s_mov_b64 s[28:29], 0
	s_waitcnt lgkmcnt(0)
	v_lshl_add_u64 v[94:95], v[4:5], 0, v[102:103]
	s_cselect_b64 vcc, -1, 0
	v_mov_b64_e32 v[104:105], v[102:103]
	s_branch .LBB24_1294
.LBB24_1293:                            ;   in Loop: Header=BB24_1294 Depth=3
	s_or_b64 exec, exec, s[40:41]
	v_lshrrev_b32_e32 v8, 16, v8
	v_lshrrev_b32_e32 v4, 16, v4
	v_and_or_b32 v9, v9, s63, v8
	v_and_or_b32 v8, v5, s63, v4
	v_lshrrev_b32_e32 v4, 16, v14
	v_sub_u32_e32 v37, v37, v84
	v_and_or_b32 v10, v10, s63, v4
	v_lshrrev_b32_e32 v4, 16, v15
	v_cmp_gt_i32_e64 s[24:25], 1, v37
	v_and_or_b32 v11, v11, s63, v4
	v_lshl_add_u64 v[92:93], v[92:93], 0, v[112:113]
	v_lshl_add_u64 v[94:95], v[94:95], 0, v[112:113]
	s_or_b64 s[28:29], s[24:25], s[28:29]
	v_lshl_add_u64 v[104:105], v[104:105], 0, v[112:113]
	global_store_dwordx4 v[12:13], v[8:11], off offset:1024
	s_andn2_b64 exec, exec, s[28:29]
	s_cbranch_execz .LBB24_1422
.LBB24_1294:                            ;   Parent Loop BB24_47 Depth=1
                                        ;     Parent Loop BB24_955 Depth=2
                                        ; =>    This Inner Loop Header: Depth=3
	global_load_dwordx4 v[24:27], v[92:93], off nt
	global_load_dwordx4 v[32:35], v[94:95], off nt
	global_load_dwordx4 v[16:19], v[92:93], off offset:1024 nt
	global_load_dwordx4 v[12:15], v[104:105], off nt
	global_load_dwordx4 v[8:11], v[104:105], off offset:1024 nt
	global_load_dwordx4 v[20:23], v[94:95], off offset:1024 nt
	s_waitcnt vmcnt(0)
	v_lshlrev_b32_e32 v4, 16, v24
	v_lshlrev_b32_e32 v5, 16, v32
	v_max_f32_e32 v5, v5, v5
	v_max_f32_e32 v4, v4, v4
	v_min_f32_e32 v86, v4, v5
	v_max_f32_e32 v4, v4, v5
	v_cndmask_b32_e32 v4, v4, v86, vcc
	v_and_b32_e32 v5, 0x7f800000, v4
	v_cmp_ne_u32_e64 s[24:25], s73, v5
                                        ; implicit-def: $vgpr86
	s_and_saveexec_b64 s[40:41], s[24:25]
	s_xor_b64 s[24:25], exec, s[40:41]
; %bb.1295:                             ;   in Loop: Header=BB24_1294 Depth=3
	v_bfe_u32 v5, v4, 16, 1
	v_add3_u32 v86, v4, v5, s62
                                        ; implicit-def: $vgpr4
; %bb.1296:                             ;   in Loop: Header=BB24_1294 Depth=3
	s_andn2_saveexec_b64 s[40:41], s[24:25]
; %bb.1297:                             ;   in Loop: Header=BB24_1294 Depth=3
	v_or_b32_e32 v5, 0x10000, v4
	v_cmp_eq_u32_sdwa s[24:25], v4, v3 src0_sel:WORD_0 src1_sel:DWORD
	s_nop 1
	v_cndmask_b32_e64 v86, v5, v4, s[24:25]
; %bb.1298:                             ;   in Loop: Header=BB24_1294 Depth=3
	s_or_b64 exec, exec, s[40:41]
	v_and_b32_e32 v4, 0xffff0000, v24
	v_and_b32_e32 v5, 0xffff0000, v32
	v_max_f32_e32 v5, v5, v5
	v_max_f32_e32 v4, v4, v4
	v_min_f32_e32 v24, v4, v5
	v_max_f32_e32 v4, v4, v5
	v_cndmask_b32_e32 v4, v4, v24, vcc
	v_and_b32_e32 v5, 0x7f800000, v4
	v_cmp_ne_u32_e64 s[24:25], s73, v5
                                        ; implicit-def: $vgpr24
	s_and_saveexec_b64 s[40:41], s[24:25]
	s_xor_b64 s[24:25], exec, s[40:41]
; %bb.1299:                             ;   in Loop: Header=BB24_1294 Depth=3
	v_bfe_u32 v5, v4, 16, 1
	v_add3_u32 v24, v4, v5, s62
                                        ; implicit-def: $vgpr4
; %bb.1300:                             ;   in Loop: Header=BB24_1294 Depth=3
	s_andn2_saveexec_b64 s[40:41], s[24:25]
; %bb.1301:                             ;   in Loop: Header=BB24_1294 Depth=3
	v_or_b32_e32 v5, 0x10000, v4
	v_cmp_eq_u32_sdwa s[24:25], v4, v3 src0_sel:WORD_0 src1_sel:DWORD
	s_nop 1
	v_cndmask_b32_e64 v24, v5, v4, s[24:25]
; %bb.1302:                             ;   in Loop: Header=BB24_1294 Depth=3
	s_or_b64 exec, exec, s[40:41]
	v_lshlrev_b32_e32 v4, 16, v25
	v_lshlrev_b32_e32 v5, 16, v33
	v_max_f32_e32 v5, v5, v5
	v_max_f32_e32 v4, v4, v4
	v_min_f32_e32 v32, v4, v5
	v_max_f32_e32 v4, v4, v5
	v_cndmask_b32_e32 v4, v4, v32, vcc
	v_and_b32_e32 v5, 0x7f800000, v4
	v_cmp_ne_u32_e64 s[24:25], s73, v5
                                        ; implicit-def: $vgpr32
	s_and_saveexec_b64 s[40:41], s[24:25]
	s_xor_b64 s[24:25], exec, s[40:41]
; %bb.1303:                             ;   in Loop: Header=BB24_1294 Depth=3
	v_bfe_u32 v5, v4, 16, 1
	v_add3_u32 v32, v4, v5, s62
                                        ; implicit-def: $vgpr4
; %bb.1304:                             ;   in Loop: Header=BB24_1294 Depth=3
	s_andn2_saveexec_b64 s[40:41], s[24:25]
; %bb.1305:                             ;   in Loop: Header=BB24_1294 Depth=3
	v_or_b32_e32 v5, 0x10000, v4
	v_cmp_eq_u32_sdwa s[24:25], v4, v3 src0_sel:WORD_0 src1_sel:DWORD
	s_nop 1
	v_cndmask_b32_e64 v32, v5, v4, s[24:25]
; %bb.1306:                             ;   in Loop: Header=BB24_1294 Depth=3
	s_or_b64 exec, exec, s[40:41]
	v_and_b32_e32 v4, 0xffff0000, v25
	v_and_b32_e32 v5, 0xffff0000, v33
	v_max_f32_e32 v5, v5, v5
	v_max_f32_e32 v4, v4, v4
	v_min_f32_e32 v25, v4, v5
	v_max_f32_e32 v4, v4, v5
	v_cndmask_b32_e32 v4, v4, v25, vcc
	v_and_b32_e32 v5, 0x7f800000, v4
	v_cmp_ne_u32_e64 s[24:25], s73, v5
                                        ; implicit-def: $vgpr25
	s_and_saveexec_b64 s[40:41], s[24:25]
	s_xor_b64 s[24:25], exec, s[40:41]
; %bb.1307:                             ;   in Loop: Header=BB24_1294 Depth=3
	v_bfe_u32 v5, v4, 16, 1
	v_add3_u32 v25, v4, v5, s62
                                        ; implicit-def: $vgpr4
; %bb.1308:                             ;   in Loop: Header=BB24_1294 Depth=3
	s_andn2_saveexec_b64 s[40:41], s[24:25]
; %bb.1309:                             ;   in Loop: Header=BB24_1294 Depth=3
	v_or_b32_e32 v5, 0x10000, v4
	v_cmp_eq_u32_sdwa s[24:25], v4, v3 src0_sel:WORD_0 src1_sel:DWORD
	s_nop 1
	v_cndmask_b32_e64 v25, v5, v4, s[24:25]
; %bb.1310:                             ;   in Loop: Header=BB24_1294 Depth=3
	s_or_b64 exec, exec, s[40:41]
	v_lshlrev_b32_e32 v4, 16, v26
	v_lshlrev_b32_e32 v5, 16, v34
	v_max_f32_e32 v5, v5, v5
	v_max_f32_e32 v4, v4, v4
	v_min_f32_e32 v33, v4, v5
	v_max_f32_e32 v4, v4, v5
	v_cndmask_b32_e32 v4, v4, v33, vcc
	v_and_b32_e32 v5, 0x7f800000, v4
	v_cmp_ne_u32_e64 s[24:25], s73, v5
                                        ; implicit-def: $vgpr33
	s_and_saveexec_b64 s[40:41], s[24:25]
	s_xor_b64 s[24:25], exec, s[40:41]
; %bb.1311:                             ;   in Loop: Header=BB24_1294 Depth=3
	v_bfe_u32 v5, v4, 16, 1
	v_add3_u32 v33, v4, v5, s62
                                        ; implicit-def: $vgpr4
; %bb.1312:                             ;   in Loop: Header=BB24_1294 Depth=3
	s_andn2_saveexec_b64 s[40:41], s[24:25]
; %bb.1313:                             ;   in Loop: Header=BB24_1294 Depth=3
	v_or_b32_e32 v5, 0x10000, v4
	v_cmp_eq_u32_sdwa s[24:25], v4, v3 src0_sel:WORD_0 src1_sel:DWORD
	s_nop 1
	v_cndmask_b32_e64 v33, v5, v4, s[24:25]
; %bb.1314:                             ;   in Loop: Header=BB24_1294 Depth=3
	s_or_b64 exec, exec, s[40:41]
	v_and_b32_e32 v4, 0xffff0000, v26
	v_and_b32_e32 v5, 0xffff0000, v34
	v_max_f32_e32 v5, v5, v5
	v_max_f32_e32 v4, v4, v4
	v_min_f32_e32 v26, v4, v5
	v_max_f32_e32 v4, v4, v5
	v_cndmask_b32_e32 v4, v4, v26, vcc
	v_and_b32_e32 v5, 0x7f800000, v4
	v_cmp_ne_u32_e64 s[24:25], s73, v5
                                        ; implicit-def: $vgpr26
	s_and_saveexec_b64 s[40:41], s[24:25]
	s_xor_b64 s[24:25], exec, s[40:41]
; %bb.1315:                             ;   in Loop: Header=BB24_1294 Depth=3
	v_bfe_u32 v5, v4, 16, 1
	v_add3_u32 v26, v4, v5, s62
                                        ; implicit-def: $vgpr4
; %bb.1316:                             ;   in Loop: Header=BB24_1294 Depth=3
	s_andn2_saveexec_b64 s[40:41], s[24:25]
; %bb.1317:                             ;   in Loop: Header=BB24_1294 Depth=3
	v_or_b32_e32 v5, 0x10000, v4
	v_cmp_eq_u32_sdwa s[24:25], v4, v3 src0_sel:WORD_0 src1_sel:DWORD
	s_nop 1
	v_cndmask_b32_e64 v26, v5, v4, s[24:25]
; %bb.1318:                             ;   in Loop: Header=BB24_1294 Depth=3
	s_or_b64 exec, exec, s[40:41]
	v_lshlrev_b32_e32 v4, 16, v27
	v_lshlrev_b32_e32 v5, 16, v35
	v_max_f32_e32 v5, v5, v5
	v_max_f32_e32 v4, v4, v4
	v_min_f32_e32 v34, v4, v5
	v_max_f32_e32 v4, v4, v5
	v_cndmask_b32_e32 v4, v4, v34, vcc
	v_and_b32_e32 v5, 0x7f800000, v4
	v_cmp_ne_u32_e64 s[24:25], s73, v5
                                        ; implicit-def: $vgpr34
	s_and_saveexec_b64 s[40:41], s[24:25]
	s_xor_b64 s[24:25], exec, s[40:41]
; %bb.1319:                             ;   in Loop: Header=BB24_1294 Depth=3
	v_bfe_u32 v5, v4, 16, 1
	v_add3_u32 v34, v4, v5, s62
                                        ; implicit-def: $vgpr4
; %bb.1320:                             ;   in Loop: Header=BB24_1294 Depth=3
	s_andn2_saveexec_b64 s[40:41], s[24:25]
; %bb.1321:                             ;   in Loop: Header=BB24_1294 Depth=3
	v_or_b32_e32 v5, 0x10000, v4
	v_cmp_eq_u32_sdwa s[24:25], v4, v3 src0_sel:WORD_0 src1_sel:DWORD
	s_nop 1
	v_cndmask_b32_e64 v34, v5, v4, s[24:25]
; %bb.1322:                             ;   in Loop: Header=BB24_1294 Depth=3
	s_or_b64 exec, exec, s[40:41]
	v_and_b32_e32 v4, 0xffff0000, v27
	v_and_b32_e32 v5, 0xffff0000, v35
	v_max_f32_e32 v5, v5, v5
	v_max_f32_e32 v4, v4, v4
	v_min_f32_e32 v27, v4, v5
	v_max_f32_e32 v4, v4, v5
	v_cndmask_b32_e32 v4, v4, v27, vcc
	v_and_b32_e32 v5, 0x7f800000, v4
	v_cmp_ne_u32_e64 s[24:25], s73, v5
                                        ; implicit-def: $vgpr27
	s_and_saveexec_b64 s[40:41], s[24:25]
	s_xor_b64 s[24:25], exec, s[40:41]
; %bb.1323:                             ;   in Loop: Header=BB24_1294 Depth=3
	v_bfe_u32 v5, v4, 16, 1
	v_add3_u32 v27, v4, v5, s62
                                        ; implicit-def: $vgpr4
; %bb.1324:                             ;   in Loop: Header=BB24_1294 Depth=3
	s_andn2_saveexec_b64 s[40:41], s[24:25]
; %bb.1325:                             ;   in Loop: Header=BB24_1294 Depth=3
	v_or_b32_e32 v5, 0x10000, v4
	v_cmp_eq_u32_sdwa s[24:25], v4, v3 src0_sel:WORD_0 src1_sel:DWORD
	s_nop 1
	v_cndmask_b32_e64 v27, v5, v4, s[24:25]
; %bb.1326:                             ;   in Loop: Header=BB24_1294 Depth=3
	s_or_b64 exec, exec, s[40:41]
	v_lshlrev_b32_e32 v4, 16, v16
	v_lshlrev_b32_e32 v5, 16, v20
	v_max_f32_e32 v5, v5, v5
	v_max_f32_e32 v4, v4, v4
	v_min_f32_e32 v35, v4, v5
	v_max_f32_e32 v4, v4, v5
	v_cndmask_b32_e32 v4, v4, v35, vcc
	v_and_b32_e32 v5, 0x7f800000, v4
	v_cmp_ne_u32_e64 s[24:25], s73, v5
                                        ; implicit-def: $vgpr35
	s_and_saveexec_b64 s[40:41], s[24:25]
	s_xor_b64 s[24:25], exec, s[40:41]
; %bb.1327:                             ;   in Loop: Header=BB24_1294 Depth=3
	v_bfe_u32 v5, v4, 16, 1
	v_add3_u32 v35, v4, v5, s62
                                        ; implicit-def: $vgpr4
; %bb.1328:                             ;   in Loop: Header=BB24_1294 Depth=3
	s_andn2_saveexec_b64 s[40:41], s[24:25]
; %bb.1329:                             ;   in Loop: Header=BB24_1294 Depth=3
	v_or_b32_e32 v5, 0x10000, v4
	v_cmp_eq_u32_sdwa s[24:25], v4, v3 src0_sel:WORD_0 src1_sel:DWORD
	s_nop 1
	v_cndmask_b32_e64 v35, v5, v4, s[24:25]
; %bb.1330:                             ;   in Loop: Header=BB24_1294 Depth=3
	s_or_b64 exec, exec, s[40:41]
	v_and_b32_e32 v4, 0xffff0000, v16
	v_and_b32_e32 v5, 0xffff0000, v20
	v_max_f32_e32 v5, v5, v5
	v_max_f32_e32 v4, v4, v4
	v_min_f32_e32 v16, v4, v5
	v_max_f32_e32 v4, v4, v5
	v_cndmask_b32_e32 v4, v4, v16, vcc
	v_and_b32_e32 v5, 0x7f800000, v4
	v_cmp_ne_u32_e64 s[24:25], s73, v5
                                        ; implicit-def: $vgpr16
	s_and_saveexec_b64 s[40:41], s[24:25]
	s_xor_b64 s[24:25], exec, s[40:41]
; %bb.1331:                             ;   in Loop: Header=BB24_1294 Depth=3
	v_bfe_u32 v5, v4, 16, 1
	v_add3_u32 v16, v4, v5, s62
                                        ; implicit-def: $vgpr4
; %bb.1332:                             ;   in Loop: Header=BB24_1294 Depth=3
	s_andn2_saveexec_b64 s[40:41], s[24:25]
; %bb.1333:                             ;   in Loop: Header=BB24_1294 Depth=3
	v_or_b32_e32 v5, 0x10000, v4
	v_cmp_eq_u32_sdwa s[24:25], v4, v3 src0_sel:WORD_0 src1_sel:DWORD
	s_nop 1
	v_cndmask_b32_e64 v16, v5, v4, s[24:25]
; %bb.1334:                             ;   in Loop: Header=BB24_1294 Depth=3
	s_or_b64 exec, exec, s[40:41]
	v_lshlrev_b32_e32 v4, 16, v17
	v_lshlrev_b32_e32 v5, 16, v21
	v_max_f32_e32 v5, v5, v5
	v_max_f32_e32 v4, v4, v4
	v_min_f32_e32 v20, v4, v5
	v_max_f32_e32 v4, v4, v5
	v_cndmask_b32_e32 v4, v4, v20, vcc
	v_and_b32_e32 v5, 0x7f800000, v4
	v_cmp_ne_u32_e64 s[24:25], s73, v5
                                        ; implicit-def: $vgpr20
	s_and_saveexec_b64 s[40:41], s[24:25]
	s_xor_b64 s[24:25], exec, s[40:41]
; %bb.1335:                             ;   in Loop: Header=BB24_1294 Depth=3
	v_bfe_u32 v5, v4, 16, 1
	v_add3_u32 v20, v4, v5, s62
                                        ; implicit-def: $vgpr4
; %bb.1336:                             ;   in Loop: Header=BB24_1294 Depth=3
	s_andn2_saveexec_b64 s[40:41], s[24:25]
; %bb.1337:                             ;   in Loop: Header=BB24_1294 Depth=3
	v_or_b32_e32 v5, 0x10000, v4
	v_cmp_eq_u32_sdwa s[24:25], v4, v3 src0_sel:WORD_0 src1_sel:DWORD
	s_nop 1
	v_cndmask_b32_e64 v20, v5, v4, s[24:25]
; %bb.1338:                             ;   in Loop: Header=BB24_1294 Depth=3
	s_or_b64 exec, exec, s[40:41]
	v_and_b32_e32 v4, 0xffff0000, v17
	v_and_b32_e32 v5, 0xffff0000, v21
	v_max_f32_e32 v5, v5, v5
	v_max_f32_e32 v4, v4, v4
	v_min_f32_e32 v17, v4, v5
	v_max_f32_e32 v4, v4, v5
	v_cndmask_b32_e32 v4, v4, v17, vcc
	v_and_b32_e32 v5, 0x7f800000, v4
	v_cmp_ne_u32_e64 s[24:25], s73, v5
                                        ; implicit-def: $vgpr17
	s_and_saveexec_b64 s[40:41], s[24:25]
	s_xor_b64 s[24:25], exec, s[40:41]
; %bb.1339:                             ;   in Loop: Header=BB24_1294 Depth=3
	v_bfe_u32 v5, v4, 16, 1
	v_add3_u32 v17, v4, v5, s62
                                        ; implicit-def: $vgpr4
; %bb.1340:                             ;   in Loop: Header=BB24_1294 Depth=3
	s_andn2_saveexec_b64 s[40:41], s[24:25]
; %bb.1341:                             ;   in Loop: Header=BB24_1294 Depth=3
	v_or_b32_e32 v5, 0x10000, v4
	v_cmp_eq_u32_sdwa s[24:25], v4, v3 src0_sel:WORD_0 src1_sel:DWORD
	s_nop 1
	v_cndmask_b32_e64 v17, v5, v4, s[24:25]
; %bb.1342:                             ;   in Loop: Header=BB24_1294 Depth=3
	s_or_b64 exec, exec, s[40:41]
	v_lshlrev_b32_e32 v4, 16, v18
	v_lshlrev_b32_e32 v5, 16, v22
	v_max_f32_e32 v5, v5, v5
	v_max_f32_e32 v4, v4, v4
	v_min_f32_e32 v21, v4, v5
	v_max_f32_e32 v4, v4, v5
	v_cndmask_b32_e32 v4, v4, v21, vcc
	v_and_b32_e32 v5, 0x7f800000, v4
	v_cmp_ne_u32_e64 s[24:25], s73, v5
                                        ; implicit-def: $vgpr21
	s_and_saveexec_b64 s[40:41], s[24:25]
	s_xor_b64 s[24:25], exec, s[40:41]
; %bb.1343:                             ;   in Loop: Header=BB24_1294 Depth=3
	v_bfe_u32 v5, v4, 16, 1
	v_add3_u32 v21, v4, v5, s62
                                        ; implicit-def: $vgpr4
; %bb.1344:                             ;   in Loop: Header=BB24_1294 Depth=3
	s_andn2_saveexec_b64 s[40:41], s[24:25]
; %bb.1345:                             ;   in Loop: Header=BB24_1294 Depth=3
	v_or_b32_e32 v5, 0x10000, v4
	v_cmp_eq_u32_sdwa s[24:25], v4, v3 src0_sel:WORD_0 src1_sel:DWORD
	s_nop 1
	v_cndmask_b32_e64 v21, v5, v4, s[24:25]
; %bb.1346:                             ;   in Loop: Header=BB24_1294 Depth=3
	s_or_b64 exec, exec, s[40:41]
	v_and_b32_e32 v4, 0xffff0000, v18
	v_and_b32_e32 v5, 0xffff0000, v22
	v_max_f32_e32 v5, v5, v5
	v_max_f32_e32 v4, v4, v4
	v_min_f32_e32 v18, v4, v5
	v_max_f32_e32 v4, v4, v5
	v_cndmask_b32_e32 v4, v4, v18, vcc
	v_and_b32_e32 v5, 0x7f800000, v4
	v_cmp_ne_u32_e64 s[24:25], s73, v5
                                        ; implicit-def: $vgpr18
	s_and_saveexec_b64 s[40:41], s[24:25]
	s_xor_b64 s[24:25], exec, s[40:41]
; %bb.1347:                             ;   in Loop: Header=BB24_1294 Depth=3
	v_bfe_u32 v5, v4, 16, 1
	v_add3_u32 v18, v4, v5, s62
                                        ; implicit-def: $vgpr4
; %bb.1348:                             ;   in Loop: Header=BB24_1294 Depth=3
	s_andn2_saveexec_b64 s[40:41], s[24:25]
; %bb.1349:                             ;   in Loop: Header=BB24_1294 Depth=3
	v_or_b32_e32 v5, 0x10000, v4
	v_cmp_eq_u32_sdwa s[24:25], v4, v3 src0_sel:WORD_0 src1_sel:DWORD
	s_nop 1
	v_cndmask_b32_e64 v18, v5, v4, s[24:25]
; %bb.1350:                             ;   in Loop: Header=BB24_1294 Depth=3
	s_or_b64 exec, exec, s[40:41]
	v_lshlrev_b32_e32 v4, 16, v19
	v_lshlrev_b32_e32 v5, 16, v23
	v_max_f32_e32 v5, v5, v5
	v_max_f32_e32 v4, v4, v4
	v_min_f32_e32 v22, v4, v5
	v_max_f32_e32 v4, v4, v5
	v_cndmask_b32_e32 v4, v4, v22, vcc
	v_and_b32_e32 v5, 0x7f800000, v4
	v_cmp_ne_u32_e64 s[24:25], s73, v5
                                        ; implicit-def: $vgpr22
	s_and_saveexec_b64 s[40:41], s[24:25]
	s_xor_b64 s[24:25], exec, s[40:41]
; %bb.1351:                             ;   in Loop: Header=BB24_1294 Depth=3
	v_bfe_u32 v5, v4, 16, 1
	v_add3_u32 v22, v4, v5, s62
                                        ; implicit-def: $vgpr4
; %bb.1352:                             ;   in Loop: Header=BB24_1294 Depth=3
	s_andn2_saveexec_b64 s[40:41], s[24:25]
; %bb.1353:                             ;   in Loop: Header=BB24_1294 Depth=3
	v_or_b32_e32 v5, 0x10000, v4
	v_cmp_eq_u32_sdwa s[24:25], v4, v3 src0_sel:WORD_0 src1_sel:DWORD
	s_nop 1
	v_cndmask_b32_e64 v22, v5, v4, s[24:25]
; %bb.1354:                             ;   in Loop: Header=BB24_1294 Depth=3
	s_or_b64 exec, exec, s[40:41]
	v_and_b32_e32 v4, 0xffff0000, v19
	v_and_b32_e32 v5, 0xffff0000, v23
	v_max_f32_e32 v5, v5, v5
	v_max_f32_e32 v4, v4, v4
	v_min_f32_e32 v19, v4, v5
	v_max_f32_e32 v4, v4, v5
	v_cndmask_b32_e32 v4, v4, v19, vcc
	v_and_b32_e32 v5, 0x7f800000, v4
	v_cmp_ne_u32_e64 s[24:25], s73, v5
                                        ; implicit-def: $vgpr19
	s_and_saveexec_b64 s[40:41], s[24:25]
	s_xor_b64 s[24:25], exec, s[40:41]
; %bb.1355:                             ;   in Loop: Header=BB24_1294 Depth=3
	v_bfe_u32 v5, v4, 16, 1
	v_add3_u32 v19, v4, v5, s62
                                        ; implicit-def: $vgpr4
; %bb.1356:                             ;   in Loop: Header=BB24_1294 Depth=3
	s_andn2_saveexec_b64 s[40:41], s[24:25]
; %bb.1357:                             ;   in Loop: Header=BB24_1294 Depth=3
	v_or_b32_e32 v5, 0x10000, v4
	v_cmp_eq_u32_sdwa s[24:25], v4, v3 src0_sel:WORD_0 src1_sel:DWORD
	s_nop 1
	v_cndmask_b32_e64 v19, v5, v4, s[24:25]
; %bb.1358:                             ;   in Loop: Header=BB24_1294 Depth=3
	s_or_b64 exec, exec, s[40:41]
	v_and_b32_e32 v4, 0xffff0000, v86
	v_lshlrev_b32_e32 v5, 16, v12
	v_max_f32_e32 v4, v4, v4
	v_max_f32_e32 v5, v5, v5
	v_min_f32_e32 v23, v4, v5
	v_max_f32_e32 v4, v4, v5
	v_cndmask_b32_e32 v5, v4, v23, vcc
	v_and_b32_e32 v4, 0x7f800000, v5
	v_cmp_ne_u32_e64 s[24:25], s73, v4
                                        ; implicit-def: $vgpr4
	s_and_saveexec_b64 s[40:41], s[24:25]
	s_xor_b64 s[24:25], exec, s[40:41]
; %bb.1359:                             ;   in Loop: Header=BB24_1294 Depth=3
	v_bfe_u32 v4, v5, 16, 1
	v_add3_u32 v4, v5, v4, s62
                                        ; implicit-def: $vgpr5
; %bb.1360:                             ;   in Loop: Header=BB24_1294 Depth=3
	s_andn2_saveexec_b64 s[40:41], s[24:25]
; %bb.1361:                             ;   in Loop: Header=BB24_1294 Depth=3
	v_or_b32_e32 v4, 0x10000, v5
	v_cmp_eq_u32_sdwa s[24:25], v5, v3 src0_sel:WORD_0 src1_sel:DWORD
	s_nop 1
	v_cndmask_b32_e64 v4, v4, v5, s[24:25]
; %bb.1362:                             ;   in Loop: Header=BB24_1294 Depth=3
	s_or_b64 exec, exec, s[40:41]
	v_and_b32_e32 v5, 0xffff0000, v12
	v_and_b32_e32 v12, 0xffff0000, v24
	v_max_f32_e32 v5, v5, v5
	v_max_f32_e32 v12, v12, v12
	v_min_f32_e32 v23, v12, v5
	v_max_f32_e32 v5, v12, v5
	v_cndmask_b32_e32 v12, v5, v23, vcc
	v_and_b32_e32 v5, 0x7f800000, v12
	v_cmp_ne_u32_e64 s[24:25], s73, v5
                                        ; implicit-def: $vgpr5
	s_and_saveexec_b64 s[40:41], s[24:25]
	s_xor_b64 s[24:25], exec, s[40:41]
; %bb.1363:                             ;   in Loop: Header=BB24_1294 Depth=3
	v_bfe_u32 v5, v12, 16, 1
	v_add3_u32 v5, v12, v5, s62
                                        ; implicit-def: $vgpr12
; %bb.1364:                             ;   in Loop: Header=BB24_1294 Depth=3
	s_andn2_saveexec_b64 s[40:41], s[24:25]
; %bb.1365:                             ;   in Loop: Header=BB24_1294 Depth=3
	v_or_b32_e32 v5, 0x10000, v12
	v_cmp_eq_u32_sdwa s[24:25], v12, v3 src0_sel:WORD_0 src1_sel:DWORD
	s_nop 1
	v_cndmask_b32_e64 v5, v5, v12, s[24:25]
; %bb.1366:                             ;   in Loop: Header=BB24_1294 Depth=3
	s_or_b64 exec, exec, s[40:41]
	v_and_b32_e32 v12, 0xffff0000, v32
	v_lshlrev_b32_e32 v23, 16, v13
	v_max_f32_e32 v12, v12, v12
	v_max_f32_e32 v23, v23, v23
	v_min_f32_e32 v24, v12, v23
	v_max_f32_e32 v12, v12, v23
	v_cndmask_b32_e32 v12, v12, v24, vcc
	v_and_b32_e32 v23, 0x7f800000, v12
	v_cmp_ne_u32_e64 s[24:25], s73, v23
                                        ; implicit-def: $vgpr23
	s_and_saveexec_b64 s[40:41], s[24:25]
	s_xor_b64 s[24:25], exec, s[40:41]
; %bb.1367:                             ;   in Loop: Header=BB24_1294 Depth=3
	v_bfe_u32 v23, v12, 16, 1
	v_add3_u32 v23, v12, v23, s62
                                        ; implicit-def: $vgpr12
; %bb.1368:                             ;   in Loop: Header=BB24_1294 Depth=3
	s_andn2_saveexec_b64 s[40:41], s[24:25]
; %bb.1369:                             ;   in Loop: Header=BB24_1294 Depth=3
	v_or_b32_e32 v23, 0x10000, v12
	v_cmp_eq_u32_sdwa s[24:25], v12, v3 src0_sel:WORD_0 src1_sel:DWORD
	s_nop 1
	v_cndmask_b32_e64 v23, v23, v12, s[24:25]
; %bb.1370:                             ;   in Loop: Header=BB24_1294 Depth=3
	s_or_b64 exec, exec, s[40:41]
	v_and_b32_e32 v12, 0xffff0000, v13
	v_and_b32_e32 v13, 0xffff0000, v25
	v_max_f32_e32 v12, v12, v12
	v_max_f32_e32 v13, v13, v13
	v_min_f32_e32 v24, v13, v12
	v_max_f32_e32 v12, v13, v12
	v_cndmask_b32_e32 v12, v12, v24, vcc
	v_and_b32_e32 v13, 0x7f800000, v12
	v_cmp_ne_u32_e64 s[24:25], s73, v13
                                        ; implicit-def: $vgpr24
	s_and_saveexec_b64 s[40:41], s[24:25]
	s_xor_b64 s[24:25], exec, s[40:41]
; %bb.1371:                             ;   in Loop: Header=BB24_1294 Depth=3
	v_bfe_u32 v13, v12, 16, 1
	v_add3_u32 v24, v12, v13, s62
                                        ; implicit-def: $vgpr12
; %bb.1372:                             ;   in Loop: Header=BB24_1294 Depth=3
	s_andn2_saveexec_b64 s[40:41], s[24:25]
; %bb.1373:                             ;   in Loop: Header=BB24_1294 Depth=3
	v_or_b32_e32 v13, 0x10000, v12
	v_cmp_eq_u32_sdwa s[24:25], v12, v3 src0_sel:WORD_0 src1_sel:DWORD
	s_nop 1
	v_cndmask_b32_e64 v24, v13, v12, s[24:25]
; %bb.1374:                             ;   in Loop: Header=BB24_1294 Depth=3
	s_or_b64 exec, exec, s[40:41]
	v_and_b32_e32 v12, 0xffff0000, v33
	v_lshlrev_b32_e32 v13, 16, v14
	v_max_f32_e32 v12, v12, v12
	v_max_f32_e32 v13, v13, v13
	v_min_f32_e32 v25, v12, v13
	v_max_f32_e32 v12, v12, v13
	v_cndmask_b32_e32 v12, v12, v25, vcc
	v_and_b32_e32 v13, 0x7f800000, v12
	v_cmp_ne_u32_e64 s[24:25], s73, v13
                                        ; implicit-def: $vgpr25
	s_and_saveexec_b64 s[40:41], s[24:25]
	s_xor_b64 s[24:25], exec, s[40:41]
; %bb.1375:                             ;   in Loop: Header=BB24_1294 Depth=3
	v_bfe_u32 v13, v12, 16, 1
	v_add3_u32 v25, v12, v13, s62
                                        ; implicit-def: $vgpr12
; %bb.1376:                             ;   in Loop: Header=BB24_1294 Depth=3
	s_andn2_saveexec_b64 s[40:41], s[24:25]
; %bb.1377:                             ;   in Loop: Header=BB24_1294 Depth=3
	v_or_b32_e32 v13, 0x10000, v12
	v_cmp_eq_u32_sdwa s[24:25], v12, v3 src0_sel:WORD_0 src1_sel:DWORD
	s_nop 1
	v_cndmask_b32_e64 v25, v13, v12, s[24:25]
; %bb.1378:                             ;   in Loop: Header=BB24_1294 Depth=3
	s_or_b64 exec, exec, s[40:41]
	v_and_b32_e32 v12, 0xffff0000, v14
	v_and_b32_e32 v13, 0xffff0000, v26
	v_max_f32_e32 v12, v12, v12
	v_max_f32_e32 v13, v13, v13
	v_min_f32_e32 v14, v13, v12
	v_max_f32_e32 v12, v13, v12
	v_cndmask_b32_e32 v12, v12, v14, vcc
	v_and_b32_e32 v13, 0x7f800000, v12
	v_cmp_ne_u32_e64 s[24:25], s73, v13
                                        ; implicit-def: $vgpr14
	s_and_saveexec_b64 s[40:41], s[24:25]
	s_xor_b64 s[24:25], exec, s[40:41]
; %bb.1379:                             ;   in Loop: Header=BB24_1294 Depth=3
	v_bfe_u32 v13, v12, 16, 1
	v_add3_u32 v14, v12, v13, s62
                                        ; implicit-def: $vgpr12
; %bb.1380:                             ;   in Loop: Header=BB24_1294 Depth=3
	s_andn2_saveexec_b64 s[40:41], s[24:25]
; %bb.1381:                             ;   in Loop: Header=BB24_1294 Depth=3
	v_or_b32_e32 v13, 0x10000, v12
	v_cmp_eq_u32_sdwa s[24:25], v12, v3 src0_sel:WORD_0 src1_sel:DWORD
	s_nop 1
	v_cndmask_b32_e64 v14, v13, v12, s[24:25]
; %bb.1382:                             ;   in Loop: Header=BB24_1294 Depth=3
	s_or_b64 exec, exec, s[40:41]
	v_and_b32_e32 v12, 0xffff0000, v34
	v_lshlrev_b32_e32 v13, 16, v15
	v_max_f32_e32 v12, v12, v12
	v_max_f32_e32 v13, v13, v13
	v_min_f32_e32 v26, v12, v13
	v_max_f32_e32 v12, v12, v13
	v_cndmask_b32_e32 v12, v12, v26, vcc
	v_and_b32_e32 v13, 0x7f800000, v12
	v_cmp_ne_u32_e64 s[24:25], s73, v13
                                        ; implicit-def: $vgpr26
	s_and_saveexec_b64 s[40:41], s[24:25]
	s_xor_b64 s[24:25], exec, s[40:41]
; %bb.1383:                             ;   in Loop: Header=BB24_1294 Depth=3
	v_bfe_u32 v13, v12, 16, 1
	v_add3_u32 v26, v12, v13, s62
                                        ; implicit-def: $vgpr12
; %bb.1384:                             ;   in Loop: Header=BB24_1294 Depth=3
	s_andn2_saveexec_b64 s[40:41], s[24:25]
; %bb.1385:                             ;   in Loop: Header=BB24_1294 Depth=3
	v_or_b32_e32 v13, 0x10000, v12
	v_cmp_eq_u32_sdwa s[24:25], v12, v3 src0_sel:WORD_0 src1_sel:DWORD
	s_nop 1
	v_cndmask_b32_e64 v26, v13, v12, s[24:25]
; %bb.1386:                             ;   in Loop: Header=BB24_1294 Depth=3
	s_or_b64 exec, exec, s[40:41]
	v_and_b32_e32 v12, 0xffff0000, v15
	v_and_b32_e32 v13, 0xffff0000, v27
	v_max_f32_e32 v12, v12, v12
	v_max_f32_e32 v13, v13, v13
	v_min_f32_e32 v15, v13, v12
	v_max_f32_e32 v12, v13, v12
	v_cndmask_b32_e32 v12, v12, v15, vcc
	v_and_b32_e32 v13, 0x7f800000, v12
	v_cmp_ne_u32_e64 s[24:25], s73, v13
                                        ; implicit-def: $vgpr15
	s_and_saveexec_b64 s[40:41], s[24:25]
	s_xor_b64 s[24:25], exec, s[40:41]
; %bb.1387:                             ;   in Loop: Header=BB24_1294 Depth=3
	v_bfe_u32 v13, v12, 16, 1
	v_add3_u32 v15, v12, v13, s62
                                        ; implicit-def: $vgpr12
; %bb.1388:                             ;   in Loop: Header=BB24_1294 Depth=3
	s_andn2_saveexec_b64 s[40:41], s[24:25]
; %bb.1389:                             ;   in Loop: Header=BB24_1294 Depth=3
	v_or_b32_e32 v13, 0x10000, v12
	v_cmp_eq_u32_sdwa s[24:25], v12, v3 src0_sel:WORD_0 src1_sel:DWORD
	s_nop 1
	v_cndmask_b32_e64 v15, v13, v12, s[24:25]
; %bb.1390:                             ;   in Loop: Header=BB24_1294 Depth=3
	s_or_b64 exec, exec, s[40:41]
	v_lshrrev_b32_e32 v4, 16, v4
	v_and_or_b32 v32, v5, s63, v4
	v_lshrrev_b32_e32 v4, 16, v25
	v_and_or_b32 v34, v14, s63, v4
	v_lshrrev_b32_e32 v4, 16, v26
	v_and_b32_e32 v27, 0xffff0000, v35
	v_and_or_b32 v35, v15, s63, v4
	v_lshlrev_b32_e32 v4, 16, v8
	v_max_f32_e32 v5, v27, v27
	v_max_f32_e32 v4, v4, v4
	v_min_f32_e32 v14, v5, v4
	v_max_f32_e32 v4, v5, v4
	v_cndmask_b32_e32 v5, v4, v14, vcc
	v_lshrrev_b32_e32 v23, 16, v23
	v_and_b32_e32 v4, 0x7f800000, v5
	v_lshl_add_u64 v[12:13], v[50:51], 0, v[104:105]
	v_and_or_b32 v33, v24, s63, v23
	v_cmp_ne_u32_e64 s[24:25], s73, v4
	global_store_dwordx4 v[12:13], v[32:35], off
                                        ; implicit-def: $vgpr4
	s_and_saveexec_b64 s[40:41], s[24:25]
	s_xor_b64 s[24:25], exec, s[40:41]
; %bb.1391:                             ;   in Loop: Header=BB24_1294 Depth=3
	v_bfe_u32 v4, v5, 16, 1
	v_add3_u32 v4, v5, v4, s62
                                        ; implicit-def: $vgpr5
; %bb.1392:                             ;   in Loop: Header=BB24_1294 Depth=3
	s_andn2_saveexec_b64 s[40:41], s[24:25]
; %bb.1393:                             ;   in Loop: Header=BB24_1294 Depth=3
	v_or_b32_e32 v4, 0x10000, v5
	v_cmp_eq_u32_sdwa s[24:25], v5, v3 src0_sel:WORD_0 src1_sel:DWORD
	s_nop 1
	v_cndmask_b32_e64 v4, v4, v5, s[24:25]
; %bb.1394:                             ;   in Loop: Header=BB24_1294 Depth=3
	s_or_b64 exec, exec, s[40:41]
	v_and_b32_e32 v5, 0xffff0000, v8
	v_and_b32_e32 v8, 0xffff0000, v16
	v_max_f32_e32 v5, v5, v5
	v_max_f32_e32 v8, v8, v8
	v_min_f32_e32 v14, v8, v5
	v_max_f32_e32 v5, v8, v5
	v_cndmask_b32_e32 v8, v5, v14, vcc
	v_and_b32_e32 v5, 0x7f800000, v8
	v_cmp_ne_u32_e64 s[24:25], s73, v5
                                        ; implicit-def: $vgpr5
	s_and_saveexec_b64 s[40:41], s[24:25]
	s_xor_b64 s[24:25], exec, s[40:41]
; %bb.1395:                             ;   in Loop: Header=BB24_1294 Depth=3
	v_bfe_u32 v5, v8, 16, 1
	v_add3_u32 v5, v8, v5, s62
                                        ; implicit-def: $vgpr8
; %bb.1396:                             ;   in Loop: Header=BB24_1294 Depth=3
	s_andn2_saveexec_b64 s[40:41], s[24:25]
; %bb.1397:                             ;   in Loop: Header=BB24_1294 Depth=3
	v_or_b32_e32 v5, 0x10000, v8
	v_cmp_eq_u32_sdwa s[24:25], v8, v3 src0_sel:WORD_0 src1_sel:DWORD
	s_nop 1
	v_cndmask_b32_e64 v5, v5, v8, s[24:25]
; %bb.1398:                             ;   in Loop: Header=BB24_1294 Depth=3
	s_or_b64 exec, exec, s[40:41]
	v_and_b32_e32 v8, 0xffff0000, v20
	v_lshlrev_b32_e32 v14, 16, v9
	v_max_f32_e32 v8, v8, v8
	v_max_f32_e32 v14, v14, v14
	v_min_f32_e32 v15, v8, v14
	v_max_f32_e32 v8, v8, v14
	v_cndmask_b32_e32 v14, v8, v15, vcc
	v_and_b32_e32 v8, 0x7f800000, v14
	v_cmp_ne_u32_e64 s[24:25], s73, v8
                                        ; implicit-def: $vgpr8
	s_and_saveexec_b64 s[40:41], s[24:25]
	s_xor_b64 s[24:25], exec, s[40:41]
; %bb.1399:                             ;   in Loop: Header=BB24_1294 Depth=3
	v_bfe_u32 v8, v14, 16, 1
	v_add3_u32 v8, v14, v8, s62
                                        ; implicit-def: $vgpr14
; %bb.1400:                             ;   in Loop: Header=BB24_1294 Depth=3
	s_andn2_saveexec_b64 s[40:41], s[24:25]
; %bb.1401:                             ;   in Loop: Header=BB24_1294 Depth=3
	v_or_b32_e32 v8, 0x10000, v14
	v_cmp_eq_u32_sdwa s[24:25], v14, v3 src0_sel:WORD_0 src1_sel:DWORD
	s_nop 1
	v_cndmask_b32_e64 v8, v8, v14, s[24:25]
; %bb.1402:                             ;   in Loop: Header=BB24_1294 Depth=3
	s_or_b64 exec, exec, s[40:41]
	v_and_b32_e32 v9, 0xffff0000, v9
	v_and_b32_e32 v14, 0xffff0000, v17
	v_max_f32_e32 v9, v9, v9
	v_max_f32_e32 v14, v14, v14
	v_min_f32_e32 v15, v14, v9
	v_max_f32_e32 v9, v14, v9
	v_cndmask_b32_e32 v14, v9, v15, vcc
	v_and_b32_e32 v9, 0x7f800000, v14
	v_cmp_ne_u32_e64 s[24:25], s73, v9
                                        ; implicit-def: $vgpr9
	s_and_saveexec_b64 s[40:41], s[24:25]
	s_xor_b64 s[24:25], exec, s[40:41]
; %bb.1403:                             ;   in Loop: Header=BB24_1294 Depth=3
	v_bfe_u32 v9, v14, 16, 1
	v_add3_u32 v9, v14, v9, s62
                                        ; implicit-def: $vgpr14
; %bb.1404:                             ;   in Loop: Header=BB24_1294 Depth=3
	s_andn2_saveexec_b64 s[40:41], s[24:25]
; %bb.1405:                             ;   in Loop: Header=BB24_1294 Depth=3
	v_or_b32_e32 v9, 0x10000, v14
	v_cmp_eq_u32_sdwa s[24:25], v14, v3 src0_sel:WORD_0 src1_sel:DWORD
	s_nop 1
	v_cndmask_b32_e64 v9, v9, v14, s[24:25]
; %bb.1406:                             ;   in Loop: Header=BB24_1294 Depth=3
	s_or_b64 exec, exec, s[40:41]
	v_and_b32_e32 v14, 0xffff0000, v21
	v_lshlrev_b32_e32 v15, 16, v10
	v_max_f32_e32 v14, v14, v14
	v_max_f32_e32 v15, v15, v15
	v_min_f32_e32 v16, v14, v15
	v_max_f32_e32 v14, v14, v15
	v_cndmask_b32_e32 v15, v14, v16, vcc
	v_and_b32_e32 v14, 0x7f800000, v15
	v_cmp_ne_u32_e64 s[24:25], s73, v14
                                        ; implicit-def: $vgpr14
	s_and_saveexec_b64 s[40:41], s[24:25]
	s_xor_b64 s[24:25], exec, s[40:41]
; %bb.1407:                             ;   in Loop: Header=BB24_1294 Depth=3
	v_bfe_u32 v14, v15, 16, 1
	v_add3_u32 v14, v15, v14, s62
                                        ; implicit-def: $vgpr15
; %bb.1408:                             ;   in Loop: Header=BB24_1294 Depth=3
	s_andn2_saveexec_b64 s[40:41], s[24:25]
; %bb.1409:                             ;   in Loop: Header=BB24_1294 Depth=3
	v_or_b32_e32 v14, 0x10000, v15
	v_cmp_eq_u32_sdwa s[24:25], v15, v3 src0_sel:WORD_0 src1_sel:DWORD
	s_nop 1
	v_cndmask_b32_e64 v14, v14, v15, s[24:25]
; %bb.1410:                             ;   in Loop: Header=BB24_1294 Depth=3
	s_or_b64 exec, exec, s[40:41]
	v_and_b32_e32 v10, 0xffff0000, v10
	v_and_b32_e32 v15, 0xffff0000, v18
	v_max_f32_e32 v10, v10, v10
	v_max_f32_e32 v15, v15, v15
	v_min_f32_e32 v16, v15, v10
	v_max_f32_e32 v10, v15, v10
	v_cndmask_b32_e32 v15, v10, v16, vcc
	v_and_b32_e32 v10, 0x7f800000, v15
	v_cmp_ne_u32_e64 s[24:25], s73, v10
                                        ; implicit-def: $vgpr10
	s_and_saveexec_b64 s[40:41], s[24:25]
	s_xor_b64 s[24:25], exec, s[40:41]
; %bb.1411:                             ;   in Loop: Header=BB24_1294 Depth=3
	v_bfe_u32 v10, v15, 16, 1
	v_add3_u32 v10, v15, v10, s62
                                        ; implicit-def: $vgpr15
; %bb.1412:                             ;   in Loop: Header=BB24_1294 Depth=3
	s_andn2_saveexec_b64 s[40:41], s[24:25]
; %bb.1413:                             ;   in Loop: Header=BB24_1294 Depth=3
	v_or_b32_e32 v10, 0x10000, v15
	v_cmp_eq_u32_sdwa s[24:25], v15, v3 src0_sel:WORD_0 src1_sel:DWORD
	s_nop 1
	v_cndmask_b32_e64 v10, v10, v15, s[24:25]
; %bb.1414:                             ;   in Loop: Header=BB24_1294 Depth=3
	s_or_b64 exec, exec, s[40:41]
	v_and_b32_e32 v15, 0xffff0000, v22
	v_lshlrev_b32_e32 v16, 16, v11
	v_max_f32_e32 v15, v15, v15
	v_max_f32_e32 v16, v16, v16
	v_min_f32_e32 v17, v15, v16
	v_max_f32_e32 v15, v15, v16
	v_cndmask_b32_e32 v16, v15, v17, vcc
	v_and_b32_e32 v15, 0x7f800000, v16
	v_cmp_ne_u32_e64 s[24:25], s73, v15
                                        ; implicit-def: $vgpr15
	s_and_saveexec_b64 s[40:41], s[24:25]
	s_xor_b64 s[24:25], exec, s[40:41]
; %bb.1415:                             ;   in Loop: Header=BB24_1294 Depth=3
	v_bfe_u32 v15, v16, 16, 1
	v_add3_u32 v15, v16, v15, s62
                                        ; implicit-def: $vgpr16
; %bb.1416:                             ;   in Loop: Header=BB24_1294 Depth=3
	s_andn2_saveexec_b64 s[40:41], s[24:25]
; %bb.1417:                             ;   in Loop: Header=BB24_1294 Depth=3
	v_or_b32_e32 v15, 0x10000, v16
	v_cmp_eq_u32_sdwa s[24:25], v16, v3 src0_sel:WORD_0 src1_sel:DWORD
	s_nop 1
	v_cndmask_b32_e64 v15, v15, v16, s[24:25]
; %bb.1418:                             ;   in Loop: Header=BB24_1294 Depth=3
	s_or_b64 exec, exec, s[40:41]
	v_and_b32_e32 v11, 0xffff0000, v11
	v_and_b32_e32 v16, 0xffff0000, v19
	v_max_f32_e32 v11, v11, v11
	v_max_f32_e32 v16, v16, v16
	v_min_f32_e32 v17, v16, v11
	v_max_f32_e32 v11, v16, v11
	v_cndmask_b32_e32 v16, v11, v17, vcc
	v_and_b32_e32 v11, 0x7f800000, v16
	v_cmp_ne_u32_e64 s[24:25], s73, v11
                                        ; implicit-def: $vgpr11
	s_and_saveexec_b64 s[40:41], s[24:25]
	s_xor_b64 s[24:25], exec, s[40:41]
; %bb.1419:                             ;   in Loop: Header=BB24_1294 Depth=3
	v_bfe_u32 v11, v16, 16, 1
	v_add3_u32 v11, v16, v11, s62
                                        ; implicit-def: $vgpr16
; %bb.1420:                             ;   in Loop: Header=BB24_1294 Depth=3
	s_andn2_saveexec_b64 s[40:41], s[24:25]
	s_cbranch_execz .LBB24_1293
; %bb.1421:                             ;   in Loop: Header=BB24_1294 Depth=3
	v_or_b32_e32 v11, 0x10000, v16
	v_cmp_eq_u32_sdwa s[24:25], v16, v3 src0_sel:WORD_0 src1_sel:DWORD
	s_nop 1
	v_cndmask_b32_e64 v11, v11, v16, s[24:25]
	s_branch .LBB24_1293
.LBB24_1422:                            ;   in Loop: Header=BB24_955 Depth=2
	s_or_b64 exec, exec, s[28:29]
.LBB24_1423:                            ;   in Loop: Header=BB24_955 Depth=2
	s_or_b64 exec, exec, s[26:27]
	v_lshlrev_b32_e32 v26, 11, v39
	v_cmp_ne_u32_e32 vcc, v2, v26
	s_mov_b64 s[24:25], 0
	v_mov_b32_e32 v16, 0
                                        ; implicit-def: $vgpr17
	s_and_saveexec_b64 s[64:65], vcc
	s_cbranch_execz .LBB24_1461
; %bb.1424:                             ;   in Loop: Header=BB24_955 Depth=2
	v_lshlrev_b32_e32 v4, 6, v37
	v_sub_u32_e32 v4, v123, v4
	v_ashrrev_i32_e32 v8, 31, v4
	v_lshrrev_b32_e32 v8, 26, v8
	v_add_u32_e32 v8, v4, v8
	v_sub_u32_e32 v5, v2, v26
	v_ashrrev_i32_e32 v9, 6, v8
	v_and_b32_e32 v8, 0xffffffc0, v8
	v_sub_u32_e32 v27, v4, v8
	v_ashrrev_i32_e32 v8, 31, v5
	v_lshrrev_b32_e32 v8, 22, v8
	v_add_u32_e32 v8, v5, v8
	v_and_b32_e32 v32, 0xfffffc00, v8
	v_lshlrev_b32_e32 v4, 4, v27
	v_sub_u32_e32 v33, v5, v32
	v_lshl_add_u32 v4, v9, 10, v4
	v_ashrrev_i32_e32 v10, 10, v8
	v_cmp_lt_i32_e32 vcc, 15, v33
	v_sub_u32_e32 v35, v5, v4
	s_nop 0
	v_addc_co_u32_e64 v5, s[24:25], 0, v10, vcc
	v_sub_u32_e32 v34, v5, v9
	v_cmp_lt_i32_e64 s[24:25], 15, v35
	s_and_saveexec_b64 s[66:67], s[24:25]
	s_cbranch_execz .LBB24_1460
; %bb.1425:                             ;   in Loop: Header=BB24_955 Depth=2
	s_trap 2
	ds_read_b64 v[8:9], v0
	v_add_u32_e32 v20, v4, v26
	s_and_b32 s74, s31, 1
	v_ashrrev_i32_e32 v21, 31, v20
	s_cmp_eq_u64 s[74:75], 0
	v_lshl_add_u64 v[22:23], v[20:21], 0, v[90:91]
	s_waitcnt lgkmcnt(0)
	v_lshl_add_u64 v[24:25], v[8:9], 0, v[20:21]
	s_mov_b64 s[68:69], 0
	s_cselect_b64 s[24:25], -1, 0
	s_branch .LBB24_1427
.LBB24_1426:                            ;   in Loop: Header=BB24_1427 Depth=3
	s_or_b64 exec, exec, s[28:29]
	v_and_b32_e32 v4, 0xffff0000, v4
	v_and_b32_e32 v19, 0xffff0000, v37
	;; [unrolled: 1-line block ×3, first 2 shown]
	v_lshlrev_b32_e32 v8, 16, v8
	v_max_f32_e32 v4, v4, v4
	v_max_f32_e32 v8, v8, v8
	v_min_f32_e32 v39, v4, v8
	v_max_f32_e32 v4, v4, v8
	v_cndmask_b32_e64 v4, v4, v39, s[24:25]
	v_and_b32_e32 v5, 0xffff0000, v5
	v_and_b32_e32 v8, 0x7f800000, v4
	v_cmp_eq_u32_e64 s[26:27], s73, v8
	v_bfe_u32 v8, v4, 16, 1
	v_cmp_eq_u32_sdwa s[28:29], v4, v3 src0_sel:WORD_0 src1_sel:DWORD
	v_or_b32_e32 v39, 0x10000, v4
	v_max_f32_e32 v5, v5, v5
	v_max_f32_e32 v37, v37, v37
	v_add3_u32 v8, v4, v8, s62
	v_cndmask_b32_e64 v4, v39, v4, s[28:29]
	v_min_f32_e32 v39, v5, v37
	v_max_f32_e32 v5, v5, v37
	v_cndmask_b32_e64 v5, v5, v39, s[24:25]
	v_and_b32_e32 v37, 0x7f800000, v5
	v_cmp_eq_u32_e64 s[28:29], s73, v37
	v_bfe_u32 v37, v5, 16, 1
	v_cmp_eq_u32_sdwa s[40:41], v5, v3 src0_sel:WORD_0 src1_sel:DWORD
	v_or_b32_e32 v39, 0x10000, v5
	v_and_b32_e32 v16, 0xffff0000, v16
	v_add3_u32 v37, v5, v37, s62
	v_cndmask_b32_e64 v5, v39, v5, s[40:41]
	v_and_b32_e32 v39, 0xffff0000, v9
	v_lshlrev_b32_e32 v9, 16, v9
	v_max_f32_e32 v16, v16, v16
	v_max_f32_e32 v9, v9, v9
	v_min_f32_e32 v86, v16, v9
	v_max_f32_e32 v9, v16, v9
	v_cndmask_b32_e64 v9, v9, v86, s[24:25]
	v_and_b32_e32 v17, 0xffff0000, v17
	v_and_b32_e32 v16, 0x7f800000, v9
	v_cmp_eq_u32_e64 s[40:41], s73, v16
	v_bfe_u32 v16, v9, 16, 1
	v_cmp_eq_u32_sdwa s[42:43], v9, v3 src0_sel:WORD_0 src1_sel:DWORD
	v_or_b32_e32 v86, 0x10000, v9
	v_max_f32_e32 v17, v17, v17
	v_max_f32_e32 v39, v39, v39
	v_add3_u32 v16, v9, v16, s62
	v_cndmask_b32_e64 v9, v86, v9, s[42:43]
	v_min_f32_e32 v86, v17, v39
	v_max_f32_e32 v17, v17, v39
	v_cndmask_b32_e64 v17, v17, v86, s[24:25]
	v_and_b32_e32 v39, 0x7f800000, v17
	v_cmp_eq_u32_e64 s[42:43], s73, v39
	v_bfe_u32 v39, v17, 16, 1
	v_cmp_eq_u32_sdwa s[44:45], v17, v3 src0_sel:WORD_0 src1_sel:DWORD
	v_or_b32_e32 v86, 0x10000, v17
	v_add3_u32 v39, v17, v39, s62
	v_cndmask_b32_e64 v17, v86, v17, s[44:45]
	v_and_b32_e32 v86, 0xffff0000, v10
	v_lshlrev_b32_e32 v10, 16, v10
	v_max_f32_e32 v19, v19, v19
	v_max_f32_e32 v10, v10, v10
	v_min_f32_e32 v87, v19, v10
	v_max_f32_e32 v10, v19, v10
	v_cndmask_b32_e64 v10, v10, v87, s[24:25]
	v_and_b32_e32 v14, 0xffff0000, v14
	v_and_b32_e32 v19, 0x7f800000, v10
	v_cmp_eq_u32_e64 s[44:45], s73, v19
	v_bfe_u32 v19, v10, 16, 1
	v_cmp_eq_u32_sdwa s[46:47], v10, v3 src0_sel:WORD_0 src1_sel:DWORD
	v_or_b32_e32 v87, 0x10000, v10
	v_max_f32_e32 v14, v14, v14
	v_max_f32_e32 v86, v86, v86
	v_add3_u32 v19, v10, v19, s62
	v_cndmask_b32_e64 v10, v87, v10, s[46:47]
	v_min_f32_e32 v87, v14, v86
	v_max_f32_e32 v14, v14, v86
	v_cndmask_b32_e64 v14, v14, v87, s[24:25]
	v_and_b32_e32 v86, 0x7f800000, v14
	v_cmp_eq_u32_e64 s[46:47], s73, v86
	v_bfe_u32 v86, v14, 16, 1
	v_cmp_eq_u32_sdwa s[56:57], v14, v3 src0_sel:WORD_0 src1_sel:DWORD
	v_or_b32_e32 v87, 0x10000, v14
	v_and_b32_e32 v18, 0xffff0000, v18
	v_add3_u32 v86, v14, v86, s62
	v_cndmask_b32_e64 v14, v87, v14, s[56:57]
	v_and_b32_e32 v87, 0xffff0000, v11
	v_lshlrev_b32_e32 v11, 16, v11
	v_max_f32_e32 v18, v18, v18
	v_max_f32_e32 v11, v11, v11
	v_min_f32_e32 v96, v18, v11
	v_max_f32_e32 v11, v18, v11
	v_cndmask_b32_e64 v11, v11, v96, s[24:25]
	v_and_b32_e32 v15, 0xffff0000, v15
	v_and_b32_e32 v18, 0x7f800000, v11
	v_cmp_eq_u32_e64 s[56:57], s73, v18
	v_bfe_u32 v18, v11, 16, 1
	v_cmp_eq_u32_sdwa s[58:59], v11, v3 src0_sel:WORD_0 src1_sel:DWORD
	v_or_b32_e32 v96, 0x10000, v11
	v_max_f32_e32 v15, v15, v15
	v_max_f32_e32 v87, v87, v87
	v_add3_u32 v18, v11, v18, s62
	v_cndmask_b32_e64 v11, v96, v11, s[58:59]
	v_min_f32_e32 v96, v15, v87
	v_max_f32_e32 v15, v15, v87
	v_cndmask_b32_e64 v15, v15, v96, s[24:25]
	v_and_b32_e32 v87, 0x7f800000, v15
	v_cndmask_b32_e64 v4, v8, v4, s[26:27]
	v_cndmask_b32_e64 v8, v16, v9, s[40:41]
	v_cmp_eq_u32_e64 s[58:59], s73, v87
	v_bfe_u32 v87, v15, 16, 1
	v_cmp_eq_u32_sdwa s[60:61], v15, v3 src0_sel:WORD_0 src1_sel:DWORD
	v_or_b32_e32 v96, 0x10000, v15
	v_cndmask_b32_e64 v5, v37, v5, s[28:29]
	v_cndmask_b32_e64 v9, v39, v17, s[42:43]
	;; [unrolled: 1-line block ×3, first 2 shown]
	v_lshrrev_b32_e32 v8, 16, v8
	v_lshrrev_b32_e32 v4, 16, v4
	v_add3_u32 v87, v15, v87, s62
	v_cndmask_b32_e64 v15, v96, v15, s[60:61]
	v_cndmask_b32_e64 v14, v86, v14, s[46:47]
	v_cndmask_b32_e64 v11, v18, v11, s[56:57]
	v_and_or_b32 v9, v9, s63, v8
	v_and_or_b32 v8, v5, s63, v4
	v_lshrrev_b32_e32 v4, 16, v10
	v_sub_u32_e32 v35, v35, v100
	v_cndmask_b32_e64 v15, v87, v15, s[58:59]
	v_and_or_b32 v10, v14, s63, v4
	v_lshrrev_b32_e32 v4, 16, v11
	v_cmp_gt_i32_e64 s[26:27], 16, v35
	v_lshl_add_u64 v[12:13], v[50:51], 0, v[20:21]
	v_and_or_b32 v11, v15, s63, v4
	v_lshl_add_u64 v[22:23], v[22:23], 0, v[100:101]
	v_lshl_add_u64 v[24:25], v[24:25], 0, v[100:101]
	;; [unrolled: 1-line block ×3, first 2 shown]
	v_sub_u32_e32 v34, v34, v84
	s_or_b64 s[68:69], s[26:27], s[68:69]
	global_store_dwordx4 v[12:13], v[8:11], off
	s_andn2_b64 exec, exec, s[68:69]
	s_cbranch_execz .LBB24_1459
.LBB24_1427:                            ;   Parent Loop BB24_47 Depth=1
                                        ;     Parent Loop BB24_955 Depth=2
                                        ; =>    This Inner Loop Header: Depth=3
	global_load_dwordx4 v[12:15], v[24:25], off nt
	global_load_dwordx4 v[16:19], v[22:23], off nt
	;; [unrolled: 1-line block ×3, first 2 shown]
	s_waitcnt vmcnt(0)
	v_lshlrev_b32_e32 v4, 16, v12
	v_lshlrev_b32_e32 v5, 16, v16
	v_max_f32_e32 v4, v4, v4
	v_max_f32_e32 v5, v5, v5
	v_min_f32_e32 v37, v5, v4
	v_max_f32_e32 v4, v5, v4
	v_cndmask_b32_e64 v5, v4, v37, s[24:25]
	v_and_b32_e32 v4, 0x7f800000, v5
	v_cmp_ne_u32_e64 s[26:27], s73, v4
                                        ; implicit-def: $vgpr4
	s_and_saveexec_b64 s[28:29], s[26:27]
	s_xor_b64 s[26:27], exec, s[28:29]
; %bb.1428:                             ;   in Loop: Header=BB24_1427 Depth=3
	v_bfe_u32 v4, v5, 16, 1
	v_add3_u32 v4, v5, v4, s62
                                        ; implicit-def: $vgpr5
; %bb.1429:                             ;   in Loop: Header=BB24_1427 Depth=3
	s_andn2_saveexec_b64 s[28:29], s[26:27]
; %bb.1430:                             ;   in Loop: Header=BB24_1427 Depth=3
	v_or_b32_e32 v4, 0x10000, v5
	v_cmp_eq_u32_sdwa s[26:27], v5, v3 src0_sel:WORD_0 src1_sel:DWORD
	s_nop 1
	v_cndmask_b32_e64 v4, v4, v5, s[26:27]
; %bb.1431:                             ;   in Loop: Header=BB24_1427 Depth=3
	s_or_b64 exec, exec, s[28:29]
	v_and_b32_e32 v5, 0xffff0000, v12
	v_and_b32_e32 v12, 0xffff0000, v16
	v_max_f32_e32 v5, v5, v5
	v_max_f32_e32 v12, v12, v12
	v_min_f32_e32 v16, v12, v5
	v_max_f32_e32 v5, v12, v5
	v_cndmask_b32_e64 v12, v5, v16, s[24:25]
	v_and_b32_e32 v5, 0x7f800000, v12
	v_cmp_ne_u32_e64 s[26:27], s73, v5
                                        ; implicit-def: $vgpr5
	s_and_saveexec_b64 s[28:29], s[26:27]
	s_xor_b64 s[26:27], exec, s[28:29]
; %bb.1432:                             ;   in Loop: Header=BB24_1427 Depth=3
	v_bfe_u32 v5, v12, 16, 1
	v_add3_u32 v5, v12, v5, s62
                                        ; implicit-def: $vgpr12
; %bb.1433:                             ;   in Loop: Header=BB24_1427 Depth=3
	s_andn2_saveexec_b64 s[28:29], s[26:27]
; %bb.1434:                             ;   in Loop: Header=BB24_1427 Depth=3
	v_or_b32_e32 v5, 0x10000, v12
	v_cmp_eq_u32_sdwa s[26:27], v12, v3 src0_sel:WORD_0 src1_sel:DWORD
	s_nop 1
	v_cndmask_b32_e64 v5, v5, v12, s[26:27]
; %bb.1435:                             ;   in Loop: Header=BB24_1427 Depth=3
	s_or_b64 exec, exec, s[28:29]
	v_lshlrev_b32_e32 v12, 16, v13
	v_lshlrev_b32_e32 v16, 16, v17
	v_max_f32_e32 v12, v12, v12
	v_max_f32_e32 v16, v16, v16
	v_min_f32_e32 v37, v16, v12
	v_max_f32_e32 v12, v16, v12
	v_cndmask_b32_e64 v12, v12, v37, s[24:25]
	v_and_b32_e32 v16, 0x7f800000, v12
	v_cmp_ne_u32_e64 s[26:27], s73, v16
                                        ; implicit-def: $vgpr16
	s_and_saveexec_b64 s[28:29], s[26:27]
	s_xor_b64 s[26:27], exec, s[28:29]
; %bb.1436:                             ;   in Loop: Header=BB24_1427 Depth=3
	v_bfe_u32 v16, v12, 16, 1
	v_add3_u32 v16, v12, v16, s62
                                        ; implicit-def: $vgpr12
; %bb.1437:                             ;   in Loop: Header=BB24_1427 Depth=3
	s_andn2_saveexec_b64 s[28:29], s[26:27]
; %bb.1438:                             ;   in Loop: Header=BB24_1427 Depth=3
	v_or_b32_e32 v16, 0x10000, v12
	v_cmp_eq_u32_sdwa s[26:27], v12, v3 src0_sel:WORD_0 src1_sel:DWORD
	s_nop 1
	v_cndmask_b32_e64 v16, v16, v12, s[26:27]
; %bb.1439:                             ;   in Loop: Header=BB24_1427 Depth=3
	s_or_b64 exec, exec, s[28:29]
	v_and_b32_e32 v12, 0xffff0000, v17
	v_and_b32_e32 v13, 0xffff0000, v13
	v_max_f32_e32 v13, v13, v13
	v_max_f32_e32 v12, v12, v12
	v_min_f32_e32 v17, v12, v13
	v_max_f32_e32 v12, v12, v13
	v_cndmask_b32_e64 v12, v12, v17, s[24:25]
	v_and_b32_e32 v13, 0x7f800000, v12
	v_cmp_ne_u32_e64 s[26:27], s73, v13
                                        ; implicit-def: $vgpr17
	s_and_saveexec_b64 s[28:29], s[26:27]
	s_xor_b64 s[26:27], exec, s[28:29]
; %bb.1440:                             ;   in Loop: Header=BB24_1427 Depth=3
	v_bfe_u32 v13, v12, 16, 1
	v_add3_u32 v17, v12, v13, s62
                                        ; implicit-def: $vgpr12
; %bb.1441:                             ;   in Loop: Header=BB24_1427 Depth=3
	s_andn2_saveexec_b64 s[28:29], s[26:27]
; %bb.1442:                             ;   in Loop: Header=BB24_1427 Depth=3
	v_or_b32_e32 v13, 0x10000, v12
	v_cmp_eq_u32_sdwa s[26:27], v12, v3 src0_sel:WORD_0 src1_sel:DWORD
	s_nop 1
	v_cndmask_b32_e64 v17, v13, v12, s[26:27]
; %bb.1443:                             ;   in Loop: Header=BB24_1427 Depth=3
	s_or_b64 exec, exec, s[28:29]
	v_lshlrev_b32_e32 v12, 16, v14
	v_lshlrev_b32_e32 v13, 16, v18
	v_max_f32_e32 v12, v12, v12
	v_max_f32_e32 v13, v13, v13
	v_min_f32_e32 v37, v13, v12
	v_max_f32_e32 v12, v13, v12
	v_cndmask_b32_e64 v12, v12, v37, s[24:25]
	v_and_b32_e32 v13, 0x7f800000, v12
	v_cmp_ne_u32_e64 s[26:27], s73, v13
                                        ; implicit-def: $vgpr37
	s_and_saveexec_b64 s[28:29], s[26:27]
	s_xor_b64 s[26:27], exec, s[28:29]
; %bb.1444:                             ;   in Loop: Header=BB24_1427 Depth=3
	v_bfe_u32 v13, v12, 16, 1
	v_add3_u32 v37, v12, v13, s62
                                        ; implicit-def: $vgpr12
; %bb.1445:                             ;   in Loop: Header=BB24_1427 Depth=3
	s_andn2_saveexec_b64 s[28:29], s[26:27]
; %bb.1446:                             ;   in Loop: Header=BB24_1427 Depth=3
	v_or_b32_e32 v13, 0x10000, v12
	v_cmp_eq_u32_sdwa s[26:27], v12, v3 src0_sel:WORD_0 src1_sel:DWORD
	s_nop 1
	v_cndmask_b32_e64 v37, v13, v12, s[26:27]
; %bb.1447:                             ;   in Loop: Header=BB24_1427 Depth=3
	s_or_b64 exec, exec, s[28:29]
	v_and_b32_e32 v12, 0xffff0000, v18
	v_and_b32_e32 v13, 0xffff0000, v14
	v_max_f32_e32 v13, v13, v13
	v_max_f32_e32 v12, v12, v12
	v_min_f32_e32 v14, v12, v13
	v_max_f32_e32 v12, v12, v13
	v_cndmask_b32_e64 v12, v12, v14, s[24:25]
	v_and_b32_e32 v13, 0x7f800000, v12
	v_cmp_ne_u32_e64 s[26:27], s73, v13
                                        ; implicit-def: $vgpr14
	s_and_saveexec_b64 s[28:29], s[26:27]
	s_xor_b64 s[26:27], exec, s[28:29]
; %bb.1448:                             ;   in Loop: Header=BB24_1427 Depth=3
	v_bfe_u32 v13, v12, 16, 1
	v_add3_u32 v14, v12, v13, s62
                                        ; implicit-def: $vgpr12
; %bb.1449:                             ;   in Loop: Header=BB24_1427 Depth=3
	s_andn2_saveexec_b64 s[28:29], s[26:27]
; %bb.1450:                             ;   in Loop: Header=BB24_1427 Depth=3
	v_or_b32_e32 v13, 0x10000, v12
	v_cmp_eq_u32_sdwa s[26:27], v12, v3 src0_sel:WORD_0 src1_sel:DWORD
	s_nop 1
	v_cndmask_b32_e64 v14, v13, v12, s[26:27]
; %bb.1451:                             ;   in Loop: Header=BB24_1427 Depth=3
	s_or_b64 exec, exec, s[28:29]
	v_lshlrev_b32_e32 v12, 16, v15
	v_lshlrev_b32_e32 v13, 16, v19
	v_max_f32_e32 v12, v12, v12
	v_max_f32_e32 v13, v13, v13
	v_min_f32_e32 v18, v13, v12
	v_max_f32_e32 v12, v13, v12
	v_cndmask_b32_e64 v12, v12, v18, s[24:25]
	v_and_b32_e32 v13, 0x7f800000, v12
	v_cmp_ne_u32_e64 s[26:27], s73, v13
                                        ; implicit-def: $vgpr18
	s_and_saveexec_b64 s[28:29], s[26:27]
	s_xor_b64 s[26:27], exec, s[28:29]
; %bb.1452:                             ;   in Loop: Header=BB24_1427 Depth=3
	v_bfe_u32 v13, v12, 16, 1
	v_add3_u32 v18, v12, v13, s62
                                        ; implicit-def: $vgpr12
; %bb.1453:                             ;   in Loop: Header=BB24_1427 Depth=3
	s_andn2_saveexec_b64 s[28:29], s[26:27]
; %bb.1454:                             ;   in Loop: Header=BB24_1427 Depth=3
	v_or_b32_e32 v13, 0x10000, v12
	v_cmp_eq_u32_sdwa s[26:27], v12, v3 src0_sel:WORD_0 src1_sel:DWORD
	s_nop 1
	v_cndmask_b32_e64 v18, v13, v12, s[26:27]
; %bb.1455:                             ;   in Loop: Header=BB24_1427 Depth=3
	s_or_b64 exec, exec, s[28:29]
	v_and_b32_e32 v12, 0xffff0000, v19
	v_and_b32_e32 v13, 0xffff0000, v15
	v_max_f32_e32 v13, v13, v13
	v_max_f32_e32 v12, v12, v12
	v_min_f32_e32 v15, v12, v13
	v_max_f32_e32 v12, v12, v13
	v_cndmask_b32_e64 v12, v12, v15, s[24:25]
	v_and_b32_e32 v13, 0x7f800000, v12
	v_cmp_ne_u32_e64 s[26:27], s73, v13
                                        ; implicit-def: $vgpr15
	s_and_saveexec_b64 s[28:29], s[26:27]
	s_xor_b64 s[26:27], exec, s[28:29]
; %bb.1456:                             ;   in Loop: Header=BB24_1427 Depth=3
	v_bfe_u32 v13, v12, 16, 1
	v_add3_u32 v15, v12, v13, s62
                                        ; implicit-def: $vgpr12
; %bb.1457:                             ;   in Loop: Header=BB24_1427 Depth=3
	s_andn2_saveexec_b64 s[28:29], s[26:27]
	s_cbranch_execz .LBB24_1426
; %bb.1458:                             ;   in Loop: Header=BB24_1427 Depth=3
	v_or_b32_e32 v13, 0x10000, v12
	v_cmp_eq_u32_sdwa s[26:27], v12, v3 src0_sel:WORD_0 src1_sel:DWORD
	s_nop 1
	v_cndmask_b32_e64 v15, v13, v12, s[26:27]
	s_branch .LBB24_1426
.LBB24_1459:                            ;   in Loop: Header=BB24_955 Depth=2
	s_or_b64 exec, exec, s[68:69]
.LBB24_1460:                            ;   in Loop: Header=BB24_955 Depth=2
	s_or_b64 exec, exec, s[66:67]
	v_and_b32_e32 v2, 14, v2
	v_sub_u32_e32 v4, v33, v2
	v_cndmask_b32_e32 v4, 0, v4, vcc
	v_cndmask_b32_e32 v2, v33, v2, vcc
	v_cmp_lt_i32_e32 vcc, 0, v34
	v_add3_u32 v16, v32, v26, v4
	s_nop 0
	v_cndmask_b32_e32 v4, 0, v84, vcc
	v_sub_u32_e32 v4, v4, v34
	v_cmp_ne_u32_e32 vcc, 0, v2
	v_lshl_add_u32 v17, v4, 6, v27
	s_and_b64 s[24:25], vcc, exec
.LBB24_1461:                            ;   in Loop: Header=BB24_955 Depth=2
	s_or_b64 exec, exec, s[64:65]
	s_and_saveexec_b64 s[26:27], s[24:25]
	s_cbranch_execz .LBB24_1538
.LBB24_1462:                            ;   in Loop: Header=BB24_955 Depth=2
	v_ashrrev_i32_e32 v4, 31, v17
	v_ashrrev_i32_e32 v5, 31, v2
	v_lshrrev_b32_e32 v4, 26, v4
	v_lshrrev_b32_e32 v5, 22, v5
	v_add_u32_e32 v4, v17, v4
	v_add_u32_e32 v5, v2, v5
	v_ashrrev_i32_e32 v18, 6, v4
	v_ashrrev_i32_e32 v20, 10, v5
	v_sub_u32_e32 v19, v20, v18
	v_cmp_lt_i32_e32 vcc, 0, v19
	s_and_saveexec_b64 s[28:29], vcc
	s_cbranch_execz .LBB24_1530
; %bb.1463:                             ;   in Loop: Header=BB24_955 Depth=2
	v_and_b32_e32 v4, 0x7fffffc0, v4
	v_sub_u32_e32 v4, v17, v4
	v_lshlrev_b32_e32 v8, 1, v4
	s_trap 2
	ds_read_b64 v[4:5], v0
	v_lshlrev_b32_e32 v9, 10, v18
	v_add3_u32 v12, v8, v16, v9
	s_and_b32 s74, s31, 1
	v_ashrrev_i32_e32 v13, 31, v12
	s_cmp_eq_u64 s[74:75], 0
	v_lshl_add_u64 v[8:9], v[12:13], 0, v[90:91]
	s_waitcnt lgkmcnt(0)
	v_lshl_add_u64 v[10:11], v[4:5], 0, v[12:13]
	s_mov_b64 s[40:41], 0
	s_cselect_b64 s[24:25], -1, 0
	v_lshl_add_u64 v[12:13], v[12:13], 0, s[48:49]
	s_branch .LBB24_1465
.LBB24_1464:                            ;   in Loop: Header=BB24_1465 Depth=3
	s_or_b64 exec, exec, s[42:43]
	v_sub_u32_e32 v19, v19, v84
	v_cmp_gt_i32_e32 vcc, 1, v19
	v_lshl_add_u64 v[8:9], v[8:9], 0, v[100:101]
	v_lshl_add_u64 v[10:11], v[10:11], 0, v[100:101]
	s_or_b64 s[40:41], vcc, s[40:41]
	v_lshl_add_u64 v[12:13], v[12:13], 0, v[46:47]
	flat_store_short_d16_hi v[14:15], v5 nt
	s_andn2_b64 exec, exec, s[40:41]
	s_cbranch_execz .LBB24_1529
.LBB24_1465:                            ;   Parent Loop BB24_47 Depth=1
                                        ;     Parent Loop BB24_955 Depth=2
                                        ; =>    This Inner Loop Header: Depth=3
	v_add_co_u32_e32 v4, vcc, 0xfffffc80, v12
	s_nop 1
	v_addc_co_u32_e32 v5, vcc, -1, v13, vcc
	flat_load_ushort v14, v[4:5] nt
	flat_load_ushort v39, v[8:9] offset:128 nt
	v_add_co_u32_e32 v4, vcc, 0xfffffd00, v12
	s_nop 1
	v_addc_co_u32_e32 v5, vcc, -1, v13, vcc
	flat_load_ushort v27, v[4:5] nt
	flat_load_ushort v37, v[8:9] offset:256 nt
	v_add_co_u32_e32 v4, vcc, 0xfffffd80, v12
	s_nop 1
	v_addc_co_u32_e32 v5, vcc, -1, v13, vcc
	flat_load_ushort v26, v[4:5] nt
	flat_load_ushort v35, v[8:9] offset:384 nt
	v_add_co_u32_e32 v4, vcc, 0xfffffe00, v12
	s_nop 1
	v_addc_co_u32_e32 v5, vcc, -1, v13, vcc
	flat_load_ushort v25, v[4:5] nt
	flat_load_ushort v33, v[8:9] offset:512 nt
	v_add_co_u32_e32 v4, vcc, 0xfffffe80, v12
	s_nop 1
	v_addc_co_u32_e32 v5, vcc, -1, v13, vcc
	flat_load_ushort v24, v[4:5] nt
	flat_load_ushort v32, v[8:9] offset:640 nt
	v_add_co_u32_e32 v4, vcc, 0xffffff00, v12
	s_nop 1
	v_addc_co_u32_e32 v5, vcc, -1, v13, vcc
	flat_load_ushort v23, v[4:5] nt
	flat_load_ushort v15, v[8:9] offset:768 nt
	v_add_co_u32_e32 v4, vcc, s80, v12
	s_nop 1
	v_addc_co_u32_e32 v5, vcc, -1, v13, vcc
	flat_load_ushort v22, v[4:5] nt
	s_nop 0
	flat_load_ushort v4, v[8:9] offset:896 nt
	flat_load_ushort v21, v[12:13] nt
	flat_load_ushort v87, v[10:11] offset:128 nt
	flat_load_ushort v73, v[10:11] offset:256 nt
	;; [unrolled: 1-line block ×7, first 2 shown]
	flat_load_ushort v86, v[8:9] nt
	flat_load_ushort v96, v[10:11] nt
	s_waitcnt vmcnt(0) lgkmcnt(0)
	v_lshlrev_b32_e32 v86, 16, v86
	v_lshlrev_b32_e32 v96, 16, v96
	v_max_f32_e32 v96, v96, v96
	v_max_f32_e32 v86, v86, v86
	v_min_f32_e32 v97, v86, v96
	v_max_f32_e32 v86, v86, v96
	v_cndmask_b32_e64 v98, v86, v97, s[24:25]
	v_and_b32_e32 v86, 0x7f800000, v98
	v_cmp_ne_u32_e32 vcc, s73, v86
                                        ; implicit-def: $vgpr86
	s_and_saveexec_b64 s[42:43], vcc
	s_xor_b64 s[42:43], exec, s[42:43]
; %bb.1466:                             ;   in Loop: Header=BB24_1465 Depth=3
	v_bfe_u32 v86, v98, 16, 1
	v_add3_u32 v86, v98, v86, s62
                                        ; implicit-def: $vgpr98
; %bb.1467:                             ;   in Loop: Header=BB24_1465 Depth=3
	s_andn2_saveexec_b64 s[42:43], s[42:43]
; %bb.1468:                             ;   in Loop: Header=BB24_1465 Depth=3
	v_or_b32_e32 v86, 0x10000, v98
	v_cmp_eq_u32_sdwa vcc, v98, v3 src0_sel:WORD_0 src1_sel:DWORD
	s_nop 1
	v_cndmask_b32_e32 v86, v86, v98, vcc
; %bb.1469:                             ;   in Loop: Header=BB24_1465 Depth=3
	s_or_b64 exec, exec, s[42:43]
	v_lshlrev_b32_e32 v39, 16, v39
	v_lshlrev_b32_e32 v87, 16, v87
	v_max_f32_e32 v87, v87, v87
	v_max_f32_e32 v39, v39, v39
	v_min_f32_e32 v96, v39, v87
	v_max_f32_e32 v39, v39, v87
	v_cndmask_b32_e64 v39, v39, v96, s[24:25]
	v_and_b32_e32 v87, 0x7f800000, v39
	v_cmp_ne_u32_e32 vcc, s73, v87
                                        ; implicit-def: $vgpr87
	s_and_saveexec_b64 s[42:43], vcc
	s_xor_b64 s[42:43], exec, s[42:43]
; %bb.1470:                             ;   in Loop: Header=BB24_1465 Depth=3
	v_bfe_u32 v87, v39, 16, 1
	v_add3_u32 v87, v39, v87, s62
                                        ; implicit-def: $vgpr39
; %bb.1471:                             ;   in Loop: Header=BB24_1465 Depth=3
	s_andn2_saveexec_b64 s[42:43], s[42:43]
; %bb.1472:                             ;   in Loop: Header=BB24_1465 Depth=3
	v_or_b32_e32 v87, 0x10000, v39
	v_cmp_eq_u32_sdwa vcc, v39, v3 src0_sel:WORD_0 src1_sel:DWORD
	s_nop 1
	v_cndmask_b32_e32 v87, v87, v39, vcc
; %bb.1473:                             ;   in Loop: Header=BB24_1465 Depth=3
	s_or_b64 exec, exec, s[42:43]
	v_lshlrev_b32_e32 v37, 16, v37
	v_lshlrev_b32_e32 v39, 16, v73
	v_max_f32_e32 v39, v39, v39
	v_max_f32_e32 v37, v37, v37
	v_min_f32_e32 v96, v37, v39
	v_max_f32_e32 v37, v37, v39
	v_cndmask_b32_e64 v37, v37, v96, s[24:25]
	v_and_b32_e32 v39, 0x7f800000, v37
	v_cmp_ne_u32_e32 vcc, s73, v39
                                        ; implicit-def: $vgpr39
	s_and_saveexec_b64 s[42:43], vcc
	s_xor_b64 s[42:43], exec, s[42:43]
; %bb.1474:                             ;   in Loop: Header=BB24_1465 Depth=3
	v_bfe_u32 v39, v37, 16, 1
	v_add3_u32 v39, v37, v39, s62
                                        ; implicit-def: $vgpr37
; %bb.1475:                             ;   in Loop: Header=BB24_1465 Depth=3
	s_andn2_saveexec_b64 s[42:43], s[42:43]
; %bb.1476:                             ;   in Loop: Header=BB24_1465 Depth=3
	v_or_b32_e32 v39, 0x10000, v37
	v_cmp_eq_u32_sdwa vcc, v37, v3 src0_sel:WORD_0 src1_sel:DWORD
	s_nop 1
	v_cndmask_b32_e32 v39, v39, v37, vcc
; %bb.1477:                             ;   in Loop: Header=BB24_1465 Depth=3
	s_or_b64 exec, exec, s[42:43]
	v_lshlrev_b32_e32 v35, 16, v35
	v_lshlrev_b32_e32 v37, 16, v72
	v_max_f32_e32 v37, v37, v37
	v_max_f32_e32 v35, v35, v35
	v_min_f32_e32 v96, v35, v37
	v_max_f32_e32 v35, v35, v37
	v_cndmask_b32_e64 v35, v35, v96, s[24:25]
	v_and_b32_e32 v37, 0x7f800000, v35
	v_cmp_ne_u32_e32 vcc, s73, v37
                                        ; implicit-def: $vgpr37
	s_and_saveexec_b64 s[42:43], vcc
	s_xor_b64 s[42:43], exec, s[42:43]
; %bb.1478:                             ;   in Loop: Header=BB24_1465 Depth=3
	v_bfe_u32 v37, v35, 16, 1
	v_add3_u32 v37, v35, v37, s62
                                        ; implicit-def: $vgpr35
; %bb.1479:                             ;   in Loop: Header=BB24_1465 Depth=3
	s_andn2_saveexec_b64 s[42:43], s[42:43]
; %bb.1480:                             ;   in Loop: Header=BB24_1465 Depth=3
	v_or_b32_e32 v37, 0x10000, v35
	v_cmp_eq_u32_sdwa vcc, v35, v3 src0_sel:WORD_0 src1_sel:DWORD
	s_nop 1
	v_cndmask_b32_e32 v37, v37, v35, vcc
; %bb.1481:                             ;   in Loop: Header=BB24_1465 Depth=3
	s_or_b64 exec, exec, s[42:43]
	v_lshlrev_b32_e32 v33, 16, v33
	v_lshlrev_b32_e32 v35, 16, v63
	v_max_f32_e32 v35, v35, v35
	v_max_f32_e32 v33, v33, v33
	v_min_f32_e32 v96, v33, v35
	v_max_f32_e32 v33, v33, v35
	v_cndmask_b32_e64 v33, v33, v96, s[24:25]
	v_and_b32_e32 v35, 0x7f800000, v33
	v_cmp_ne_u32_e32 vcc, s73, v35
                                        ; implicit-def: $vgpr35
	s_and_saveexec_b64 s[42:43], vcc
	s_xor_b64 s[42:43], exec, s[42:43]
; %bb.1482:                             ;   in Loop: Header=BB24_1465 Depth=3
	v_bfe_u32 v35, v33, 16, 1
	v_add3_u32 v35, v33, v35, s62
                                        ; implicit-def: $vgpr33
; %bb.1483:                             ;   in Loop: Header=BB24_1465 Depth=3
	s_andn2_saveexec_b64 s[42:43], s[42:43]
; %bb.1484:                             ;   in Loop: Header=BB24_1465 Depth=3
	v_or_b32_e32 v35, 0x10000, v33
	v_cmp_eq_u32_sdwa vcc, v33, v3 src0_sel:WORD_0 src1_sel:DWORD
	s_nop 1
	v_cndmask_b32_e32 v35, v35, v33, vcc
; %bb.1485:                             ;   in Loop: Header=BB24_1465 Depth=3
	s_or_b64 exec, exec, s[42:43]
	v_lshlrev_b32_e32 v32, 16, v32
	v_lshlrev_b32_e32 v33, 16, v62
	v_max_f32_e32 v33, v33, v33
	v_max_f32_e32 v32, v32, v32
	v_min_f32_e32 v96, v32, v33
	v_max_f32_e32 v32, v32, v33
	v_cndmask_b32_e64 v32, v32, v96, s[24:25]
	v_and_b32_e32 v33, 0x7f800000, v32
	v_cmp_ne_u32_e32 vcc, s73, v33
                                        ; implicit-def: $vgpr33
	s_and_saveexec_b64 s[42:43], vcc
	s_xor_b64 s[42:43], exec, s[42:43]
; %bb.1486:                             ;   in Loop: Header=BB24_1465 Depth=3
	v_bfe_u32 v33, v32, 16, 1
	v_add3_u32 v33, v32, v33, s62
                                        ; implicit-def: $vgpr32
; %bb.1487:                             ;   in Loop: Header=BB24_1465 Depth=3
	s_andn2_saveexec_b64 s[42:43], s[42:43]
; %bb.1488:                             ;   in Loop: Header=BB24_1465 Depth=3
	v_or_b32_e32 v33, 0x10000, v32
	v_cmp_eq_u32_sdwa vcc, v32, v3 src0_sel:WORD_0 src1_sel:DWORD
	s_nop 1
	v_cndmask_b32_e32 v33, v33, v32, vcc
; %bb.1489:                             ;   in Loop: Header=BB24_1465 Depth=3
	s_or_b64 exec, exec, s[42:43]
	v_lshlrev_b32_e32 v15, 16, v15
	v_lshlrev_b32_e32 v32, 16, v34
	v_max_f32_e32 v32, v32, v32
	v_max_f32_e32 v15, v15, v15
	v_min_f32_e32 v34, v15, v32
	v_max_f32_e32 v15, v15, v32
	v_cndmask_b32_e64 v15, v15, v34, s[24:25]
	v_and_b32_e32 v32, 0x7f800000, v15
	v_cmp_ne_u32_e32 vcc, s73, v32
                                        ; implicit-def: $vgpr32
	s_and_saveexec_b64 s[42:43], vcc
	s_xor_b64 s[42:43], exec, s[42:43]
; %bb.1490:                             ;   in Loop: Header=BB24_1465 Depth=3
	v_bfe_u32 v32, v15, 16, 1
	v_add3_u32 v32, v15, v32, s62
                                        ; implicit-def: $vgpr15
; %bb.1491:                             ;   in Loop: Header=BB24_1465 Depth=3
	s_andn2_saveexec_b64 s[42:43], s[42:43]
; %bb.1492:                             ;   in Loop: Header=BB24_1465 Depth=3
	v_or_b32_e32 v32, 0x10000, v15
	v_cmp_eq_u32_sdwa vcc, v15, v3 src0_sel:WORD_0 src1_sel:DWORD
	s_nop 1
	v_cndmask_b32_e32 v32, v32, v15, vcc
; %bb.1493:                             ;   in Loop: Header=BB24_1465 Depth=3
	s_or_b64 exec, exec, s[42:43]
	v_lshlrev_b32_e32 v4, 16, v4
	v_lshlrev_b32_e32 v5, 16, v5
	v_max_f32_e32 v5, v5, v5
	v_max_f32_e32 v4, v4, v4
	v_min_f32_e32 v15, v4, v5
	v_max_f32_e32 v4, v4, v5
	v_cndmask_b32_e64 v5, v4, v15, s[24:25]
	v_and_b32_e32 v4, 0x7f800000, v5
	v_cmp_ne_u32_e32 vcc, s73, v4
                                        ; implicit-def: $vgpr4
	s_and_saveexec_b64 s[42:43], vcc
	s_xor_b64 s[42:43], exec, s[42:43]
; %bb.1494:                             ;   in Loop: Header=BB24_1465 Depth=3
	v_bfe_u32 v4, v5, 16, 1
	v_add3_u32 v4, v5, v4, s62
                                        ; implicit-def: $vgpr5
; %bb.1495:                             ;   in Loop: Header=BB24_1465 Depth=3
	s_andn2_saveexec_b64 s[42:43], s[42:43]
; %bb.1496:                             ;   in Loop: Header=BB24_1465 Depth=3
	v_or_b32_e32 v4, 0x10000, v5
	v_cmp_eq_u32_sdwa vcc, v5, v3 src0_sel:WORD_0 src1_sel:DWORD
	s_nop 1
	v_cndmask_b32_e32 v4, v4, v5, vcc
; %bb.1497:                             ;   in Loop: Header=BB24_1465 Depth=3
	s_or_b64 exec, exec, s[42:43]
	v_and_b32_e32 v5, 0xffff0000, v86
	v_lshlrev_b32_e32 v14, 16, v14
	v_max_f32_e32 v5, v5, v5
	v_max_f32_e32 v14, v14, v14
	v_min_f32_e32 v15, v5, v14
	v_max_f32_e32 v5, v5, v14
	v_cndmask_b32_e64 v14, v5, v15, s[24:25]
	v_and_b32_e32 v5, 0x7f800000, v14
	v_cmp_ne_u32_e32 vcc, s73, v5
                                        ; implicit-def: $vgpr5
	s_and_saveexec_b64 s[42:43], vcc
	s_xor_b64 s[42:43], exec, s[42:43]
; %bb.1498:                             ;   in Loop: Header=BB24_1465 Depth=3
	v_bfe_u32 v5, v14, 16, 1
	v_add3_u32 v5, v14, v5, s62
                                        ; implicit-def: $vgpr14
; %bb.1499:                             ;   in Loop: Header=BB24_1465 Depth=3
	s_andn2_saveexec_b64 s[42:43], s[42:43]
; %bb.1500:                             ;   in Loop: Header=BB24_1465 Depth=3
	v_or_b32_e32 v5, 0x10000, v14
	v_cmp_eq_u32_sdwa vcc, v14, v3 src0_sel:WORD_0 src1_sel:DWORD
	s_nop 1
	v_cndmask_b32_e32 v5, v5, v14, vcc
; %bb.1501:                             ;   in Loop: Header=BB24_1465 Depth=3
	s_or_b64 exec, exec, s[42:43]
	v_lshl_add_u64 v[14:15], v[50:51], 0, v[12:13]
	v_add_co_u32_e32 v86, vcc, 0xfffffc80, v14
	v_and_b32_e32 v34, 0xffff0000, v87
	s_nop 0
	v_addc_co_u32_e32 v87, vcc, -1, v15, vcc
	flat_store_short_d16_hi v[86:87], v5 nt
	v_lshlrev_b32_e32 v5, 16, v27
	v_max_f32_e32 v27, v34, v34
	v_max_f32_e32 v5, v5, v5
	v_min_f32_e32 v34, v27, v5
	v_max_f32_e32 v5, v27, v5
	v_cndmask_b32_e64 v27, v5, v34, s[24:25]
	v_and_b32_e32 v5, 0x7f800000, v27
	v_cmp_ne_u32_e32 vcc, s73, v5
                                        ; implicit-def: $vgpr5
	s_and_saveexec_b64 s[42:43], vcc
	s_xor_b64 s[42:43], exec, s[42:43]
; %bb.1502:                             ;   in Loop: Header=BB24_1465 Depth=3
	v_bfe_u32 v5, v27, 16, 1
	v_add3_u32 v5, v27, v5, s62
                                        ; implicit-def: $vgpr27
; %bb.1503:                             ;   in Loop: Header=BB24_1465 Depth=3
	s_andn2_saveexec_b64 s[42:43], s[42:43]
; %bb.1504:                             ;   in Loop: Header=BB24_1465 Depth=3
	v_or_b32_e32 v5, 0x10000, v27
	v_cmp_eq_u32_sdwa vcc, v27, v3 src0_sel:WORD_0 src1_sel:DWORD
	s_nop 1
	v_cndmask_b32_e32 v5, v5, v27, vcc
; %bb.1505:                             ;   in Loop: Header=BB24_1465 Depth=3
	s_or_b64 exec, exec, s[42:43]
	v_add_co_u32_e32 v86, vcc, 0xfffffd00, v14
	v_and_b32_e32 v27, 0xffff0000, v39
	s_nop 0
	v_addc_co_u32_e32 v87, vcc, -1, v15, vcc
	flat_store_short_d16_hi v[86:87], v5 nt
	v_lshlrev_b32_e32 v5, 16, v26
	v_max_f32_e32 v26, v27, v27
	v_max_f32_e32 v5, v5, v5
	v_min_f32_e32 v27, v26, v5
	v_max_f32_e32 v5, v26, v5
	v_cndmask_b32_e64 v26, v5, v27, s[24:25]
	v_and_b32_e32 v5, 0x7f800000, v26
	v_cmp_ne_u32_e32 vcc, s73, v5
                                        ; implicit-def: $vgpr5
	s_and_saveexec_b64 s[42:43], vcc
	s_xor_b64 s[42:43], exec, s[42:43]
; %bb.1506:                             ;   in Loop: Header=BB24_1465 Depth=3
	v_bfe_u32 v5, v26, 16, 1
	v_add3_u32 v5, v26, v5, s62
                                        ; implicit-def: $vgpr26
; %bb.1507:                             ;   in Loop: Header=BB24_1465 Depth=3
	s_andn2_saveexec_b64 s[42:43], s[42:43]
; %bb.1508:                             ;   in Loop: Header=BB24_1465 Depth=3
	v_or_b32_e32 v5, 0x10000, v26
	v_cmp_eq_u32_sdwa vcc, v26, v3 src0_sel:WORD_0 src1_sel:DWORD
	s_nop 1
	v_cndmask_b32_e32 v5, v5, v26, vcc
; %bb.1509:                             ;   in Loop: Header=BB24_1465 Depth=3
	s_or_b64 exec, exec, s[42:43]
	v_add_co_u32_e32 v26, vcc, 0xfffffd80, v14
	v_and_b32_e32 v34, 0xffff0000, v37
	s_nop 0
	v_addc_co_u32_e32 v27, vcc, -1, v15, vcc
	flat_store_short_d16_hi v[26:27], v5 nt
	v_lshlrev_b32_e32 v5, 16, v25
	v_max_f32_e32 v25, v34, v34
	v_max_f32_e32 v5, v5, v5
	v_min_f32_e32 v26, v25, v5
	v_max_f32_e32 v5, v25, v5
	v_cndmask_b32_e64 v25, v5, v26, s[24:25]
	v_and_b32_e32 v5, 0x7f800000, v25
	v_cmp_ne_u32_e32 vcc, s73, v5
                                        ; implicit-def: $vgpr5
	s_and_saveexec_b64 s[42:43], vcc
	s_xor_b64 s[42:43], exec, s[42:43]
; %bb.1510:                             ;   in Loop: Header=BB24_1465 Depth=3
	v_bfe_u32 v5, v25, 16, 1
	v_add3_u32 v5, v25, v5, s62
                                        ; implicit-def: $vgpr25
; %bb.1511:                             ;   in Loop: Header=BB24_1465 Depth=3
	s_andn2_saveexec_b64 s[42:43], s[42:43]
; %bb.1512:                             ;   in Loop: Header=BB24_1465 Depth=3
	v_or_b32_e32 v5, 0x10000, v25
	v_cmp_eq_u32_sdwa vcc, v25, v3 src0_sel:WORD_0 src1_sel:DWORD
	s_nop 1
	v_cndmask_b32_e32 v5, v5, v25, vcc
; %bb.1513:                             ;   in Loop: Header=BB24_1465 Depth=3
	s_or_b64 exec, exec, s[42:43]
	v_add_co_u32_e32 v26, vcc, 0xfffffe00, v14
	v_and_b32_e32 v25, 0xffff0000, v35
	s_nop 0
	v_addc_co_u32_e32 v27, vcc, -1, v15, vcc
	flat_store_short_d16_hi v[26:27], v5 nt
	v_lshlrev_b32_e32 v5, 16, v24
	v_max_f32_e32 v24, v25, v25
	v_max_f32_e32 v5, v5, v5
	v_min_f32_e32 v25, v24, v5
	v_max_f32_e32 v5, v24, v5
	v_cndmask_b32_e64 v24, v5, v25, s[24:25]
	v_and_b32_e32 v5, 0x7f800000, v24
	v_cmp_ne_u32_e32 vcc, s73, v5
                                        ; implicit-def: $vgpr5
	s_and_saveexec_b64 s[42:43], vcc
	s_xor_b64 s[42:43], exec, s[42:43]
; %bb.1514:                             ;   in Loop: Header=BB24_1465 Depth=3
	v_bfe_u32 v5, v24, 16, 1
	v_add3_u32 v5, v24, v5, s62
                                        ; implicit-def: $vgpr24
; %bb.1515:                             ;   in Loop: Header=BB24_1465 Depth=3
	s_andn2_saveexec_b64 s[42:43], s[42:43]
; %bb.1516:                             ;   in Loop: Header=BB24_1465 Depth=3
	v_or_b32_e32 v5, 0x10000, v24
	v_cmp_eq_u32_sdwa vcc, v24, v3 src0_sel:WORD_0 src1_sel:DWORD
	s_nop 1
	v_cndmask_b32_e32 v5, v5, v24, vcc
; %bb.1517:                             ;   in Loop: Header=BB24_1465 Depth=3
	s_or_b64 exec, exec, s[42:43]
	v_add_co_u32_e32 v24, vcc, 0xfffffe80, v14
	v_and_b32_e32 v26, 0xffff0000, v33
	s_nop 0
	v_addc_co_u32_e32 v25, vcc, -1, v15, vcc
	flat_store_short_d16_hi v[24:25], v5 nt
	v_lshlrev_b32_e32 v5, 16, v23
	v_max_f32_e32 v23, v26, v26
	v_max_f32_e32 v5, v5, v5
	v_min_f32_e32 v24, v23, v5
	v_max_f32_e32 v5, v23, v5
	v_cndmask_b32_e64 v23, v5, v24, s[24:25]
	v_and_b32_e32 v5, 0x7f800000, v23
	v_cmp_ne_u32_e32 vcc, s73, v5
                                        ; implicit-def: $vgpr5
	s_and_saveexec_b64 s[42:43], vcc
	s_xor_b64 s[42:43], exec, s[42:43]
; %bb.1518:                             ;   in Loop: Header=BB24_1465 Depth=3
	v_bfe_u32 v5, v23, 16, 1
	v_add3_u32 v5, v23, v5, s62
                                        ; implicit-def: $vgpr23
; %bb.1519:                             ;   in Loop: Header=BB24_1465 Depth=3
	s_andn2_saveexec_b64 s[42:43], s[42:43]
; %bb.1520:                             ;   in Loop: Header=BB24_1465 Depth=3
	v_or_b32_e32 v5, 0x10000, v23
	v_cmp_eq_u32_sdwa vcc, v23, v3 src0_sel:WORD_0 src1_sel:DWORD
	s_nop 1
	v_cndmask_b32_e32 v5, v5, v23, vcc
; %bb.1521:                             ;   in Loop: Header=BB24_1465 Depth=3
	s_or_b64 exec, exec, s[42:43]
	v_add_co_u32_e32 v24, vcc, 0xffffff00, v14
	v_and_b32_e32 v23, 0xffff0000, v32
	s_nop 0
	v_addc_co_u32_e32 v25, vcc, -1, v15, vcc
	flat_store_short_d16_hi v[24:25], v5 nt
	v_lshlrev_b32_e32 v5, 16, v22
	v_max_f32_e32 v22, v23, v23
	v_max_f32_e32 v5, v5, v5
	v_min_f32_e32 v23, v22, v5
	v_max_f32_e32 v5, v22, v5
	v_cndmask_b32_e64 v22, v5, v23, s[24:25]
	v_and_b32_e32 v5, 0x7f800000, v22
	v_cmp_ne_u32_e32 vcc, s73, v5
                                        ; implicit-def: $vgpr5
	s_and_saveexec_b64 s[42:43], vcc
	s_xor_b64 s[42:43], exec, s[42:43]
; %bb.1522:                             ;   in Loop: Header=BB24_1465 Depth=3
	v_bfe_u32 v5, v22, 16, 1
	v_add3_u32 v5, v22, v5, s62
                                        ; implicit-def: $vgpr22
; %bb.1523:                             ;   in Loop: Header=BB24_1465 Depth=3
	s_andn2_saveexec_b64 s[42:43], s[42:43]
; %bb.1524:                             ;   in Loop: Header=BB24_1465 Depth=3
	v_or_b32_e32 v5, 0x10000, v22
	v_cmp_eq_u32_sdwa vcc, v22, v3 src0_sel:WORD_0 src1_sel:DWORD
	s_nop 1
	v_cndmask_b32_e32 v5, v5, v22, vcc
; %bb.1525:                             ;   in Loop: Header=BB24_1465 Depth=3
	s_or_b64 exec, exec, s[42:43]
	v_add_co_u32_e32 v22, vcc, 0xffffff80, v14
	v_and_b32_e32 v4, 0xffff0000, v4
	s_nop 0
	v_addc_co_u32_e32 v23, vcc, -1, v15, vcc
	flat_store_short_d16_hi v[22:23], v5 nt
	v_lshlrev_b32_e32 v5, 16, v21
	v_max_f32_e32 v4, v4, v4
	v_max_f32_e32 v5, v5, v5
	v_min_f32_e32 v21, v4, v5
	v_max_f32_e32 v4, v4, v5
	v_cndmask_b32_e64 v4, v4, v21, s[24:25]
	v_and_b32_e32 v5, 0x7f800000, v4
	v_cmp_ne_u32_e32 vcc, s73, v5
                                        ; implicit-def: $vgpr5
	s_and_saveexec_b64 s[42:43], vcc
	s_xor_b64 s[42:43], exec, s[42:43]
; %bb.1526:                             ;   in Loop: Header=BB24_1465 Depth=3
	v_bfe_u32 v5, v4, 16, 1
	v_add3_u32 v5, v4, v5, s62
                                        ; implicit-def: $vgpr4
; %bb.1527:                             ;   in Loop: Header=BB24_1465 Depth=3
	s_andn2_saveexec_b64 s[42:43], s[42:43]
	s_cbranch_execz .LBB24_1464
; %bb.1528:                             ;   in Loop: Header=BB24_1465 Depth=3
	v_or_b32_e32 v5, 0x10000, v4
	v_cmp_eq_u32_sdwa vcc, v4, v3 src0_sel:WORD_0 src1_sel:DWORD
	s_nop 1
	v_cndmask_b32_e32 v5, v5, v4, vcc
	s_branch .LBB24_1464
.LBB24_1529:                            ;   in Loop: Header=BB24_955 Depth=2
	s_or_b64 exec, exec, s[40:41]
.LBB24_1530:                            ;   in Loop: Header=BB24_955 Depth=2
	s_or_b64 exec, exec, s[28:29]
	v_lshlrev_b32_e32 v4, 10, v20
	v_cmp_ne_u32_e32 vcc, v2, v4
	s_and_b64 exec, exec, vcc
	s_cbranch_execz .LBB24_1538
; %bb.1531:                             ;   in Loop: Header=BB24_955 Depth=2
	v_lshlrev_b32_e32 v5, 6, v18
	v_sub_u32_e32 v5, v17, v5
	v_lshlrev_b32_e32 v8, 6, v19
	v_sub_u32_e32 v5, v5, v8
	v_ashrrev_i32_e32 v8, 31, v5
	v_lshrrev_b32_e32 v8, 26, v8
	v_add_u32_e32 v8, v5, v8
	v_and_b32_e32 v9, 0x7fffffc0, v8
	v_sub_u32_e32 v5, v5, v9
	v_lshlrev_b32_e32 v8, 1, v8
	v_and_b32_e32 v8, 0xffffff80, v8
	v_lshlrev_b32_e32 v5, 1, v5
	v_add3_u32 v4, v8, v5, v4
	v_sub_u32_e32 v2, v2, v4
	v_cmp_lt_i32_e32 vcc, 1, v2
	s_and_b64 exec, exec, vcc
	s_cbranch_execz .LBB24_1538
; %bb.1532:                             ;   in Loop: Header=BB24_955 Depth=2
	s_trap 2
	ds_read_b64 v[12:13], v0
	v_add_u32_e32 v8, v4, v16
	s_and_b32 s74, s31, 1
	v_ashrrev_i32_e32 v9, 31, v8
	s_cmp_eq_u64 s[74:75], 0
	v_lshl_add_u64 v[10:11], v[8:9], 0, v[90:91]
	s_waitcnt lgkmcnt(0)
	v_lshl_add_u64 v[12:13], v[12:13], 0, v[8:9]
	s_mov_b64 s[28:29], 0
	s_cselect_b64 vcc, -1, 0
	s_branch .LBB24_1534
.LBB24_1533:                            ;   in Loop: Header=BB24_1534 Depth=3
	s_or_b64 exec, exec, s[40:41]
	v_and_b32_e32 v5, 0xffff0000, v14
	v_lshlrev_b32_e32 v4, 16, v4
	v_max_f32_e32 v5, v5, v5
	v_max_f32_e32 v4, v4, v4
	v_min_f32_e32 v14, v5, v4
	v_max_f32_e32 v4, v5, v4
	v_cndmask_b32_e32 v4, v4, v14, vcc
	v_and_b32_e32 v5, 0x7f800000, v4
	v_bfe_u32 v14, v4, 16, 1
	v_or_b32_e32 v15, 0x10000, v4
	v_cmp_eq_u32_sdwa s[24:25], v4, v3 src0_sel:WORD_0 src1_sel:DWORD
	v_add3_u32 v14, v4, v14, s62
	v_sub_u32_e32 v2, v2, v114
	v_cndmask_b32_e64 v4, v15, v4, s[24:25]
	v_cmp_eq_u32_e64 s[24:25], s73, v5
	v_lshl_add_u64 v[16:17], v[50:51], 0, v[8:9]
	v_lshl_add_u64 v[10:11], v[10:11], 0, v[114:115]
	v_cndmask_b32_e64 v4, v14, v4, s[24:25]
	v_cmp_gt_i32_e64 s[24:25], 2, v2
	v_lshl_add_u64 v[12:13], v[12:13], 0, v[114:115]
	s_or_b64 s[28:29], s[24:25], s[28:29]
	v_lshl_add_u64 v[8:9], v[8:9], 0, v[114:115]
	flat_store_short_d16_hi v[16:17], v4 nt
	s_andn2_b64 exec, exec, s[28:29]
	s_cbranch_execz .LBB24_1538
.LBB24_1534:                            ;   Parent Loop BB24_47 Depth=1
                                        ;     Parent Loop BB24_955 Depth=2
                                        ; =>    This Inner Loop Header: Depth=3
	flat_load_ushort v5, v[12:13] nt
	flat_load_ushort v14, v[10:11] nt
	;; [unrolled: 1-line block ×3, first 2 shown]
	s_waitcnt vmcnt(0) lgkmcnt(0)
	v_lshlrev_b32_e32 v5, 16, v5
	v_lshlrev_b32_e32 v14, 16, v14
	v_max_f32_e32 v5, v5, v5
	v_max_f32_e32 v14, v14, v14
	v_min_f32_e32 v15, v14, v5
	v_max_f32_e32 v5, v14, v5
	v_cndmask_b32_e32 v5, v5, v15, vcc
	v_and_b32_e32 v14, 0x7f800000, v5
	v_cmp_ne_u32_e64 s[24:25], s73, v14
                                        ; implicit-def: $vgpr14
	s_and_saveexec_b64 s[40:41], s[24:25]
	s_xor_b64 s[24:25], exec, s[40:41]
; %bb.1535:                             ;   in Loop: Header=BB24_1534 Depth=3
	v_bfe_u32 v14, v5, 16, 1
	v_add3_u32 v14, v5, v14, s62
                                        ; implicit-def: $vgpr5
; %bb.1536:                             ;   in Loop: Header=BB24_1534 Depth=3
	s_andn2_saveexec_b64 s[40:41], s[24:25]
	s_cbranch_execz .LBB24_1533
; %bb.1537:                             ;   in Loop: Header=BB24_1534 Depth=3
	v_or_b32_e32 v14, 0x10000, v5
	v_cmp_eq_u32_sdwa s[24:25], v5, v3 src0_sel:WORD_0 src1_sel:DWORD
	s_nop 1
	v_cndmask_b32_e64 v14, v14, v5, s[24:25]
	s_branch .LBB24_1533
.LBB24_1538:                            ;   in Loop: Header=BB24_955 Depth=2
	s_or_b64 exec, exec, s[26:27]
	v_cmp_lt_i32_e64 s[24:25], 0, v29
	s_and_saveexec_b64 s[26:27], s[4:5]
	s_cbranch_execz .LBB24_1557
.LBB24_1539:                            ;   in Loop: Header=BB24_955 Depth=2
	s_and_saveexec_b64 s[28:29], s[76:77]
	s_xor_b64 s[28:29], exec, s[28:29]
	s_cbranch_execz .LBB24_1554
; %bb.1540:                             ;   in Loop: Header=BB24_955 Depth=2
	s_and_saveexec_b64 s[40:41], s[12:13]
	s_cbranch_execz .LBB24_1553
; %bb.1541:                             ;   in Loop: Header=BB24_955 Depth=2
	s_mov_b64 s[44:45], exec
	v_mbcnt_lo_u32_b32 v2, s44, 0
	v_mbcnt_hi_u32_b32 v2, s45, v2
	v_cmp_eq_u32_e32 vcc, 0, v2
	s_waitcnt lgkmcnt(0)
	s_and_saveexec_b64 s[42:43], vcc
	s_cbranch_execz .LBB24_1543
; %bb.1542:                             ;   in Loop: Header=BB24_955 Depth=2
	s_bcnt1_i32_b64 s44, s[44:45]
	v_mov_b32_e32 v2, s44
	ds_add_u64 v0, v[2:3]
	s_trap 2
.LBB24_1543:                            ;   in Loop: Header=BB24_955 Depth=2
	s_or_b64 exec, exec, s[42:43]
	s_trap 2
	ds_read_b64 v[4:5], v0
	s_waitcnt lgkmcnt(0)
	v_lshl_add_u64 v[70:71], v[70:71], 0, v[84:85]
	v_cmp_lt_u64_e32 vcc, v[4:5], v[70:71]
	s_and_saveexec_b64 s[42:43], vcc
	s_cbranch_execz .LBB24_1552
; %bb.1544:                             ;   in Loop: Header=BB24_955 Depth=2
	s_mov_b32 s74, 0
	s_mov_b64 s[44:45], 0
                                        ; implicit-def: $sgpr46_sgpr47
                                        ; implicit-def: $sgpr56_sgpr57
	s_branch .LBB24_1546
.LBB24_1545:                            ;   in Loop: Header=BB24_1546 Depth=3
	s_or_b64 exec, exec, s[60:61]
	s_and_b64 s[58:59], exec, vcc
	s_or_b64 s[44:45], s[58:59], s[44:45]
	s_andn2_b64 s[46:47], s[46:47], exec
	s_and_b64 s[58:59], s[56:57], exec
	s_or_b64 s[46:47], s[46:47], s[58:59]
	s_andn2_b64 exec, exec, s[44:45]
	s_cbranch_execz .LBB24_1550
.LBB24_1546:                            ;   Parent Loop BB24_47 Depth=1
                                        ;     Parent Loop BB24_955 Depth=2
                                        ; =>    This Inner Loop Header: Depth=3
	s_add_i32 s74, s74, 1
	s_cmpk_lg_i32 s74, 0x2710
	s_cselect_b64 s[58:59], -1, 0
	s_and_b64 vcc, exec, s[58:59]
	s_cbranch_vccz .LBB24_1548
; %bb.1547:                             ;   in Loop: Header=BB24_1546 Depth=3
	s_mov_b64 vcc, -1
	s_or_b64 s[56:57], s[56:57], exec
	s_and_saveexec_b64 s[60:61], s[58:59]
	s_cbranch_execz .LBB24_1545
	s_branch .LBB24_1549
.LBB24_1548:                            ;   in Loop: Header=BB24_1546 Depth=3
	s_trap 2
	ds_read_b64 v[4:5], v0
	s_andn2_b64 s[58:59], s[58:59], exec
	s_mov_b32 s74, 0
	s_waitcnt vmcnt(0) lgkmcnt(0)
	flat_load_dword v2, v[4:5] sc0 sc1
	s_waitcnt vmcnt(0) lgkmcnt(0)
	buffer_inv sc0 sc1
	v_cmp_eq_u32_e32 vcc, 0, v2
	s_and_b64 s[60:61], vcc, exec
	s_or_b64 s[58:59], s[58:59], s[60:61]
	s_mov_b64 vcc, -1
	s_or_b64 s[56:57], s[56:57], exec
	s_and_saveexec_b64 s[60:61], s[58:59]
	s_cbranch_execz .LBB24_1545
.LBB24_1549:                            ;   in Loop: Header=BB24_1546 Depth=3
	s_sleep 1
	s_trap 2
	ds_read_b64 v[4:5], v0
	s_waitcnt lgkmcnt(0)
	s_andn2_b64 s[56:57], s[56:57], exec
	v_cmp_ge_u64_e32 vcc, v[4:5], v[70:71]
	s_orn2_b64 vcc, vcc, exec
	s_branch .LBB24_1545
.LBB24_1550:                            ;   in Loop: Header=BB24_955 Depth=2
	s_or_b64 exec, exec, s[44:45]
	s_and_saveexec_b64 s[44:45], s[46:47]
	s_xor_b64 s[44:45], exec, s[44:45]
	s_cbranch_execz .LBB24_1552
; %bb.1551:                             ;   in Loop: Header=BB24_955 Depth=2
	ds_write_b32 v0, v52
	s_trap 2
.LBB24_1552:                            ;   in Loop: Header=BB24_955 Depth=2
	s_or_b64 exec, exec, s[42:43]
	;;#ASMSTART
	s_wakeup
	;;#ASMEND
.LBB24_1553:                            ;   in Loop: Header=BB24_955 Depth=2
	s_or_b64 exec, exec, s[40:41]
.LBB24_1554:                            ;   in Loop: Header=BB24_955 Depth=2
	s_andn2_saveexec_b64 s[28:29], s[28:29]
	s_cbranch_execz .LBB24_1556
; %bb.1555:                             ;   in Loop: Header=BB24_955 Depth=2
	s_waitcnt lgkmcnt(0)
	s_barrier
.LBB24_1556:                            ;   in Loop: Header=BB24_955 Depth=2
	s_or_b64 exec, exec, s[28:29]
.LBB24_1557:                            ;   in Loop: Header=BB24_955 Depth=2
	s_or_b64 exec, exec, s[26:27]
	v_and_b32_e32 v4, 16, v122
	s_and_saveexec_b64 s[26:27], s[20:21]
	s_xor_b64 s[26:27], exec, s[26:27]
	s_cbranch_execz .LBB24_1561
; %bb.1558:                             ;   in Loop: Header=BB24_955 Depth=2
	v_and_b32_e32 v2, 16, v122
	v_cmp_ne_u32_e32 vcc, 0, v2
	v_and_b32_e32 v4, 16, v122
	s_and_b64 s[28:29], vcc, s[24:25]
	s_and_saveexec_b64 s[24:25], s[28:29]
	s_cbranch_execz .LBB24_1560
; %bb.1559:                             ;   in Loop: Header=BB24_955 Depth=2
	v_mov_b32_e32 v4, 1
	buffer_wbl2 sc1
	s_waitcnt vmcnt(0) lgkmcnt(0)
	buffer_inv sc1
.LBB24_1560:                            ;   in Loop: Header=BB24_955 Depth=2
	s_or_b64 exec, exec, s[24:25]
.LBB24_1561:                            ;   in Loop: Header=BB24_955 Depth=2
	s_andn2_saveexec_b64 s[24:25], s[26:27]
	s_cbranch_execz .LBB24_1580
; %bb.1562:                             ;   in Loop: Header=BB24_955 Depth=2
	s_and_saveexec_b64 s[26:27], s[76:77]
	s_xor_b64 s[26:27], exec, s[26:27]
	s_cbranch_execz .LBB24_1577
; %bb.1563:                             ;   in Loop: Header=BB24_955 Depth=2
	s_and_saveexec_b64 s[28:29], s[12:13]
	s_cbranch_execz .LBB24_1576
; %bb.1564:                             ;   in Loop: Header=BB24_955 Depth=2
	s_mov_b64 s[42:43], exec
	v_mbcnt_lo_u32_b32 v2, s42, 0
	v_mbcnt_hi_u32_b32 v2, s43, v2
	v_cmp_eq_u32_e32 vcc, 0, v2
	;;#ASMSTART
	s_waitcnt lgkmcnt(0) vmcnt(0)
	;;#ASMEND
	s_and_saveexec_b64 s[40:41], vcc
	s_cbranch_execz .LBB24_1566
; %bb.1565:                             ;   in Loop: Header=BB24_955 Depth=2
	s_bcnt1_i32_b64 s42, s[42:43]
	v_mov_b32_e32 v2, s42
	s_waitcnt lgkmcnt(0)
	ds_add_u64 v0, v[2:3]
	s_trap 2
.LBB24_1566:                            ;   in Loop: Header=BB24_955 Depth=2
	s_or_b64 exec, exec, s[40:41]
	s_trap 2
	ds_read_b64 v[8:9], v0
	s_waitcnt lgkmcnt(0)
	v_lshl_add_u64 v[70:71], v[70:71], 0, v[84:85]
	v_cmp_lt_u64_e32 vcc, v[8:9], v[70:71]
	s_and_saveexec_b64 s[40:41], vcc
	s_cbranch_execz .LBB24_1575
; %bb.1567:                             ;   in Loop: Header=BB24_955 Depth=2
	s_mov_b32 s74, 0
	s_mov_b64 s[42:43], 0
                                        ; implicit-def: $sgpr44_sgpr45
                                        ; implicit-def: $sgpr46_sgpr47
	s_branch .LBB24_1569
.LBB24_1568:                            ;   in Loop: Header=BB24_1569 Depth=3
	s_or_b64 exec, exec, s[58:59]
	s_and_b64 s[56:57], exec, s[60:61]
	s_or_b64 s[42:43], s[56:57], s[42:43]
	s_andn2_b64 s[44:45], s[44:45], exec
	s_and_b64 s[56:57], s[46:47], exec
	s_or_b64 s[44:45], s[44:45], s[56:57]
	s_andn2_b64 exec, exec, s[42:43]
	s_cbranch_execz .LBB24_1573
.LBB24_1569:                            ;   Parent Loop BB24_47 Depth=1
                                        ;     Parent Loop BB24_955 Depth=2
                                        ; =>    This Inner Loop Header: Depth=3
	s_add_i32 s74, s74, 1
	s_cmpk_lg_i32 s74, 0x2710
	s_cselect_b64 s[56:57], -1, 0
	s_and_b64 vcc, exec, s[56:57]
	s_cbranch_vccz .LBB24_1571
; %bb.1570:                             ;   in Loop: Header=BB24_1569 Depth=3
	s_mov_b64 s[60:61], -1
	s_or_b64 s[46:47], s[46:47], exec
	s_and_saveexec_b64 s[58:59], s[56:57]
	s_cbranch_execz .LBB24_1568
	s_branch .LBB24_1572
.LBB24_1571:                            ;   in Loop: Header=BB24_1569 Depth=3
	s_trap 2
	ds_read_b64 v[8:9], v0
	s_andn2_b64 s[56:57], s[56:57], exec
	s_mov_b32 s74, 0
	s_waitcnt vmcnt(0) lgkmcnt(0)
	flat_load_dword v2, v[8:9] sc0 sc1
	s_waitcnt vmcnt(0) lgkmcnt(0)
	buffer_inv sc0 sc1
	v_cmp_eq_u32_e32 vcc, 0, v2
	s_and_b64 s[58:59], vcc, exec
	s_or_b64 s[56:57], s[56:57], s[58:59]
	s_mov_b64 s[60:61], -1
	s_or_b64 s[46:47], s[46:47], exec
	s_and_saveexec_b64 s[58:59], s[56:57]
	s_cbranch_execz .LBB24_1568
.LBB24_1572:                            ;   in Loop: Header=BB24_1569 Depth=3
	s_sleep 1
	s_trap 2
	ds_read_b64 v[8:9], v0
	s_waitcnt lgkmcnt(0)
	s_andn2_b64 s[46:47], s[46:47], exec
	v_cmp_ge_u64_e32 vcc, v[8:9], v[70:71]
	s_orn2_b64 s[60:61], vcc, exec
	s_branch .LBB24_1568
.LBB24_1573:                            ;   in Loop: Header=BB24_955 Depth=2
	s_or_b64 exec, exec, s[42:43]
	s_and_saveexec_b64 s[42:43], s[44:45]
	s_xor_b64 s[42:43], exec, s[42:43]
	s_cbranch_execz .LBB24_1575
; %bb.1574:                             ;   in Loop: Header=BB24_955 Depth=2
	ds_write_b32 v0, v52
	s_trap 2
.LBB24_1575:                            ;   in Loop: Header=BB24_955 Depth=2
	s_or_b64 exec, exec, s[40:41]
	;;#ASMSTART
	s_wakeup
	;;#ASMEND
.LBB24_1576:                            ;   in Loop: Header=BB24_955 Depth=2
	s_or_b64 exec, exec, s[28:29]
.LBB24_1577:                            ;   in Loop: Header=BB24_955 Depth=2
	s_andn2_saveexec_b64 s[26:27], s[26:27]
	s_cbranch_execz .LBB24_1579
; %bb.1578:                             ;   in Loop: Header=BB24_955 Depth=2
	;;#ASMSTART
	s_waitcnt lgkmcnt(0) vmcnt(0)
	;;#ASMEND
	s_barrier
.LBB24_1579:                            ;   in Loop: Header=BB24_955 Depth=2
	s_or_b64 exec, exec, s[26:27]
.LBB24_1580:                            ;   in Loop: Header=BB24_955 Depth=2
	s_or_b64 exec, exec, s[24:25]
	v_cmp_ne_u32_e32 vcc, 0, v4
	s_xor_b64 s[24:25], s[6:7], -1
	s_and_b64 s[26:27], vcc, s[24:25]
	s_and_saveexec_b64 s[24:25], s[26:27]
	s_cbranch_execz .LBB24_1582
; %bb.1581:                             ;   in Loop: Header=BB24_955 Depth=2
	flat_store_dword v[68:69], v52 sc0 sc1
.LBB24_1582:                            ;   in Loop: Header=BB24_955 Depth=2
	s_or_b64 exec, exec, s[24:25]
	v_and_b32_e32 v2, 48, v122
	v_cmp_ne_u32_e32 vcc, 0, v2
	s_and_saveexec_b64 s[24:25], vcc
	s_cbranch_execz .LBB24_954
; %bb.1583:                             ;   in Loop: Header=BB24_955 Depth=2
	v_lshl_add_u64 v[76:77], v[76:77], 0, 2
	flat_store_dwordx2 v[64:65], v[76:77] sc0 sc1
	s_branch .LBB24_954
.LBB24_1584:                            ;   in Loop: Header=BB24_47 Depth=1
	s_or_b64 exec, exec, s[50:51]
	v_cmp_gt_i32_e32 vcc, 2, v2
	s_and_saveexec_b64 s[26:27], vcc
	s_cbranch_execz .LBB24_1660
.LBB24_1585:                            ;   in Loop: Header=BB24_47 Depth=1
	v_cmp_eq_u32_e64 s[40:41], 0, v2
	s_mov_b64 s[28:29], 0
	s_branch .LBB24_1587
.LBB24_1586:                            ;   in Loop: Header=BB24_1587 Depth=2
	s_or_b64 exec, exec, s[24:25]
	v_add_u32_e32 v38, v36, v38
	s_mov_b64 s[40:41], 0
	s_andn2_b64 exec, exec, s[28:29]
	s_cbranch_execz .LBB24_1661
.LBB24_1587:                            ;   Parent Loop BB24_47 Depth=1
                                        ; =>  This Loop Header: Depth=2
                                        ;       Child Loop BB24_1593 Depth 3
                                        ;       Child Loop BB24_1621 Depth 3
	;; [unrolled: 1-line block ×3, first 2 shown]
	v_sub_u32_e32 v2, v28, v38
	v_min_i32_e32 v36, v36, v2
	v_and_b32_e32 v2, 12, v122
	v_cmp_ne_u32_e32 vcc, 0, v2
	s_and_saveexec_b64 s[42:43], vcc
	s_cbranch_execz .LBB24_1613
; %bb.1588:                             ;   in Loop: Header=BB24_1587 Depth=2
	v_and_b32_e32 v2, 8, v122
	s_waitcnt vmcnt(0) lgkmcnt(0)
	v_lshl_add_u64 v[4:5], v[80:81], 0, v[2:3]
	v_lshl_add_u64 v[8:9], v[76:77], 0, 2
	v_cmp_lt_u64_e32 vcc, v[4:5], v[8:9]
	s_and_saveexec_b64 s[44:45], vcc
	s_cbranch_execz .LBB24_1600
; %bb.1589:                             ;   in Loop: Header=BB24_1587 Depth=2
	v_and_b32_e32 v4, 64, v122
	s_mov_b32 s74, 0
	v_cmp_eq_u32_e32 vcc, 0, v4
	s_mov_b64 s[46:47], 0
                                        ; implicit-def: $sgpr56_sgpr57
                                        ; implicit-def: $sgpr58_sgpr59
                                        ; implicit-def: $sgpr60_sgpr61
	s_branch .LBB24_1593
.LBB24_1590:                            ;   in Loop: Header=BB24_1593 Depth=3
	s_waitcnt vmcnt(0) lgkmcnt(0)
	v_lshl_add_u64 v[10:11], v[80:81], 0, v[2:3]
	v_cmp_ge_u64_e64 s[24:25], v[10:11], v[8:9]
	s_or_b64 s[54:55], s[54:55], exec
	s_orn2_b64 s[52:53], s[24:25], exec
.LBB24_1591:                            ;   in Loop: Header=BB24_1593 Depth=3
	s_or_b64 exec, exec, s[66:67]
	s_andn2_b64 s[24:25], s[60:61], exec
	s_and_b64 s[60:61], s[54:55], exec
	s_or_b64 s[60:61], s[24:25], s[60:61]
	s_andn2_b64 s[24:25], s[58:59], exec
	s_and_b64 s[58:59], s[52:53], exec
	s_or_b64 s[58:59], s[24:25], s[58:59]
.LBB24_1592:                            ;   in Loop: Header=BB24_1593 Depth=3
	s_or_b64 exec, exec, s[50:51]
	s_and_b64 s[24:25], exec, s[58:59]
	s_or_b64 s[46:47], s[24:25], s[46:47]
	s_andn2_b64 s[24:25], s[56:57], exec
	s_and_b64 s[56:57], s[60:61], exec
	s_or_b64 s[56:57], s[24:25], s[56:57]
	s_andn2_b64 exec, exec, s[46:47]
	s_cbranch_execz .LBB24_1597
.LBB24_1593:                            ;   Parent Loop BB24_47 Depth=1
                                        ;     Parent Loop BB24_1587 Depth=2
                                        ; =>    This Inner Loop Header: Depth=3
	s_sleep 1
	s_waitcnt vmcnt(0) lgkmcnt(0)
	flat_load_dwordx2 v[80:81], v[64:65] sc0 sc1
	s_or_b64 s[60:61], s[60:61], exec
	s_or_b64 s[58:59], s[58:59], exec
                                        ; implicit-def: $vgpr4
	s_and_saveexec_b64 s[50:51], vcc
	s_cbranch_execz .LBB24_1592
; %bb.1594:                             ;   in Loop: Header=BB24_1593 Depth=3
	s_cmpk_lt_i32 s74, 0x270f
	s_cselect_b64 s[64:65], -1, 0
	s_cmpk_gt_i32 s74, 0x270e
	s_mov_b64 s[52:53], -1
	s_cbranch_scc0 .LBB24_1596
; %bb.1595:                             ;   in Loop: Header=BB24_1593 Depth=3
	s_trap 2
	ds_read_b64 v[4:5], v0
	s_andn2_b64 s[30:31], s[64:65], exec
	s_mov_b32 s74, 0
	s_mov_b64 s[54:55], 0
	s_waitcnt vmcnt(0) lgkmcnt(0)
	flat_load_dword v4, v[4:5] sc0 sc1
	s_waitcnt vmcnt(0) lgkmcnt(0)
	buffer_inv sc0 sc1
	v_cmp_eq_u32_e64 s[24:25], 0, v4
	s_and_b64 s[24:25], s[24:25], exec
	s_or_b64 s[64:65], s[30:31], s[24:25]
	s_and_saveexec_b64 s[66:67], s[64:65]
	s_cbranch_execz .LBB24_1591
	s_branch .LBB24_1590
.LBB24_1596:                            ;   in Loop: Header=BB24_1593 Depth=3
	s_add_i32 s74, s74, 1
	s_mov_b64 s[54:55], -1
                                        ; implicit-def: $vgpr4
	s_and_saveexec_b64 s[66:67], s[64:65]
	s_cbranch_execz .LBB24_1591
	s_branch .LBB24_1590
.LBB24_1597:                            ;   in Loop: Header=BB24_1587 Depth=2
	s_or_b64 exec, exec, s[46:47]
	s_xor_b64 s[24:25], s[56:57], -1
	s_and_saveexec_b64 s[46:47], s[24:25]
	s_xor_b64 s[24:25], exec, s[46:47]
	s_cbranch_execz .LBB24_1599
; %bb.1598:                             ;   in Loop: Header=BB24_1587 Depth=2
	v_or_b32_e32 v122, 64, v122
	s_waitcnt lgkmcnt(0)
	ds_write_b32 v0, v4
	s_trap 2
.LBB24_1599:                            ;   in Loop: Header=BB24_1587 Depth=2
	s_or_b64 exec, exec, s[24:25]
.LBB24_1600:                            ;   in Loop: Header=BB24_1587 Depth=2
	s_or_b64 exec, exec, s[44:45]
	v_and_b32_e32 v4, 0x108, v122
	v_cmp_ne_u32_e32 vcc, s72, v4
	v_and_b32_e32 v10, 7, v76
	;;#ASMSTART
	s_wakeup
	;;#ASMEND
	s_and_saveexec_b64 s[24:25], vcc
	s_xor_b64 s[24:25], exec, s[24:25]
                                        ; implicit-def: $vgpr11
; %bb.1601:                             ;   in Loop: Header=BB24_1587 Depth=2
	v_mov_b32_e32 v11, v3
; %bb.1602:                             ;   in Loop: Header=BB24_1587 Depth=2
	s_andn2_saveexec_b64 s[24:25], s[24:25]
	s_cbranch_execz .LBB24_1604
; %bb.1603:                             ;   in Loop: Header=BB24_1587 Depth=2
	v_ashrrev_i32_e32 v37, 31, v36
	v_mov_b32_e32 v11, v3
	v_mad_u64_u32 v[4:5], s[44:45], v10, 24, v[6:7]
	v_lshlrev_b64 v[12:13], 1, v[36:37]
	flat_store_dwordx2 v[4:5], v[12:13] offset:8
.LBB24_1604:                            ;   in Loop: Header=BB24_1587 Depth=2
	s_or_b64 exec, exec, s[24:25]
	v_and_b32_e32 v4, 0x100, v122
	v_cmp_ne_u32_e32 vcc, 0, v4
	s_mov_b64 s[24:25], -1
                                        ; implicit-def: $vgpr12_vgpr13
	s_and_saveexec_b64 s[44:45], vcc
	s_cbranch_execz .LBB24_1608
; %bb.1605:                             ;   in Loop: Header=BB24_1587 Depth=2
	v_mad_u64_u32 v[14:15], s[24:25], v10, 24, v[6:7]
	v_mov_b32_e32 v4, v15
	v_mad_u64_u32 v[4:5], s[24:25], v11, 24, v[4:5]
	v_mov_b32_e32 v15, v4
	flat_load_dword v4, v[14:15]
                                        ; implicit-def: $vgpr12_vgpr13
	s_waitcnt vmcnt(0) lgkmcnt(0)
	v_cmp_ne_u32_e32 vcc, 1, v4
	v_cmp_eq_u32_e64 s[24:25], 1, v4
	s_and_saveexec_b64 s[46:47], s[24:25]
	s_cbranch_execz .LBB24_1607
; %bb.1606:                             ;   in Loop: Header=BB24_1587 Depth=2
	flat_load_dword v4, v[14:15] offset:4 sc0 sc1
	s_waitcnt vmcnt(0) lgkmcnt(0)
	v_ashrrev_i32_e32 v5, 31, v4
	v_lshrrev_b64 v[12:13], 1, v[4:5]
.LBB24_1607:                            ;   in Loop: Header=BB24_1587 Depth=2
	s_or_b64 exec, exec, s[46:47]
	s_orn2_b64 s[24:25], vcc, exec
.LBB24_1608:                            ;   in Loop: Header=BB24_1587 Depth=2
	s_or_b64 exec, exec, s[44:45]
	s_and_saveexec_b64 s[44:45], s[24:25]
; %bb.1609:                             ;   in Loop: Header=BB24_1587 Depth=2
	v_mul_lo_u32 v4, v11, v30
	v_mul_lo_u32 v5, v10, v1
	v_mad_u64_u32 v[12:13], s[24:25], v10, v30, 0
	v_add3_u32 v13, v13, v5, v4
; %bb.1610:                             ;   in Loop: Header=BB24_1587 Depth=2
	s_or_b64 exec, exec, s[44:45]
	v_cmp_eq_u32_e32 vcc, 0, v2
	v_lshl_add_u64 v[4:5], v[12:13], 1, v[66:67]
	s_nop 0
	v_cndmask_b32_e32 v2, v54, v124, vcc
	v_add_u32_e32 v2, v0, v2
	ds_write_b64 v2, v[4:5] offset:584
	v_and_b32_e32 v2, 0x2000, v122
	v_cmp_ne_u32_e32 vcc, 0, v2
	s_and_saveexec_b64 s[24:25], vcc
	s_cbranch_execz .LBB24_1612
; %bb.1611:                             ;   in Loop: Header=BB24_1587 Depth=2
	ds_read_b64 v[4:5], v0 offset:872
	s_waitcnt lgkmcnt(0)
	v_lshl_add_u64 v[4:5], v[4:5], 0, 1
	ds_write_b64 v0, v[4:5] offset:872
.LBB24_1612:                            ;   in Loop: Header=BB24_1587 Depth=2
	s_or_b64 exec, exec, s[24:25]
	v_mov_b64_e32 v[76:77], v[8:9]
.LBB24_1613:                            ;   in Loop: Header=BB24_1587 Depth=2
	s_or_b64 exec, exec, s[42:43]
	s_xor_b64 s[24:25], s[40:41], -1
	s_and_b64 s[24:25], exec, s[24:25]
	s_or_b64 s[28:29], s[24:25], s[28:29]
	s_and_saveexec_b64 s[24:25], s[4:5]
	s_cbranch_execz .LBB24_1632
; %bb.1614:                             ;   in Loop: Header=BB24_1587 Depth=2
	s_and_saveexec_b64 s[40:41], s[76:77]
	s_xor_b64 s[40:41], exec, s[40:41]
	s_cbranch_execz .LBB24_1629
; %bb.1615:                             ;   in Loop: Header=BB24_1587 Depth=2
	s_and_saveexec_b64 s[42:43], s[12:13]
	s_cbranch_execz .LBB24_1628
; %bb.1616:                             ;   in Loop: Header=BB24_1587 Depth=2
	s_mov_b64 s[46:47], exec
	v_mbcnt_lo_u32_b32 v2, s46, 0
	v_mbcnt_hi_u32_b32 v2, s47, v2
	v_cmp_eq_u32_e32 vcc, 0, v2
	s_waitcnt lgkmcnt(0)
	s_and_saveexec_b64 s[44:45], vcc
	s_cbranch_execz .LBB24_1618
; %bb.1617:                             ;   in Loop: Header=BB24_1587 Depth=2
	s_bcnt1_i32_b64 s46, s[46:47]
	v_mov_b32_e32 v2, s46
	ds_add_u64 v0, v[2:3]
	s_trap 2
.LBB24_1618:                            ;   in Loop: Header=BB24_1587 Depth=2
	s_or_b64 exec, exec, s[44:45]
	s_trap 2
	ds_read_b64 v[4:5], v0
	s_waitcnt lgkmcnt(0)
	v_lshl_add_u64 v[70:71], v[70:71], 0, v[84:85]
	v_cmp_lt_u64_e32 vcc, v[4:5], v[70:71]
	s_and_saveexec_b64 s[44:45], vcc
	s_cbranch_execz .LBB24_1627
; %bb.1619:                             ;   in Loop: Header=BB24_1587 Depth=2
	s_mov_b32 s74, 0
	s_mov_b64 s[46:47], 0
                                        ; implicit-def: $sgpr56_sgpr57
                                        ; implicit-def: $sgpr58_sgpr59
	s_branch .LBB24_1621
.LBB24_1620:                            ;   in Loop: Header=BB24_1621 Depth=3
	s_or_b64 exec, exec, s[50:51]
	s_and_b64 s[60:61], exec, vcc
	s_or_b64 s[46:47], s[60:61], s[46:47]
	s_andn2_b64 s[56:57], s[56:57], exec
	s_and_b64 s[60:61], s[58:59], exec
	s_or_b64 s[56:57], s[56:57], s[60:61]
	s_andn2_b64 exec, exec, s[46:47]
	s_cbranch_execz .LBB24_1625
.LBB24_1621:                            ;   Parent Loop BB24_47 Depth=1
                                        ;     Parent Loop BB24_1587 Depth=2
                                        ; =>    This Inner Loop Header: Depth=3
	s_add_i32 s74, s74, 1
	s_cmpk_lg_i32 s74, 0x2710
	s_cselect_b64 s[60:61], -1, 0
	s_and_b64 vcc, exec, s[60:61]
	s_cbranch_vccz .LBB24_1623
; %bb.1622:                             ;   in Loop: Header=BB24_1621 Depth=3
	s_mov_b64 vcc, -1
	s_or_b64 s[58:59], s[58:59], exec
	s_and_saveexec_b64 s[50:51], s[60:61]
	s_cbranch_execz .LBB24_1620
	s_branch .LBB24_1624
.LBB24_1623:                            ;   in Loop: Header=BB24_1621 Depth=3
	s_trap 2
	ds_read_b64 v[4:5], v0
	s_andn2_b64 s[60:61], s[60:61], exec
	s_mov_b32 s74, 0
	s_waitcnt vmcnt(0) lgkmcnt(0)
	flat_load_dword v2, v[4:5] sc0 sc1
	s_waitcnt vmcnt(0) lgkmcnt(0)
	buffer_inv sc0 sc1
	v_cmp_eq_u32_e32 vcc, 0, v2
	s_and_b64 vcc, vcc, exec
	s_or_b64 s[60:61], s[60:61], vcc
	s_mov_b64 vcc, -1
	s_or_b64 s[58:59], s[58:59], exec
	s_and_saveexec_b64 s[50:51], s[60:61]
	s_cbranch_execz .LBB24_1620
.LBB24_1624:                            ;   in Loop: Header=BB24_1621 Depth=3
	s_sleep 1
	s_trap 2
	ds_read_b64 v[4:5], v0
	s_waitcnt lgkmcnt(0)
	s_andn2_b64 s[58:59], s[58:59], exec
	v_cmp_ge_u64_e32 vcc, v[4:5], v[70:71]
	s_orn2_b64 vcc, vcc, exec
	s_branch .LBB24_1620
.LBB24_1625:                            ;   in Loop: Header=BB24_1587 Depth=2
	s_or_b64 exec, exec, s[46:47]
	s_and_saveexec_b64 s[46:47], s[56:57]
	s_xor_b64 s[46:47], exec, s[46:47]
	s_cbranch_execz .LBB24_1627
; %bb.1626:                             ;   in Loop: Header=BB24_1587 Depth=2
	ds_write_b32 v0, v52
	s_trap 2
.LBB24_1627:                            ;   in Loop: Header=BB24_1587 Depth=2
	s_or_b64 exec, exec, s[44:45]
	;;#ASMSTART
	s_wakeup
	;;#ASMEND
.LBB24_1628:                            ;   in Loop: Header=BB24_1587 Depth=2
	s_or_b64 exec, exec, s[42:43]
.LBB24_1629:                            ;   in Loop: Header=BB24_1587 Depth=2
	s_andn2_saveexec_b64 s[40:41], s[40:41]
	s_cbranch_execz .LBB24_1631
; %bb.1630:                             ;   in Loop: Header=BB24_1587 Depth=2
	s_waitcnt lgkmcnt(0)
	s_barrier
.LBB24_1631:                            ;   in Loop: Header=BB24_1587 Depth=2
	s_or_b64 exec, exec, s[40:41]
.LBB24_1632:                            ;   in Loop: Header=BB24_1587 Depth=2
	s_or_b64 exec, exec, s[24:25]
	v_and_b32_e32 v4, 16, v122
	s_and_saveexec_b64 s[24:25], s[20:21]
	s_xor_b64 s[24:25], exec, s[24:25]
	s_cbranch_execz .LBB24_1636
; %bb.1633:                             ;   in Loop: Header=BB24_1587 Depth=2
	s_trap 2
	ds_read_b32 v2, v0
	v_cmp_lt_i32_e32 vcc, 0, v36
	v_and_b32_e32 v5, 16, v122
	v_and_b32_e32 v4, 16, v122
	s_waitcnt lgkmcnt(0)
	v_readfirstlane_b32 s40, v2
	s_cmp_eq_u32 s40, 0
	s_cselect_b64 s[40:41], -1, 0
	s_and_b64 s[40:41], vcc, s[40:41]
	v_cmp_ne_u32_e32 vcc, 0, v5
	s_and_b64 s[42:43], vcc, s[40:41]
	s_and_saveexec_b64 s[40:41], s[42:43]
	s_cbranch_execz .LBB24_1635
; %bb.1634:                             ;   in Loop: Header=BB24_1587 Depth=2
	v_mov_b32_e32 v4, 1
	buffer_wbl2 sc1
	s_waitcnt vmcnt(0)
	buffer_inv sc1
.LBB24_1635:                            ;   in Loop: Header=BB24_1587 Depth=2
	s_or_b64 exec, exec, s[40:41]
.LBB24_1636:                            ;   in Loop: Header=BB24_1587 Depth=2
	s_andn2_saveexec_b64 s[24:25], s[24:25]
	s_cbranch_execz .LBB24_1655
; %bb.1637:                             ;   in Loop: Header=BB24_1587 Depth=2
	s_and_saveexec_b64 s[40:41], s[76:77]
	s_xor_b64 s[40:41], exec, s[40:41]
	s_cbranch_execz .LBB24_1652
; %bb.1638:                             ;   in Loop: Header=BB24_1587 Depth=2
	s_and_saveexec_b64 s[42:43], s[12:13]
	s_cbranch_execz .LBB24_1651
; %bb.1639:                             ;   in Loop: Header=BB24_1587 Depth=2
	s_mov_b64 s[46:47], exec
	v_mbcnt_lo_u32_b32 v2, s46, 0
	v_mbcnt_hi_u32_b32 v2, s47, v2
	v_cmp_eq_u32_e32 vcc, 0, v2
	;;#ASMSTART
	s_waitcnt lgkmcnt(0) vmcnt(0)
	;;#ASMEND
	s_and_saveexec_b64 s[44:45], vcc
	s_cbranch_execz .LBB24_1641
; %bb.1640:                             ;   in Loop: Header=BB24_1587 Depth=2
	s_bcnt1_i32_b64 s46, s[46:47]
	v_mov_b32_e32 v2, s46
	s_waitcnt lgkmcnt(0)
	ds_add_u64 v0, v[2:3]
	s_trap 2
.LBB24_1641:                            ;   in Loop: Header=BB24_1587 Depth=2
	s_or_b64 exec, exec, s[44:45]
	s_trap 2
	ds_read_b64 v[8:9], v0
	s_waitcnt lgkmcnt(0)
	v_lshl_add_u64 v[70:71], v[70:71], 0, v[84:85]
	v_cmp_lt_u64_e32 vcc, v[8:9], v[70:71]
	s_and_saveexec_b64 s[44:45], vcc
	s_cbranch_execz .LBB24_1650
; %bb.1642:                             ;   in Loop: Header=BB24_1587 Depth=2
	s_mov_b32 s74, 0
	s_mov_b64 s[46:47], 0
                                        ; implicit-def: $sgpr56_sgpr57
                                        ; implicit-def: $sgpr58_sgpr59
	s_branch .LBB24_1644
.LBB24_1643:                            ;   in Loop: Header=BB24_1644 Depth=3
	s_or_b64 exec, exec, s[50:51]
	s_and_b64 s[60:61], exec, vcc
	s_or_b64 s[46:47], s[60:61], s[46:47]
	s_andn2_b64 s[56:57], s[56:57], exec
	s_and_b64 s[60:61], s[58:59], exec
	s_or_b64 s[56:57], s[56:57], s[60:61]
	s_andn2_b64 exec, exec, s[46:47]
	s_cbranch_execz .LBB24_1648
.LBB24_1644:                            ;   Parent Loop BB24_47 Depth=1
                                        ;     Parent Loop BB24_1587 Depth=2
                                        ; =>    This Inner Loop Header: Depth=3
	s_add_i32 s74, s74, 1
	s_cmpk_lg_i32 s74, 0x2710
	s_cselect_b64 s[60:61], -1, 0
	s_and_b64 vcc, exec, s[60:61]
	s_cbranch_vccz .LBB24_1646
; %bb.1645:                             ;   in Loop: Header=BB24_1644 Depth=3
	s_mov_b64 vcc, -1
	s_or_b64 s[58:59], s[58:59], exec
	s_and_saveexec_b64 s[50:51], s[60:61]
	s_cbranch_execz .LBB24_1643
	s_branch .LBB24_1647
.LBB24_1646:                            ;   in Loop: Header=BB24_1644 Depth=3
	s_trap 2
	ds_read_b64 v[8:9], v0
	s_andn2_b64 s[60:61], s[60:61], exec
	s_mov_b32 s74, 0
	s_waitcnt vmcnt(0) lgkmcnt(0)
	flat_load_dword v2, v[8:9] sc0 sc1
	s_waitcnt vmcnt(0) lgkmcnt(0)
	buffer_inv sc0 sc1
	v_cmp_eq_u32_e32 vcc, 0, v2
	s_and_b64 vcc, vcc, exec
	s_or_b64 s[60:61], s[60:61], vcc
	s_mov_b64 vcc, -1
	s_or_b64 s[58:59], s[58:59], exec
	s_and_saveexec_b64 s[50:51], s[60:61]
	s_cbranch_execz .LBB24_1643
.LBB24_1647:                            ;   in Loop: Header=BB24_1644 Depth=3
	s_sleep 1
	s_trap 2
	ds_read_b64 v[8:9], v0
	s_waitcnt lgkmcnt(0)
	s_andn2_b64 s[58:59], s[58:59], exec
	v_cmp_ge_u64_e32 vcc, v[8:9], v[70:71]
	s_orn2_b64 vcc, vcc, exec
	s_branch .LBB24_1643
.LBB24_1648:                            ;   in Loop: Header=BB24_1587 Depth=2
	s_or_b64 exec, exec, s[46:47]
	s_and_saveexec_b64 s[46:47], s[56:57]
	s_xor_b64 s[46:47], exec, s[46:47]
	s_cbranch_execz .LBB24_1650
; %bb.1649:                             ;   in Loop: Header=BB24_1587 Depth=2
	ds_write_b32 v0, v52
	s_trap 2
.LBB24_1650:                            ;   in Loop: Header=BB24_1587 Depth=2
	s_or_b64 exec, exec, s[44:45]
	;;#ASMSTART
	s_wakeup
	;;#ASMEND
.LBB24_1651:                            ;   in Loop: Header=BB24_1587 Depth=2
	s_or_b64 exec, exec, s[42:43]
.LBB24_1652:                            ;   in Loop: Header=BB24_1587 Depth=2
	s_andn2_saveexec_b64 s[40:41], s[40:41]
	s_cbranch_execz .LBB24_1654
; %bb.1653:                             ;   in Loop: Header=BB24_1587 Depth=2
	;;#ASMSTART
	s_waitcnt lgkmcnt(0) vmcnt(0)
	;;#ASMEND
	s_barrier
.LBB24_1654:                            ;   in Loop: Header=BB24_1587 Depth=2
	s_or_b64 exec, exec, s[40:41]
.LBB24_1655:                            ;   in Loop: Header=BB24_1587 Depth=2
	s_or_b64 exec, exec, s[24:25]
	v_cmp_ne_u32_e32 vcc, 0, v4
	s_xor_b64 s[24:25], s[6:7], -1
	s_and_b64 s[40:41], vcc, s[24:25]
	s_and_saveexec_b64 s[24:25], s[40:41]
	s_cbranch_execz .LBB24_1657
; %bb.1656:                             ;   in Loop: Header=BB24_1587 Depth=2
	flat_store_dword v[68:69], v52 sc0 sc1
.LBB24_1657:                            ;   in Loop: Header=BB24_1587 Depth=2
	s_or_b64 exec, exec, s[24:25]
	v_and_b32_e32 v2, 48, v122
	v_cmp_ne_u32_e32 vcc, 0, v2
	s_and_saveexec_b64 s[24:25], vcc
	s_cbranch_execz .LBB24_1586
; %bb.1658:                             ;   in Loop: Header=BB24_1587 Depth=2
	v_lshl_add_u64 v[76:77], v[76:77], 0, 2
	flat_store_dwordx2 v[64:65], v[76:77] sc0 sc1
	s_branch .LBB24_1586
.LBB24_1659:                            ;   in Loop: Header=BB24_47 Depth=1
	s_or_b64 exec, exec, s[52:53]
	s_or_b64 exec, exec, s[50:51]
	v_cmp_gt_i32_e32 vcc, 2, v2
	s_and_saveexec_b64 s[26:27], vcc
	s_cbranch_execnz .LBB24_1585
.LBB24_1660:                            ;   in Loop: Header=BB24_47 Depth=1
	s_or_b64 exec, exec, s[26:27]
	s_and_b64 vcc, exec, s[22:23]
	s_cbranch_vccz .LBB24_1662
	s_branch .LBB24_2174
.LBB24_1661:                            ;   in Loop: Header=BB24_47 Depth=1
	s_or_b64 exec, exec, s[28:29]
	s_or_b64 exec, exec, s[26:27]
	s_and_b64 vcc, exec, s[22:23]
	s_cbranch_vccnz .LBB24_2174
.LBB24_1662:                            ;   in Loop: Header=BB24_47 Depth=1
	s_mov_b32 s30, 1
.LBB24_1663:                            ;   Parent Loop BB24_47 Depth=1
                                        ; =>  This Loop Header: Depth=2
                                        ;       Child Loop BB24_1666 Depth 3
                                        ;         Child Loop BB24_1674 Depth 4
                                        ;         Child Loop BB24_1702 Depth 4
	;; [unrolled: 1-line block ×9, first 2 shown]
                                        ;           Child Loop BB24_1820 Depth 5
                                        ;         Child Loop BB24_1828 Depth 4
                                        ;         Child Loop BB24_1864 Depth 4
                                        ;           Child Loop BB24_1865 Depth 5
                                        ;         Child Loop BB24_2061 Depth 4
                                        ;         Child Loop BB24_2080 Depth 4
                                        ;       Child Loop BB24_2098 Depth 3
                                        ;         Child Loop BB24_2104 Depth 4
                                        ;         Child Loop BB24_2132 Depth 4
	;; [unrolled: 1-line block ×3, first 2 shown]
	s_sub_i32 s22, s81, s30
	s_cmp_ge_i32 s22, s70
	s_cselect_b32 s23, s70, 0
	s_sub_i32 s22, s22, s23
	s_ashr_i32 s23, s22, 31
	v_mul_lo_u32 v2, v74, s23
	v_mul_lo_u32 v4, v75, s22
	v_mad_u64_u32 v[8:9], s[22:23], v74, s22, 0
	v_add3_u32 v9, v9, v2, v4
	v_sub_co_u32_e32 v4, vcc, v78, v8
	v_mov_b32_e32 v92, 0
	s_nop 0
	v_subb_co_u32_e32 v5, vcc, v79, v9, vcc
	v_cmp_lt_i64_e32 vcc, v[74:75], v[4:5]
	s_nop 1
	v_cndmask_b32_e32 v2, v4, v74, vcc
	v_max_i32_e32 v28, 0, v2
	v_add_u32_e32 v4, 31, v28
	v_ashrrev_i32_e32 v5, 31, v4
	v_lshrrev_b32_e32 v5, 27, v5
	v_add_u32_e32 v4, v4, v5
	v_ashrrev_i32_e32 v4, 5, v4
	v_lshlrev_b32_e32 v4, 4, v4
	v_cmp_lt_i32_e32 vcc, 0, v2
	v_max_i32_e32 v90, s84, v4
	s_and_b64 s[22:23], s[38:39], vcc
	v_mov_b32_e32 v2, 0
	s_and_saveexec_b64 s[60:61], s[22:23]
	s_cbranch_execz .LBB24_2095
; %bb.1664:                             ;   in Loop: Header=BB24_1663 Depth=2
	v_lshl_add_u64 v[4:5], v[8:9], 0, v[88:89]
	s_mov_b32 s31, 1
	s_mov_b64 s[52:53], -1
	v_mov_b32_e32 v92, 0
	s_mov_b64 s[50:51], 0
	s_waitcnt lgkmcnt(0)
	v_lshlrev_b64 v[94:95], 1, v[4:5]
	s_branch .LBB24_1666
.LBB24_1665:                            ;   in Loop: Header=BB24_1666 Depth=3
	s_or_b64 exec, exec, s[22:23]
	v_add_u32_e32 v92, v90, v92
	v_cmp_ge_i32_e32 vcc, v92, v28
	s_xor_b64 s[22:23], s[52:53], -1
	s_or_b64 s[22:23], s[22:23], vcc
	s_and_b64 s[22:23], exec, s[22:23]
	s_or_b64 s[50:51], s[22:23], s[50:51]
	s_mov_b64 s[52:53], 0
	v_mov_b32_e32 v2, s31
	s_mov_b32 s31, 2
	s_andn2_b64 exec, exec, s[50:51]
	s_cbranch_execz .LBB24_2170
.LBB24_1666:                            ;   Parent Loop BB24_47 Depth=1
                                        ;     Parent Loop BB24_1663 Depth=2
                                        ; =>    This Loop Header: Depth=3
                                        ;         Child Loop BB24_1674 Depth 4
                                        ;         Child Loop BB24_1702 Depth 4
	;; [unrolled: 1-line block ×9, first 2 shown]
                                        ;           Child Loop BB24_1820 Depth 5
                                        ;         Child Loop BB24_1828 Depth 4
                                        ;         Child Loop BB24_1864 Depth 4
                                        ;           Child Loop BB24_1865 Depth 5
                                        ;         Child Loop BB24_2061 Depth 4
                                        ;         Child Loop BB24_2080 Depth 4
	s_and_saveexec_b64 s[22:23], s[0:1]
	s_cbranch_execz .LBB24_1668
; %bb.1667:                             ;   in Loop: Header=BB24_1666 Depth=3
	s_trap 2
	ds_read_b128 v[8:11], v0
	v_ashrrev_i32_e32 v93, 31, v92
	v_lshlrev_b64 v[4:5], 1, v[92:93]
	s_waitcnt lgkmcnt(0)
	v_lshl_add_u64 v[8:9], v[8:9], 0, v[94:95]
	v_lshl_add_u64 v[12:13], v[10:11], 0, v[94:95]
	;; [unrolled: 1-line block ×4, first 2 shown]
	v_cmp_ne_u64_e32 vcc, 0, v[10:11]
	ds_write_b64 v0, v[8:9]
	s_nop 0
	v_cndmask_b32_e32 v5, 0, v5, vcc
	v_cndmask_b32_e32 v4, 0, v4, vcc
	ds_write_b64 v0, v[4:5]
.LBB24_1668:                            ;   in Loop: Header=BB24_1666 Depth=3
	s_or_b64 exec, exec, s[22:23]
	v_sub_u32_e32 v2, v28, v92
	v_min_i32_e32 v90, v90, v2
	v_and_b32_e32 v2, 12, v122
	v_cmp_ne_u32_e32 vcc, 0, v2
	s_and_saveexec_b64 s[24:25], vcc
	s_cbranch_execz .LBB24_1694
; %bb.1669:                             ;   in Loop: Header=BB24_1666 Depth=3
	v_and_b32_e32 v2, 8, v122
	s_waitcnt vmcnt(0)
	v_lshl_add_u64 v[4:5], v[80:81], 0, v[2:3]
	v_lshl_add_u64 v[8:9], v[76:77], 0, 2
	v_cmp_lt_u64_e32 vcc, v[4:5], v[8:9]
	s_and_saveexec_b64 s[26:27], vcc
	s_cbranch_execz .LBB24_1681
; %bb.1670:                             ;   in Loop: Header=BB24_1666 Depth=3
	v_and_b32_e32 v4, 64, v122
	s_mov_b32 s74, 0
	v_cmp_eq_u32_e32 vcc, 0, v4
	s_mov_b64 s[28:29], 0
                                        ; implicit-def: $sgpr40_sgpr41
                                        ; implicit-def: $sgpr42_sgpr43
                                        ; implicit-def: $sgpr44_sgpr45
	s_branch .LBB24_1674
.LBB24_1671:                            ;   in Loop: Header=BB24_1674 Depth=4
	s_waitcnt vmcnt(0) lgkmcnt(0)
	v_lshl_add_u64 v[10:11], v[80:81], 0, v[2:3]
	v_cmp_ge_u64_e64 s[22:23], v[10:11], v[8:9]
	s_or_b64 s[58:59], s[58:59], exec
	s_orn2_b64 s[56:57], s[22:23], exec
.LBB24_1672:                            ;   in Loop: Header=BB24_1674 Depth=4
	s_or_b64 exec, exec, s[64:65]
	s_andn2_b64 s[22:23], s[44:45], exec
	s_and_b64 s[44:45], s[58:59], exec
	s_or_b64 s[44:45], s[22:23], s[44:45]
	s_andn2_b64 s[22:23], s[42:43], exec
	s_and_b64 s[42:43], s[56:57], exec
	s_or_b64 s[42:43], s[22:23], s[42:43]
.LBB24_1673:                            ;   in Loop: Header=BB24_1674 Depth=4
	s_or_b64 exec, exec, s[46:47]
	s_and_b64 s[22:23], exec, s[42:43]
	s_or_b64 s[28:29], s[22:23], s[28:29]
	s_andn2_b64 s[22:23], s[40:41], exec
	s_and_b64 s[40:41], s[44:45], exec
	s_or_b64 s[40:41], s[22:23], s[40:41]
	s_andn2_b64 exec, exec, s[28:29]
	s_cbranch_execz .LBB24_1678
.LBB24_1674:                            ;   Parent Loop BB24_47 Depth=1
                                        ;     Parent Loop BB24_1663 Depth=2
                                        ;       Parent Loop BB24_1666 Depth=3
                                        ; =>      This Inner Loop Header: Depth=4
	s_sleep 1
	s_waitcnt vmcnt(0) lgkmcnt(0)
	flat_load_dwordx2 v[80:81], v[64:65] sc0 sc1
	s_or_b64 s[44:45], s[44:45], exec
	s_or_b64 s[42:43], s[42:43], exec
                                        ; implicit-def: $vgpr4
	s_and_saveexec_b64 s[46:47], vcc
	s_cbranch_execz .LBB24_1673
; %bb.1675:                             ;   in Loop: Header=BB24_1674 Depth=4
	s_cmpk_lt_i32 s74, 0x270f
	s_cselect_b64 s[54:55], -1, 0
	s_cmpk_gt_i32 s74, 0x270e
	s_mov_b64 s[56:57], -1
	s_cbranch_scc0 .LBB24_1677
; %bb.1676:                             ;   in Loop: Header=BB24_1674 Depth=4
	s_trap 2
	ds_read_b64 v[4:5], v0
	s_andn2_b64 s[54:55], s[54:55], exec
	s_mov_b32 s74, 0
	s_mov_b64 s[58:59], 0
	s_waitcnt vmcnt(0) lgkmcnt(0)
	flat_load_dword v4, v[4:5] sc0 sc1
	s_waitcnt vmcnt(0) lgkmcnt(0)
	buffer_inv sc0 sc1
	v_cmp_eq_u32_e64 s[22:23], 0, v4
	s_and_b64 s[22:23], s[22:23], exec
	s_or_b64 s[54:55], s[54:55], s[22:23]
	s_and_saveexec_b64 s[64:65], s[54:55]
	s_cbranch_execz .LBB24_1672
	s_branch .LBB24_1671
.LBB24_1677:                            ;   in Loop: Header=BB24_1674 Depth=4
	s_add_i32 s74, s74, 1
	s_mov_b64 s[58:59], -1
                                        ; implicit-def: $vgpr4
	s_and_saveexec_b64 s[64:65], s[54:55]
	s_cbranch_execz .LBB24_1672
	s_branch .LBB24_1671
.LBB24_1678:                            ;   in Loop: Header=BB24_1666 Depth=3
	s_or_b64 exec, exec, s[28:29]
	s_xor_b64 s[22:23], s[40:41], -1
	s_and_saveexec_b64 s[28:29], s[22:23]
	s_xor_b64 s[22:23], exec, s[28:29]
	s_cbranch_execz .LBB24_1680
; %bb.1679:                             ;   in Loop: Header=BB24_1666 Depth=3
	v_or_b32_e32 v122, 64, v122
	s_waitcnt lgkmcnt(0)
	ds_write_b32 v0, v4
	s_trap 2
.LBB24_1680:                            ;   in Loop: Header=BB24_1666 Depth=3
	s_or_b64 exec, exec, s[22:23]
.LBB24_1681:                            ;   in Loop: Header=BB24_1666 Depth=3
	s_or_b64 exec, exec, s[26:27]
	v_and_b32_e32 v4, 0x108, v122
	v_cmp_ne_u32_e32 vcc, s72, v4
	;;#ASMSTART
	s_wakeup
	;;#ASMEND
                                        ; implicit-def: $vgpr10_vgpr11
	s_and_saveexec_b64 s[22:23], vcc
	s_xor_b64 s[22:23], exec, s[22:23]
; %bb.1682:                             ;   in Loop: Header=BB24_1666 Depth=3
	v_and_b32_e32 v10, 7, v76
	v_mov_b32_e32 v11, v3
                                        ; implicit-def: $vgpr76_vgpr77
; %bb.1683:                             ;   in Loop: Header=BB24_1666 Depth=3
	s_andn2_saveexec_b64 s[22:23], s[22:23]
	s_cbranch_execz .LBB24_1685
; %bb.1684:                             ;   in Loop: Header=BB24_1666 Depth=3
	v_and_b32_e32 v10, 7, v76
	v_ashrrev_i32_e32 v91, 31, v90
	v_mov_b32_e32 v11, v3
	v_mad_u64_u32 v[4:5], s[26:27], v10, 24, v[6:7]
	v_lshlrev_b64 v[12:13], 1, v[90:91]
	flat_store_dwordx2 v[4:5], v[12:13] offset:8
.LBB24_1685:                            ;   in Loop: Header=BB24_1666 Depth=3
	s_or_b64 exec, exec, s[22:23]
	v_and_b32_e32 v4, 0x100, v122
	v_cmp_ne_u32_e32 vcc, 0, v4
	s_mov_b64 s[22:23], -1
                                        ; implicit-def: $vgpr12_vgpr13
	s_and_saveexec_b64 s[26:27], vcc
	s_cbranch_execz .LBB24_1689
; %bb.1686:                             ;   in Loop: Header=BB24_1666 Depth=3
	v_mad_u64_u32 v[14:15], s[22:23], v10, 24, v[6:7]
	v_mov_b32_e32 v4, v15
	v_mad_u64_u32 v[4:5], s[22:23], v11, 24, v[4:5]
	v_mov_b32_e32 v15, v4
	flat_load_dword v4, v[14:15]
                                        ; implicit-def: $vgpr12_vgpr13
	s_waitcnt vmcnt(0) lgkmcnt(0)
	v_cmp_ne_u32_e32 vcc, 1, v4
	v_cmp_eq_u32_e64 s[22:23], 1, v4
	s_and_saveexec_b64 s[28:29], s[22:23]
	s_cbranch_execz .LBB24_1688
; %bb.1687:                             ;   in Loop: Header=BB24_1666 Depth=3
	flat_load_dword v4, v[14:15] offset:4 sc0 sc1
	s_waitcnt vmcnt(0) lgkmcnt(0)
	v_ashrrev_i32_e32 v5, 31, v4
	v_lshrrev_b64 v[12:13], 1, v[4:5]
.LBB24_1688:                            ;   in Loop: Header=BB24_1666 Depth=3
	s_or_b64 exec, exec, s[28:29]
	s_orn2_b64 s[22:23], vcc, exec
.LBB24_1689:                            ;   in Loop: Header=BB24_1666 Depth=3
	s_or_b64 exec, exec, s[26:27]
	s_and_saveexec_b64 s[26:27], s[22:23]
; %bb.1690:                             ;   in Loop: Header=BB24_1666 Depth=3
	v_mul_lo_u32 v4, v11, v30
	v_mul_lo_u32 v5, v10, v1
	v_mad_u64_u32 v[12:13], s[22:23], v10, v30, 0
	v_add3_u32 v13, v13, v5, v4
; %bb.1691:                             ;   in Loop: Header=BB24_1666 Depth=3
	s_or_b64 exec, exec, s[26:27]
	v_cmp_eq_u32_e32 vcc, 0, v2
	v_lshl_add_u64 v[4:5], v[12:13], 1, v[66:67]
	s_nop 0
	v_cndmask_b32_e32 v2, v54, v55, vcc
	v_add_u32_e32 v2, v0, v2
	ds_write_b64 v2, v[4:5] offset:584
	v_and_b32_e32 v2, 0x2000, v122
	v_cmp_ne_u32_e32 vcc, 0, v2
	s_and_saveexec_b64 s[22:23], vcc
	s_cbranch_execz .LBB24_1693
; %bb.1692:                             ;   in Loop: Header=BB24_1666 Depth=3
	ds_read_b64 v[4:5], v0 offset:872
	s_waitcnt lgkmcnt(0)
	v_lshl_add_u64 v[4:5], v[4:5], 0, 1
	ds_write_b64 v0, v[4:5] offset:872
.LBB24_1693:                            ;   in Loop: Header=BB24_1666 Depth=3
	s_or_b64 exec, exec, s[22:23]
	v_mov_b64_e32 v[76:77], v[8:9]
.LBB24_1694:                            ;   in Loop: Header=BB24_1666 Depth=3
	s_or_b64 exec, exec, s[24:25]
	s_and_saveexec_b64 s[22:23], s[4:5]
	s_cbranch_execz .LBB24_1713
; %bb.1695:                             ;   in Loop: Header=BB24_1666 Depth=3
	s_and_saveexec_b64 s[24:25], s[76:77]
	s_xor_b64 s[24:25], exec, s[24:25]
	s_cbranch_execz .LBB24_1710
; %bb.1696:                             ;   in Loop: Header=BB24_1666 Depth=3
	s_and_saveexec_b64 s[26:27], s[12:13]
	s_cbranch_execz .LBB24_1709
; %bb.1697:                             ;   in Loop: Header=BB24_1666 Depth=3
	s_mov_b64 s[40:41], exec
	v_mbcnt_lo_u32_b32 v2, s40, 0
	v_mbcnt_hi_u32_b32 v2, s41, v2
	v_cmp_eq_u32_e32 vcc, 0, v2
	s_waitcnt lgkmcnt(0)
	s_and_saveexec_b64 s[28:29], vcc
	s_cbranch_execz .LBB24_1699
; %bb.1698:                             ;   in Loop: Header=BB24_1666 Depth=3
	s_bcnt1_i32_b64 s40, s[40:41]
	v_mov_b32_e32 v2, s40
	ds_add_u64 v0, v[2:3]
	s_trap 2
.LBB24_1699:                            ;   in Loop: Header=BB24_1666 Depth=3
	s_or_b64 exec, exec, s[28:29]
	s_trap 2
	ds_read_b64 v[4:5], v0
	s_waitcnt lgkmcnt(0)
	v_lshl_add_u64 v[70:71], v[70:71], 0, v[84:85]
	v_cmp_lt_u64_e32 vcc, v[4:5], v[70:71]
	s_and_saveexec_b64 s[28:29], vcc
	s_cbranch_execz .LBB24_1708
; %bb.1700:                             ;   in Loop: Header=BB24_1666 Depth=3
	s_mov_b32 s74, 0
	s_mov_b64 s[40:41], 0
                                        ; implicit-def: $sgpr42_sgpr43
                                        ; implicit-def: $sgpr44_sgpr45
	s_branch .LBB24_1702
.LBB24_1701:                            ;   in Loop: Header=BB24_1702 Depth=4
	s_or_b64 exec, exec, s[56:57]
	s_and_b64 s[46:47], exec, s[58:59]
	s_or_b64 s[40:41], s[46:47], s[40:41]
	s_andn2_b64 s[42:43], s[42:43], exec
	s_and_b64 s[46:47], s[44:45], exec
	s_or_b64 s[42:43], s[42:43], s[46:47]
	s_andn2_b64 exec, exec, s[40:41]
	s_cbranch_execz .LBB24_1706
.LBB24_1702:                            ;   Parent Loop BB24_47 Depth=1
                                        ;     Parent Loop BB24_1663 Depth=2
                                        ;       Parent Loop BB24_1666 Depth=3
                                        ; =>      This Inner Loop Header: Depth=4
	s_add_i32 s74, s74, 1
	s_cmpk_lg_i32 s74, 0x2710
	s_cselect_b64 s[46:47], -1, 0
	s_and_b64 vcc, exec, s[46:47]
	s_cbranch_vccz .LBB24_1704
; %bb.1703:                             ;   in Loop: Header=BB24_1702 Depth=4
	s_mov_b64 s[58:59], -1
	s_or_b64 s[44:45], s[44:45], exec
	s_and_saveexec_b64 s[56:57], s[46:47]
	s_cbranch_execz .LBB24_1701
	s_branch .LBB24_1705
.LBB24_1704:                            ;   in Loop: Header=BB24_1702 Depth=4
	s_trap 2
	ds_read_b64 v[4:5], v0
	s_andn2_b64 s[46:47], s[46:47], exec
	s_mov_b32 s74, 0
	s_waitcnt vmcnt(0) lgkmcnt(0)
	flat_load_dword v2, v[4:5] sc0 sc1
	s_waitcnt vmcnt(0) lgkmcnt(0)
	buffer_inv sc0 sc1
	v_cmp_eq_u32_e32 vcc, 0, v2
	s_and_b64 s[56:57], vcc, exec
	s_or_b64 s[46:47], s[46:47], s[56:57]
	s_mov_b64 s[58:59], -1
	s_or_b64 s[44:45], s[44:45], exec
	s_and_saveexec_b64 s[56:57], s[46:47]
	s_cbranch_execz .LBB24_1701
.LBB24_1705:                            ;   in Loop: Header=BB24_1702 Depth=4
	s_sleep 1
	s_trap 2
	ds_read_b64 v[4:5], v0
	s_waitcnt lgkmcnt(0)
	s_andn2_b64 s[44:45], s[44:45], exec
	v_cmp_ge_u64_e32 vcc, v[4:5], v[70:71]
	s_orn2_b64 s[58:59], vcc, exec
	s_branch .LBB24_1701
.LBB24_1706:                            ;   in Loop: Header=BB24_1666 Depth=3
	s_or_b64 exec, exec, s[40:41]
	s_and_saveexec_b64 s[40:41], s[42:43]
	s_xor_b64 s[40:41], exec, s[40:41]
	s_cbranch_execz .LBB24_1708
; %bb.1707:                             ;   in Loop: Header=BB24_1666 Depth=3
	ds_write_b32 v0, v52
	s_trap 2
.LBB24_1708:                            ;   in Loop: Header=BB24_1666 Depth=3
	s_or_b64 exec, exec, s[28:29]
	;;#ASMSTART
	s_wakeup
	;;#ASMEND
.LBB24_1709:                            ;   in Loop: Header=BB24_1666 Depth=3
	s_or_b64 exec, exec, s[26:27]
.LBB24_1710:                            ;   in Loop: Header=BB24_1666 Depth=3
	s_andn2_saveexec_b64 s[24:25], s[24:25]
	s_cbranch_execz .LBB24_1712
; %bb.1711:                             ;   in Loop: Header=BB24_1666 Depth=3
	s_waitcnt lgkmcnt(0)
	s_barrier
.LBB24_1712:                            ;   in Loop: Header=BB24_1666 Depth=3
	s_or_b64 exec, exec, s[24:25]
.LBB24_1713:                            ;   in Loop: Header=BB24_1666 Depth=3
	s_or_b64 exec, exec, s[22:23]
	s_trap 2
	ds_read_b32 v4, v0
	v_and_b32_e32 v2, 0x4000, v122
	v_cmp_ne_u32_e32 vcc, 0, v2
	s_xor_b64 s[22:23], s[2:3], -1
	s_and_b64 s[24:25], s[22:23], vcc
	s_and_saveexec_b64 s[22:23], s[24:25]
	s_cbranch_execz .LBB24_1732
; %bb.1714:                             ;   in Loop: Header=BB24_1666 Depth=3
	s_and_saveexec_b64 s[24:25], s[76:77]
	s_xor_b64 s[24:25], exec, s[24:25]
	s_cbranch_execz .LBB24_1729
; %bb.1715:                             ;   in Loop: Header=BB24_1666 Depth=3
	s_and_saveexec_b64 s[26:27], s[12:13]
	s_cbranch_execz .LBB24_1728
; %bb.1716:                             ;   in Loop: Header=BB24_1666 Depth=3
	s_mov_b64 s[40:41], exec
	v_mbcnt_lo_u32_b32 v2, s40, 0
	v_mbcnt_hi_u32_b32 v2, s41, v2
	v_cmp_eq_u32_e32 vcc, 0, v2
	s_waitcnt lgkmcnt(0)
	s_and_saveexec_b64 s[28:29], vcc
	s_cbranch_execz .LBB24_1718
; %bb.1717:                             ;   in Loop: Header=BB24_1666 Depth=3
	s_bcnt1_i32_b64 s40, s[40:41]
	v_mov_b32_e32 v2, s40
	ds_add_u64 v0, v[2:3]
	s_trap 2
.LBB24_1718:                            ;   in Loop: Header=BB24_1666 Depth=3
	s_or_b64 exec, exec, s[28:29]
	s_trap 2
	ds_read_b64 v[8:9], v0
	s_waitcnt lgkmcnt(0)
	v_lshl_add_u64 v[70:71], v[70:71], 0, v[84:85]
	v_cmp_lt_u64_e32 vcc, v[8:9], v[70:71]
	s_and_saveexec_b64 s[28:29], vcc
	s_cbranch_execz .LBB24_1727
; %bb.1719:                             ;   in Loop: Header=BB24_1666 Depth=3
	s_mov_b32 s74, 0
	s_mov_b64 s[40:41], 0
                                        ; implicit-def: $sgpr42_sgpr43
                                        ; implicit-def: $sgpr44_sgpr45
	s_branch .LBB24_1721
.LBB24_1720:                            ;   in Loop: Header=BB24_1721 Depth=4
	s_or_b64 exec, exec, s[56:57]
	s_and_b64 s[46:47], exec, s[58:59]
	s_or_b64 s[40:41], s[46:47], s[40:41]
	s_andn2_b64 s[42:43], s[42:43], exec
	s_and_b64 s[46:47], s[44:45], exec
	s_or_b64 s[42:43], s[42:43], s[46:47]
	s_andn2_b64 exec, exec, s[40:41]
	s_cbranch_execz .LBB24_1725
.LBB24_1721:                            ;   Parent Loop BB24_47 Depth=1
                                        ;     Parent Loop BB24_1663 Depth=2
                                        ;       Parent Loop BB24_1666 Depth=3
                                        ; =>      This Inner Loop Header: Depth=4
	s_add_i32 s74, s74, 1
	s_cmpk_lg_i32 s74, 0x2710
	s_cselect_b64 s[46:47], -1, 0
	s_and_b64 vcc, exec, s[46:47]
	s_cbranch_vccz .LBB24_1723
; %bb.1722:                             ;   in Loop: Header=BB24_1721 Depth=4
	s_mov_b64 s[58:59], -1
	s_or_b64 s[44:45], s[44:45], exec
	s_and_saveexec_b64 s[56:57], s[46:47]
	s_cbranch_execz .LBB24_1720
	s_branch .LBB24_1724
.LBB24_1723:                            ;   in Loop: Header=BB24_1721 Depth=4
	s_trap 2
	ds_read_b64 v[8:9], v0
	s_andn2_b64 s[46:47], s[46:47], exec
	s_mov_b32 s74, 0
	s_waitcnt vmcnt(0) lgkmcnt(0)
	flat_load_dword v2, v[8:9] sc0 sc1
	s_waitcnt vmcnt(0) lgkmcnt(0)
	buffer_inv sc0 sc1
	v_cmp_eq_u32_e32 vcc, 0, v2
	s_and_b64 s[56:57], vcc, exec
	s_or_b64 s[46:47], s[46:47], s[56:57]
	s_mov_b64 s[58:59], -1
	s_or_b64 s[44:45], s[44:45], exec
	s_and_saveexec_b64 s[56:57], s[46:47]
	s_cbranch_execz .LBB24_1720
.LBB24_1724:                            ;   in Loop: Header=BB24_1721 Depth=4
	s_sleep 1
	s_trap 2
	ds_read_b64 v[8:9], v0
	s_waitcnt lgkmcnt(0)
	s_andn2_b64 s[44:45], s[44:45], exec
	v_cmp_ge_u64_e32 vcc, v[8:9], v[70:71]
	s_orn2_b64 s[58:59], vcc, exec
	s_branch .LBB24_1720
.LBB24_1725:                            ;   in Loop: Header=BB24_1666 Depth=3
	s_or_b64 exec, exec, s[40:41]
	s_and_saveexec_b64 s[40:41], s[42:43]
	s_xor_b64 s[40:41], exec, s[40:41]
	s_cbranch_execz .LBB24_1727
; %bb.1726:                             ;   in Loop: Header=BB24_1666 Depth=3
	ds_write_b32 v0, v52
	s_trap 2
.LBB24_1727:                            ;   in Loop: Header=BB24_1666 Depth=3
	s_or_b64 exec, exec, s[28:29]
	;;#ASMSTART
	s_wakeup
	;;#ASMEND
.LBB24_1728:                            ;   in Loop: Header=BB24_1666 Depth=3
	s_or_b64 exec, exec, s[26:27]
.LBB24_1729:                            ;   in Loop: Header=BB24_1666 Depth=3
	s_andn2_saveexec_b64 s[24:25], s[24:25]
	s_cbranch_execz .LBB24_1731
; %bb.1730:                             ;   in Loop: Header=BB24_1666 Depth=3
	s_waitcnt lgkmcnt(0)
	s_barrier
.LBB24_1731:                            ;   in Loop: Header=BB24_1666 Depth=3
	s_or_b64 exec, exec, s[24:25]
.LBB24_1732:                            ;   in Loop: Header=BB24_1666 Depth=3
	s_or_b64 exec, exec, s[22:23]
	s_trap 2
	ds_read_b64 v[104:105], v0
	s_waitcnt lgkmcnt(0)
	v_cmp_eq_u64_e32 vcc, 0, v[104:105]
	s_cbranch_vccnz .LBB24_1741
; %bb.1733:                             ;   in Loop: Header=BB24_1666 Depth=3
	s_trap 2
	ds_read_b64 v[106:107], v0
	s_waitcnt lgkmcnt(0)
	v_cmp_eq_u64_e32 vcc, 0, v[106:107]
	s_cbranch_vccnz .LBB24_1741
; %bb.1734:                             ;   in Loop: Header=BB24_1666 Depth=3
	s_trap 2
	ds_read_b64 v[24:25], v0
	v_cmp_eq_u32_e32 vcc, 0, v4
	s_waitcnt lgkmcnt(0)
	v_readfirstlane_b32 s68, v24
	v_cndmask_b32_e32 v29, 0, v90, vcc
	v_cmp_ne_u64_e32 vcc, 0, v[24:25]
	s_cbranch_vccz .LBB24_1746
; %bb.1735:                             ;   in Loop: Header=BB24_1666 Depth=3
	s_trap 2
	ds_read_b64 v[26:27], v0
	s_mov_b64 s[24:25], -1
	s_and_saveexec_b64 s[22:23], s[16:17]
	s_cbranch_execz .LBB24_1737
; %bb.1736:                             ;   in Loop: Header=BB24_1666 Depth=3
	ds_read_b32 v2, v0 offset:720
	s_waitcnt lgkmcnt(0)
	v_and_b32_e32 v2, 15, v2
	v_cmp_eq_u32_e32 vcc, 0, v2
	s_orn2_b64 s[24:25], vcc, exec
.LBB24_1737:                            ;   in Loop: Header=BB24_1666 Depth=3
	s_or_b64 exec, exec, s[22:23]
	s_and_saveexec_b64 s[22:23], s[18:19]
	s_cbranch_execz .LBB24_1739
; %bb.1738:                             ;   in Loop: Header=BB24_1666 Depth=3
	ds_read_b32 v2, v0 offset:784
	s_waitcnt lgkmcnt(0)
	v_and_b32_e32 v2, 15, v2
	v_cmp_eq_u32_e32 vcc, 0, v2
	s_and_b64 s[26:27], s[24:25], vcc
	s_andn2_b64 s[24:25], s[24:25], exec
	s_and_b64 s[26:27], s[26:27], exec
	s_or_b64 s[24:25], s[24:25], s[26:27]
.LBB24_1739:                            ;   in Loop: Header=BB24_1666 Depth=3
	s_or_b64 exec, exec, s[22:23]
	s_xor_b64 s[24:25], s[24:25], -1
	v_cndmask_b32_e64 v2, 0, 1, s[24:25]
	v_lshlrev_b32_e32 v38, 1, v29
	s_mov_b64 s[22:23], -1
	v_mov_b32_e32 v18, 0
	v_cmp_ne_u32_e32 vcc, 0, v2
	s_cbranch_vccz .LBB24_1748
; %bb.1740:                             ;   in Loop: Header=BB24_1666 Depth=3
	v_mov_b32_e32 v19, v0
	s_and_saveexec_b64 s[40:41], s[22:23]
	s_cbranch_execnz .LBB24_1825
	s_branch .LBB24_1867
.LBB24_1741:                            ;   in Loop: Header=BB24_1666 Depth=3
	s_mov_b64 s[22:23], 0
	s_and_saveexec_b64 s[24:25], s[4:5]
	s_cbranch_execnz .LBB24_2054
.LBB24_1742:                            ;   in Loop: Header=BB24_1666 Depth=3
	s_or_b64 exec, exec, s[24:25]
                                        ; implicit-def: $vgpr2
	s_and_saveexec_b64 s[24:25], s[20:21]
	s_xor_b64 s[24:25], exec, s[24:25]
	s_cbranch_execz .LBB24_2072
.LBB24_1743:                            ;   in Loop: Header=BB24_1666 Depth=3
	v_and_b32_e32 v4, 16, v122
	v_cmp_ne_u32_e32 vcc, 0, v4
	v_and_b32_e32 v2, 16, v122
	s_and_b64 s[26:27], vcc, s[22:23]
	s_and_saveexec_b64 s[22:23], s[26:27]
	s_cbranch_execz .LBB24_1745
; %bb.1744:                             ;   in Loop: Header=BB24_1666 Depth=3
	v_mov_b32_e32 v2, 1
	buffer_wbl2 sc1
	s_waitcnt vmcnt(0) lgkmcnt(0)
	buffer_inv sc1
.LBB24_1745:                            ;   in Loop: Header=BB24_1666 Depth=3
	s_or_b64 exec, exec, s[22:23]
	s_andn2_saveexec_b64 s[22:23], s[24:25]
	s_cbranch_execz .LBB24_2091
	s_branch .LBB24_2073
.LBB24_1746:                            ;   in Loop: Header=BB24_1666 Depth=3
	s_cbranch_execnz .LBB24_1868
.LBB24_1747:                            ;   in Loop: Header=BB24_1666 Depth=3
	v_cmp_lt_i32_e64 s[22:23], 0, v29
	s_and_saveexec_b64 s[24:25], s[4:5]
	s_cbranch_execnz .LBB24_2054
	s_branch .LBB24_1742
.LBB24_1748:                            ;   in Loop: Header=BB24_1666 Depth=3
	v_ashrrev_i32_e32 v2, 31, v38
	v_lshrrev_b32_e32 v2, 21, v2
	v_add_u32_e32 v2, v38, v2
	v_ashrrev_i32_e32 v39, 11, v2
	v_sub_u32_e32 v2, v39, v31
	v_cmp_lt_i32_e32 vcc, 0, v2
	s_and_saveexec_b64 s[24:25], vcc
	s_cbranch_execz .LBB24_1816
; %bb.1749:                             ;   in Loop: Header=BB24_1666 Depth=3
	s_and_b32 s74, s68, 1
	s_cmp_eq_u64 s[74:75], 0
	v_lshl_add_u64 v[32:33], v[106:107], 0, v[102:103]
	v_lshl_add_u64 v[34:35], v[24:25], 0, v[102:103]
	s_mov_b64 s[26:27], 0
	s_cselect_b64 vcc, -1, 0
	v_mov_b64_e32 v[36:37], v[102:103]
	s_branch .LBB24_1751
.LBB24_1750:                            ;   in Loop: Header=BB24_1751 Depth=4
	s_or_b64 exec, exec, s[28:29]
	v_lshrrev_b32_e32 v16, 16, v16
	v_lshrrev_b32_e32 v4, 16, v4
	v_and_or_b32 v17, v17, s63, v16
	v_and_or_b32 v16, v5, s63, v4
	v_lshrrev_b32_e32 v4, 16, v20
	v_and_or_b32 v18, v18, s63, v4
	v_lshrrev_b32_e32 v4, 16, v21
	v_sub_u32_e32 v2, v2, v84
	v_and_or_b32 v19, v19, s63, v4
	v_cmp_gt_i32_e64 s[22:23], 1, v2
	global_store_dwordx4 v[32:33], v[16:19], off offset:1024
	global_store_dwordx4 v[34:35], v[12:15], off
	global_store_dwordx4 v[34:35], v[8:11], off offset:1024
	v_lshl_add_u64 v[32:33], v[32:33], 0, v[112:113]
	v_lshl_add_u64 v[34:35], v[34:35], 0, v[112:113]
	s_or_b64 s[26:27], s[22:23], s[26:27]
	v_lshl_add_u64 v[36:37], v[36:37], 0, v[58:59]
	s_andn2_b64 exec, exec, s[26:27]
	s_cbranch_execz .LBB24_1815
.LBB24_1751:                            ;   Parent Loop BB24_47 Depth=1
                                        ;     Parent Loop BB24_1663 Depth=2
                                        ;       Parent Loop BB24_1666 Depth=3
                                        ; =>      This Inner Loop Header: Depth=4
	v_lshl_add_u64 v[8:9], v[104:105], 0, v[36:37]
	s_waitcnt lgkmcnt(0)
	v_lshl_add_u64 v[4:5], v[26:27], 0, v[36:37]
	global_load_dwordx4 v[12:15], v[8:9], off nt
	global_load_dwordx4 v[20:23], v[4:5], off nt
	s_nop 0
	global_load_dwordx4 v[8:11], v[8:9], off offset:1024 nt
	s_nop 0
	global_load_dwordx4 v[16:19], v[4:5], off offset:1024 nt
	s_waitcnt vmcnt(0)
	v_lshlrev_b32_e32 v4, 16, v12
	v_lshlrev_b32_e32 v5, 16, v20
	v_max_f32_e32 v5, v5, v5
	v_max_f32_e32 v4, v4, v4
	v_min_f32_e32 v48, v4, v5
	v_max_f32_e32 v4, v4, v5
	v_cndmask_b32_e32 v5, v4, v48, vcc
	v_and_b32_e32 v4, 0x7f800000, v5
	v_cmp_ne_u32_e64 s[22:23], s73, v4
                                        ; implicit-def: $vgpr4
	s_and_saveexec_b64 s[28:29], s[22:23]
	s_xor_b64 s[22:23], exec, s[28:29]
; %bb.1752:                             ;   in Loop: Header=BB24_1751 Depth=4
	v_bfe_u32 v4, v5, 16, 1
	v_add3_u32 v4, v5, v4, s62
                                        ; implicit-def: $vgpr5
; %bb.1753:                             ;   in Loop: Header=BB24_1751 Depth=4
	s_andn2_saveexec_b64 s[28:29], s[22:23]
; %bb.1754:                             ;   in Loop: Header=BB24_1751 Depth=4
	v_or_b32_e32 v4, 0x10000, v5
	v_cmp_eq_u32_sdwa s[22:23], v5, v3 src0_sel:WORD_0 src1_sel:DWORD
	s_nop 1
	v_cndmask_b32_e64 v4, v4, v5, s[22:23]
; %bb.1755:                             ;   in Loop: Header=BB24_1751 Depth=4
	s_or_b64 exec, exec, s[28:29]
	v_and_b32_e32 v5, 0xffff0000, v12
	v_and_b32_e32 v20, 0xffff0000, v20
	v_max_f32_e32 v20, v20, v20
	v_max_f32_e32 v5, v5, v5
	v_min_f32_e32 v48, v5, v20
	v_max_f32_e32 v5, v5, v20
	v_cndmask_b32_e32 v20, v5, v48, vcc
	v_and_b32_e32 v5, 0x7f800000, v20
	v_cmp_ne_u32_e64 s[22:23], s73, v5
                                        ; implicit-def: $vgpr5
	s_and_saveexec_b64 s[28:29], s[22:23]
	s_xor_b64 s[22:23], exec, s[28:29]
; %bb.1756:                             ;   in Loop: Header=BB24_1751 Depth=4
	v_bfe_u32 v5, v20, 16, 1
	v_add3_u32 v5, v20, v5, s62
                                        ; implicit-def: $vgpr20
; %bb.1757:                             ;   in Loop: Header=BB24_1751 Depth=4
	s_andn2_saveexec_b64 s[28:29], s[22:23]
; %bb.1758:                             ;   in Loop: Header=BB24_1751 Depth=4
	v_or_b32_e32 v5, 0x10000, v20
	v_cmp_eq_u32_sdwa s[22:23], v20, v3 src0_sel:WORD_0 src1_sel:DWORD
	s_nop 1
	v_cndmask_b32_e64 v5, v5, v20, s[22:23]
; %bb.1759:                             ;   in Loop: Header=BB24_1751 Depth=4
	s_or_b64 exec, exec, s[28:29]
	v_lshlrev_b32_e32 v20, 16, v13
	v_lshlrev_b32_e32 v48, 16, v21
	v_max_f32_e32 v48, v48, v48
	v_max_f32_e32 v20, v20, v20
	v_min_f32_e32 v49, v20, v48
	v_max_f32_e32 v20, v20, v48
	v_cndmask_b32_e32 v48, v20, v49, vcc
	v_and_b32_e32 v20, 0x7f800000, v48
	v_cmp_ne_u32_e64 s[22:23], s73, v20
                                        ; implicit-def: $vgpr20
	s_and_saveexec_b64 s[28:29], s[22:23]
	s_xor_b64 s[22:23], exec, s[28:29]
; %bb.1760:                             ;   in Loop: Header=BB24_1751 Depth=4
	v_bfe_u32 v20, v48, 16, 1
	v_add3_u32 v20, v48, v20, s62
                                        ; implicit-def: $vgpr48
; %bb.1761:                             ;   in Loop: Header=BB24_1751 Depth=4
	s_andn2_saveexec_b64 s[28:29], s[22:23]
; %bb.1762:                             ;   in Loop: Header=BB24_1751 Depth=4
	v_or_b32_e32 v20, 0x10000, v48
	v_cmp_eq_u32_sdwa s[22:23], v48, v3 src0_sel:WORD_0 src1_sel:DWORD
	s_nop 1
	v_cndmask_b32_e64 v20, v20, v48, s[22:23]
; %bb.1763:                             ;   in Loop: Header=BB24_1751 Depth=4
	s_or_b64 exec, exec, s[28:29]
	v_and_b32_e32 v48, 0xffff0000, v13
	v_and_b32_e32 v21, 0xffff0000, v21
	v_max_f32_e32 v21, v21, v21
	v_max_f32_e32 v48, v48, v48
	v_min_f32_e32 v49, v48, v21
	v_max_f32_e32 v21, v48, v21
	v_cndmask_b32_e32 v48, v21, v49, vcc
	v_and_b32_e32 v21, 0x7f800000, v48
	v_cmp_ne_u32_e64 s[22:23], s73, v21
                                        ; implicit-def: $vgpr21
	s_and_saveexec_b64 s[28:29], s[22:23]
	s_xor_b64 s[22:23], exec, s[28:29]
; %bb.1764:                             ;   in Loop: Header=BB24_1751 Depth=4
	v_bfe_u32 v21, v48, 16, 1
	v_add3_u32 v21, v48, v21, s62
                                        ; implicit-def: $vgpr48
; %bb.1765:                             ;   in Loop: Header=BB24_1751 Depth=4
	s_andn2_saveexec_b64 s[28:29], s[22:23]
; %bb.1766:                             ;   in Loop: Header=BB24_1751 Depth=4
	v_or_b32_e32 v21, 0x10000, v48
	v_cmp_eq_u32_sdwa s[22:23], v48, v3 src0_sel:WORD_0 src1_sel:DWORD
	s_nop 1
	v_cndmask_b32_e64 v21, v21, v48, s[22:23]
; %bb.1767:                             ;   in Loop: Header=BB24_1751 Depth=4
	s_or_b64 exec, exec, s[28:29]
	v_lshlrev_b32_e32 v48, 16, v14
	v_lshlrev_b32_e32 v49, 16, v22
	v_max_f32_e32 v49, v49, v49
	v_max_f32_e32 v48, v48, v48
	v_min_f32_e32 v50, v48, v49
	v_max_f32_e32 v48, v48, v49
	v_cndmask_b32_e32 v49, v48, v50, vcc
	v_and_b32_e32 v48, 0x7f800000, v49
	v_cmp_ne_u32_e64 s[22:23], s73, v48
                                        ; implicit-def: $vgpr48
	s_and_saveexec_b64 s[28:29], s[22:23]
	s_xor_b64 s[22:23], exec, s[28:29]
; %bb.1768:                             ;   in Loop: Header=BB24_1751 Depth=4
	v_bfe_u32 v48, v49, 16, 1
	v_add3_u32 v48, v49, v48, s62
                                        ; implicit-def: $vgpr49
; %bb.1769:                             ;   in Loop: Header=BB24_1751 Depth=4
	s_andn2_saveexec_b64 s[28:29], s[22:23]
; %bb.1770:                             ;   in Loop: Header=BB24_1751 Depth=4
	v_or_b32_e32 v48, 0x10000, v49
	v_cmp_eq_u32_sdwa s[22:23], v49, v3 src0_sel:WORD_0 src1_sel:DWORD
	s_nop 1
	v_cndmask_b32_e64 v48, v48, v49, s[22:23]
; %bb.1771:                             ;   in Loop: Header=BB24_1751 Depth=4
	s_or_b64 exec, exec, s[28:29]
	v_and_b32_e32 v49, 0xffff0000, v14
	v_and_b32_e32 v22, 0xffff0000, v22
	v_max_f32_e32 v22, v22, v22
	v_max_f32_e32 v49, v49, v49
	v_min_f32_e32 v50, v49, v22
	v_max_f32_e32 v22, v49, v22
	v_cndmask_b32_e32 v49, v22, v50, vcc
	v_and_b32_e32 v22, 0x7f800000, v49
	v_cmp_ne_u32_e64 s[22:23], s73, v22
                                        ; implicit-def: $vgpr22
	s_and_saveexec_b64 s[28:29], s[22:23]
	s_xor_b64 s[22:23], exec, s[28:29]
; %bb.1772:                             ;   in Loop: Header=BB24_1751 Depth=4
	v_bfe_u32 v22, v49, 16, 1
	v_add3_u32 v22, v49, v22, s62
                                        ; implicit-def: $vgpr49
; %bb.1773:                             ;   in Loop: Header=BB24_1751 Depth=4
	s_andn2_saveexec_b64 s[28:29], s[22:23]
; %bb.1774:                             ;   in Loop: Header=BB24_1751 Depth=4
	v_or_b32_e32 v22, 0x10000, v49
	v_cmp_eq_u32_sdwa s[22:23], v49, v3 src0_sel:WORD_0 src1_sel:DWORD
	s_nop 1
	v_cndmask_b32_e64 v22, v22, v49, s[22:23]
; %bb.1775:                             ;   in Loop: Header=BB24_1751 Depth=4
	s_or_b64 exec, exec, s[28:29]
	v_lshlrev_b32_e32 v49, 16, v15
	v_lshlrev_b32_e32 v50, 16, v23
	v_max_f32_e32 v50, v50, v50
	v_max_f32_e32 v49, v49, v49
	v_min_f32_e32 v51, v49, v50
	v_max_f32_e32 v49, v49, v50
	v_cndmask_b32_e32 v50, v49, v51, vcc
	v_and_b32_e32 v49, 0x7f800000, v50
	v_cmp_ne_u32_e64 s[22:23], s73, v49
                                        ; implicit-def: $vgpr49
	s_and_saveexec_b64 s[28:29], s[22:23]
	s_xor_b64 s[22:23], exec, s[28:29]
; %bb.1776:                             ;   in Loop: Header=BB24_1751 Depth=4
	v_bfe_u32 v49, v50, 16, 1
	v_add3_u32 v49, v50, v49, s62
                                        ; implicit-def: $vgpr50
; %bb.1777:                             ;   in Loop: Header=BB24_1751 Depth=4
	s_andn2_saveexec_b64 s[28:29], s[22:23]
; %bb.1778:                             ;   in Loop: Header=BB24_1751 Depth=4
	v_or_b32_e32 v49, 0x10000, v50
	v_cmp_eq_u32_sdwa s[22:23], v50, v3 src0_sel:WORD_0 src1_sel:DWORD
	s_nop 1
	v_cndmask_b32_e64 v49, v49, v50, s[22:23]
; %bb.1779:                             ;   in Loop: Header=BB24_1751 Depth=4
	s_or_b64 exec, exec, s[28:29]
	v_and_b32_e32 v50, 0xffff0000, v15
	v_and_b32_e32 v23, 0xffff0000, v23
	v_max_f32_e32 v23, v23, v23
	v_max_f32_e32 v50, v50, v50
	v_min_f32_e32 v51, v50, v23
	v_max_f32_e32 v23, v50, v23
	v_cndmask_b32_e32 v50, v23, v51, vcc
	v_and_b32_e32 v23, 0x7f800000, v50
	v_cmp_ne_u32_e64 s[22:23], s73, v23
                                        ; implicit-def: $vgpr23
	s_and_saveexec_b64 s[28:29], s[22:23]
	s_xor_b64 s[22:23], exec, s[28:29]
; %bb.1780:                             ;   in Loop: Header=BB24_1751 Depth=4
	v_bfe_u32 v23, v50, 16, 1
	v_add3_u32 v23, v50, v23, s62
                                        ; implicit-def: $vgpr50
; %bb.1781:                             ;   in Loop: Header=BB24_1751 Depth=4
	s_andn2_saveexec_b64 s[28:29], s[22:23]
; %bb.1782:                             ;   in Loop: Header=BB24_1751 Depth=4
	v_or_b32_e32 v23, 0x10000, v50
	v_cmp_eq_u32_sdwa s[22:23], v50, v3 src0_sel:WORD_0 src1_sel:DWORD
	s_nop 1
	v_cndmask_b32_e64 v23, v23, v50, s[22:23]
; %bb.1783:                             ;   in Loop: Header=BB24_1751 Depth=4
	s_or_b64 exec, exec, s[28:29]
	v_lshrrev_b32_e32 v20, 16, v20
	v_lshrrev_b32_e32 v4, 16, v4
	v_and_or_b32 v21, v21, s63, v20
	v_and_or_b32 v20, v5, s63, v4
	v_lshrrev_b32_e32 v4, 16, v48
	v_and_or_b32 v22, v22, s63, v4
	v_lshrrev_b32_e32 v4, 16, v49
	v_and_or_b32 v23, v23, s63, v4
	v_lshlrev_b32_e32 v4, 16, v8
	v_lshlrev_b32_e32 v5, 16, v16
	v_max_f32_e32 v5, v5, v5
	v_max_f32_e32 v4, v4, v4
	global_store_dwordx4 v[32:33], v[20:23], off
	s_nop 1
	v_min_f32_e32 v20, v4, v5
	v_max_f32_e32 v4, v4, v5
	v_cndmask_b32_e32 v5, v4, v20, vcc
	v_and_b32_e32 v4, 0x7f800000, v5
	v_cmp_ne_u32_e64 s[22:23], s73, v4
                                        ; implicit-def: $vgpr4
	s_and_saveexec_b64 s[28:29], s[22:23]
	s_xor_b64 s[22:23], exec, s[28:29]
; %bb.1784:                             ;   in Loop: Header=BB24_1751 Depth=4
	v_bfe_u32 v4, v5, 16, 1
	v_add3_u32 v4, v5, v4, s62
                                        ; implicit-def: $vgpr5
; %bb.1785:                             ;   in Loop: Header=BB24_1751 Depth=4
	s_andn2_saveexec_b64 s[28:29], s[22:23]
; %bb.1786:                             ;   in Loop: Header=BB24_1751 Depth=4
	v_or_b32_e32 v4, 0x10000, v5
	v_cmp_eq_u32_sdwa s[22:23], v5, v3 src0_sel:WORD_0 src1_sel:DWORD
	s_nop 1
	v_cndmask_b32_e64 v4, v4, v5, s[22:23]
; %bb.1787:                             ;   in Loop: Header=BB24_1751 Depth=4
	s_or_b64 exec, exec, s[28:29]
	v_and_b32_e32 v5, 0xffff0000, v8
	v_and_b32_e32 v16, 0xffff0000, v16
	v_max_f32_e32 v16, v16, v16
	v_max_f32_e32 v5, v5, v5
	v_min_f32_e32 v20, v5, v16
	v_max_f32_e32 v5, v5, v16
	v_cndmask_b32_e32 v16, v5, v20, vcc
	v_and_b32_e32 v5, 0x7f800000, v16
	v_cmp_ne_u32_e64 s[22:23], s73, v5
                                        ; implicit-def: $vgpr5
	s_and_saveexec_b64 s[28:29], s[22:23]
	s_xor_b64 s[22:23], exec, s[28:29]
; %bb.1788:                             ;   in Loop: Header=BB24_1751 Depth=4
	v_bfe_u32 v5, v16, 16, 1
	v_add3_u32 v5, v16, v5, s62
                                        ; implicit-def: $vgpr16
; %bb.1789:                             ;   in Loop: Header=BB24_1751 Depth=4
	s_andn2_saveexec_b64 s[28:29], s[22:23]
; %bb.1790:                             ;   in Loop: Header=BB24_1751 Depth=4
	v_or_b32_e32 v5, 0x10000, v16
	v_cmp_eq_u32_sdwa s[22:23], v16, v3 src0_sel:WORD_0 src1_sel:DWORD
	s_nop 1
	v_cndmask_b32_e64 v5, v5, v16, s[22:23]
; %bb.1791:                             ;   in Loop: Header=BB24_1751 Depth=4
	s_or_b64 exec, exec, s[28:29]
	v_lshlrev_b32_e32 v16, 16, v9
	v_lshlrev_b32_e32 v20, 16, v17
	v_max_f32_e32 v20, v20, v20
	v_max_f32_e32 v16, v16, v16
	v_min_f32_e32 v21, v16, v20
	v_max_f32_e32 v16, v16, v20
	v_cndmask_b32_e32 v20, v16, v21, vcc
	v_and_b32_e32 v16, 0x7f800000, v20
	v_cmp_ne_u32_e64 s[22:23], s73, v16
                                        ; implicit-def: $vgpr16
	s_and_saveexec_b64 s[28:29], s[22:23]
	s_xor_b64 s[22:23], exec, s[28:29]
; %bb.1792:                             ;   in Loop: Header=BB24_1751 Depth=4
	v_bfe_u32 v16, v20, 16, 1
	v_add3_u32 v16, v20, v16, s62
                                        ; implicit-def: $vgpr20
; %bb.1793:                             ;   in Loop: Header=BB24_1751 Depth=4
	s_andn2_saveexec_b64 s[28:29], s[22:23]
; %bb.1794:                             ;   in Loop: Header=BB24_1751 Depth=4
	v_or_b32_e32 v16, 0x10000, v20
	v_cmp_eq_u32_sdwa s[22:23], v20, v3 src0_sel:WORD_0 src1_sel:DWORD
	s_nop 1
	v_cndmask_b32_e64 v16, v16, v20, s[22:23]
; %bb.1795:                             ;   in Loop: Header=BB24_1751 Depth=4
	s_or_b64 exec, exec, s[28:29]
	v_and_b32_e32 v20, 0xffff0000, v9
	v_and_b32_e32 v17, 0xffff0000, v17
	v_max_f32_e32 v17, v17, v17
	v_max_f32_e32 v20, v20, v20
	v_min_f32_e32 v21, v20, v17
	v_max_f32_e32 v17, v20, v17
	v_cndmask_b32_e32 v20, v17, v21, vcc
	v_and_b32_e32 v17, 0x7f800000, v20
	v_cmp_ne_u32_e64 s[22:23], s73, v17
                                        ; implicit-def: $vgpr17
	s_and_saveexec_b64 s[28:29], s[22:23]
	s_xor_b64 s[22:23], exec, s[28:29]
; %bb.1796:                             ;   in Loop: Header=BB24_1751 Depth=4
	v_bfe_u32 v17, v20, 16, 1
	v_add3_u32 v17, v20, v17, s62
                                        ; implicit-def: $vgpr20
; %bb.1797:                             ;   in Loop: Header=BB24_1751 Depth=4
	s_andn2_saveexec_b64 s[28:29], s[22:23]
; %bb.1798:                             ;   in Loop: Header=BB24_1751 Depth=4
	v_or_b32_e32 v17, 0x10000, v20
	v_cmp_eq_u32_sdwa s[22:23], v20, v3 src0_sel:WORD_0 src1_sel:DWORD
	s_nop 1
	v_cndmask_b32_e64 v17, v17, v20, s[22:23]
; %bb.1799:                             ;   in Loop: Header=BB24_1751 Depth=4
	s_or_b64 exec, exec, s[28:29]
	v_lshlrev_b32_e32 v20, 16, v10
	v_lshlrev_b32_e32 v21, 16, v18
	v_max_f32_e32 v21, v21, v21
	v_max_f32_e32 v20, v20, v20
	v_min_f32_e32 v22, v20, v21
	v_max_f32_e32 v20, v20, v21
	v_cndmask_b32_e32 v21, v20, v22, vcc
	v_and_b32_e32 v20, 0x7f800000, v21
	v_cmp_ne_u32_e64 s[22:23], s73, v20
                                        ; implicit-def: $vgpr20
	s_and_saveexec_b64 s[28:29], s[22:23]
	s_xor_b64 s[22:23], exec, s[28:29]
; %bb.1800:                             ;   in Loop: Header=BB24_1751 Depth=4
	v_bfe_u32 v20, v21, 16, 1
	v_add3_u32 v20, v21, v20, s62
                                        ; implicit-def: $vgpr21
; %bb.1801:                             ;   in Loop: Header=BB24_1751 Depth=4
	s_andn2_saveexec_b64 s[28:29], s[22:23]
; %bb.1802:                             ;   in Loop: Header=BB24_1751 Depth=4
	v_or_b32_e32 v20, 0x10000, v21
	v_cmp_eq_u32_sdwa s[22:23], v21, v3 src0_sel:WORD_0 src1_sel:DWORD
	s_nop 1
	v_cndmask_b32_e64 v20, v20, v21, s[22:23]
; %bb.1803:                             ;   in Loop: Header=BB24_1751 Depth=4
	s_or_b64 exec, exec, s[28:29]
	v_and_b32_e32 v21, 0xffff0000, v10
	v_and_b32_e32 v18, 0xffff0000, v18
	v_max_f32_e32 v18, v18, v18
	v_max_f32_e32 v21, v21, v21
	v_min_f32_e32 v22, v21, v18
	v_max_f32_e32 v18, v21, v18
	v_cndmask_b32_e32 v21, v18, v22, vcc
	v_and_b32_e32 v18, 0x7f800000, v21
	v_cmp_ne_u32_e64 s[22:23], s73, v18
                                        ; implicit-def: $vgpr18
	s_and_saveexec_b64 s[28:29], s[22:23]
	s_xor_b64 s[22:23], exec, s[28:29]
; %bb.1804:                             ;   in Loop: Header=BB24_1751 Depth=4
	v_bfe_u32 v18, v21, 16, 1
	v_add3_u32 v18, v21, v18, s62
                                        ; implicit-def: $vgpr21
; %bb.1805:                             ;   in Loop: Header=BB24_1751 Depth=4
	s_andn2_saveexec_b64 s[28:29], s[22:23]
; %bb.1806:                             ;   in Loop: Header=BB24_1751 Depth=4
	v_or_b32_e32 v18, 0x10000, v21
	v_cmp_eq_u32_sdwa s[22:23], v21, v3 src0_sel:WORD_0 src1_sel:DWORD
	s_nop 1
	v_cndmask_b32_e64 v18, v18, v21, s[22:23]
; %bb.1807:                             ;   in Loop: Header=BB24_1751 Depth=4
	s_or_b64 exec, exec, s[28:29]
	v_lshlrev_b32_e32 v21, 16, v11
	v_lshlrev_b32_e32 v22, 16, v19
	v_max_f32_e32 v22, v22, v22
	v_max_f32_e32 v21, v21, v21
	v_min_f32_e32 v23, v21, v22
	v_max_f32_e32 v21, v21, v22
	v_cndmask_b32_e32 v22, v21, v23, vcc
	v_and_b32_e32 v21, 0x7f800000, v22
	v_cmp_ne_u32_e64 s[22:23], s73, v21
                                        ; implicit-def: $vgpr21
	s_and_saveexec_b64 s[28:29], s[22:23]
	s_xor_b64 s[22:23], exec, s[28:29]
; %bb.1808:                             ;   in Loop: Header=BB24_1751 Depth=4
	v_bfe_u32 v21, v22, 16, 1
	v_add3_u32 v21, v22, v21, s62
                                        ; implicit-def: $vgpr22
; %bb.1809:                             ;   in Loop: Header=BB24_1751 Depth=4
	s_andn2_saveexec_b64 s[28:29], s[22:23]
; %bb.1810:                             ;   in Loop: Header=BB24_1751 Depth=4
	v_or_b32_e32 v21, 0x10000, v22
	v_cmp_eq_u32_sdwa s[22:23], v22, v3 src0_sel:WORD_0 src1_sel:DWORD
	s_nop 1
	v_cndmask_b32_e64 v21, v21, v22, s[22:23]
; %bb.1811:                             ;   in Loop: Header=BB24_1751 Depth=4
	s_or_b64 exec, exec, s[28:29]
	v_and_b32_e32 v22, 0xffff0000, v11
	v_and_b32_e32 v19, 0xffff0000, v19
	v_max_f32_e32 v19, v19, v19
	v_max_f32_e32 v22, v22, v22
	v_min_f32_e32 v23, v22, v19
	v_max_f32_e32 v19, v22, v19
	v_cndmask_b32_e32 v22, v19, v23, vcc
	v_and_b32_e32 v19, 0x7f800000, v22
	v_cmp_ne_u32_e64 s[22:23], s73, v19
                                        ; implicit-def: $vgpr19
	s_and_saveexec_b64 s[28:29], s[22:23]
	s_xor_b64 s[22:23], exec, s[28:29]
; %bb.1812:                             ;   in Loop: Header=BB24_1751 Depth=4
	v_bfe_u32 v19, v22, 16, 1
	v_add3_u32 v19, v22, v19, s62
                                        ; implicit-def: $vgpr22
; %bb.1813:                             ;   in Loop: Header=BB24_1751 Depth=4
	s_andn2_saveexec_b64 s[28:29], s[22:23]
	s_cbranch_execz .LBB24_1750
; %bb.1814:                             ;   in Loop: Header=BB24_1751 Depth=4
	v_or_b32_e32 v19, 0x10000, v22
	v_cmp_eq_u32_sdwa s[22:23], v22, v3 src0_sel:WORD_0 src1_sel:DWORD
	s_nop 1
	v_cndmask_b32_e64 v19, v19, v22, s[22:23]
	s_branch .LBB24_1750
.LBB24_1815:                            ;   in Loop: Header=BB24_1666 Depth=3
	s_or_b64 exec, exec, s[26:27]
.LBB24_1816:                            ;   in Loop: Header=BB24_1666 Depth=3
	s_or_b64 exec, exec, s[24:25]
	v_lshlrev_b32_e32 v32, 11, v39
	v_cmp_ne_u32_e32 vcc, v38, v32
	s_mov_b64 s[22:23], 0
	v_mov_b32_e32 v18, 0
                                        ; implicit-def: $vgpr19
	s_and_saveexec_b64 s[54:55], vcc
	s_cbranch_execz .LBB24_1824
; %bb.1817:                             ;   in Loop: Header=BB24_1666 Depth=3
	v_lshlrev_b32_e32 v2, 6, v2
	v_sub_u32_e32 v2, v123, v2
	v_ashrrev_i32_e32 v5, 31, v2
	v_lshrrev_b32_e32 v5, 26, v5
	v_add_u32_e32 v5, v2, v5
	v_sub_u32_e32 v4, v38, v32
	v_ashrrev_i32_e32 v8, 6, v5
	v_and_b32_e32 v5, 0xffffffc0, v5
	v_sub_u32_e32 v33, v2, v5
	v_ashrrev_i32_e32 v5, 31, v4
	v_lshrrev_b32_e32 v5, 22, v5
	v_add_u32_e32 v5, v4, v5
	v_and_b32_e32 v34, 0xfffffc00, v5
	v_lshlrev_b32_e32 v2, 4, v33
	v_sub_u32_e32 v35, v4, v34
	v_lshl_add_u32 v2, v8, 10, v2
	v_ashrrev_i32_e32 v9, 10, v5
	v_cmp_lt_i32_e64 s[22:23], 15, v35
	v_sub_u32_e32 v37, v4, v2
	s_nop 0
	v_addc_co_u32_e64 v4, vcc, 0, v9, s[22:23]
	v_sub_u32_e32 v36, v4, v8
	v_cmp_lt_i32_e32 vcc, 15, v37
	s_and_saveexec_b64 s[64:65], vcc
	s_cbranch_execz .LBB24_1823
; %bb.1818:                             ;   in Loop: Header=BB24_1666 Depth=3
	v_add_u32_e32 v4, v2, v32
	s_and_b32 s74, s68, 1
	v_ashrrev_i32_e32 v5, 31, v4
	s_cmp_eq_u64 s[74:75], 0
	v_lshl_add_u64 v[16:17], v[4:5], 0, v[104:105]
	s_waitcnt lgkmcnt(0)
	v_lshl_add_u64 v[18:19], v[4:5], 0, v[26:27]
	v_lshl_add_u64 v[20:21], v[4:5], 0, v[106:107]
	;; [unrolled: 1-line block ×3, first 2 shown]
	s_mov_b64 s[66:67], 0
	s_cselect_b64 s[24:25], -1, 0
.LBB24_1819:                            ;   Parent Loop BB24_47 Depth=1
                                        ;     Parent Loop BB24_1663 Depth=2
                                        ;       Parent Loop BB24_1666 Depth=3
                                        ; =>      This Loop Header: Depth=4
                                        ;           Child Loop BB24_1820 Depth 5
	global_load_dwordx4 v[8:11], v[16:17], off nt
	global_load_dwordx4 v[12:15], v[18:19], off nt
	s_waitcnt vmcnt(0)
	v_lshlrev_b32_e32 v2, 16, v8
	v_and_b32_e32 v5, 0xffff0000, v12
	v_lshlrev_b32_e32 v12, 16, v12
	v_max_f32_e32 v12, v12, v12
	v_max_f32_e32 v2, v2, v2
	v_min_f32_e32 v39, v2, v12
	v_max_f32_e32 v2, v2, v12
	v_cndmask_b32_e64 v12, v2, v39, s[24:25]
	v_and_b32_e32 v4, 0xffff0000, v8
	v_and_b32_e32 v2, 0x7f800000, v12
	v_cmp_eq_u32_e32 vcc, s73, v2
	v_bfe_u32 v2, v12, 16, 1
	v_cmp_eq_u32_sdwa s[26:27], v12, v3 src0_sel:WORD_0 src1_sel:DWORD
	v_or_b32_e32 v39, 0x10000, v12
	v_max_f32_e32 v5, v5, v5
	v_max_f32_e32 v4, v4, v4
	v_add3_u32 v2, v12, v2, s62
	v_cndmask_b32_e64 v12, v39, v12, s[26:27]
	v_min_f32_e32 v39, v4, v5
	v_max_f32_e32 v4, v4, v5
	v_cndmask_b32_e64 v4, v4, v39, s[24:25]
	v_and_b32_e32 v5, 0x7f800000, v4
	v_cmp_eq_u32_e64 s[26:27], s73, v5
	v_bfe_u32 v5, v4, 16, 1
	v_add3_u32 v39, v4, v5, s62
	v_cmp_eq_u32_sdwa s[28:29], v4, v3 src0_sel:WORD_0 src1_sel:DWORD
	v_or_b32_e32 v5, 0x10000, v4
	v_lshlrev_b32_e32 v49, 16, v9
	v_cndmask_b32_e64 v48, v5, v4, s[28:29]
	v_and_b32_e32 v5, 0xffff0000, v13
	v_lshlrev_b32_e32 v13, 16, v13
	v_max_f32_e32 v13, v13, v13
	v_max_f32_e32 v49, v49, v49
	v_min_f32_e32 v50, v49, v13
	v_max_f32_e32 v13, v49, v13
	v_cndmask_b32_e64 v49, v13, v50, s[24:25]
	v_and_b32_e32 v4, 0xffff0000, v9
	v_and_b32_e32 v13, 0x7f800000, v49
	v_cmp_eq_u32_e64 s[28:29], s73, v13
	v_bfe_u32 v13, v49, 16, 1
	v_cmp_eq_u32_sdwa s[40:41], v49, v3 src0_sel:WORD_0 src1_sel:DWORD
	v_or_b32_e32 v50, 0x10000, v49
	v_max_f32_e32 v5, v5, v5
	v_max_f32_e32 v4, v4, v4
	v_add3_u32 v13, v49, v13, s62
	v_cndmask_b32_e64 v49, v50, v49, s[40:41]
	v_min_f32_e32 v50, v4, v5
	v_max_f32_e32 v4, v4, v5
	v_cndmask_b32_e64 v4, v4, v50, s[24:25]
	v_and_b32_e32 v5, 0x7f800000, v4
	v_cmp_eq_u32_e64 s[40:41], s73, v5
	v_bfe_u32 v5, v4, 16, 1
	v_add3_u32 v50, v4, v5, s62
	v_cmp_eq_u32_sdwa s[42:43], v4, v3 src0_sel:WORD_0 src1_sel:DWORD
	v_or_b32_e32 v5, 0x10000, v4
	v_and_b32_e32 v87, 0xffff0000, v14
	v_cndmask_b32_e64 v51, v5, v4, s[42:43]
	v_lshlrev_b32_e32 v4, 16, v10
	v_lshlrev_b32_e32 v5, 16, v14
	v_max_f32_e32 v5, v5, v5
	v_max_f32_e32 v4, v4, v4
	v_min_f32_e32 v14, v4, v5
	v_max_f32_e32 v4, v4, v5
	v_cndmask_b32_e64 v5, v4, v14, s[24:25]
	v_and_b32_e32 v4, 0x7f800000, v5
	v_and_b32_e32 v86, 0xffff0000, v10
	v_cmp_eq_u32_e64 s[42:43], s73, v4
	v_bfe_u32 v4, v5, 16, 1
	v_cmp_eq_u32_sdwa s[44:45], v5, v3 src0_sel:WORD_0 src1_sel:DWORD
	v_or_b32_e32 v14, 0x10000, v5
	v_add3_u32 v4, v5, v4, s62
	v_cndmask_b32_e64 v5, v14, v5, s[44:45]
	v_max_f32_e32 v14, v87, v87
	v_max_f32_e32 v86, v86, v86
	v_min_f32_e32 v87, v86, v14
	v_max_f32_e32 v14, v86, v14
	v_and_b32_e32 v96, 0xffff0000, v15
	v_lshlrev_b32_e32 v97, 16, v11
	v_lshlrev_b32_e32 v15, 16, v15
	v_cndmask_b32_e64 v86, v14, v87, s[24:25]
	v_max_f32_e32 v15, v15, v15
	v_max_f32_e32 v97, v97, v97
	v_and_b32_e32 v14, 0x7f800000, v86
	v_min_f32_e32 v98, v97, v15
	v_max_f32_e32 v15, v97, v15
	v_cmp_eq_u32_e64 s[44:45], s73, v14
	v_bfe_u32 v14, v86, 16, 1
	v_cmp_eq_u32_sdwa s[46:47], v86, v3 src0_sel:WORD_0 src1_sel:DWORD
	v_or_b32_e32 v87, 0x10000, v86
	v_cndmask_b32_e64 v15, v15, v98, s[24:25]
	v_add3_u32 v14, v86, v14, s62
	v_cndmask_b32_e64 v86, v87, v86, s[46:47]
	v_and_b32_e32 v87, 0xffff0000, v11
	v_and_b32_e32 v97, 0x7f800000, v15
	v_cmp_eq_u32_e64 s[46:47], s73, v97
	v_bfe_u32 v97, v15, 16, 1
	v_cmp_eq_u32_sdwa s[56:57], v15, v3 src0_sel:WORD_0 src1_sel:DWORD
	v_or_b32_e32 v98, 0x10000, v15
	v_max_f32_e32 v96, v96, v96
	v_max_f32_e32 v87, v87, v87
	v_add3_u32 v97, v15, v97, s62
	v_cndmask_b32_e64 v15, v98, v15, s[56:57]
	v_min_f32_e32 v98, v87, v96
	v_max_f32_e32 v87, v87, v96
	v_cndmask_b32_e64 v87, v87, v98, s[24:25]
	v_and_b32_e32 v96, 0x7f800000, v87
	v_cmp_eq_u32_e64 s[56:57], s73, v96
	v_bfe_u32 v96, v87, 16, 1
	v_cmp_eq_u32_sdwa s[58:59], v87, v3 src0_sel:WORD_0 src1_sel:DWORD
	v_or_b32_e32 v98, 0x10000, v87
	v_cndmask_b32_e32 v2, v2, v12, vcc
	v_cndmask_b32_e64 v4, v4, v5, s[42:43]
	v_add3_u32 v96, v87, v96, s62
	v_cndmask_b32_e64 v87, v98, v87, s[58:59]
	v_cndmask_b32_e64 v12, v39, v48, s[26:27]
	v_cndmask_b32_e64 v13, v13, v49, s[28:29]
	v_cndmask_b32_e64 v5, v14, v86, s[44:45]
	v_cndmask_b32_e64 v14, v97, v15, s[46:47]
	v_lshrrev_b32_e32 v2, 16, v2
	v_lshrrev_b32_e32 v4, 16, v4
	v_cndmask_b32_e64 v39, v50, v51, s[40:41]
	v_cndmask_b32_e64 v15, v96, v87, s[56:57]
	v_lshrrev_b32_e32 v13, 16, v13
	v_and_or_b32 v2, v12, s63, v2
	v_and_or_b32 v12, v5, s63, v4
	v_lshrrev_b32_e32 v4, 16, v14
	v_and_or_b32 v13, v39, s63, v13
	v_and_or_b32 v15, v15, s63, v4
	s_mov_b64 s[26:27], -1
	s_mov_b64 s[28:29], 0
.LBB24_1820:                            ;   Parent Loop BB24_47 Depth=1
                                        ;     Parent Loop BB24_1663 Depth=2
                                        ;       Parent Loop BB24_1666 Depth=3
                                        ;         Parent Loop BB24_1819 Depth=4
                                        ; =>        This Inner Loop Header: Depth=5
	v_cndmask_b32_e64 v4, 0, 1, s[26:27]
	v_cmp_ne_u32_e32 vcc, 1, v4
	s_cmp_eq_u32 s28, 1
	v_cndmask_b32_e64 v49, v9, v13, s[26:27]
	v_cndmask_b32_e64 v48, v8, v2, s[26:27]
	;; [unrolled: 1-line block ×4, first 2 shown]
	v_cndmask_b32_e32 v5, v21, v23, vcc
	v_cndmask_b32_e32 v4, v20, v22, vcc
	s_cselect_b64 vcc, -1, 0
	global_store_dwordx4 v[4:5], v[48:51], off
	v_cndmask_b32_e32 v5, v21, v23, vcc
	v_cndmask_b32_e32 v4, v20, v22, vcc
	v_lshl_add_u64 v[4:5], v[4:5], 0, s[88:89]
	s_cmp_eq_u32 s28, 0
	v_cndmask_b32_e32 v23, v23, v5, vcc
	v_cndmask_b32_e32 v22, v22, v4, vcc
	s_cselect_b64 vcc, -1, 0
	v_cndmask_b32_e32 v21, v21, v5, vcc
	v_cndmask_b32_e32 v20, v20, v4, vcc
	s_mov_b64 s[28:29], 1
	s_and_b64 vcc, exec, s[26:27]
	s_mov_b64 s[26:27], 0
	s_cbranch_vccnz .LBB24_1820
; %bb.1821:                             ;   in Loop: Header=BB24_1819 Depth=4
	v_sub_u32_e32 v37, v37, v100
	v_cmp_gt_i32_e32 vcc, 16, v37
	v_lshl_add_u64 v[20:21], v[20:21], 0, v[116:117]
	v_lshl_add_u64 v[22:23], v[22:23], 0, v[116:117]
	;; [unrolled: 1-line block ×4, first 2 shown]
	s_or_b64 s[66:67], vcc, s[66:67]
	v_sub_u32_e32 v36, v36, v84
	s_andn2_b64 exec, exec, s[66:67]
	s_cbranch_execnz .LBB24_1819
; %bb.1822:                             ;   in Loop: Header=BB24_1666 Depth=3
	s_or_b64 exec, exec, s[66:67]
.LBB24_1823:                            ;   in Loop: Header=BB24_1666 Depth=3
	s_or_b64 exec, exec, s[64:65]
	v_and_b32_e32 v2, 14, v38
	v_cmp_lt_i32_e32 vcc, 0, v36
	v_sub_u32_e32 v4, v35, v2
	v_cndmask_b32_e64 v38, v35, v2, s[22:23]
	v_cndmask_b32_e32 v2, 0, v84, vcc
	v_cndmask_b32_e64 v4, 0, v4, s[22:23]
	v_sub_u32_e32 v2, v2, v36
	v_cmp_ne_u32_e32 vcc, 0, v38
	v_add3_u32 v18, v34, v32, v4
	v_lshl_add_u32 v19, v2, 6, v33
	s_and_b64 s[22:23], vcc, exec
.LBB24_1824:                            ;   in Loop: Header=BB24_1666 Depth=3
	s_or_b64 exec, exec, s[54:55]
	s_and_saveexec_b64 s[40:41], s[22:23]
	s_cbranch_execz .LBB24_1867
.LBB24_1825:                            ;   in Loop: Header=BB24_1666 Depth=3
	v_ashrrev_i32_e32 v2, 31, v19
	v_ashrrev_i32_e32 v4, 31, v38
	v_lshrrev_b32_e32 v2, 26, v2
	v_lshrrev_b32_e32 v4, 22, v4
	v_add_u32_e32 v8, v19, v2
	v_add_u32_e32 v4, v38, v4
	v_ashrrev_i32_e32 v2, 6, v8
	v_ashrrev_i32_e32 v5, 10, v4
	v_sub_u32_e32 v4, v5, v2
	v_cmp_lt_i32_e32 vcc, 0, v4
	s_and_saveexec_b64 s[24:25], vcc
	s_cbranch_execz .LBB24_1861
; %bb.1826:                             ;   in Loop: Header=BB24_1666 Depth=3
	v_and_b32_e32 v8, 0x7fffffc0, v8
	v_sub_u32_e32 v8, v19, v8
	v_lshlrev_b32_e32 v8, 1, v8
	v_lshlrev_b32_e32 v9, 10, v2
	v_add3_u32 v8, v8, v18, v9
	s_and_b32 s74, s68, 1
	v_ashrrev_i32_e32 v9, 31, v8
	s_cmp_eq_u64 s[74:75], 0
	v_lshl_add_u64 v[10:11], v[8:9], 0, v[106:107]
	v_lshl_add_u64 v[12:13], v[8:9], 0, v[24:25]
	s_mov_b64 s[26:27], 0
	s_cselect_b64 vcc, -1, 0
	v_mov_b64_e32 v[14:15], v[104:105]
	s_waitcnt lgkmcnt(0)
	v_mov_b64_e32 v[16:17], v[26:27]
	s_branch .LBB24_1828
.LBB24_1827:                            ;   in Loop: Header=BB24_1828 Depth=4
	s_or_b64 exec, exec, s[28:29]
	v_sub_u32_e32 v4, v4, v84
	v_cmp_gt_i32_e64 s[22:23], 1, v4
	flat_store_short_d16_hi v[10:11], v37 offset:896 nt
	flat_store_short v[12:13], v20 nt
	flat_store_short v[12:13], v21 offset:128 nt
	flat_store_short v[12:13], v22 offset:256 nt
	flat_store_short v[12:13], v23 offset:384 nt
	flat_store_short v[12:13], v32 offset:512 nt
	flat_store_short v[12:13], v33 offset:640 nt
	flat_store_short v[12:13], v34 offset:768 nt
	flat_store_short v[12:13], v35 offset:896 nt
	v_lshl_add_u64 v[10:11], v[10:11], 0, v[100:101]
	v_lshl_add_u64 v[12:13], v[12:13], 0, v[100:101]
	;; [unrolled: 1-line block ×3, first 2 shown]
	s_or_b64 s[26:27], s[22:23], s[26:27]
	v_lshl_add_u64 v[14:15], v[14:15], 0, v[46:47]
	s_andn2_b64 exec, exec, s[26:27]
	s_cbranch_execz .LBB24_1860
.LBB24_1828:                            ;   Parent Loop BB24_47 Depth=1
                                        ;     Parent Loop BB24_1663 Depth=2
                                        ;       Parent Loop BB24_1666 Depth=3
                                        ; =>      This Inner Loop Header: Depth=4
	v_lshl_add_u64 v[22:23], v[8:9], 0, v[16:17]
	v_lshl_add_u64 v[86:87], v[8:9], 0, v[14:15]
	flat_load_ushort v20, v[86:87] nt
	flat_load_ushort v50, v[22:23] offset:256 nt
	flat_load_ushort v49, v[22:23] offset:384 nt
	flat_load_ushort v48, v[22:23] offset:512 nt
	flat_load_ushort v39, v[22:23] offset:640 nt
	flat_load_ushort v37, v[22:23] offset:768 nt
	flat_load_ushort v36, v[22:23] offset:896 nt
	flat_load_ushort v96, v[22:23] nt
	flat_load_ushort v51, v[22:23] offset:128 nt
	flat_load_ushort v21, v[86:87] offset:128 nt
	s_nop 0
	flat_load_ushort v22, v[86:87] offset:256 nt
	flat_load_ushort v23, v[86:87] offset:384 nt
	;; [unrolled: 1-line block ×6, first 2 shown]
	s_waitcnt vmcnt(0) lgkmcnt(0)
	v_lshlrev_b32_e32 v86, 16, v20
	v_max_f32_e32 v86, v86, v86
	v_lshlrev_b32_e32 v87, 16, v96
	v_max_f32_e32 v87, v87, v87
	v_min_f32_e32 v96, v86, v87
	v_max_f32_e32 v86, v86, v87
	v_cndmask_b32_e32 v86, v86, v96, vcc
	v_and_b32_e32 v87, 0x7f800000, v86
	v_cmp_ne_u32_e64 s[22:23], s73, v87
                                        ; implicit-def: $vgpr87
	s_and_saveexec_b64 s[28:29], s[22:23]
	s_xor_b64 s[22:23], exec, s[28:29]
; %bb.1829:                             ;   in Loop: Header=BB24_1828 Depth=4
	v_bfe_u32 v87, v86, 16, 1
	v_add3_u32 v87, v86, v87, s62
                                        ; implicit-def: $vgpr86
; %bb.1830:                             ;   in Loop: Header=BB24_1828 Depth=4
	s_andn2_saveexec_b64 s[28:29], s[22:23]
; %bb.1831:                             ;   in Loop: Header=BB24_1828 Depth=4
	v_or_b32_e32 v87, 0x10000, v86
	v_cmp_eq_u32_sdwa s[22:23], v86, v3 src0_sel:WORD_0 src1_sel:DWORD
	s_nop 1
	v_cndmask_b32_e64 v87, v87, v86, s[22:23]
; %bb.1832:                             ;   in Loop: Header=BB24_1828 Depth=4
	s_or_b64 exec, exec, s[28:29]
	v_lshlrev_b32_e32 v86, 16, v21
	v_lshlrev_b32_e32 v51, 16, v51
	v_max_f32_e32 v51, v51, v51
	v_max_f32_e32 v86, v86, v86
	flat_store_short_d16_hi v[10:11], v87 nt
	v_min_f32_e32 v87, v86, v51
	v_max_f32_e32 v51, v86, v51
	v_cndmask_b32_e32 v51, v51, v87, vcc
	v_and_b32_e32 v86, 0x7f800000, v51
	v_cmp_ne_u32_e64 s[22:23], s73, v86
                                        ; implicit-def: $vgpr86
	s_and_saveexec_b64 s[28:29], s[22:23]
	s_xor_b64 s[22:23], exec, s[28:29]
; %bb.1833:                             ;   in Loop: Header=BB24_1828 Depth=4
	v_bfe_u32 v86, v51, 16, 1
	v_add3_u32 v86, v51, v86, s62
                                        ; implicit-def: $vgpr51
; %bb.1834:                             ;   in Loop: Header=BB24_1828 Depth=4
	s_andn2_saveexec_b64 s[28:29], s[22:23]
; %bb.1835:                             ;   in Loop: Header=BB24_1828 Depth=4
	v_or_b32_e32 v86, 0x10000, v51
	v_cmp_eq_u32_sdwa s[22:23], v51, v3 src0_sel:WORD_0 src1_sel:DWORD
	s_nop 1
	v_cndmask_b32_e64 v86, v86, v51, s[22:23]
; %bb.1836:                             ;   in Loop: Header=BB24_1828 Depth=4
	s_or_b64 exec, exec, s[28:29]
	v_lshlrev_b32_e32 v51, 16, v22
	v_lshlrev_b32_e32 v50, 16, v50
	v_max_f32_e32 v50, v50, v50
	v_max_f32_e32 v51, v51, v51
	flat_store_short_d16_hi v[10:11], v86 offset:128 nt
	v_min_f32_e32 v86, v51, v50
	v_max_f32_e32 v50, v51, v50
	v_cndmask_b32_e32 v50, v50, v86, vcc
	v_and_b32_e32 v51, 0x7f800000, v50
	v_cmp_ne_u32_e64 s[22:23], s73, v51
                                        ; implicit-def: $vgpr51
	s_and_saveexec_b64 s[28:29], s[22:23]
	s_xor_b64 s[22:23], exec, s[28:29]
; %bb.1837:                             ;   in Loop: Header=BB24_1828 Depth=4
	v_bfe_u32 v51, v50, 16, 1
	v_add3_u32 v51, v50, v51, s62
                                        ; implicit-def: $vgpr50
; %bb.1838:                             ;   in Loop: Header=BB24_1828 Depth=4
	s_andn2_saveexec_b64 s[28:29], s[22:23]
; %bb.1839:                             ;   in Loop: Header=BB24_1828 Depth=4
	v_or_b32_e32 v51, 0x10000, v50
	v_cmp_eq_u32_sdwa s[22:23], v50, v3 src0_sel:WORD_0 src1_sel:DWORD
	s_nop 1
	v_cndmask_b32_e64 v51, v51, v50, s[22:23]
; %bb.1840:                             ;   in Loop: Header=BB24_1828 Depth=4
	s_or_b64 exec, exec, s[28:29]
	v_lshlrev_b32_e32 v50, 16, v23
	v_lshlrev_b32_e32 v49, 16, v49
	v_max_f32_e32 v49, v49, v49
	v_max_f32_e32 v50, v50, v50
	flat_store_short_d16_hi v[10:11], v51 offset:256 nt
	v_min_f32_e32 v51, v50, v49
	v_max_f32_e32 v49, v50, v49
	v_cndmask_b32_e32 v49, v49, v51, vcc
	v_and_b32_e32 v50, 0x7f800000, v49
	v_cmp_ne_u32_e64 s[22:23], s73, v50
                                        ; implicit-def: $vgpr50
	s_and_saveexec_b64 s[28:29], s[22:23]
	s_xor_b64 s[22:23], exec, s[28:29]
; %bb.1841:                             ;   in Loop: Header=BB24_1828 Depth=4
	v_bfe_u32 v50, v49, 16, 1
	v_add3_u32 v50, v49, v50, s62
                                        ; implicit-def: $vgpr49
; %bb.1842:                             ;   in Loop: Header=BB24_1828 Depth=4
	s_andn2_saveexec_b64 s[28:29], s[22:23]
; %bb.1843:                             ;   in Loop: Header=BB24_1828 Depth=4
	v_or_b32_e32 v50, 0x10000, v49
	v_cmp_eq_u32_sdwa s[22:23], v49, v3 src0_sel:WORD_0 src1_sel:DWORD
	s_nop 1
	v_cndmask_b32_e64 v50, v50, v49, s[22:23]
; %bb.1844:                             ;   in Loop: Header=BB24_1828 Depth=4
	s_or_b64 exec, exec, s[28:29]
	v_lshlrev_b32_e32 v49, 16, v32
	v_lshlrev_b32_e32 v48, 16, v48
	v_max_f32_e32 v48, v48, v48
	v_max_f32_e32 v49, v49, v49
	flat_store_short_d16_hi v[10:11], v50 offset:384 nt
	v_min_f32_e32 v50, v49, v48
	v_max_f32_e32 v48, v49, v48
	v_cndmask_b32_e32 v48, v48, v50, vcc
	v_and_b32_e32 v49, 0x7f800000, v48
	v_cmp_ne_u32_e64 s[22:23], s73, v49
                                        ; implicit-def: $vgpr49
	s_and_saveexec_b64 s[28:29], s[22:23]
	s_xor_b64 s[22:23], exec, s[28:29]
; %bb.1845:                             ;   in Loop: Header=BB24_1828 Depth=4
	v_bfe_u32 v49, v48, 16, 1
	v_add3_u32 v49, v48, v49, s62
                                        ; implicit-def: $vgpr48
; %bb.1846:                             ;   in Loop: Header=BB24_1828 Depth=4
	s_andn2_saveexec_b64 s[28:29], s[22:23]
; %bb.1847:                             ;   in Loop: Header=BB24_1828 Depth=4
	v_or_b32_e32 v49, 0x10000, v48
	v_cmp_eq_u32_sdwa s[22:23], v48, v3 src0_sel:WORD_0 src1_sel:DWORD
	s_nop 1
	v_cndmask_b32_e64 v49, v49, v48, s[22:23]
; %bb.1848:                             ;   in Loop: Header=BB24_1828 Depth=4
	s_or_b64 exec, exec, s[28:29]
	v_lshlrev_b32_e32 v48, 16, v33
	v_lshlrev_b32_e32 v39, 16, v39
	v_max_f32_e32 v39, v39, v39
	v_max_f32_e32 v48, v48, v48
	flat_store_short_d16_hi v[10:11], v49 offset:512 nt
	v_min_f32_e32 v49, v48, v39
	v_max_f32_e32 v39, v48, v39
	v_cndmask_b32_e32 v39, v39, v49, vcc
	v_and_b32_e32 v48, 0x7f800000, v39
	v_cmp_ne_u32_e64 s[22:23], s73, v48
                                        ; implicit-def: $vgpr48
	s_and_saveexec_b64 s[28:29], s[22:23]
	s_xor_b64 s[22:23], exec, s[28:29]
; %bb.1849:                             ;   in Loop: Header=BB24_1828 Depth=4
	v_bfe_u32 v48, v39, 16, 1
	v_add3_u32 v48, v39, v48, s62
                                        ; implicit-def: $vgpr39
; %bb.1850:                             ;   in Loop: Header=BB24_1828 Depth=4
	s_andn2_saveexec_b64 s[28:29], s[22:23]
; %bb.1851:                             ;   in Loop: Header=BB24_1828 Depth=4
	v_or_b32_e32 v48, 0x10000, v39
	v_cmp_eq_u32_sdwa s[22:23], v39, v3 src0_sel:WORD_0 src1_sel:DWORD
	s_nop 1
	v_cndmask_b32_e64 v48, v48, v39, s[22:23]
; %bb.1852:                             ;   in Loop: Header=BB24_1828 Depth=4
	s_or_b64 exec, exec, s[28:29]
	v_lshlrev_b32_e32 v39, 16, v34
	v_lshlrev_b32_e32 v37, 16, v37
	v_max_f32_e32 v37, v37, v37
	v_max_f32_e32 v39, v39, v39
	flat_store_short_d16_hi v[10:11], v48 offset:640 nt
	v_min_f32_e32 v48, v39, v37
	v_max_f32_e32 v37, v39, v37
	v_cndmask_b32_e32 v37, v37, v48, vcc
	v_and_b32_e32 v39, 0x7f800000, v37
	v_cmp_ne_u32_e64 s[22:23], s73, v39
                                        ; implicit-def: $vgpr39
	s_and_saveexec_b64 s[28:29], s[22:23]
	s_xor_b64 s[22:23], exec, s[28:29]
; %bb.1853:                             ;   in Loop: Header=BB24_1828 Depth=4
	v_bfe_u32 v39, v37, 16, 1
	v_add3_u32 v39, v37, v39, s62
                                        ; implicit-def: $vgpr37
; %bb.1854:                             ;   in Loop: Header=BB24_1828 Depth=4
	s_andn2_saveexec_b64 s[28:29], s[22:23]
; %bb.1855:                             ;   in Loop: Header=BB24_1828 Depth=4
	v_or_b32_e32 v39, 0x10000, v37
	v_cmp_eq_u32_sdwa s[22:23], v37, v3 src0_sel:WORD_0 src1_sel:DWORD
	s_nop 1
	v_cndmask_b32_e64 v39, v39, v37, s[22:23]
; %bb.1856:                             ;   in Loop: Header=BB24_1828 Depth=4
	s_or_b64 exec, exec, s[28:29]
	v_lshlrev_b32_e32 v37, 16, v35
	v_lshlrev_b32_e32 v36, 16, v36
	v_max_f32_e32 v36, v36, v36
	v_max_f32_e32 v37, v37, v37
	flat_store_short_d16_hi v[10:11], v39 offset:768 nt
	v_min_f32_e32 v39, v37, v36
	v_max_f32_e32 v36, v37, v36
	v_cndmask_b32_e32 v36, v36, v39, vcc
	v_and_b32_e32 v37, 0x7f800000, v36
	v_cmp_ne_u32_e64 s[22:23], s73, v37
                                        ; implicit-def: $vgpr37
	s_and_saveexec_b64 s[28:29], s[22:23]
	s_xor_b64 s[22:23], exec, s[28:29]
; %bb.1857:                             ;   in Loop: Header=BB24_1828 Depth=4
	v_bfe_u32 v37, v36, 16, 1
	v_add3_u32 v37, v36, v37, s62
                                        ; implicit-def: $vgpr36
; %bb.1858:                             ;   in Loop: Header=BB24_1828 Depth=4
	s_andn2_saveexec_b64 s[28:29], s[22:23]
	s_cbranch_execz .LBB24_1827
; %bb.1859:                             ;   in Loop: Header=BB24_1828 Depth=4
	v_or_b32_e32 v37, 0x10000, v36
	v_cmp_eq_u32_sdwa s[22:23], v36, v3 src0_sel:WORD_0 src1_sel:DWORD
	s_nop 1
	v_cndmask_b32_e64 v37, v37, v36, s[22:23]
	s_branch .LBB24_1827
.LBB24_1860:                            ;   in Loop: Header=BB24_1666 Depth=3
	s_or_b64 exec, exec, s[26:27]
.LBB24_1861:                            ;   in Loop: Header=BB24_1666 Depth=3
	s_or_b64 exec, exec, s[24:25]
	v_lshlrev_b32_e32 v5, 10, v5
	v_cmp_ne_u32_e32 vcc, v38, v5
	s_and_b64 exec, exec, vcc
	s_cbranch_execz .LBB24_1867
; %bb.1862:                             ;   in Loop: Header=BB24_1666 Depth=3
	v_lshlrev_b32_e32 v2, 6, v2
	v_sub_u32_e32 v2, v19, v2
	v_lshlrev_b32_e32 v4, 6, v4
	v_sub_u32_e32 v2, v2, v4
	v_ashrrev_i32_e32 v4, 31, v2
	v_lshrrev_b32_e32 v4, 26, v4
	v_add_u32_e32 v4, v2, v4
	v_and_b32_e32 v8, 0x7fffffc0, v4
	v_sub_u32_e32 v2, v2, v8
	v_lshlrev_b32_e32 v4, 1, v4
	v_and_b32_e32 v4, 0xffffff80, v4
	v_lshlrev_b32_e32 v2, 1, v2
	v_add3_u32 v4, v4, v2, v5
	v_sub_u32_e32 v2, v38, v4
	v_cmp_lt_i32_e32 vcc, 1, v2
	s_and_b64 exec, exec, vcc
	s_cbranch_execz .LBB24_1867
; %bb.1863:                             ;   in Loop: Header=BB24_1666 Depth=3
	v_add_u32_e32 v4, v4, v18
	s_and_b32 s74, s68, 1
	v_ashrrev_i32_e32 v5, 31, v4
	s_cmp_eq_u64 s[74:75], 0
	v_lshl_add_u64 v[8:9], v[4:5], 0, v[104:105]
	s_waitcnt lgkmcnt(0)
	v_lshl_add_u64 v[10:11], v[4:5], 0, v[26:27]
	v_lshl_add_u64 v[12:13], v[4:5], 0, v[106:107]
	;; [unrolled: 1-line block ×3, first 2 shown]
	s_mov_b64 s[42:43], 0
	s_cselect_b64 s[22:23], -1, 0
.LBB24_1864:                            ;   Parent Loop BB24_47 Depth=1
                                        ;     Parent Loop BB24_1663 Depth=2
                                        ;       Parent Loop BB24_1666 Depth=3
                                        ; =>      This Loop Header: Depth=4
                                        ;           Child Loop BB24_1865 Depth 5
	flat_load_ushort v4, v[8:9] nt
	flat_load_ushort v5, v[10:11] nt
	s_mov_b64 s[24:25], -1
	s_mov_b64 s[44:45], 0
	s_waitcnt vmcnt(0) lgkmcnt(0)
	v_lshlrev_b32_e32 v16, 16, v4
	v_lshlrev_b32_e32 v5, 16, v5
	v_max_f32_e32 v5, v5, v5
	v_max_f32_e32 v16, v16, v16
	v_min_f32_e32 v17, v16, v5
	v_max_f32_e32 v5, v16, v5
	v_cndmask_b32_e64 v5, v5, v17, s[22:23]
	v_and_b32_e32 v16, 0x7f800000, v5
	v_bfe_u32 v17, v5, 16, 1
	v_or_b32_e32 v18, 0x10000, v5
	v_cmp_eq_u32_sdwa vcc, v5, v3 src0_sel:WORD_0 src1_sel:DWORD
	v_add3_u32 v17, v5, v17, s62
	s_nop 0
	v_cndmask_b32_e32 v5, v18, v5, vcc
	v_cmp_eq_u32_e32 vcc, s73, v16
	s_nop 1
	v_cndmask_b32_e32 v5, v17, v5, vcc
.LBB24_1865:                            ;   Parent Loop BB24_47 Depth=1
                                        ;     Parent Loop BB24_1663 Depth=2
                                        ;       Parent Loop BB24_1666 Depth=3
                                        ;         Parent Loop BB24_1864 Depth=4
                                        ; =>        This Inner Loop Header: Depth=5
	s_mov_b64 vcc, s[24:25]
	v_cndmask_b32_e64 v16, 0, 1, s[24:25]
	s_cmp_eq_u32 s44, 1
	v_cndmask_b32_sdwa v20, v4, v5, vcc dst_sel:DWORD dst_unused:UNUSED_PAD src0_sel:DWORD src1_sel:WORD_1
	v_cmp_ne_u32_e32 vcc, 1, v16
	s_cselect_b64 s[26:27], -1, 0
	v_cndmask_b32_e64 v19, v13, v15, s[26:27]
	v_cndmask_b32_e32 v17, v13, v15, vcc
	s_cmp_eq_u32 s44, 0
	v_cndmask_b32_e32 v16, v12, v14, vcc
	v_cndmask_b32_e64 v18, v12, v14, s[26:27]
	flat_store_short v[16:17], v20 nt
	v_lshl_add_u64 v[16:17], v[18:19], 0, s[90:91]
	s_cselect_b64 vcc, -1, 0
	s_and_b64 s[28:29], exec, s[24:25]
	s_mov_b64 s[44:45], 1
	s_mov_b64 s[24:25], 0
	v_cndmask_b32_e64 v15, v15, v17, s[26:27]
	v_cndmask_b32_e64 v14, v14, v16, s[26:27]
	v_cndmask_b32_e32 v13, v13, v17, vcc
	v_cndmask_b32_e32 v12, v12, v16, vcc
	s_mov_b64 vcc, s[28:29]
	s_cbranch_vccnz .LBB24_1865
; %bb.1866:                             ;   in Loop: Header=BB24_1864 Depth=4
	v_sub_u32_e32 v2, v2, v114
	v_cmp_gt_i32_e32 vcc, 2, v2
	v_lshl_add_u64 v[12:13], v[12:13], 0, v[42:43]
	v_lshl_add_u64 v[14:15], v[14:15], 0, v[42:43]
	v_lshl_add_u64 v[8:9], v[8:9], 0, v[60:61]
	s_or_b64 s[42:43], vcc, s[42:43]
	v_lshl_add_u64 v[10:11], v[10:11], 0, v[60:61]
	s_andn2_b64 exec, exec, s[42:43]
	s_cbranch_execnz .LBB24_1864
.LBB24_1867:                            ;   in Loop: Header=BB24_1666 Depth=3
	s_or_b64 exec, exec, s[40:41]
	s_branch .LBB24_1747
.LBB24_1868:                            ;   in Loop: Header=BB24_1666 Depth=3
	s_mov_b64 s[24:25], -1
	s_and_saveexec_b64 s[22:23], s[16:17]
	s_cbranch_execz .LBB24_1870
; %bb.1869:                             ;   in Loop: Header=BB24_1666 Depth=3
	ds_read_b32 v2, v0 offset:720
	s_waitcnt lgkmcnt(0)
	v_and_b32_e32 v2, 15, v2
	v_cmp_eq_u32_e32 vcc, 0, v2
	s_orn2_b64 s[24:25], vcc, exec
.LBB24_1870:                            ;   in Loop: Header=BB24_1666 Depth=3
	s_or_b64 exec, exec, s[22:23]
	s_and_saveexec_b64 s[22:23], s[14:15]
	s_cbranch_execz .LBB24_1872
; %bb.1871:                             ;   in Loop: Header=BB24_1666 Depth=3
	ds_read_b32 v2, v0 offset:784
	s_waitcnt lgkmcnt(0)
	v_and_b32_e32 v2, 15, v2
	v_cmp_eq_u32_e32 vcc, 0, v2
	s_and_b64 s[26:27], s[24:25], vcc
	s_andn2_b64 s[24:25], s[24:25], exec
	s_and_b64 s[26:27], s[26:27], exec
	s_or_b64 s[24:25], s[24:25], s[26:27]
.LBB24_1872:                            ;   in Loop: Header=BB24_1666 Depth=3
	s_or_b64 exec, exec, s[22:23]
	s_xor_b64 s[24:25], s[24:25], -1
	v_cndmask_b32_e64 v4, 0, 1, s[24:25]
	v_lshlrev_b32_e32 v2, 1, v29
	s_mov_b64 s[22:23], -1
	v_mov_b32_e32 v14, 0
	v_cmp_ne_u32_e32 vcc, 0, v4
	s_cbranch_vccz .LBB24_1874
; %bb.1873:                             ;   in Loop: Header=BB24_1666 Depth=3
	v_mov_b32_e32 v13, v0
	s_and_saveexec_b64 s[28:29], s[22:23]
	s_cbranch_execnz .LBB24_2013
	s_branch .LBB24_2053
.LBB24_1874:                            ;   in Loop: Header=BB24_1666 Depth=3
	v_ashrrev_i32_e32 v4, 31, v2
	v_lshrrev_b32_e32 v4, 20, v4
	v_add_u32_e32 v4, v2, v4
	v_ashrrev_i32_e32 v93, 12, v4
	v_sub_u32_e32 v91, v93, v31
	v_cmp_lt_i32_e32 vcc, 0, v91
	s_and_saveexec_b64 s[24:25], vcc
	s_cbranch_execz .LBB24_2006
; %bb.1875:                             ;   in Loop: Header=BB24_1666 Depth=3
	scratch_load_dwordx2 v[108:109], off, s33 offset:272 ; 8-byte Folded Reload
	s_and_b32 s74, s68, 1
	s_cmp_eq_u64 s[74:75], 0
	s_mov_b64 s[26:27], 0
	s_cselect_b64 vcc, -1, 0
	s_branch .LBB24_1877
.LBB24_1876:                            ;   in Loop: Header=BB24_1877 Depth=4
	s_or_b64 exec, exec, s[28:29]
	v_lshrrev_b32_e32 v8, 16, v8
	v_lshrrev_b32_e32 v4, 16, v4
	v_and_or_b32 v9, v9, s63, v8
	v_and_or_b32 v8, v5, s63, v4
	v_lshrrev_b32_e32 v4, 16, v12
	v_sub_u32_e32 v91, v91, v84
	v_and_or_b32 v10, v10, s63, v4
	v_lshrrev_b32_e32 v4, 16, v13
	v_cmp_gt_i32_e64 s[22:23], 1, v91
	v_and_or_b32 v11, v11, s63, v4
	s_or_b64 s[26:27], s[22:23], s[26:27]
	v_lshl_add_u64 v[108:109], v[108:109], 0, v[44:45]
	global_store_dwordx4 v[36:37], v[8:11], off
	s_andn2_b64 exec, exec, s[26:27]
	s_cbranch_execz .LBB24_2005
.LBB24_1877:                            ;   Parent Loop BB24_47 Depth=1
                                        ;     Parent Loop BB24_1663 Depth=2
                                        ;       Parent Loop BB24_1666 Depth=3
                                        ; =>      This Inner Loop Header: Depth=4
	s_waitcnt vmcnt(0)
	v_lshl_add_u64 v[4:5], v[104:105], 0, v[108:109]
	global_load_dwordx4 v[36:39], v[4:5], off offset:-3072 nt
	global_load_dwordx4 v[48:51], v[108:109], off offset:-3072 nt
	s_waitcnt lgkmcnt(0)
	global_load_dwordx4 v[24:27], v[4:5], off offset:-2048 nt
	global_load_dwordx4 v[32:35], v[108:109], off offset:-2048 nt
	global_load_dwordx4 v[16:19], v[4:5], off offset:-1024 nt
	global_load_dwordx4 v[20:23], v[108:109], off offset:-1024 nt
	global_load_dwordx4 v[8:11], v[4:5], off nt
	global_load_dwordx4 v[12:15], v[108:109], off nt
	s_waitcnt vmcnt(7)
	v_lshlrev_b32_e32 v4, 16, v36
	s_waitcnt vmcnt(6)
	v_lshlrev_b32_e32 v5, 16, v48
	v_max_f32_e32 v5, v5, v5
	v_max_f32_e32 v4, v4, v4
	v_min_f32_e32 v86, v4, v5
	v_max_f32_e32 v4, v4, v5
	v_cndmask_b32_e32 v5, v4, v86, vcc
	v_and_b32_e32 v4, 0x7f800000, v5
	v_cmp_ne_u32_e64 s[22:23], s73, v4
                                        ; implicit-def: $vgpr4
	s_and_saveexec_b64 s[28:29], s[22:23]
	s_xor_b64 s[22:23], exec, s[28:29]
; %bb.1878:                             ;   in Loop: Header=BB24_1877 Depth=4
	v_bfe_u32 v4, v5, 16, 1
	v_add3_u32 v4, v5, v4, s62
                                        ; implicit-def: $vgpr5
; %bb.1879:                             ;   in Loop: Header=BB24_1877 Depth=4
	s_andn2_saveexec_b64 s[28:29], s[22:23]
; %bb.1880:                             ;   in Loop: Header=BB24_1877 Depth=4
	v_or_b32_e32 v4, 0x10000, v5
	v_cmp_eq_u32_sdwa s[22:23], v5, v3 src0_sel:WORD_0 src1_sel:DWORD
	s_nop 1
	v_cndmask_b32_e64 v4, v4, v5, s[22:23]
; %bb.1881:                             ;   in Loop: Header=BB24_1877 Depth=4
	s_or_b64 exec, exec, s[28:29]
	v_and_b32_e32 v5, 0xffff0000, v36
	v_and_b32_e32 v36, 0xffff0000, v48
	v_max_f32_e32 v36, v36, v36
	v_max_f32_e32 v5, v5, v5
	v_min_f32_e32 v48, v5, v36
	v_max_f32_e32 v5, v5, v36
	v_cndmask_b32_e32 v36, v5, v48, vcc
	v_and_b32_e32 v5, 0x7f800000, v36
	v_cmp_ne_u32_e64 s[22:23], s73, v5
                                        ; implicit-def: $vgpr5
	s_and_saveexec_b64 s[28:29], s[22:23]
	s_xor_b64 s[22:23], exec, s[28:29]
; %bb.1882:                             ;   in Loop: Header=BB24_1877 Depth=4
	v_bfe_u32 v5, v36, 16, 1
	v_add3_u32 v5, v36, v5, s62
                                        ; implicit-def: $vgpr36
; %bb.1883:                             ;   in Loop: Header=BB24_1877 Depth=4
	s_andn2_saveexec_b64 s[28:29], s[22:23]
; %bb.1884:                             ;   in Loop: Header=BB24_1877 Depth=4
	v_or_b32_e32 v5, 0x10000, v36
	v_cmp_eq_u32_sdwa s[22:23], v36, v3 src0_sel:WORD_0 src1_sel:DWORD
	s_nop 1
	v_cndmask_b32_e64 v5, v5, v36, s[22:23]
; %bb.1885:                             ;   in Loop: Header=BB24_1877 Depth=4
	s_or_b64 exec, exec, s[28:29]
	v_lshlrev_b32_e32 v36, 16, v37
	v_lshlrev_b32_e32 v48, 16, v49
	v_max_f32_e32 v48, v48, v48
	v_max_f32_e32 v36, v36, v36
	v_min_f32_e32 v86, v36, v48
	v_max_f32_e32 v36, v36, v48
	v_cndmask_b32_e32 v36, v36, v86, vcc
	v_and_b32_e32 v48, 0x7f800000, v36
	v_cmp_ne_u32_e64 s[22:23], s73, v48
                                        ; implicit-def: $vgpr48
	s_and_saveexec_b64 s[28:29], s[22:23]
	s_xor_b64 s[22:23], exec, s[28:29]
; %bb.1886:                             ;   in Loop: Header=BB24_1877 Depth=4
	v_bfe_u32 v48, v36, 16, 1
	v_add3_u32 v48, v36, v48, s62
                                        ; implicit-def: $vgpr36
; %bb.1887:                             ;   in Loop: Header=BB24_1877 Depth=4
	s_andn2_saveexec_b64 s[28:29], s[22:23]
; %bb.1888:                             ;   in Loop: Header=BB24_1877 Depth=4
	v_or_b32_e32 v48, 0x10000, v36
	v_cmp_eq_u32_sdwa s[22:23], v36, v3 src0_sel:WORD_0 src1_sel:DWORD
	s_nop 1
	v_cndmask_b32_e64 v48, v48, v36, s[22:23]
; %bb.1889:                             ;   in Loop: Header=BB24_1877 Depth=4
	s_or_b64 exec, exec, s[28:29]
	v_and_b32_e32 v36, 0xffff0000, v37
	v_and_b32_e32 v37, 0xffff0000, v49
	v_max_f32_e32 v37, v37, v37
	v_max_f32_e32 v36, v36, v36
	v_min_f32_e32 v49, v36, v37
	v_max_f32_e32 v36, v36, v37
	v_cndmask_b32_e32 v36, v36, v49, vcc
	v_and_b32_e32 v37, 0x7f800000, v36
	v_cmp_ne_u32_e64 s[22:23], s73, v37
                                        ; implicit-def: $vgpr49
	s_and_saveexec_b64 s[28:29], s[22:23]
	s_xor_b64 s[22:23], exec, s[28:29]
; %bb.1890:                             ;   in Loop: Header=BB24_1877 Depth=4
	v_bfe_u32 v37, v36, 16, 1
	v_add3_u32 v49, v36, v37, s62
                                        ; implicit-def: $vgpr36
; %bb.1891:                             ;   in Loop: Header=BB24_1877 Depth=4
	s_andn2_saveexec_b64 s[28:29], s[22:23]
; %bb.1892:                             ;   in Loop: Header=BB24_1877 Depth=4
	v_or_b32_e32 v37, 0x10000, v36
	v_cmp_eq_u32_sdwa s[22:23], v36, v3 src0_sel:WORD_0 src1_sel:DWORD
	s_nop 1
	v_cndmask_b32_e64 v49, v37, v36, s[22:23]
; %bb.1893:                             ;   in Loop: Header=BB24_1877 Depth=4
	s_or_b64 exec, exec, s[28:29]
	v_lshlrev_b32_e32 v36, 16, v38
	v_lshlrev_b32_e32 v37, 16, v50
	v_max_f32_e32 v37, v37, v37
	v_max_f32_e32 v36, v36, v36
	v_min_f32_e32 v86, v36, v37
	v_max_f32_e32 v36, v36, v37
	v_cndmask_b32_e32 v36, v36, v86, vcc
	v_and_b32_e32 v37, 0x7f800000, v36
	v_cmp_ne_u32_e64 s[22:23], s73, v37
                                        ; implicit-def: $vgpr86
	s_and_saveexec_b64 s[28:29], s[22:23]
	s_xor_b64 s[22:23], exec, s[28:29]
; %bb.1894:                             ;   in Loop: Header=BB24_1877 Depth=4
	v_bfe_u32 v37, v36, 16, 1
	v_add3_u32 v86, v36, v37, s62
                                        ; implicit-def: $vgpr36
; %bb.1895:                             ;   in Loop: Header=BB24_1877 Depth=4
	s_andn2_saveexec_b64 s[28:29], s[22:23]
; %bb.1896:                             ;   in Loop: Header=BB24_1877 Depth=4
	v_or_b32_e32 v37, 0x10000, v36
	v_cmp_eq_u32_sdwa s[22:23], v36, v3 src0_sel:WORD_0 src1_sel:DWORD
	s_nop 1
	v_cndmask_b32_e64 v86, v37, v36, s[22:23]
; %bb.1897:                             ;   in Loop: Header=BB24_1877 Depth=4
	s_or_b64 exec, exec, s[28:29]
	v_and_b32_e32 v36, 0xffff0000, v38
	v_and_b32_e32 v37, 0xffff0000, v50
	v_max_f32_e32 v37, v37, v37
	v_max_f32_e32 v36, v36, v36
	v_min_f32_e32 v38, v36, v37
	v_max_f32_e32 v36, v36, v37
	v_cndmask_b32_e32 v36, v36, v38, vcc
	v_and_b32_e32 v37, 0x7f800000, v36
	v_cmp_ne_u32_e64 s[22:23], s73, v37
                                        ; implicit-def: $vgpr38
	s_and_saveexec_b64 s[28:29], s[22:23]
	s_xor_b64 s[22:23], exec, s[28:29]
; %bb.1898:                             ;   in Loop: Header=BB24_1877 Depth=4
	v_bfe_u32 v37, v36, 16, 1
	v_add3_u32 v38, v36, v37, s62
                                        ; implicit-def: $vgpr36
; %bb.1899:                             ;   in Loop: Header=BB24_1877 Depth=4
	s_andn2_saveexec_b64 s[28:29], s[22:23]
; %bb.1900:                             ;   in Loop: Header=BB24_1877 Depth=4
	v_or_b32_e32 v37, 0x10000, v36
	v_cmp_eq_u32_sdwa s[22:23], v36, v3 src0_sel:WORD_0 src1_sel:DWORD
	s_nop 1
	v_cndmask_b32_e64 v38, v37, v36, s[22:23]
; %bb.1901:                             ;   in Loop: Header=BB24_1877 Depth=4
	s_or_b64 exec, exec, s[28:29]
	v_lshlrev_b32_e32 v36, 16, v39
	v_lshlrev_b32_e32 v37, 16, v51
	v_max_f32_e32 v37, v37, v37
	v_max_f32_e32 v36, v36, v36
	v_min_f32_e32 v50, v36, v37
	v_max_f32_e32 v36, v36, v37
	v_cndmask_b32_e32 v36, v36, v50, vcc
	v_and_b32_e32 v37, 0x7f800000, v36
	v_cmp_ne_u32_e64 s[22:23], s73, v37
                                        ; implicit-def: $vgpr50
	s_and_saveexec_b64 s[28:29], s[22:23]
	s_xor_b64 s[22:23], exec, s[28:29]
; %bb.1902:                             ;   in Loop: Header=BB24_1877 Depth=4
	v_bfe_u32 v37, v36, 16, 1
	v_add3_u32 v50, v36, v37, s62
                                        ; implicit-def: $vgpr36
; %bb.1903:                             ;   in Loop: Header=BB24_1877 Depth=4
	s_andn2_saveexec_b64 s[28:29], s[22:23]
; %bb.1904:                             ;   in Loop: Header=BB24_1877 Depth=4
	v_or_b32_e32 v37, 0x10000, v36
	v_cmp_eq_u32_sdwa s[22:23], v36, v3 src0_sel:WORD_0 src1_sel:DWORD
	s_nop 1
	v_cndmask_b32_e64 v50, v37, v36, s[22:23]
; %bb.1905:                             ;   in Loop: Header=BB24_1877 Depth=4
	s_or_b64 exec, exec, s[28:29]
	v_and_b32_e32 v36, 0xffff0000, v39
	v_and_b32_e32 v37, 0xffff0000, v51
	v_max_f32_e32 v37, v37, v37
	v_max_f32_e32 v36, v36, v36
	v_min_f32_e32 v39, v36, v37
	v_max_f32_e32 v36, v36, v37
	v_cndmask_b32_e32 v36, v36, v39, vcc
	v_and_b32_e32 v37, 0x7f800000, v36
	v_cmp_ne_u32_e64 s[22:23], s73, v37
                                        ; implicit-def: $vgpr39
	s_and_saveexec_b64 s[28:29], s[22:23]
	s_xor_b64 s[22:23], exec, s[28:29]
; %bb.1906:                             ;   in Loop: Header=BB24_1877 Depth=4
	v_bfe_u32 v37, v36, 16, 1
	v_add3_u32 v39, v36, v37, s62
                                        ; implicit-def: $vgpr36
; %bb.1907:                             ;   in Loop: Header=BB24_1877 Depth=4
	s_andn2_saveexec_b64 s[28:29], s[22:23]
; %bb.1908:                             ;   in Loop: Header=BB24_1877 Depth=4
	v_or_b32_e32 v37, 0x10000, v36
	v_cmp_eq_u32_sdwa s[22:23], v36, v3 src0_sel:WORD_0 src1_sel:DWORD
	s_nop 1
	v_cndmask_b32_e64 v39, v37, v36, s[22:23]
; %bb.1909:                             ;   in Loop: Header=BB24_1877 Depth=4
	s_or_b64 exec, exec, s[28:29]
	v_lshrrev_b32_e32 v4, 16, v4
	v_and_or_b32 v96, v5, s63, v4
	v_lshrrev_b32_e32 v4, 16, v86
	v_and_or_b32 v98, v38, s63, v4
	;; [unrolled: 2-line block ×3, first 2 shown]
	s_waitcnt vmcnt(5)
	v_lshlrev_b32_e32 v4, 16, v24
	s_waitcnt vmcnt(4)
	v_lshlrev_b32_e32 v5, 16, v32
	v_max_f32_e32 v5, v5, v5
	v_max_f32_e32 v4, v4, v4
	v_min_f32_e32 v38, v4, v5
	v_max_f32_e32 v4, v4, v5
	v_cndmask_b32_e32 v5, v4, v38, vcc
	v_lshrrev_b32_e32 v48, 16, v48
	v_and_b32_e32 v4, 0x7f800000, v5
	v_lshl_add_u64 v[36:37], v[106:107], 0, v[108:109]
	v_and_or_b32 v97, v49, s63, v48
	v_cmp_ne_u32_e64 s[22:23], s73, v4
	global_store_dwordx4 v[36:37], v[96:99], off offset:-3072
                                        ; implicit-def: $vgpr4
	s_and_saveexec_b64 s[28:29], s[22:23]
	s_xor_b64 s[22:23], exec, s[28:29]
; %bb.1910:                             ;   in Loop: Header=BB24_1877 Depth=4
	v_bfe_u32 v4, v5, 16, 1
	v_add3_u32 v4, v5, v4, s62
                                        ; implicit-def: $vgpr5
; %bb.1911:                             ;   in Loop: Header=BB24_1877 Depth=4
	s_andn2_saveexec_b64 s[28:29], s[22:23]
; %bb.1912:                             ;   in Loop: Header=BB24_1877 Depth=4
	v_or_b32_e32 v4, 0x10000, v5
	v_cmp_eq_u32_sdwa s[22:23], v5, v3 src0_sel:WORD_0 src1_sel:DWORD
	s_nop 1
	v_cndmask_b32_e64 v4, v4, v5, s[22:23]
; %bb.1913:                             ;   in Loop: Header=BB24_1877 Depth=4
	s_or_b64 exec, exec, s[28:29]
	v_and_b32_e32 v5, 0xffff0000, v24
	v_and_b32_e32 v24, 0xffff0000, v32
	v_max_f32_e32 v24, v24, v24
	v_max_f32_e32 v5, v5, v5
	v_min_f32_e32 v32, v5, v24
	v_max_f32_e32 v5, v5, v24
	v_cndmask_b32_e32 v24, v5, v32, vcc
	v_and_b32_e32 v5, 0x7f800000, v24
	v_cmp_ne_u32_e64 s[22:23], s73, v5
                                        ; implicit-def: $vgpr5
	s_and_saveexec_b64 s[28:29], s[22:23]
	s_xor_b64 s[22:23], exec, s[28:29]
; %bb.1914:                             ;   in Loop: Header=BB24_1877 Depth=4
	v_bfe_u32 v5, v24, 16, 1
	v_add3_u32 v5, v24, v5, s62
                                        ; implicit-def: $vgpr24
; %bb.1915:                             ;   in Loop: Header=BB24_1877 Depth=4
	s_andn2_saveexec_b64 s[28:29], s[22:23]
; %bb.1916:                             ;   in Loop: Header=BB24_1877 Depth=4
	v_or_b32_e32 v5, 0x10000, v24
	v_cmp_eq_u32_sdwa s[22:23], v24, v3 src0_sel:WORD_0 src1_sel:DWORD
	s_nop 1
	v_cndmask_b32_e64 v5, v5, v24, s[22:23]
; %bb.1917:                             ;   in Loop: Header=BB24_1877 Depth=4
	s_or_b64 exec, exec, s[28:29]
	v_lshlrev_b32_e32 v24, 16, v25
	v_lshlrev_b32_e32 v32, 16, v33
	v_max_f32_e32 v32, v32, v32
	v_max_f32_e32 v24, v24, v24
	v_min_f32_e32 v38, v24, v32
	v_max_f32_e32 v24, v24, v32
	v_cndmask_b32_e32 v32, v24, v38, vcc
	v_and_b32_e32 v24, 0x7f800000, v32
	v_cmp_ne_u32_e64 s[22:23], s73, v24
                                        ; implicit-def: $vgpr24
	s_and_saveexec_b64 s[28:29], s[22:23]
	s_xor_b64 s[22:23], exec, s[28:29]
; %bb.1918:                             ;   in Loop: Header=BB24_1877 Depth=4
	v_bfe_u32 v24, v32, 16, 1
	v_add3_u32 v24, v32, v24, s62
                                        ; implicit-def: $vgpr32
; %bb.1919:                             ;   in Loop: Header=BB24_1877 Depth=4
	s_andn2_saveexec_b64 s[28:29], s[22:23]
; %bb.1920:                             ;   in Loop: Header=BB24_1877 Depth=4
	v_or_b32_e32 v24, 0x10000, v32
	v_cmp_eq_u32_sdwa s[22:23], v32, v3 src0_sel:WORD_0 src1_sel:DWORD
	s_nop 1
	v_cndmask_b32_e64 v24, v24, v32, s[22:23]
; %bb.1921:                             ;   in Loop: Header=BB24_1877 Depth=4
	s_or_b64 exec, exec, s[28:29]
	v_and_b32_e32 v25, 0xffff0000, v25
	v_and_b32_e32 v32, 0xffff0000, v33
	v_max_f32_e32 v32, v32, v32
	v_max_f32_e32 v25, v25, v25
	v_min_f32_e32 v33, v25, v32
	v_max_f32_e32 v25, v25, v32
	v_cndmask_b32_e32 v32, v25, v33, vcc
	v_and_b32_e32 v25, 0x7f800000, v32
	v_cmp_ne_u32_e64 s[22:23], s73, v25
                                        ; implicit-def: $vgpr25
	s_and_saveexec_b64 s[28:29], s[22:23]
	s_xor_b64 s[22:23], exec, s[28:29]
; %bb.1922:                             ;   in Loop: Header=BB24_1877 Depth=4
	v_bfe_u32 v25, v32, 16, 1
	v_add3_u32 v25, v32, v25, s62
                                        ; implicit-def: $vgpr32
; %bb.1923:                             ;   in Loop: Header=BB24_1877 Depth=4
	s_andn2_saveexec_b64 s[28:29], s[22:23]
; %bb.1924:                             ;   in Loop: Header=BB24_1877 Depth=4
	v_or_b32_e32 v25, 0x10000, v32
	v_cmp_eq_u32_sdwa s[22:23], v32, v3 src0_sel:WORD_0 src1_sel:DWORD
	s_nop 1
	v_cndmask_b32_e64 v25, v25, v32, s[22:23]
; %bb.1925:                             ;   in Loop: Header=BB24_1877 Depth=4
	s_or_b64 exec, exec, s[28:29]
	v_lshlrev_b32_e32 v32, 16, v26
	v_lshlrev_b32_e32 v33, 16, v34
	v_max_f32_e32 v33, v33, v33
	v_max_f32_e32 v32, v32, v32
	v_min_f32_e32 v38, v32, v33
	v_max_f32_e32 v32, v32, v33
	v_cndmask_b32_e32 v33, v32, v38, vcc
	v_and_b32_e32 v32, 0x7f800000, v33
	v_cmp_ne_u32_e64 s[22:23], s73, v32
                                        ; implicit-def: $vgpr32
	s_and_saveexec_b64 s[28:29], s[22:23]
	s_xor_b64 s[22:23], exec, s[28:29]
; %bb.1926:                             ;   in Loop: Header=BB24_1877 Depth=4
	v_bfe_u32 v32, v33, 16, 1
	v_add3_u32 v32, v33, v32, s62
                                        ; implicit-def: $vgpr33
; %bb.1927:                             ;   in Loop: Header=BB24_1877 Depth=4
	s_andn2_saveexec_b64 s[28:29], s[22:23]
; %bb.1928:                             ;   in Loop: Header=BB24_1877 Depth=4
	v_or_b32_e32 v32, 0x10000, v33
	v_cmp_eq_u32_sdwa s[22:23], v33, v3 src0_sel:WORD_0 src1_sel:DWORD
	s_nop 1
	v_cndmask_b32_e64 v32, v32, v33, s[22:23]
; %bb.1929:                             ;   in Loop: Header=BB24_1877 Depth=4
	s_or_b64 exec, exec, s[28:29]
	v_and_b32_e32 v26, 0xffff0000, v26
	v_and_b32_e32 v33, 0xffff0000, v34
	v_max_f32_e32 v33, v33, v33
	v_max_f32_e32 v26, v26, v26
	v_min_f32_e32 v34, v26, v33
	v_max_f32_e32 v26, v26, v33
	v_cndmask_b32_e32 v33, v26, v34, vcc
	v_and_b32_e32 v26, 0x7f800000, v33
	v_cmp_ne_u32_e64 s[22:23], s73, v26
                                        ; implicit-def: $vgpr26
	s_and_saveexec_b64 s[28:29], s[22:23]
	s_xor_b64 s[22:23], exec, s[28:29]
; %bb.1930:                             ;   in Loop: Header=BB24_1877 Depth=4
	v_bfe_u32 v26, v33, 16, 1
	v_add3_u32 v26, v33, v26, s62
                                        ; implicit-def: $vgpr33
; %bb.1931:                             ;   in Loop: Header=BB24_1877 Depth=4
	s_andn2_saveexec_b64 s[28:29], s[22:23]
; %bb.1932:                             ;   in Loop: Header=BB24_1877 Depth=4
	v_or_b32_e32 v26, 0x10000, v33
	v_cmp_eq_u32_sdwa s[22:23], v33, v3 src0_sel:WORD_0 src1_sel:DWORD
	s_nop 1
	v_cndmask_b32_e64 v26, v26, v33, s[22:23]
; %bb.1933:                             ;   in Loop: Header=BB24_1877 Depth=4
	s_or_b64 exec, exec, s[28:29]
	v_lshlrev_b32_e32 v33, 16, v27
	v_lshlrev_b32_e32 v34, 16, v35
	v_max_f32_e32 v34, v34, v34
	v_max_f32_e32 v33, v33, v33
	v_min_f32_e32 v38, v33, v34
	v_max_f32_e32 v33, v33, v34
	v_cndmask_b32_e32 v34, v33, v38, vcc
	v_and_b32_e32 v33, 0x7f800000, v34
	v_cmp_ne_u32_e64 s[22:23], s73, v33
                                        ; implicit-def: $vgpr33
	s_and_saveexec_b64 s[28:29], s[22:23]
	s_xor_b64 s[22:23], exec, s[28:29]
; %bb.1934:                             ;   in Loop: Header=BB24_1877 Depth=4
	v_bfe_u32 v33, v34, 16, 1
	v_add3_u32 v33, v34, v33, s62
                                        ; implicit-def: $vgpr34
; %bb.1935:                             ;   in Loop: Header=BB24_1877 Depth=4
	s_andn2_saveexec_b64 s[28:29], s[22:23]
; %bb.1936:                             ;   in Loop: Header=BB24_1877 Depth=4
	v_or_b32_e32 v33, 0x10000, v34
	v_cmp_eq_u32_sdwa s[22:23], v34, v3 src0_sel:WORD_0 src1_sel:DWORD
	s_nop 1
	v_cndmask_b32_e64 v33, v33, v34, s[22:23]
; %bb.1937:                             ;   in Loop: Header=BB24_1877 Depth=4
	s_or_b64 exec, exec, s[28:29]
	v_and_b32_e32 v27, 0xffff0000, v27
	v_and_b32_e32 v34, 0xffff0000, v35
	v_max_f32_e32 v34, v34, v34
	v_max_f32_e32 v27, v27, v27
	v_min_f32_e32 v35, v27, v34
	v_max_f32_e32 v27, v27, v34
	v_cndmask_b32_e32 v34, v27, v35, vcc
	v_and_b32_e32 v27, 0x7f800000, v34
	v_cmp_ne_u32_e64 s[22:23], s73, v27
                                        ; implicit-def: $vgpr27
	s_and_saveexec_b64 s[28:29], s[22:23]
	s_xor_b64 s[22:23], exec, s[28:29]
; %bb.1938:                             ;   in Loop: Header=BB24_1877 Depth=4
	v_bfe_u32 v27, v34, 16, 1
	v_add3_u32 v27, v34, v27, s62
                                        ; implicit-def: $vgpr34
; %bb.1939:                             ;   in Loop: Header=BB24_1877 Depth=4
	s_andn2_saveexec_b64 s[28:29], s[22:23]
; %bb.1940:                             ;   in Loop: Header=BB24_1877 Depth=4
	v_or_b32_e32 v27, 0x10000, v34
	v_cmp_eq_u32_sdwa s[22:23], v34, v3 src0_sel:WORD_0 src1_sel:DWORD
	s_nop 1
	v_cndmask_b32_e64 v27, v27, v34, s[22:23]
; %bb.1941:                             ;   in Loop: Header=BB24_1877 Depth=4
	s_or_b64 exec, exec, s[28:29]
	v_lshrrev_b32_e32 v24, 16, v24
	v_lshrrev_b32_e32 v4, 16, v4
	v_and_or_b32 v25, v25, s63, v24
	v_and_or_b32 v24, v5, s63, v4
	v_lshrrev_b32_e32 v4, 16, v32
	v_and_or_b32 v26, v26, s63, v4
	v_lshrrev_b32_e32 v4, 16, v33
	v_and_or_b32 v27, v27, s63, v4
	s_waitcnt vmcnt(4)
	v_lshlrev_b32_e32 v4, 16, v16
	s_waitcnt vmcnt(3)
	v_lshlrev_b32_e32 v5, 16, v20
	v_max_f32_e32 v5, v5, v5
	v_max_f32_e32 v4, v4, v4
	global_store_dwordx4 v[36:37], v[24:27], off offset:-2048
	s_nop 1
	v_min_f32_e32 v24, v4, v5
	v_max_f32_e32 v4, v4, v5
	v_cndmask_b32_e32 v5, v4, v24, vcc
	v_and_b32_e32 v4, 0x7f800000, v5
	v_cmp_ne_u32_e64 s[22:23], s73, v4
                                        ; implicit-def: $vgpr4
	s_and_saveexec_b64 s[28:29], s[22:23]
	s_xor_b64 s[22:23], exec, s[28:29]
; %bb.1942:                             ;   in Loop: Header=BB24_1877 Depth=4
	v_bfe_u32 v4, v5, 16, 1
	v_add3_u32 v4, v5, v4, s62
                                        ; implicit-def: $vgpr5
; %bb.1943:                             ;   in Loop: Header=BB24_1877 Depth=4
	s_andn2_saveexec_b64 s[28:29], s[22:23]
; %bb.1944:                             ;   in Loop: Header=BB24_1877 Depth=4
	v_or_b32_e32 v4, 0x10000, v5
	v_cmp_eq_u32_sdwa s[22:23], v5, v3 src0_sel:WORD_0 src1_sel:DWORD
	s_nop 1
	v_cndmask_b32_e64 v4, v4, v5, s[22:23]
; %bb.1945:                             ;   in Loop: Header=BB24_1877 Depth=4
	s_or_b64 exec, exec, s[28:29]
	v_and_b32_e32 v5, 0xffff0000, v16
	v_and_b32_e32 v16, 0xffff0000, v20
	v_max_f32_e32 v16, v16, v16
	v_max_f32_e32 v5, v5, v5
	v_min_f32_e32 v20, v5, v16
	v_max_f32_e32 v5, v5, v16
	v_cndmask_b32_e32 v16, v5, v20, vcc
	v_and_b32_e32 v5, 0x7f800000, v16
	v_cmp_ne_u32_e64 s[22:23], s73, v5
                                        ; implicit-def: $vgpr5
	s_and_saveexec_b64 s[28:29], s[22:23]
	s_xor_b64 s[22:23], exec, s[28:29]
; %bb.1946:                             ;   in Loop: Header=BB24_1877 Depth=4
	v_bfe_u32 v5, v16, 16, 1
	v_add3_u32 v5, v16, v5, s62
                                        ; implicit-def: $vgpr16
; %bb.1947:                             ;   in Loop: Header=BB24_1877 Depth=4
	s_andn2_saveexec_b64 s[28:29], s[22:23]
; %bb.1948:                             ;   in Loop: Header=BB24_1877 Depth=4
	v_or_b32_e32 v5, 0x10000, v16
	v_cmp_eq_u32_sdwa s[22:23], v16, v3 src0_sel:WORD_0 src1_sel:DWORD
	s_nop 1
	v_cndmask_b32_e64 v5, v5, v16, s[22:23]
; %bb.1949:                             ;   in Loop: Header=BB24_1877 Depth=4
	s_or_b64 exec, exec, s[28:29]
	v_lshlrev_b32_e32 v16, 16, v17
	v_lshlrev_b32_e32 v20, 16, v21
	v_max_f32_e32 v20, v20, v20
	v_max_f32_e32 v16, v16, v16
	v_min_f32_e32 v24, v16, v20
	v_max_f32_e32 v16, v16, v20
	v_cndmask_b32_e32 v20, v16, v24, vcc
	v_and_b32_e32 v16, 0x7f800000, v20
	v_cmp_ne_u32_e64 s[22:23], s73, v16
                                        ; implicit-def: $vgpr16
	s_and_saveexec_b64 s[28:29], s[22:23]
	s_xor_b64 s[22:23], exec, s[28:29]
; %bb.1950:                             ;   in Loop: Header=BB24_1877 Depth=4
	v_bfe_u32 v16, v20, 16, 1
	v_add3_u32 v16, v20, v16, s62
                                        ; implicit-def: $vgpr20
; %bb.1951:                             ;   in Loop: Header=BB24_1877 Depth=4
	s_andn2_saveexec_b64 s[28:29], s[22:23]
; %bb.1952:                             ;   in Loop: Header=BB24_1877 Depth=4
	v_or_b32_e32 v16, 0x10000, v20
	v_cmp_eq_u32_sdwa s[22:23], v20, v3 src0_sel:WORD_0 src1_sel:DWORD
	s_nop 1
	v_cndmask_b32_e64 v16, v16, v20, s[22:23]
; %bb.1953:                             ;   in Loop: Header=BB24_1877 Depth=4
	s_or_b64 exec, exec, s[28:29]
	v_and_b32_e32 v17, 0xffff0000, v17
	v_and_b32_e32 v20, 0xffff0000, v21
	v_max_f32_e32 v20, v20, v20
	v_max_f32_e32 v17, v17, v17
	v_min_f32_e32 v21, v17, v20
	v_max_f32_e32 v17, v17, v20
	v_cndmask_b32_e32 v20, v17, v21, vcc
	v_and_b32_e32 v17, 0x7f800000, v20
	v_cmp_ne_u32_e64 s[22:23], s73, v17
                                        ; implicit-def: $vgpr17
	s_and_saveexec_b64 s[28:29], s[22:23]
	s_xor_b64 s[22:23], exec, s[28:29]
; %bb.1954:                             ;   in Loop: Header=BB24_1877 Depth=4
	v_bfe_u32 v17, v20, 16, 1
	v_add3_u32 v17, v20, v17, s62
                                        ; implicit-def: $vgpr20
; %bb.1955:                             ;   in Loop: Header=BB24_1877 Depth=4
	s_andn2_saveexec_b64 s[28:29], s[22:23]
; %bb.1956:                             ;   in Loop: Header=BB24_1877 Depth=4
	v_or_b32_e32 v17, 0x10000, v20
	v_cmp_eq_u32_sdwa s[22:23], v20, v3 src0_sel:WORD_0 src1_sel:DWORD
	s_nop 1
	v_cndmask_b32_e64 v17, v17, v20, s[22:23]
; %bb.1957:                             ;   in Loop: Header=BB24_1877 Depth=4
	s_or_b64 exec, exec, s[28:29]
	v_lshlrev_b32_e32 v20, 16, v18
	v_lshlrev_b32_e32 v21, 16, v22
	v_max_f32_e32 v21, v21, v21
	v_max_f32_e32 v20, v20, v20
	v_min_f32_e32 v24, v20, v21
	v_max_f32_e32 v20, v20, v21
	v_cndmask_b32_e32 v21, v20, v24, vcc
	v_and_b32_e32 v20, 0x7f800000, v21
	v_cmp_ne_u32_e64 s[22:23], s73, v20
                                        ; implicit-def: $vgpr20
	s_and_saveexec_b64 s[28:29], s[22:23]
	s_xor_b64 s[22:23], exec, s[28:29]
; %bb.1958:                             ;   in Loop: Header=BB24_1877 Depth=4
	v_bfe_u32 v20, v21, 16, 1
	v_add3_u32 v20, v21, v20, s62
                                        ; implicit-def: $vgpr21
; %bb.1959:                             ;   in Loop: Header=BB24_1877 Depth=4
	s_andn2_saveexec_b64 s[28:29], s[22:23]
; %bb.1960:                             ;   in Loop: Header=BB24_1877 Depth=4
	v_or_b32_e32 v20, 0x10000, v21
	v_cmp_eq_u32_sdwa s[22:23], v21, v3 src0_sel:WORD_0 src1_sel:DWORD
	s_nop 1
	v_cndmask_b32_e64 v20, v20, v21, s[22:23]
; %bb.1961:                             ;   in Loop: Header=BB24_1877 Depth=4
	s_or_b64 exec, exec, s[28:29]
	v_and_b32_e32 v18, 0xffff0000, v18
	v_and_b32_e32 v21, 0xffff0000, v22
	v_max_f32_e32 v21, v21, v21
	v_max_f32_e32 v18, v18, v18
	v_min_f32_e32 v22, v18, v21
	v_max_f32_e32 v18, v18, v21
	v_cndmask_b32_e32 v21, v18, v22, vcc
	v_and_b32_e32 v18, 0x7f800000, v21
	v_cmp_ne_u32_e64 s[22:23], s73, v18
                                        ; implicit-def: $vgpr18
	s_and_saveexec_b64 s[28:29], s[22:23]
	s_xor_b64 s[22:23], exec, s[28:29]
; %bb.1962:                             ;   in Loop: Header=BB24_1877 Depth=4
	v_bfe_u32 v18, v21, 16, 1
	v_add3_u32 v18, v21, v18, s62
                                        ; implicit-def: $vgpr21
; %bb.1963:                             ;   in Loop: Header=BB24_1877 Depth=4
	s_andn2_saveexec_b64 s[28:29], s[22:23]
; %bb.1964:                             ;   in Loop: Header=BB24_1877 Depth=4
	v_or_b32_e32 v18, 0x10000, v21
	v_cmp_eq_u32_sdwa s[22:23], v21, v3 src0_sel:WORD_0 src1_sel:DWORD
	s_nop 1
	v_cndmask_b32_e64 v18, v18, v21, s[22:23]
; %bb.1965:                             ;   in Loop: Header=BB24_1877 Depth=4
	s_or_b64 exec, exec, s[28:29]
	v_lshlrev_b32_e32 v21, 16, v19
	v_lshlrev_b32_e32 v22, 16, v23
	v_max_f32_e32 v22, v22, v22
	v_max_f32_e32 v21, v21, v21
	v_min_f32_e32 v24, v21, v22
	v_max_f32_e32 v21, v21, v22
	v_cndmask_b32_e32 v22, v21, v24, vcc
	v_and_b32_e32 v21, 0x7f800000, v22
	v_cmp_ne_u32_e64 s[22:23], s73, v21
                                        ; implicit-def: $vgpr21
	s_and_saveexec_b64 s[28:29], s[22:23]
	s_xor_b64 s[22:23], exec, s[28:29]
; %bb.1966:                             ;   in Loop: Header=BB24_1877 Depth=4
	v_bfe_u32 v21, v22, 16, 1
	v_add3_u32 v21, v22, v21, s62
                                        ; implicit-def: $vgpr22
; %bb.1967:                             ;   in Loop: Header=BB24_1877 Depth=4
	s_andn2_saveexec_b64 s[28:29], s[22:23]
; %bb.1968:                             ;   in Loop: Header=BB24_1877 Depth=4
	v_or_b32_e32 v21, 0x10000, v22
	v_cmp_eq_u32_sdwa s[22:23], v22, v3 src0_sel:WORD_0 src1_sel:DWORD
	s_nop 1
	v_cndmask_b32_e64 v21, v21, v22, s[22:23]
; %bb.1969:                             ;   in Loop: Header=BB24_1877 Depth=4
	s_or_b64 exec, exec, s[28:29]
	v_and_b32_e32 v19, 0xffff0000, v19
	v_and_b32_e32 v22, 0xffff0000, v23
	v_max_f32_e32 v22, v22, v22
	v_max_f32_e32 v19, v19, v19
	v_min_f32_e32 v23, v19, v22
	v_max_f32_e32 v19, v19, v22
	v_cndmask_b32_e32 v22, v19, v23, vcc
	v_and_b32_e32 v19, 0x7f800000, v22
	v_cmp_ne_u32_e64 s[22:23], s73, v19
                                        ; implicit-def: $vgpr19
	s_and_saveexec_b64 s[28:29], s[22:23]
	s_xor_b64 s[22:23], exec, s[28:29]
; %bb.1970:                             ;   in Loop: Header=BB24_1877 Depth=4
	v_bfe_u32 v19, v22, 16, 1
	v_add3_u32 v19, v22, v19, s62
                                        ; implicit-def: $vgpr22
; %bb.1971:                             ;   in Loop: Header=BB24_1877 Depth=4
	s_andn2_saveexec_b64 s[28:29], s[22:23]
; %bb.1972:                             ;   in Loop: Header=BB24_1877 Depth=4
	v_or_b32_e32 v19, 0x10000, v22
	v_cmp_eq_u32_sdwa s[22:23], v22, v3 src0_sel:WORD_0 src1_sel:DWORD
	s_nop 1
	v_cndmask_b32_e64 v19, v19, v22, s[22:23]
; %bb.1973:                             ;   in Loop: Header=BB24_1877 Depth=4
	s_or_b64 exec, exec, s[28:29]
	v_lshrrev_b32_e32 v16, 16, v16
	v_lshrrev_b32_e32 v4, 16, v4
	v_and_or_b32 v17, v17, s63, v16
	v_and_or_b32 v16, v5, s63, v4
	v_lshrrev_b32_e32 v4, 16, v20
	v_and_or_b32 v18, v18, s63, v4
	v_lshrrev_b32_e32 v4, 16, v21
	v_and_or_b32 v19, v19, s63, v4
	s_waitcnt vmcnt(3)
	v_lshlrev_b32_e32 v4, 16, v8
	s_waitcnt vmcnt(2)
	v_lshlrev_b32_e32 v5, 16, v12
	v_max_f32_e32 v5, v5, v5
	v_max_f32_e32 v4, v4, v4
	global_store_dwordx4 v[36:37], v[16:19], off offset:-1024
	s_nop 1
	v_min_f32_e32 v16, v4, v5
	v_max_f32_e32 v4, v4, v5
	v_cndmask_b32_e32 v5, v4, v16, vcc
	v_and_b32_e32 v4, 0x7f800000, v5
	v_cmp_ne_u32_e64 s[22:23], s73, v4
                                        ; implicit-def: $vgpr4
	s_and_saveexec_b64 s[28:29], s[22:23]
	s_xor_b64 s[22:23], exec, s[28:29]
; %bb.1974:                             ;   in Loop: Header=BB24_1877 Depth=4
	v_bfe_u32 v4, v5, 16, 1
	v_add3_u32 v4, v5, v4, s62
                                        ; implicit-def: $vgpr5
; %bb.1975:                             ;   in Loop: Header=BB24_1877 Depth=4
	s_andn2_saveexec_b64 s[28:29], s[22:23]
; %bb.1976:                             ;   in Loop: Header=BB24_1877 Depth=4
	v_or_b32_e32 v4, 0x10000, v5
	v_cmp_eq_u32_sdwa s[22:23], v5, v3 src0_sel:WORD_0 src1_sel:DWORD
	s_nop 1
	v_cndmask_b32_e64 v4, v4, v5, s[22:23]
; %bb.1977:                             ;   in Loop: Header=BB24_1877 Depth=4
	s_or_b64 exec, exec, s[28:29]
	v_and_b32_e32 v5, 0xffff0000, v8
	v_and_b32_e32 v8, 0xffff0000, v12
	v_max_f32_e32 v8, v8, v8
	v_max_f32_e32 v5, v5, v5
	v_min_f32_e32 v12, v5, v8
	v_max_f32_e32 v5, v5, v8
	v_cndmask_b32_e32 v8, v5, v12, vcc
	v_and_b32_e32 v5, 0x7f800000, v8
	v_cmp_ne_u32_e64 s[22:23], s73, v5
                                        ; implicit-def: $vgpr5
	s_and_saveexec_b64 s[28:29], s[22:23]
	s_xor_b64 s[22:23], exec, s[28:29]
; %bb.1978:                             ;   in Loop: Header=BB24_1877 Depth=4
	v_bfe_u32 v5, v8, 16, 1
	v_add3_u32 v5, v8, v5, s62
                                        ; implicit-def: $vgpr8
; %bb.1979:                             ;   in Loop: Header=BB24_1877 Depth=4
	s_andn2_saveexec_b64 s[28:29], s[22:23]
; %bb.1980:                             ;   in Loop: Header=BB24_1877 Depth=4
	v_or_b32_e32 v5, 0x10000, v8
	v_cmp_eq_u32_sdwa s[22:23], v8, v3 src0_sel:WORD_0 src1_sel:DWORD
	s_nop 1
	v_cndmask_b32_e64 v5, v5, v8, s[22:23]
; %bb.1981:                             ;   in Loop: Header=BB24_1877 Depth=4
	s_or_b64 exec, exec, s[28:29]
	v_lshlrev_b32_e32 v8, 16, v9
	v_lshlrev_b32_e32 v12, 16, v13
	v_max_f32_e32 v12, v12, v12
	v_max_f32_e32 v8, v8, v8
	v_min_f32_e32 v16, v8, v12
	v_max_f32_e32 v8, v8, v12
	v_cndmask_b32_e32 v12, v8, v16, vcc
	v_and_b32_e32 v8, 0x7f800000, v12
	v_cmp_ne_u32_e64 s[22:23], s73, v8
                                        ; implicit-def: $vgpr8
	s_and_saveexec_b64 s[28:29], s[22:23]
	s_xor_b64 s[22:23], exec, s[28:29]
; %bb.1982:                             ;   in Loop: Header=BB24_1877 Depth=4
	v_bfe_u32 v8, v12, 16, 1
	v_add3_u32 v8, v12, v8, s62
                                        ; implicit-def: $vgpr12
; %bb.1983:                             ;   in Loop: Header=BB24_1877 Depth=4
	s_andn2_saveexec_b64 s[28:29], s[22:23]
; %bb.1984:                             ;   in Loop: Header=BB24_1877 Depth=4
	v_or_b32_e32 v8, 0x10000, v12
	v_cmp_eq_u32_sdwa s[22:23], v12, v3 src0_sel:WORD_0 src1_sel:DWORD
	s_nop 1
	v_cndmask_b32_e64 v8, v8, v12, s[22:23]
; %bb.1985:                             ;   in Loop: Header=BB24_1877 Depth=4
	s_or_b64 exec, exec, s[28:29]
	v_and_b32_e32 v9, 0xffff0000, v9
	v_and_b32_e32 v12, 0xffff0000, v13
	v_max_f32_e32 v12, v12, v12
	v_max_f32_e32 v9, v9, v9
	v_min_f32_e32 v13, v9, v12
	v_max_f32_e32 v9, v9, v12
	v_cndmask_b32_e32 v12, v9, v13, vcc
	v_and_b32_e32 v9, 0x7f800000, v12
	v_cmp_ne_u32_e64 s[22:23], s73, v9
                                        ; implicit-def: $vgpr9
	s_and_saveexec_b64 s[28:29], s[22:23]
	s_xor_b64 s[22:23], exec, s[28:29]
; %bb.1986:                             ;   in Loop: Header=BB24_1877 Depth=4
	v_bfe_u32 v9, v12, 16, 1
	v_add3_u32 v9, v12, v9, s62
                                        ; implicit-def: $vgpr12
; %bb.1987:                             ;   in Loop: Header=BB24_1877 Depth=4
	s_andn2_saveexec_b64 s[28:29], s[22:23]
; %bb.1988:                             ;   in Loop: Header=BB24_1877 Depth=4
	v_or_b32_e32 v9, 0x10000, v12
	v_cmp_eq_u32_sdwa s[22:23], v12, v3 src0_sel:WORD_0 src1_sel:DWORD
	s_nop 1
	v_cndmask_b32_e64 v9, v9, v12, s[22:23]
; %bb.1989:                             ;   in Loop: Header=BB24_1877 Depth=4
	s_or_b64 exec, exec, s[28:29]
	v_lshlrev_b32_e32 v12, 16, v10
	v_lshlrev_b32_e32 v13, 16, v14
	v_max_f32_e32 v13, v13, v13
	v_max_f32_e32 v12, v12, v12
	v_min_f32_e32 v16, v12, v13
	v_max_f32_e32 v12, v12, v13
	v_cndmask_b32_e32 v13, v12, v16, vcc
	v_and_b32_e32 v12, 0x7f800000, v13
	v_cmp_ne_u32_e64 s[22:23], s73, v12
                                        ; implicit-def: $vgpr12
	s_and_saveexec_b64 s[28:29], s[22:23]
	s_xor_b64 s[22:23], exec, s[28:29]
; %bb.1990:                             ;   in Loop: Header=BB24_1877 Depth=4
	v_bfe_u32 v12, v13, 16, 1
	v_add3_u32 v12, v13, v12, s62
                                        ; implicit-def: $vgpr13
; %bb.1991:                             ;   in Loop: Header=BB24_1877 Depth=4
	s_andn2_saveexec_b64 s[28:29], s[22:23]
; %bb.1992:                             ;   in Loop: Header=BB24_1877 Depth=4
	v_or_b32_e32 v12, 0x10000, v13
	v_cmp_eq_u32_sdwa s[22:23], v13, v3 src0_sel:WORD_0 src1_sel:DWORD
	s_nop 1
	v_cndmask_b32_e64 v12, v12, v13, s[22:23]
; %bb.1993:                             ;   in Loop: Header=BB24_1877 Depth=4
	s_or_b64 exec, exec, s[28:29]
	v_and_b32_e32 v10, 0xffff0000, v10
	v_and_b32_e32 v13, 0xffff0000, v14
	v_max_f32_e32 v13, v13, v13
	v_max_f32_e32 v10, v10, v10
	v_min_f32_e32 v14, v10, v13
	v_max_f32_e32 v10, v10, v13
	v_cndmask_b32_e32 v13, v10, v14, vcc
	v_and_b32_e32 v10, 0x7f800000, v13
	v_cmp_ne_u32_e64 s[22:23], s73, v10
                                        ; implicit-def: $vgpr10
	s_and_saveexec_b64 s[28:29], s[22:23]
	s_xor_b64 s[22:23], exec, s[28:29]
; %bb.1994:                             ;   in Loop: Header=BB24_1877 Depth=4
	v_bfe_u32 v10, v13, 16, 1
	v_add3_u32 v10, v13, v10, s62
                                        ; implicit-def: $vgpr13
; %bb.1995:                             ;   in Loop: Header=BB24_1877 Depth=4
	s_andn2_saveexec_b64 s[28:29], s[22:23]
; %bb.1996:                             ;   in Loop: Header=BB24_1877 Depth=4
	v_or_b32_e32 v10, 0x10000, v13
	v_cmp_eq_u32_sdwa s[22:23], v13, v3 src0_sel:WORD_0 src1_sel:DWORD
	s_nop 1
	v_cndmask_b32_e64 v10, v10, v13, s[22:23]
; %bb.1997:                             ;   in Loop: Header=BB24_1877 Depth=4
	s_or_b64 exec, exec, s[28:29]
	v_lshlrev_b32_e32 v13, 16, v11
	v_lshlrev_b32_e32 v14, 16, v15
	v_max_f32_e32 v14, v14, v14
	v_max_f32_e32 v13, v13, v13
	v_min_f32_e32 v16, v13, v14
	v_max_f32_e32 v13, v13, v14
	v_cndmask_b32_e32 v14, v13, v16, vcc
	v_and_b32_e32 v13, 0x7f800000, v14
	v_cmp_ne_u32_e64 s[22:23], s73, v13
                                        ; implicit-def: $vgpr13
	s_and_saveexec_b64 s[28:29], s[22:23]
	s_xor_b64 s[22:23], exec, s[28:29]
; %bb.1998:                             ;   in Loop: Header=BB24_1877 Depth=4
	v_bfe_u32 v13, v14, 16, 1
	v_add3_u32 v13, v14, v13, s62
                                        ; implicit-def: $vgpr14
; %bb.1999:                             ;   in Loop: Header=BB24_1877 Depth=4
	s_andn2_saveexec_b64 s[28:29], s[22:23]
; %bb.2000:                             ;   in Loop: Header=BB24_1877 Depth=4
	v_or_b32_e32 v13, 0x10000, v14
	v_cmp_eq_u32_sdwa s[22:23], v14, v3 src0_sel:WORD_0 src1_sel:DWORD
	s_nop 1
	v_cndmask_b32_e64 v13, v13, v14, s[22:23]
; %bb.2001:                             ;   in Loop: Header=BB24_1877 Depth=4
	s_or_b64 exec, exec, s[28:29]
	v_and_b32_e32 v11, 0xffff0000, v11
	v_and_b32_e32 v14, 0xffff0000, v15
	v_max_f32_e32 v14, v14, v14
	v_max_f32_e32 v11, v11, v11
	v_min_f32_e32 v15, v11, v14
	v_max_f32_e32 v11, v11, v14
	v_cndmask_b32_e32 v14, v11, v15, vcc
	v_and_b32_e32 v11, 0x7f800000, v14
	v_cmp_ne_u32_e64 s[22:23], s73, v11
                                        ; implicit-def: $vgpr11
	s_and_saveexec_b64 s[28:29], s[22:23]
	s_xor_b64 s[22:23], exec, s[28:29]
; %bb.2002:                             ;   in Loop: Header=BB24_1877 Depth=4
	v_bfe_u32 v11, v14, 16, 1
	v_add3_u32 v11, v14, v11, s62
                                        ; implicit-def: $vgpr14
; %bb.2003:                             ;   in Loop: Header=BB24_1877 Depth=4
	s_andn2_saveexec_b64 s[28:29], s[22:23]
	s_cbranch_execz .LBB24_1876
; %bb.2004:                             ;   in Loop: Header=BB24_1877 Depth=4
	v_or_b32_e32 v11, 0x10000, v14
	v_cmp_eq_u32_sdwa s[22:23], v14, v3 src0_sel:WORD_0 src1_sel:DWORD
	s_nop 1
	v_cndmask_b32_e64 v11, v11, v14, s[22:23]
	s_branch .LBB24_1876
.LBB24_2005:                            ;   in Loop: Header=BB24_1666 Depth=3
	s_or_b64 exec, exec, s[26:27]
.LBB24_2006:                            ;   in Loop: Header=BB24_1666 Depth=3
	s_or_b64 exec, exec, s[24:25]
	v_lshlrev_b32_e32 v12, 12, v93
	v_cmp_ne_u32_e32 vcc, v2, v12
	s_mov_b64 s[22:23], 0
	v_mov_b32_e32 v14, 0
                                        ; implicit-def: $vgpr13
	s_and_saveexec_b64 s[54:55], vcc
	s_cbranch_execz .LBB24_2012
; %bb.2007:                             ;   in Loop: Header=BB24_1666 Depth=3
	v_lshlrev_b32_e32 v4, 6, v91
	v_sub_u32_e32 v4, v123, v4
	v_ashrrev_i32_e32 v8, 31, v4
	v_lshrrev_b32_e32 v8, 26, v8
	v_add_u32_e32 v8, v4, v8
	v_sub_u32_e32 v5, v2, v12
	v_ashrrev_i32_e32 v9, 6, v8
	v_and_b32_e32 v8, 0xffffffc0, v8
	v_sub_u32_e32 v13, v4, v8
	v_ashrrev_i32_e32 v8, 31, v5
	v_lshrrev_b32_e32 v8, 22, v8
	v_add_u32_e32 v8, v5, v8
	v_and_b32_e32 v14, 0xfffffc00, v8
	v_lshlrev_b32_e32 v4, 4, v13
	v_sub_u32_e32 v15, v5, v14
	v_lshl_add_u32 v4, v9, 10, v4
	v_ashrrev_i32_e32 v10, 10, v8
	v_cmp_lt_i32_e32 vcc, 15, v15
	v_sub_u32_e32 v17, v5, v4
	s_nop 0
	v_addc_co_u32_e64 v5, s[22:23], 0, v10, vcc
	v_sub_u32_e32 v16, v5, v9
	v_cmp_lt_i32_e64 s[22:23], 15, v17
	s_and_saveexec_b64 s[64:65], s[22:23]
	s_cbranch_execz .LBB24_2011
; %bb.2008:                             ;   in Loop: Header=BB24_1666 Depth=3
	s_and_b32 s74, s68, 1
	v_add_u32_e32 v8, v4, v12
	s_cmp_eq_u64 s[74:75], 0
	v_ashrrev_i32_e32 v9, 31, v8
	s_mov_b64 s[66:67], 0
	s_cselect_b64 s[22:23], -1, 0
.LBB24_2009:                            ;   Parent Loop BB24_47 Depth=1
                                        ;     Parent Loop BB24_1663 Depth=2
                                        ;       Parent Loop BB24_1666 Depth=3
                                        ; =>      This Inner Loop Header: Depth=4
	v_lshl_add_u64 v[4:5], v[104:105], 0, v[8:9]
	global_load_dwordx4 v[18:21], v[4:5], off nt
	global_load_dwordx4 v[22:25], v[8:9], off nt
	v_sub_u32_e32 v17, v17, v100
	v_lshl_add_u64 v[10:11], v[106:107], 0, v[8:9]
	v_lshl_add_u64 v[8:9], v[8:9], 0, v[100:101]
	v_sub_u32_e32 v16, v16, v84
	s_waitcnt vmcnt(0)
	v_and_b32_e32 v4, 0xffff0000, v18
	v_and_b32_e32 v5, 0xffff0000, v22
	v_lshlrev_b32_e32 v18, 16, v18
	v_lshlrev_b32_e32 v22, 16, v22
	v_max_f32_e32 v22, v22, v22
	v_max_f32_e32 v18, v18, v18
	s_waitcnt lgkmcnt(0)
	v_min_f32_e32 v26, v18, v22
	v_max_f32_e32 v18, v18, v22
	v_cndmask_b32_e64 v18, v18, v26, s[22:23]
	v_and_b32_e32 v22, 0x7f800000, v18
	v_cmp_eq_u32_e64 s[24:25], s73, v22
	v_bfe_u32 v22, v18, 16, 1
	v_cmp_eq_u32_sdwa s[26:27], v18, v3 src0_sel:WORD_0 src1_sel:DWORD
	v_or_b32_e32 v26, 0x10000, v18
	v_max_f32_e32 v5, v5, v5
	v_max_f32_e32 v4, v4, v4
	v_add3_u32 v22, v18, v22, s62
	v_cndmask_b32_e64 v18, v26, v18, s[26:27]
	v_min_f32_e32 v26, v4, v5
	v_max_f32_e32 v4, v4, v5
	v_cndmask_b32_e64 v4, v4, v26, s[22:23]
	v_and_b32_e32 v5, 0x7f800000, v4
	v_cmp_eq_u32_e64 s[26:27], s73, v5
	v_bfe_u32 v5, v4, 16, 1
	v_cmp_eq_u32_sdwa s[28:29], v4, v3 src0_sel:WORD_0 src1_sel:DWORD
	v_or_b32_e32 v26, 0x10000, v4
	v_add3_u32 v5, v4, v5, s62
	v_cndmask_b32_e64 v4, v26, v4, s[28:29]
	v_and_b32_e32 v26, 0xffff0000, v19
	v_and_b32_e32 v27, 0xffff0000, v23
	v_lshlrev_b32_e32 v19, 16, v19
	v_lshlrev_b32_e32 v23, 16, v23
	v_max_f32_e32 v23, v23, v23
	v_max_f32_e32 v19, v19, v19
	v_min_f32_e32 v32, v19, v23
	v_max_f32_e32 v19, v19, v23
	v_cndmask_b32_e64 v19, v19, v32, s[22:23]
	v_and_b32_e32 v23, 0x7f800000, v19
	v_cmp_eq_u32_e64 s[28:29], s73, v23
	v_bfe_u32 v23, v19, 16, 1
	v_cmp_eq_u32_sdwa s[40:41], v19, v3 src0_sel:WORD_0 src1_sel:DWORD
	v_or_b32_e32 v32, 0x10000, v19
	v_max_f32_e32 v27, v27, v27
	v_max_f32_e32 v26, v26, v26
	v_add3_u32 v23, v19, v23, s62
	v_cndmask_b32_e64 v19, v32, v19, s[40:41]
	v_min_f32_e32 v32, v26, v27
	v_max_f32_e32 v26, v26, v27
	v_cndmask_b32_e64 v26, v26, v32, s[22:23]
	v_and_b32_e32 v27, 0x7f800000, v26
	v_cmp_eq_u32_e64 s[40:41], s73, v27
	v_bfe_u32 v27, v26, 16, 1
	v_cmp_eq_u32_sdwa s[42:43], v26, v3 src0_sel:WORD_0 src1_sel:DWORD
	v_or_b32_e32 v32, 0x10000, v26
	v_add3_u32 v27, v26, v27, s62
	v_cndmask_b32_e64 v26, v32, v26, s[42:43]
	v_and_b32_e32 v32, 0xffff0000, v20
	v_and_b32_e32 v33, 0xffff0000, v24
	v_lshlrev_b32_e32 v20, 16, v20
	v_lshlrev_b32_e32 v24, 16, v24
	v_max_f32_e32 v24, v24, v24
	v_max_f32_e32 v20, v20, v20
	;; [unrolled: 28-line block ×3, first 2 shown]
	v_min_f32_e32 v36, v21, v25
	v_max_f32_e32 v21, v21, v25
	v_cndmask_b32_e64 v21, v21, v36, s[22:23]
	v_and_b32_e32 v25, 0x7f800000, v21
	v_cmp_eq_u32_e64 s[46:47], s73, v25
	v_bfe_u32 v25, v21, 16, 1
	v_cmp_eq_u32_sdwa s[56:57], v21, v3 src0_sel:WORD_0 src1_sel:DWORD
	v_or_b32_e32 v36, 0x10000, v21
	v_max_f32_e32 v35, v35, v35
	v_max_f32_e32 v34, v34, v34
	v_add3_u32 v25, v21, v25, s62
	v_cndmask_b32_e64 v21, v36, v21, s[56:57]
	v_min_f32_e32 v36, v34, v35
	v_max_f32_e32 v34, v34, v35
	v_cndmask_b32_e64 v34, v34, v36, s[22:23]
	v_cndmask_b32_e64 v4, v5, v4, s[26:27]
	;; [unrolled: 1-line block ×3, first 2 shown]
	v_and_b32_e32 v35, 0x7f800000, v34
	v_cndmask_b32_e64 v18, v22, v18, s[24:25]
	v_cndmask_b32_e64 v19, v27, v26, s[40:41]
	v_lshrrev_b32_e32 v5, 16, v5
	v_cmp_eq_u32_e64 s[56:57], s73, v35
	v_bfe_u32 v35, v34, 16, 1
	v_cmp_eq_u32_sdwa s[58:59], v34, v3 src0_sel:WORD_0 src1_sel:DWORD
	v_or_b32_e32 v36, 0x10000, v34
	v_cndmask_b32_e64 v20, v24, v20, s[42:43]
	v_and_or_b32 v19, v19, s63, v5
	v_lshrrev_b32_e32 v5, 16, v18
	v_add3_u32 v35, v34, v35, s62
	v_cndmask_b32_e64 v34, v36, v34, s[58:59]
	v_cndmask_b32_e64 v22, v33, v32, s[44:45]
	;; [unrolled: 1-line block ×3, first 2 shown]
	v_and_or_b32 v18, v4, s63, v5
	v_lshrrev_b32_e32 v4, 16, v20
	v_cndmask_b32_e64 v23, v35, v34, s[56:57]
	v_and_or_b32 v20, v22, s63, v4
	v_lshrrev_b32_e32 v4, 16, v21
	v_cmp_gt_i32_e64 s[24:25], 16, v17
	v_and_or_b32 v21, v23, s63, v4
	s_or_b64 s[66:67], s[24:25], s[66:67]
	global_store_dwordx4 v[10:11], v[18:21], off
	s_andn2_b64 exec, exec, s[66:67]
	s_cbranch_execnz .LBB24_2009
; %bb.2010:                             ;   in Loop: Header=BB24_1666 Depth=3
	s_or_b64 exec, exec, s[66:67]
.LBB24_2011:                            ;   in Loop: Header=BB24_1666 Depth=3
	s_or_b64 exec, exec, s[64:65]
	v_and_b32_e32 v2, 14, v2
	v_sub_u32_e32 v4, v15, v2
	v_cndmask_b32_e32 v4, 0, v4, vcc
	v_cndmask_b32_e32 v2, v15, v2, vcc
	v_cmp_lt_i32_e32 vcc, 0, v16
	v_add3_u32 v14, v14, v12, v4
	s_nop 0
	v_cndmask_b32_e32 v4, 0, v84, vcc
	v_sub_u32_e32 v4, v4, v16
	v_cmp_ne_u32_e32 vcc, 0, v2
	v_lshl_add_u32 v13, v4, 6, v13
	s_and_b64 s[22:23], vcc, exec
.LBB24_2012:                            ;   in Loop: Header=BB24_1666 Depth=3
	s_or_b64 exec, exec, s[54:55]
	s_and_saveexec_b64 s[28:29], s[22:23]
	s_cbranch_execz .LBB24_2053
.LBB24_2013:                            ;   in Loop: Header=BB24_1666 Depth=3
	v_ashrrev_i32_e32 v4, 31, v13
	v_ashrrev_i32_e32 v5, 31, v2
	v_lshrrev_b32_e32 v4, 26, v4
	v_lshrrev_b32_e32 v5, 22, v5
	v_add_u32_e32 v4, v13, v4
	v_add_u32_e32 v5, v2, v5
	v_ashrrev_i32_e32 v12, 6, v4
	v_ashrrev_i32_e32 v16, 10, v5
	v_sub_u32_e32 v15, v16, v12
	v_cmp_lt_i32_e32 vcc, 0, v15
	s_and_saveexec_b64 s[40:41], vcc
	s_cbranch_execz .LBB24_2049
; %bb.2014:                             ;   in Loop: Header=BB24_1666 Depth=3
	v_and_b32_e32 v4, 0x7fffffc0, v4
	v_sub_u32_e32 v4, v13, v4
	v_lshlrev_b32_e32 v4, 1, v4
	v_lshlrev_b32_e32 v5, 10, v12
	v_add3_u32 v4, v4, v14, v5
	s_and_b32 s74, s68, 1
	v_ashrrev_i32_e32 v5, 31, v4
	s_cmp_eq_u64 s[74:75], 0
	s_mov_b64 s[42:43], 0
	s_cselect_b64 s[22:23], -1, 0
	v_lshl_add_u64 v[8:9], v[4:5], 0, s[48:49]
	s_branch .LBB24_2016
.LBB24_2015:                            ;   in Loop: Header=BB24_2016 Depth=4
	s_or_b64 exec, exec, s[24:25]
	v_sub_u32_e32 v15, v15, v84
	v_cmp_gt_i32_e32 vcc, 1, v15
	s_or_b64 s[42:43], vcc, s[42:43]
	v_lshl_add_u64 v[8:9], v[8:9], 0, v[46:47]
	flat_store_short_d16_hi v[10:11], v5 nt
	s_andn2_b64 exec, exec, s[42:43]
	s_cbranch_execz .LBB24_2048
.LBB24_2016:                            ;   Parent Loop BB24_47 Depth=1
                                        ;     Parent Loop BB24_1663 Depth=2
                                        ;       Parent Loop BB24_1666 Depth=3
                                        ; =>      This Inner Loop Header: Depth=4
	v_lshl_add_u64 v[4:5], v[104:105], 0, v[8:9]
	v_add_co_u32_e32 v10, vcc, 0xfffffd00, v4
	s_movk_i32 s26, 0xfc80
	s_nop 0
	v_addc_co_u32_e32 v11, vcc, -1, v5, vcc
	s_waitcnt lgkmcnt(0)
	flat_load_ushort v27, v[10:11] nt
	v_add_co_u32_e32 v10, vcc, 0xfffffd00, v8
	s_nop 1
	v_addc_co_u32_e32 v11, vcc, -1, v9, vcc
	flat_load_ushort v32, v[10:11] nt
	v_add_co_u32_e32 v10, vcc, 0xfffffd80, v4
	s_nop 1
	v_addc_co_u32_e32 v11, vcc, -1, v5, vcc
	;; [unrolled: 4-line block ×8, first 2 shown]
	flat_load_ushort v19, v[10:11] nt
	v_add_co_u32_e32 v10, vcc, 0xffffff00, v8
	s_mov_b64 s[24:25], vcc
	v_add_co_u32_e32 v34, vcc, s26, v4
	s_nop 1
	v_addc_co_u32_e32 v35, vcc, -1, v5, vcc
	v_add_co_u32_e32 v36, vcc, s80, v8
	s_mov_b64 s[26:27], vcc
	flat_load_ushort v17, v[34:35] offset:768 nt
	flat_load_ushort v33, v[34:35] nt
	v_add_co_u32_e32 v34, vcc, 0xfffffc80, v8
	s_nop 1
	v_addc_co_u32_e32 v35, vcc, -1, v9, vcc
	flat_load_ushort v34, v[34:35] nt
	v_addc_co_u32_e64 v11, vcc, -1, v9, s[24:25]
	flat_load_ushort v21, v[10:11] nt
	v_addc_co_u32_e64 v37, vcc, -1, v9, s[26:27]
	flat_load_ushort v4, v[4:5] nt
	s_nop 0
	flat_load_ushort v5, v[8:9] nt
	flat_load_ushort v18, v[36:37] nt
	s_waitcnt vmcnt(0) lgkmcnt(0)
	v_lshlrev_b32_e32 v10, 16, v33
	v_max_f32_e32 v10, v10, v10
	v_lshlrev_b32_e32 v11, 16, v34
	v_max_f32_e32 v11, v11, v11
	v_min_f32_e32 v33, v10, v11
	v_max_f32_e32 v10, v10, v11
	v_cndmask_b32_e64 v10, v10, v33, s[22:23]
	v_and_b32_e32 v11, 0x7f800000, v10
	v_cmp_ne_u32_e32 vcc, s73, v11
                                        ; implicit-def: $vgpr33
	s_and_saveexec_b64 s[24:25], vcc
	s_xor_b64 s[24:25], exec, s[24:25]
; %bb.2017:                             ;   in Loop: Header=BB24_2016 Depth=4
	v_bfe_u32 v11, v10, 16, 1
	v_add3_u32 v33, v10, v11, s62
                                        ; implicit-def: $vgpr10
; %bb.2018:                             ;   in Loop: Header=BB24_2016 Depth=4
	s_andn2_saveexec_b64 s[24:25], s[24:25]
; %bb.2019:                             ;   in Loop: Header=BB24_2016 Depth=4
	v_or_b32_e32 v11, 0x10000, v10
	v_cmp_eq_u32_sdwa vcc, v10, v3 src0_sel:WORD_0 src1_sel:DWORD
	s_nop 1
	v_cndmask_b32_e32 v33, v11, v10, vcc
; %bb.2020:                             ;   in Loop: Header=BB24_2016 Depth=4
	s_or_b64 exec, exec, s[24:25]
	v_lshl_add_u64 v[10:11], v[106:107], 0, v[8:9]
	v_add_co_u32_e32 v34, vcc, 0xfffffc80, v10
	v_lshlrev_b32_e32 v27, 16, v27
	v_lshlrev_b32_e32 v32, 16, v32
	v_addc_co_u32_e32 v35, vcc, -1, v11, vcc
	v_max_f32_e32 v32, v32, v32
	v_max_f32_e32 v27, v27, v27
	flat_store_short_d16_hi v[34:35], v33 nt
	v_min_f32_e32 v33, v27, v32
	v_max_f32_e32 v27, v27, v32
	v_cndmask_b32_e64 v32, v27, v33, s[22:23]
	v_and_b32_e32 v27, 0x7f800000, v32
	v_cmp_ne_u32_e32 vcc, s73, v27
                                        ; implicit-def: $vgpr27
	s_and_saveexec_b64 s[24:25], vcc
	s_xor_b64 s[24:25], exec, s[24:25]
; %bb.2021:                             ;   in Loop: Header=BB24_2016 Depth=4
	v_bfe_u32 v27, v32, 16, 1
	v_add3_u32 v27, v32, v27, s62
                                        ; implicit-def: $vgpr32
; %bb.2022:                             ;   in Loop: Header=BB24_2016 Depth=4
	s_andn2_saveexec_b64 s[24:25], s[24:25]
; %bb.2023:                             ;   in Loop: Header=BB24_2016 Depth=4
	v_or_b32_e32 v27, 0x10000, v32
	v_cmp_eq_u32_sdwa vcc, v32, v3 src0_sel:WORD_0 src1_sel:DWORD
	s_nop 1
	v_cndmask_b32_e32 v27, v27, v32, vcc
; %bb.2024:                             ;   in Loop: Header=BB24_2016 Depth=4
	s_or_b64 exec, exec, s[24:25]
	v_add_co_u32_e32 v32, vcc, 0xfffffd00, v10
	v_lshlrev_b32_e32 v25, 16, v25
	v_lshlrev_b32_e32 v26, 16, v26
	v_addc_co_u32_e32 v33, vcc, -1, v11, vcc
	v_max_f32_e32 v26, v26, v26
	v_max_f32_e32 v25, v25, v25
	flat_store_short_d16_hi v[32:33], v27 nt
	v_min_f32_e32 v27, v25, v26
	v_max_f32_e32 v25, v25, v26
	v_cndmask_b32_e64 v26, v25, v27, s[22:23]
	v_and_b32_e32 v25, 0x7f800000, v26
	v_cmp_ne_u32_e32 vcc, s73, v25
                                        ; implicit-def: $vgpr25
	s_and_saveexec_b64 s[24:25], vcc
	s_xor_b64 s[24:25], exec, s[24:25]
; %bb.2025:                             ;   in Loop: Header=BB24_2016 Depth=4
	v_bfe_u32 v25, v26, 16, 1
	v_add3_u32 v25, v26, v25, s62
                                        ; implicit-def: $vgpr26
; %bb.2026:                             ;   in Loop: Header=BB24_2016 Depth=4
	s_andn2_saveexec_b64 s[24:25], s[24:25]
; %bb.2027:                             ;   in Loop: Header=BB24_2016 Depth=4
	v_or_b32_e32 v25, 0x10000, v26
	v_cmp_eq_u32_sdwa vcc, v26, v3 src0_sel:WORD_0 src1_sel:DWORD
	s_nop 1
	v_cndmask_b32_e32 v25, v25, v26, vcc
; %bb.2028:                             ;   in Loop: Header=BB24_2016 Depth=4
	s_or_b64 exec, exec, s[24:25]
	v_add_co_u32_e32 v26, vcc, 0xfffffd80, v10
	v_lshlrev_b32_e32 v23, 16, v23
	v_lshlrev_b32_e32 v24, 16, v24
	v_addc_co_u32_e32 v27, vcc, -1, v11, vcc
	v_max_f32_e32 v24, v24, v24
	v_max_f32_e32 v23, v23, v23
	flat_store_short_d16_hi v[26:27], v25 nt
	v_min_f32_e32 v25, v23, v24
	v_max_f32_e32 v23, v23, v24
	v_cndmask_b32_e64 v24, v23, v25, s[22:23]
	v_and_b32_e32 v23, 0x7f800000, v24
	v_cmp_ne_u32_e32 vcc, s73, v23
                                        ; implicit-def: $vgpr23
	s_and_saveexec_b64 s[24:25], vcc
	s_xor_b64 s[24:25], exec, s[24:25]
; %bb.2029:                             ;   in Loop: Header=BB24_2016 Depth=4
	v_bfe_u32 v23, v24, 16, 1
	v_add3_u32 v23, v24, v23, s62
                                        ; implicit-def: $vgpr24
; %bb.2030:                             ;   in Loop: Header=BB24_2016 Depth=4
	s_andn2_saveexec_b64 s[24:25], s[24:25]
; %bb.2031:                             ;   in Loop: Header=BB24_2016 Depth=4
	v_or_b32_e32 v23, 0x10000, v24
	v_cmp_eq_u32_sdwa vcc, v24, v3 src0_sel:WORD_0 src1_sel:DWORD
	s_nop 1
	v_cndmask_b32_e32 v23, v23, v24, vcc
; %bb.2032:                             ;   in Loop: Header=BB24_2016 Depth=4
	s_or_b64 exec, exec, s[24:25]
	v_add_co_u32_e32 v24, vcc, 0xfffffe00, v10
	v_lshlrev_b32_e32 v20, 16, v20
	v_lshlrev_b32_e32 v22, 16, v22
	v_addc_co_u32_e32 v25, vcc, -1, v11, vcc
	v_max_f32_e32 v22, v22, v22
	v_max_f32_e32 v20, v20, v20
	flat_store_short_d16_hi v[24:25], v23 nt
	v_min_f32_e32 v23, v20, v22
	v_max_f32_e32 v20, v20, v22
	v_cndmask_b32_e64 v22, v20, v23, s[22:23]
	v_and_b32_e32 v20, 0x7f800000, v22
	v_cmp_ne_u32_e32 vcc, s73, v20
                                        ; implicit-def: $vgpr20
	s_and_saveexec_b64 s[24:25], vcc
	s_xor_b64 s[24:25], exec, s[24:25]
; %bb.2033:                             ;   in Loop: Header=BB24_2016 Depth=4
	v_bfe_u32 v20, v22, 16, 1
	v_add3_u32 v20, v22, v20, s62
                                        ; implicit-def: $vgpr22
; %bb.2034:                             ;   in Loop: Header=BB24_2016 Depth=4
	s_andn2_saveexec_b64 s[24:25], s[24:25]
; %bb.2035:                             ;   in Loop: Header=BB24_2016 Depth=4
	v_or_b32_e32 v20, 0x10000, v22
	v_cmp_eq_u32_sdwa vcc, v22, v3 src0_sel:WORD_0 src1_sel:DWORD
	s_nop 1
	v_cndmask_b32_e32 v20, v20, v22, vcc
; %bb.2036:                             ;   in Loop: Header=BB24_2016 Depth=4
	s_or_b64 exec, exec, s[24:25]
	v_add_co_u32_e32 v22, vcc, 0xfffffe80, v10
	v_lshlrev_b32_e32 v19, 16, v19
	s_nop 0
	v_addc_co_u32_e32 v23, vcc, -1, v11, vcc
	flat_store_short_d16_hi v[22:23], v20 nt
	v_lshlrev_b32_e32 v20, 16, v21
	v_max_f32_e32 v20, v20, v20
	v_max_f32_e32 v19, v19, v19
	v_min_f32_e32 v21, v19, v20
	v_max_f32_e32 v19, v19, v20
	v_cndmask_b32_e64 v20, v19, v21, s[22:23]
	v_and_b32_e32 v19, 0x7f800000, v20
	v_cmp_ne_u32_e32 vcc, s73, v19
                                        ; implicit-def: $vgpr19
	s_and_saveexec_b64 s[24:25], vcc
	s_xor_b64 s[24:25], exec, s[24:25]
; %bb.2037:                             ;   in Loop: Header=BB24_2016 Depth=4
	v_bfe_u32 v19, v20, 16, 1
	v_add3_u32 v19, v20, v19, s62
                                        ; implicit-def: $vgpr20
; %bb.2038:                             ;   in Loop: Header=BB24_2016 Depth=4
	s_andn2_saveexec_b64 s[24:25], s[24:25]
; %bb.2039:                             ;   in Loop: Header=BB24_2016 Depth=4
	v_or_b32_e32 v19, 0x10000, v20
	v_cmp_eq_u32_sdwa vcc, v20, v3 src0_sel:WORD_0 src1_sel:DWORD
	s_nop 1
	v_cndmask_b32_e32 v19, v19, v20, vcc
; %bb.2040:                             ;   in Loop: Header=BB24_2016 Depth=4
	s_or_b64 exec, exec, s[24:25]
	v_add_co_u32_e32 v20, vcc, 0xffffff00, v10
	v_lshlrev_b32_e32 v17, 16, v17
	v_lshlrev_b32_e32 v18, 16, v18
	v_addc_co_u32_e32 v21, vcc, -1, v11, vcc
	v_max_f32_e32 v18, v18, v18
	v_max_f32_e32 v17, v17, v17
	flat_store_short_d16_hi v[20:21], v19 nt
	v_min_f32_e32 v19, v17, v18
	v_max_f32_e32 v17, v17, v18
	v_cndmask_b32_e64 v18, v17, v19, s[22:23]
	v_and_b32_e32 v17, 0x7f800000, v18
	v_cmp_ne_u32_e32 vcc, s73, v17
                                        ; implicit-def: $vgpr17
	s_and_saveexec_b64 s[24:25], vcc
	s_xor_b64 s[24:25], exec, s[24:25]
; %bb.2041:                             ;   in Loop: Header=BB24_2016 Depth=4
	v_bfe_u32 v17, v18, 16, 1
	v_add3_u32 v17, v18, v17, s62
                                        ; implicit-def: $vgpr18
; %bb.2042:                             ;   in Loop: Header=BB24_2016 Depth=4
	s_andn2_saveexec_b64 s[24:25], s[24:25]
; %bb.2043:                             ;   in Loop: Header=BB24_2016 Depth=4
	v_or_b32_e32 v17, 0x10000, v18
	v_cmp_eq_u32_sdwa vcc, v18, v3 src0_sel:WORD_0 src1_sel:DWORD
	s_nop 1
	v_cndmask_b32_e32 v17, v17, v18, vcc
; %bb.2044:                             ;   in Loop: Header=BB24_2016 Depth=4
	s_or_b64 exec, exec, s[24:25]
	v_add_co_u32_e32 v18, vcc, 0xffffff80, v10
	v_lshlrev_b32_e32 v4, 16, v4
	v_lshlrev_b32_e32 v5, 16, v5
	v_addc_co_u32_e32 v19, vcc, -1, v11, vcc
	v_max_f32_e32 v5, v5, v5
	v_max_f32_e32 v4, v4, v4
	flat_store_short_d16_hi v[18:19], v17 nt
	v_min_f32_e32 v17, v4, v5
	v_max_f32_e32 v4, v4, v5
	v_cndmask_b32_e64 v4, v4, v17, s[22:23]
	v_and_b32_e32 v5, 0x7f800000, v4
	v_cmp_ne_u32_e32 vcc, s73, v5
                                        ; implicit-def: $vgpr5
	s_and_saveexec_b64 s[24:25], vcc
	s_xor_b64 s[24:25], exec, s[24:25]
; %bb.2045:                             ;   in Loop: Header=BB24_2016 Depth=4
	v_bfe_u32 v5, v4, 16, 1
	v_add3_u32 v5, v4, v5, s62
                                        ; implicit-def: $vgpr4
; %bb.2046:                             ;   in Loop: Header=BB24_2016 Depth=4
	s_andn2_saveexec_b64 s[24:25], s[24:25]
	s_cbranch_execz .LBB24_2015
; %bb.2047:                             ;   in Loop: Header=BB24_2016 Depth=4
	v_or_b32_e32 v5, 0x10000, v4
	v_cmp_eq_u32_sdwa vcc, v4, v3 src0_sel:WORD_0 src1_sel:DWORD
	s_nop 1
	v_cndmask_b32_e32 v5, v5, v4, vcc
	s_branch .LBB24_2015
.LBB24_2048:                            ;   in Loop: Header=BB24_1666 Depth=3
	s_or_b64 exec, exec, s[42:43]
.LBB24_2049:                            ;   in Loop: Header=BB24_1666 Depth=3
	s_or_b64 exec, exec, s[40:41]
	v_lshlrev_b32_e32 v4, 10, v16
	v_cmp_ne_u32_e32 vcc, v2, v4
	s_and_b64 exec, exec, vcc
	s_cbranch_execz .LBB24_2053
; %bb.2050:                             ;   in Loop: Header=BB24_1666 Depth=3
	v_lshlrev_b32_e32 v5, 6, v12
	v_sub_u32_e32 v5, v13, v5
	v_lshlrev_b32_e32 v8, 6, v15
	v_sub_u32_e32 v5, v5, v8
	v_ashrrev_i32_e32 v8, 31, v5
	v_lshrrev_b32_e32 v8, 26, v8
	v_add_u32_e32 v8, v5, v8
	v_and_b32_e32 v9, 0x7fffffc0, v8
	v_sub_u32_e32 v5, v5, v9
	v_lshlrev_b32_e32 v8, 1, v8
	v_and_b32_e32 v8, 0xffffff80, v8
	v_lshlrev_b32_e32 v5, 1, v5
	v_add3_u32 v4, v8, v5, v4
	v_sub_u32_e32 v2, v2, v4
	v_cmp_lt_i32_e32 vcc, 1, v2
	s_and_b64 exec, exec, vcc
	s_cbranch_execz .LBB24_2053
; %bb.2051:                             ;   in Loop: Header=BB24_1666 Depth=3
	s_and_b32 s74, s68, 1
	v_add_u32_e32 v8, v4, v14
	s_cmp_eq_u64 s[74:75], 0
	v_ashrrev_i32_e32 v9, 31, v8
	s_mov_b64 s[24:25], 0
	s_cselect_b64 vcc, -1, 0
.LBB24_2052:                            ;   Parent Loop BB24_47 Depth=1
                                        ;     Parent Loop BB24_1663 Depth=2
                                        ;       Parent Loop BB24_1666 Depth=3
                                        ; =>      This Inner Loop Header: Depth=4
	v_lshl_add_u64 v[4:5], v[104:105], 0, v[8:9]
	flat_load_ushort v10, v[8:9] nt
	flat_load_ushort v11, v[4:5] nt
	v_sub_u32_e32 v2, v2, v114
	v_cmp_gt_i32_e64 s[22:23], 2, v2
	s_or_b64 s[24:25], s[22:23], s[24:25]
	v_lshl_add_u64 v[4:5], v[106:107], 0, v[8:9]
	v_lshl_add_u64 v[8:9], v[8:9], 0, v[114:115]
	s_waitcnt vmcnt(0) lgkmcnt(0)
	v_lshlrev_b32_e32 v10, 16, v10
	v_lshlrev_b32_e32 v11, 16, v11
	v_max_f32_e32 v10, v10, v10
	v_max_f32_e32 v11, v11, v11
	v_min_f32_e32 v12, v11, v10
	v_max_f32_e32 v10, v11, v10
	v_cndmask_b32_e32 v10, v10, v12, vcc
	v_and_b32_e32 v11, 0x7f800000, v10
	v_bfe_u32 v12, v10, 16, 1
	v_or_b32_e32 v13, 0x10000, v10
	v_cmp_eq_u32_sdwa s[22:23], v10, v3 src0_sel:WORD_0 src1_sel:DWORD
	v_add3_u32 v12, v10, v12, s62
	s_nop 0
	v_cndmask_b32_e64 v10, v13, v10, s[22:23]
	v_cmp_eq_u32_e64 s[22:23], s73, v11
	s_nop 1
	v_cndmask_b32_e64 v10, v12, v10, s[22:23]
	flat_store_short_d16_hi v[4:5], v10 nt
	s_andn2_b64 exec, exec, s[24:25]
	s_cbranch_execnz .LBB24_2052
.LBB24_2053:                            ;   in Loop: Header=BB24_1666 Depth=3
	s_or_b64 exec, exec, s[28:29]
	v_cmp_lt_i32_e64 s[22:23], 0, v29
	s_and_saveexec_b64 s[24:25], s[4:5]
	s_cbranch_execz .LBB24_1742
.LBB24_2054:                            ;   in Loop: Header=BB24_1666 Depth=3
	s_and_saveexec_b64 s[26:27], s[76:77]
	s_xor_b64 s[26:27], exec, s[26:27]
	s_cbranch_execz .LBB24_2069
; %bb.2055:                             ;   in Loop: Header=BB24_1666 Depth=3
	s_and_saveexec_b64 s[28:29], s[12:13]
	s_cbranch_execz .LBB24_2068
; %bb.2056:                             ;   in Loop: Header=BB24_1666 Depth=3
	s_mov_b64 s[42:43], exec
	v_mbcnt_lo_u32_b32 v2, s42, 0
	v_mbcnt_hi_u32_b32 v2, s43, v2
	v_cmp_eq_u32_e32 vcc, 0, v2
	s_waitcnt lgkmcnt(0)
	s_and_saveexec_b64 s[40:41], vcc
	s_cbranch_execz .LBB24_2058
; %bb.2057:                             ;   in Loop: Header=BB24_1666 Depth=3
	s_bcnt1_i32_b64 s42, s[42:43]
	v_mov_b32_e32 v2, s42
	ds_add_u64 v0, v[2:3]
	s_trap 2
.LBB24_2058:                            ;   in Loop: Header=BB24_1666 Depth=3
	s_or_b64 exec, exec, s[40:41]
	s_trap 2
	ds_read_b64 v[4:5], v0
	s_waitcnt lgkmcnt(0)
	v_lshl_add_u64 v[70:71], v[70:71], 0, v[84:85]
	v_cmp_lt_u64_e32 vcc, v[4:5], v[70:71]
	s_and_saveexec_b64 s[40:41], vcc
	s_cbranch_execz .LBB24_2067
; %bb.2059:                             ;   in Loop: Header=BB24_1666 Depth=3
	s_mov_b32 s74, 0
	s_mov_b64 s[42:43], 0
                                        ; implicit-def: $sgpr44_sgpr45
                                        ; implicit-def: $sgpr46_sgpr47
	s_branch .LBB24_2061
.LBB24_2060:                            ;   in Loop: Header=BB24_2061 Depth=4
	s_or_b64 exec, exec, s[58:59]
	s_and_b64 s[56:57], exec, vcc
	s_or_b64 s[42:43], s[56:57], s[42:43]
	s_andn2_b64 s[44:45], s[44:45], exec
	s_and_b64 s[56:57], s[46:47], exec
	s_or_b64 s[44:45], s[44:45], s[56:57]
	s_andn2_b64 exec, exec, s[42:43]
	s_cbranch_execz .LBB24_2065
.LBB24_2061:                            ;   Parent Loop BB24_47 Depth=1
                                        ;     Parent Loop BB24_1663 Depth=2
                                        ;       Parent Loop BB24_1666 Depth=3
                                        ; =>      This Inner Loop Header: Depth=4
	s_add_i32 s74, s74, 1
	s_cmpk_lg_i32 s74, 0x2710
	s_cselect_b64 s[56:57], -1, 0
	s_and_b64 vcc, exec, s[56:57]
	s_cbranch_vccz .LBB24_2063
; %bb.2062:                             ;   in Loop: Header=BB24_2061 Depth=4
	s_mov_b64 vcc, -1
	s_or_b64 s[46:47], s[46:47], exec
	s_and_saveexec_b64 s[58:59], s[56:57]
	s_cbranch_execz .LBB24_2060
	s_branch .LBB24_2064
.LBB24_2063:                            ;   in Loop: Header=BB24_2061 Depth=4
	s_trap 2
	ds_read_b64 v[4:5], v0
	s_andn2_b64 s[56:57], s[56:57], exec
	s_mov_b32 s74, 0
	s_waitcnt vmcnt(0) lgkmcnt(0)
	flat_load_dword v2, v[4:5] sc0 sc1
	s_waitcnt vmcnt(0) lgkmcnt(0)
	buffer_inv sc0 sc1
	v_cmp_eq_u32_e32 vcc, 0, v2
	s_and_b64 s[58:59], vcc, exec
	s_or_b64 s[56:57], s[56:57], s[58:59]
	s_mov_b64 vcc, -1
	s_or_b64 s[46:47], s[46:47], exec
	s_and_saveexec_b64 s[58:59], s[56:57]
	s_cbranch_execz .LBB24_2060
.LBB24_2064:                            ;   in Loop: Header=BB24_2061 Depth=4
	s_sleep 1
	s_trap 2
	ds_read_b64 v[4:5], v0
	s_waitcnt lgkmcnt(0)
	s_andn2_b64 s[46:47], s[46:47], exec
	v_cmp_ge_u64_e32 vcc, v[4:5], v[70:71]
	s_orn2_b64 vcc, vcc, exec
	s_branch .LBB24_2060
.LBB24_2065:                            ;   in Loop: Header=BB24_1666 Depth=3
	s_or_b64 exec, exec, s[42:43]
	s_and_saveexec_b64 s[42:43], s[44:45]
	s_xor_b64 s[42:43], exec, s[42:43]
	s_cbranch_execz .LBB24_2067
; %bb.2066:                             ;   in Loop: Header=BB24_1666 Depth=3
	ds_write_b32 v0, v52
	s_trap 2
.LBB24_2067:                            ;   in Loop: Header=BB24_1666 Depth=3
	s_or_b64 exec, exec, s[40:41]
	;;#ASMSTART
	s_wakeup
	;;#ASMEND
.LBB24_2068:                            ;   in Loop: Header=BB24_1666 Depth=3
	s_or_b64 exec, exec, s[28:29]
.LBB24_2069:                            ;   in Loop: Header=BB24_1666 Depth=3
	s_andn2_saveexec_b64 s[26:27], s[26:27]
	s_cbranch_execz .LBB24_2071
; %bb.2070:                             ;   in Loop: Header=BB24_1666 Depth=3
	s_waitcnt lgkmcnt(0)
	s_barrier
.LBB24_2071:                            ;   in Loop: Header=BB24_1666 Depth=3
	s_or_b64 exec, exec, s[26:27]
	s_or_b64 exec, exec, s[24:25]
                                        ; implicit-def: $vgpr2
	s_and_saveexec_b64 s[24:25], s[20:21]
	s_xor_b64 s[24:25], exec, s[24:25]
	s_cbranch_execnz .LBB24_1743
.LBB24_2072:                            ;   in Loop: Header=BB24_1666 Depth=3
	s_andn2_saveexec_b64 s[22:23], s[24:25]
	s_cbranch_execz .LBB24_2091
.LBB24_2073:                            ;   in Loop: Header=BB24_1666 Depth=3
	s_and_saveexec_b64 s[24:25], s[76:77]
	s_xor_b64 s[24:25], exec, s[24:25]
	s_cbranch_execz .LBB24_2088
; %bb.2074:                             ;   in Loop: Header=BB24_1666 Depth=3
	s_and_saveexec_b64 s[26:27], s[12:13]
	s_cbranch_execz .LBB24_2087
; %bb.2075:                             ;   in Loop: Header=BB24_1666 Depth=3
	s_mov_b64 s[40:41], exec
	v_mbcnt_lo_u32_b32 v2, s40, 0
	v_mbcnt_hi_u32_b32 v2, s41, v2
	v_cmp_eq_u32_e32 vcc, 0, v2
	;;#ASMSTART
	s_waitcnt lgkmcnt(0) vmcnt(0)
	;;#ASMEND
	s_and_saveexec_b64 s[28:29], vcc
	s_cbranch_execz .LBB24_2077
; %bb.2076:                             ;   in Loop: Header=BB24_1666 Depth=3
	s_bcnt1_i32_b64 s40, s[40:41]
	v_mov_b32_e32 v2, s40
	s_waitcnt lgkmcnt(0)
	ds_add_u64 v0, v[2:3]
	s_trap 2
.LBB24_2077:                            ;   in Loop: Header=BB24_1666 Depth=3
	s_or_b64 exec, exec, s[28:29]
	s_trap 2
	ds_read_b64 v[4:5], v0
	s_waitcnt lgkmcnt(0)
	v_lshl_add_u64 v[70:71], v[70:71], 0, v[84:85]
	v_cmp_lt_u64_e32 vcc, v[4:5], v[70:71]
	s_and_saveexec_b64 s[28:29], vcc
	s_cbranch_execz .LBB24_2086
; %bb.2078:                             ;   in Loop: Header=BB24_1666 Depth=3
	s_mov_b32 s74, 0
	s_mov_b64 s[40:41], 0
                                        ; implicit-def: $sgpr42_sgpr43
                                        ; implicit-def: $sgpr44_sgpr45
	s_branch .LBB24_2080
.LBB24_2079:                            ;   in Loop: Header=BB24_2080 Depth=4
	s_or_b64 exec, exec, s[56:57]
	s_and_b64 s[46:47], exec, s[58:59]
	s_or_b64 s[40:41], s[46:47], s[40:41]
	s_andn2_b64 s[42:43], s[42:43], exec
	s_and_b64 s[46:47], s[44:45], exec
	s_or_b64 s[42:43], s[42:43], s[46:47]
	s_andn2_b64 exec, exec, s[40:41]
	s_cbranch_execz .LBB24_2084
.LBB24_2080:                            ;   Parent Loop BB24_47 Depth=1
                                        ;     Parent Loop BB24_1663 Depth=2
                                        ;       Parent Loop BB24_1666 Depth=3
                                        ; =>      This Inner Loop Header: Depth=4
	s_add_i32 s74, s74, 1
	s_cmpk_lg_i32 s74, 0x2710
	s_cselect_b64 s[46:47], -1, 0
	s_and_b64 vcc, exec, s[46:47]
	s_cbranch_vccz .LBB24_2082
; %bb.2081:                             ;   in Loop: Header=BB24_2080 Depth=4
	s_mov_b64 s[58:59], -1
	s_or_b64 s[44:45], s[44:45], exec
	s_and_saveexec_b64 s[56:57], s[46:47]
	s_cbranch_execz .LBB24_2079
	s_branch .LBB24_2083
.LBB24_2082:                            ;   in Loop: Header=BB24_2080 Depth=4
	s_trap 2
	ds_read_b64 v[4:5], v0
	s_andn2_b64 s[46:47], s[46:47], exec
	s_mov_b32 s74, 0
	s_waitcnt vmcnt(0) lgkmcnt(0)
	flat_load_dword v2, v[4:5] sc0 sc1
	s_waitcnt vmcnt(0) lgkmcnt(0)
	buffer_inv sc0 sc1
	v_cmp_eq_u32_e32 vcc, 0, v2
	s_and_b64 s[56:57], vcc, exec
	s_or_b64 s[46:47], s[46:47], s[56:57]
	s_mov_b64 s[58:59], -1
	s_or_b64 s[44:45], s[44:45], exec
	s_and_saveexec_b64 s[56:57], s[46:47]
	s_cbranch_execz .LBB24_2079
.LBB24_2083:                            ;   in Loop: Header=BB24_2080 Depth=4
	s_sleep 1
	s_trap 2
	ds_read_b64 v[4:5], v0
	s_waitcnt lgkmcnt(0)
	s_andn2_b64 s[44:45], s[44:45], exec
	v_cmp_ge_u64_e32 vcc, v[4:5], v[70:71]
	s_orn2_b64 s[58:59], vcc, exec
	s_branch .LBB24_2079
.LBB24_2084:                            ;   in Loop: Header=BB24_1666 Depth=3
	s_or_b64 exec, exec, s[40:41]
	s_and_saveexec_b64 s[40:41], s[42:43]
	s_xor_b64 s[40:41], exec, s[40:41]
	s_cbranch_execz .LBB24_2086
; %bb.2085:                             ;   in Loop: Header=BB24_1666 Depth=3
	ds_write_b32 v0, v52
	s_trap 2
.LBB24_2086:                            ;   in Loop: Header=BB24_1666 Depth=3
	s_or_b64 exec, exec, s[28:29]
	;;#ASMSTART
	s_wakeup
	;;#ASMEND
.LBB24_2087:                            ;   in Loop: Header=BB24_1666 Depth=3
	s_or_b64 exec, exec, s[26:27]
.LBB24_2088:                            ;   in Loop: Header=BB24_1666 Depth=3
	s_andn2_saveexec_b64 s[24:25], s[24:25]
	s_cbranch_execz .LBB24_2090
; %bb.2089:                             ;   in Loop: Header=BB24_1666 Depth=3
	;;#ASMSTART
	s_waitcnt lgkmcnt(0) vmcnt(0)
	;;#ASMEND
	s_barrier
.LBB24_2090:                            ;   in Loop: Header=BB24_1666 Depth=3
	s_or_b64 exec, exec, s[24:25]
	v_and_b32_e32 v2, 16, v122
.LBB24_2091:                            ;   in Loop: Header=BB24_1666 Depth=3
	s_or_b64 exec, exec, s[22:23]
	v_cmp_ne_u32_e32 vcc, 0, v2
	s_xor_b64 s[22:23], s[6:7], -1
	s_and_b64 s[24:25], vcc, s[22:23]
	s_and_saveexec_b64 s[22:23], s[24:25]
	s_cbranch_execz .LBB24_2093
; %bb.2092:                             ;   in Loop: Header=BB24_1666 Depth=3
	flat_store_dword v[68:69], v52 sc0 sc1
.LBB24_2093:                            ;   in Loop: Header=BB24_1666 Depth=3
	s_or_b64 exec, exec, s[22:23]
	v_and_b32_e32 v2, 48, v122
	v_cmp_ne_u32_e32 vcc, 0, v2
	s_and_saveexec_b64 s[22:23], vcc
	s_cbranch_execz .LBB24_1665
; %bb.2094:                             ;   in Loop: Header=BB24_1666 Depth=3
	v_lshl_add_u64 v[76:77], v[76:77], 0, 2
	flat_store_dwordx2 v[64:65], v[76:77] sc0 sc1
	s_branch .LBB24_1665
.LBB24_2095:                            ;   in Loop: Header=BB24_1663 Depth=2
	s_or_b64 exec, exec, s[60:61]
	v_cmp_gt_i32_e32 vcc, 2, v2
	s_and_saveexec_b64 s[24:25], vcc
	s_cbranch_execz .LBB24_2171
.LBB24_2096:                            ;   in Loop: Header=BB24_1663 Depth=2
	v_cmp_eq_u32_e64 s[28:29], 0, v2
	s_mov_b64 s[26:27], 0
	s_branch .LBB24_2098
.LBB24_2097:                            ;   in Loop: Header=BB24_2098 Depth=3
	s_or_b64 exec, exec, s[22:23]
	v_add_u32_e32 v92, v90, v92
	s_mov_b64 s[28:29], 0
	s_andn2_b64 exec, exec, s[26:27]
	s_cbranch_execz .LBB24_2172
.LBB24_2098:                            ;   Parent Loop BB24_47 Depth=1
                                        ;     Parent Loop BB24_1663 Depth=2
                                        ; =>    This Loop Header: Depth=3
                                        ;         Child Loop BB24_2104 Depth 4
                                        ;         Child Loop BB24_2132 Depth 4
	;; [unrolled: 1-line block ×3, first 2 shown]
	v_sub_u32_e32 v2, v28, v92
	v_min_i32_e32 v90, v90, v2
	v_and_b32_e32 v2, 12, v122
	v_cmp_ne_u32_e32 vcc, 0, v2
	s_and_saveexec_b64 s[40:41], vcc
	s_cbranch_execz .LBB24_2124
; %bb.2099:                             ;   in Loop: Header=BB24_2098 Depth=3
	v_and_b32_e32 v2, 8, v122
	s_waitcnt vmcnt(0) lgkmcnt(0)
	v_lshl_add_u64 v[4:5], v[80:81], 0, v[2:3]
	v_lshl_add_u64 v[8:9], v[76:77], 0, 2
	v_cmp_lt_u64_e32 vcc, v[4:5], v[8:9]
	s_and_saveexec_b64 s[42:43], vcc
	s_cbranch_execz .LBB24_2111
; %bb.2100:                             ;   in Loop: Header=BB24_2098 Depth=3
	v_and_b32_e32 v4, 64, v122
	s_mov_b32 s74, 0
	v_cmp_eq_u32_e32 vcc, 0, v4
	s_mov_b64 s[44:45], 0
                                        ; implicit-def: $sgpr46_sgpr47
                                        ; implicit-def: $sgpr56_sgpr57
                                        ; implicit-def: $sgpr58_sgpr59
	s_branch .LBB24_2104
.LBB24_2101:                            ;   in Loop: Header=BB24_2104 Depth=4
	s_waitcnt vmcnt(0) lgkmcnt(0)
	v_lshl_add_u64 v[10:11], v[80:81], 0, v[2:3]
	v_cmp_ge_u64_e64 s[22:23], v[10:11], v[8:9]
	s_or_b64 s[52:53], s[52:53], exec
	s_orn2_b64 s[50:51], s[22:23], exec
.LBB24_2102:                            ;   in Loop: Header=BB24_2104 Depth=4
	s_or_b64 exec, exec, s[64:65]
	s_andn2_b64 s[22:23], s[58:59], exec
	s_and_b64 s[58:59], s[52:53], exec
	s_or_b64 s[58:59], s[22:23], s[58:59]
	s_andn2_b64 s[22:23], s[56:57], exec
	s_and_b64 s[56:57], s[50:51], exec
	s_or_b64 s[56:57], s[22:23], s[56:57]
.LBB24_2103:                            ;   in Loop: Header=BB24_2104 Depth=4
	s_or_b64 exec, exec, s[60:61]
	s_and_b64 s[22:23], exec, s[56:57]
	s_or_b64 s[44:45], s[22:23], s[44:45]
	s_andn2_b64 s[22:23], s[46:47], exec
	s_and_b64 s[46:47], s[58:59], exec
	s_or_b64 s[46:47], s[22:23], s[46:47]
	s_andn2_b64 exec, exec, s[44:45]
	s_cbranch_execz .LBB24_2108
.LBB24_2104:                            ;   Parent Loop BB24_47 Depth=1
                                        ;     Parent Loop BB24_1663 Depth=2
                                        ;       Parent Loop BB24_2098 Depth=3
                                        ; =>      This Inner Loop Header: Depth=4
	s_sleep 1
	s_waitcnt vmcnt(0) lgkmcnt(0)
	flat_load_dwordx2 v[80:81], v[64:65] sc0 sc1
	s_or_b64 s[58:59], s[58:59], exec
	s_or_b64 s[56:57], s[56:57], exec
                                        ; implicit-def: $vgpr4
	s_and_saveexec_b64 s[60:61], vcc
	s_cbranch_execz .LBB24_2103
; %bb.2105:                             ;   in Loop: Header=BB24_2104 Depth=4
	s_cmpk_lt_i32 s74, 0x270f
	s_cselect_b64 s[54:55], -1, 0
	s_cmpk_gt_i32 s74, 0x270e
	s_mov_b64 s[50:51], -1
	s_cbranch_scc0 .LBB24_2107
; %bb.2106:                             ;   in Loop: Header=BB24_2104 Depth=4
	s_trap 2
	ds_read_b64 v[4:5], v0
	s_andn2_b64 s[54:55], s[54:55], exec
	s_mov_b32 s74, 0
	s_mov_b64 s[52:53], 0
	s_waitcnt vmcnt(0) lgkmcnt(0)
	flat_load_dword v4, v[4:5] sc0 sc1
	s_waitcnt vmcnt(0) lgkmcnt(0)
	buffer_inv sc0 sc1
	v_cmp_eq_u32_e64 s[22:23], 0, v4
	s_and_b64 s[22:23], s[22:23], exec
	s_or_b64 s[54:55], s[54:55], s[22:23]
	s_and_saveexec_b64 s[64:65], s[54:55]
	s_cbranch_execz .LBB24_2102
	s_branch .LBB24_2101
.LBB24_2107:                            ;   in Loop: Header=BB24_2104 Depth=4
	s_add_i32 s74, s74, 1
	s_mov_b64 s[52:53], -1
                                        ; implicit-def: $vgpr4
	s_and_saveexec_b64 s[64:65], s[54:55]
	s_cbranch_execz .LBB24_2102
	s_branch .LBB24_2101
.LBB24_2108:                            ;   in Loop: Header=BB24_2098 Depth=3
	s_or_b64 exec, exec, s[44:45]
	s_xor_b64 s[22:23], s[46:47], -1
	s_and_saveexec_b64 s[44:45], s[22:23]
	s_xor_b64 s[22:23], exec, s[44:45]
	s_cbranch_execz .LBB24_2110
; %bb.2109:                             ;   in Loop: Header=BB24_2098 Depth=3
	v_or_b32_e32 v122, 64, v122
	s_waitcnt lgkmcnt(0)
	ds_write_b32 v0, v4
	s_trap 2
.LBB24_2110:                            ;   in Loop: Header=BB24_2098 Depth=3
	s_or_b64 exec, exec, s[22:23]
.LBB24_2111:                            ;   in Loop: Header=BB24_2098 Depth=3
	s_or_b64 exec, exec, s[42:43]
	v_and_b32_e32 v4, 0x108, v122
	v_cmp_ne_u32_e32 vcc, s72, v4
	;;#ASMSTART
	s_wakeup
	;;#ASMEND
                                        ; implicit-def: $vgpr10_vgpr11
	s_and_saveexec_b64 s[22:23], vcc
	s_xor_b64 s[22:23], exec, s[22:23]
; %bb.2112:                             ;   in Loop: Header=BB24_2098 Depth=3
	v_and_b32_e32 v10, 7, v76
	v_mov_b32_e32 v11, v3
                                        ; implicit-def: $vgpr76_vgpr77
; %bb.2113:                             ;   in Loop: Header=BB24_2098 Depth=3
	s_andn2_saveexec_b64 s[22:23], s[22:23]
	s_cbranch_execz .LBB24_2115
; %bb.2114:                             ;   in Loop: Header=BB24_2098 Depth=3
	v_and_b32_e32 v10, 7, v76
	v_ashrrev_i32_e32 v91, 31, v90
	v_mov_b32_e32 v11, v3
	v_mad_u64_u32 v[4:5], s[42:43], v10, 24, v[6:7]
	v_lshlrev_b64 v[12:13], 1, v[90:91]
	flat_store_dwordx2 v[4:5], v[12:13] offset:8
.LBB24_2115:                            ;   in Loop: Header=BB24_2098 Depth=3
	s_or_b64 exec, exec, s[22:23]
	v_and_b32_e32 v4, 0x100, v122
	v_cmp_ne_u32_e32 vcc, 0, v4
	s_mov_b64 s[22:23], -1
                                        ; implicit-def: $vgpr12_vgpr13
	s_and_saveexec_b64 s[42:43], vcc
	s_cbranch_execz .LBB24_2119
; %bb.2116:                             ;   in Loop: Header=BB24_2098 Depth=3
	v_mad_u64_u32 v[14:15], s[22:23], v10, 24, v[6:7]
	v_mov_b32_e32 v4, v15
	v_mad_u64_u32 v[4:5], s[22:23], v11, 24, v[4:5]
	v_mov_b32_e32 v15, v4
	flat_load_dword v4, v[14:15]
                                        ; implicit-def: $vgpr12_vgpr13
	s_waitcnt vmcnt(0) lgkmcnt(0)
	v_cmp_ne_u32_e32 vcc, 1, v4
	v_cmp_eq_u32_e64 s[22:23], 1, v4
	s_and_saveexec_b64 s[44:45], s[22:23]
	s_cbranch_execz .LBB24_2118
; %bb.2117:                             ;   in Loop: Header=BB24_2098 Depth=3
	flat_load_dword v4, v[14:15] offset:4 sc0 sc1
	s_waitcnt vmcnt(0) lgkmcnt(0)
	v_ashrrev_i32_e32 v5, 31, v4
	v_lshrrev_b64 v[12:13], 1, v[4:5]
.LBB24_2118:                            ;   in Loop: Header=BB24_2098 Depth=3
	s_or_b64 exec, exec, s[44:45]
	s_orn2_b64 s[22:23], vcc, exec
.LBB24_2119:                            ;   in Loop: Header=BB24_2098 Depth=3
	s_or_b64 exec, exec, s[42:43]
	s_and_saveexec_b64 s[42:43], s[22:23]
; %bb.2120:                             ;   in Loop: Header=BB24_2098 Depth=3
	v_mul_lo_u32 v4, v11, v30
	v_mul_lo_u32 v5, v10, v1
	v_mad_u64_u32 v[12:13], s[22:23], v10, v30, 0
	v_add3_u32 v13, v13, v5, v4
; %bb.2121:                             ;   in Loop: Header=BB24_2098 Depth=3
	s_or_b64 exec, exec, s[42:43]
	v_cmp_eq_u32_e32 vcc, 0, v2
	v_lshl_add_u64 v[4:5], v[12:13], 1, v[66:67]
	s_nop 0
	v_cndmask_b32_e32 v2, v54, v55, vcc
	v_add_u32_e32 v2, v0, v2
	ds_write_b64 v2, v[4:5] offset:584
	v_and_b32_e32 v2, 0x2000, v122
	v_cmp_ne_u32_e32 vcc, 0, v2
	s_and_saveexec_b64 s[22:23], vcc
	s_cbranch_execz .LBB24_2123
; %bb.2122:                             ;   in Loop: Header=BB24_2098 Depth=3
	ds_read_b64 v[4:5], v0 offset:872
	s_waitcnt lgkmcnt(0)
	v_lshl_add_u64 v[4:5], v[4:5], 0, 1
	ds_write_b64 v0, v[4:5] offset:872
.LBB24_2123:                            ;   in Loop: Header=BB24_2098 Depth=3
	s_or_b64 exec, exec, s[22:23]
	v_mov_b64_e32 v[76:77], v[8:9]
.LBB24_2124:                            ;   in Loop: Header=BB24_2098 Depth=3
	s_or_b64 exec, exec, s[40:41]
	s_xor_b64 s[22:23], s[28:29], -1
	s_and_b64 s[22:23], exec, s[22:23]
	s_or_b64 s[26:27], s[22:23], s[26:27]
	s_and_saveexec_b64 s[22:23], s[4:5]
	s_cbranch_execz .LBB24_2143
; %bb.2125:                             ;   in Loop: Header=BB24_2098 Depth=3
	s_and_saveexec_b64 s[28:29], s[76:77]
	s_xor_b64 s[28:29], exec, s[28:29]
	s_cbranch_execz .LBB24_2140
; %bb.2126:                             ;   in Loop: Header=BB24_2098 Depth=3
	s_and_saveexec_b64 s[40:41], s[12:13]
	s_cbranch_execz .LBB24_2139
; %bb.2127:                             ;   in Loop: Header=BB24_2098 Depth=3
	s_mov_b64 s[44:45], exec
	v_mbcnt_lo_u32_b32 v2, s44, 0
	v_mbcnt_hi_u32_b32 v2, s45, v2
	v_cmp_eq_u32_e32 vcc, 0, v2
	s_waitcnt lgkmcnt(0)
	s_and_saveexec_b64 s[42:43], vcc
	s_cbranch_execz .LBB24_2129
; %bb.2128:                             ;   in Loop: Header=BB24_2098 Depth=3
	s_bcnt1_i32_b64 s44, s[44:45]
	v_mov_b32_e32 v2, s44
	ds_add_u64 v0, v[2:3]
	s_trap 2
.LBB24_2129:                            ;   in Loop: Header=BB24_2098 Depth=3
	s_or_b64 exec, exec, s[42:43]
	s_trap 2
	ds_read_b64 v[4:5], v0
	s_waitcnt lgkmcnt(0)
	v_lshl_add_u64 v[70:71], v[70:71], 0, v[84:85]
	v_cmp_lt_u64_e32 vcc, v[4:5], v[70:71]
	s_and_saveexec_b64 s[42:43], vcc
	s_cbranch_execz .LBB24_2138
; %bb.2130:                             ;   in Loop: Header=BB24_2098 Depth=3
	s_mov_b32 s74, 0
	s_mov_b64 s[44:45], 0
                                        ; implicit-def: $sgpr46_sgpr47
                                        ; implicit-def: $sgpr56_sgpr57
	s_branch .LBB24_2132
.LBB24_2131:                            ;   in Loop: Header=BB24_2132 Depth=4
	s_or_b64 exec, exec, s[60:61]
	s_and_b64 s[58:59], exec, vcc
	s_or_b64 s[44:45], s[58:59], s[44:45]
	s_andn2_b64 s[46:47], s[46:47], exec
	s_and_b64 s[58:59], s[56:57], exec
	s_or_b64 s[46:47], s[46:47], s[58:59]
	s_andn2_b64 exec, exec, s[44:45]
	s_cbranch_execz .LBB24_2136
.LBB24_2132:                            ;   Parent Loop BB24_47 Depth=1
                                        ;     Parent Loop BB24_1663 Depth=2
                                        ;       Parent Loop BB24_2098 Depth=3
                                        ; =>      This Inner Loop Header: Depth=4
	s_add_i32 s74, s74, 1
	s_cmpk_lg_i32 s74, 0x2710
	s_cselect_b64 s[58:59], -1, 0
	s_and_b64 vcc, exec, s[58:59]
	s_cbranch_vccz .LBB24_2134
; %bb.2133:                             ;   in Loop: Header=BB24_2132 Depth=4
	s_mov_b64 vcc, -1
	s_or_b64 s[56:57], s[56:57], exec
	s_and_saveexec_b64 s[60:61], s[58:59]
	s_cbranch_execz .LBB24_2131
	s_branch .LBB24_2135
.LBB24_2134:                            ;   in Loop: Header=BB24_2132 Depth=4
	s_trap 2
	ds_read_b64 v[4:5], v0
	s_andn2_b64 s[58:59], s[58:59], exec
	s_mov_b32 s74, 0
	s_waitcnt vmcnt(0) lgkmcnt(0)
	flat_load_dword v2, v[4:5] sc0 sc1
	s_waitcnt vmcnt(0) lgkmcnt(0)
	buffer_inv sc0 sc1
	v_cmp_eq_u32_e32 vcc, 0, v2
	s_and_b64 s[60:61], vcc, exec
	s_or_b64 s[58:59], s[58:59], s[60:61]
	s_mov_b64 vcc, -1
	s_or_b64 s[56:57], s[56:57], exec
	s_and_saveexec_b64 s[60:61], s[58:59]
	s_cbranch_execz .LBB24_2131
.LBB24_2135:                            ;   in Loop: Header=BB24_2132 Depth=4
	s_sleep 1
	s_trap 2
	ds_read_b64 v[4:5], v0
	s_waitcnt lgkmcnt(0)
	s_andn2_b64 s[56:57], s[56:57], exec
	v_cmp_ge_u64_e32 vcc, v[4:5], v[70:71]
	s_orn2_b64 vcc, vcc, exec
	s_branch .LBB24_2131
.LBB24_2136:                            ;   in Loop: Header=BB24_2098 Depth=3
	s_or_b64 exec, exec, s[44:45]
	s_and_saveexec_b64 s[44:45], s[46:47]
	s_xor_b64 s[44:45], exec, s[44:45]
	s_cbranch_execz .LBB24_2138
; %bb.2137:                             ;   in Loop: Header=BB24_2098 Depth=3
	ds_write_b32 v0, v52
	s_trap 2
.LBB24_2138:                            ;   in Loop: Header=BB24_2098 Depth=3
	s_or_b64 exec, exec, s[42:43]
	;;#ASMSTART
	s_wakeup
	;;#ASMEND
.LBB24_2139:                            ;   in Loop: Header=BB24_2098 Depth=3
	s_or_b64 exec, exec, s[40:41]
.LBB24_2140:                            ;   in Loop: Header=BB24_2098 Depth=3
	s_andn2_saveexec_b64 s[28:29], s[28:29]
	s_cbranch_execz .LBB24_2142
; %bb.2141:                             ;   in Loop: Header=BB24_2098 Depth=3
	s_waitcnt lgkmcnt(0)
	s_barrier
.LBB24_2142:                            ;   in Loop: Header=BB24_2098 Depth=3
	s_or_b64 exec, exec, s[28:29]
.LBB24_2143:                            ;   in Loop: Header=BB24_2098 Depth=3
	s_or_b64 exec, exec, s[22:23]
                                        ; implicit-def: $vgpr2
	s_and_saveexec_b64 s[22:23], s[20:21]
	s_xor_b64 s[22:23], exec, s[22:23]
	s_cbranch_execz .LBB24_2147
; %bb.2144:                             ;   in Loop: Header=BB24_2098 Depth=3
	s_trap 2
	ds_read_b32 v4, v0
	v_cmp_lt_i32_e32 vcc, 0, v90
	v_and_b32_e32 v5, 16, v122
	v_and_b32_e32 v2, 16, v122
	s_waitcnt lgkmcnt(0)
	v_readfirstlane_b32 s28, v4
	s_cmp_eq_u32 s28, 0
	s_cselect_b64 s[28:29], -1, 0
	s_and_b64 s[28:29], vcc, s[28:29]
	v_cmp_ne_u32_e32 vcc, 0, v5
	s_and_b64 s[40:41], vcc, s[28:29]
	s_and_saveexec_b64 s[28:29], s[40:41]
	s_cbranch_execz .LBB24_2146
; %bb.2145:                             ;   in Loop: Header=BB24_2098 Depth=3
	v_mov_b32_e32 v2, 1
	buffer_wbl2 sc1
	s_waitcnt vmcnt(0)
	buffer_inv sc1
.LBB24_2146:                            ;   in Loop: Header=BB24_2098 Depth=3
	s_or_b64 exec, exec, s[28:29]
	s_andn2_saveexec_b64 s[22:23], s[22:23]
	s_cbranch_execz .LBB24_2166
	s_branch .LBB24_2148
.LBB24_2147:                            ;   in Loop: Header=BB24_2098 Depth=3
	s_andn2_saveexec_b64 s[22:23], s[22:23]
	s_cbranch_execz .LBB24_2166
.LBB24_2148:                            ;   in Loop: Header=BB24_2098 Depth=3
	s_and_saveexec_b64 s[28:29], s[76:77]
	s_xor_b64 s[28:29], exec, s[28:29]
	s_cbranch_execz .LBB24_2163
; %bb.2149:                             ;   in Loop: Header=BB24_2098 Depth=3
	s_and_saveexec_b64 s[40:41], s[12:13]
	s_cbranch_execz .LBB24_2162
; %bb.2150:                             ;   in Loop: Header=BB24_2098 Depth=3
	s_mov_b64 s[44:45], exec
	v_mbcnt_lo_u32_b32 v2, s44, 0
	v_mbcnt_hi_u32_b32 v2, s45, v2
	v_cmp_eq_u32_e32 vcc, 0, v2
	;;#ASMSTART
	s_waitcnt lgkmcnt(0) vmcnt(0)
	;;#ASMEND
	s_and_saveexec_b64 s[42:43], vcc
	s_cbranch_execz .LBB24_2152
; %bb.2151:                             ;   in Loop: Header=BB24_2098 Depth=3
	s_bcnt1_i32_b64 s44, s[44:45]
	v_mov_b32_e32 v2, s44
	s_waitcnt lgkmcnt(0)
	ds_add_u64 v0, v[2:3]
	s_trap 2
.LBB24_2152:                            ;   in Loop: Header=BB24_2098 Depth=3
	s_or_b64 exec, exec, s[42:43]
	s_trap 2
	ds_read_b64 v[4:5], v0
	s_waitcnt lgkmcnt(0)
	v_lshl_add_u64 v[70:71], v[70:71], 0, v[84:85]
	v_cmp_lt_u64_e32 vcc, v[4:5], v[70:71]
	s_and_saveexec_b64 s[42:43], vcc
	s_cbranch_execz .LBB24_2161
; %bb.2153:                             ;   in Loop: Header=BB24_2098 Depth=3
	s_mov_b32 s74, 0
	s_mov_b64 s[44:45], 0
                                        ; implicit-def: $sgpr46_sgpr47
                                        ; implicit-def: $sgpr56_sgpr57
	s_branch .LBB24_2155
.LBB24_2154:                            ;   in Loop: Header=BB24_2155 Depth=4
	s_or_b64 exec, exec, s[60:61]
	s_and_b64 s[58:59], exec, vcc
	s_or_b64 s[44:45], s[58:59], s[44:45]
	s_andn2_b64 s[46:47], s[46:47], exec
	s_and_b64 s[58:59], s[56:57], exec
	s_or_b64 s[46:47], s[46:47], s[58:59]
	s_andn2_b64 exec, exec, s[44:45]
	s_cbranch_execz .LBB24_2159
.LBB24_2155:                            ;   Parent Loop BB24_47 Depth=1
                                        ;     Parent Loop BB24_1663 Depth=2
                                        ;       Parent Loop BB24_2098 Depth=3
                                        ; =>      This Inner Loop Header: Depth=4
	s_add_i32 s74, s74, 1
	s_cmpk_lg_i32 s74, 0x2710
	s_cselect_b64 s[58:59], -1, 0
	s_and_b64 vcc, exec, s[58:59]
	s_cbranch_vccz .LBB24_2157
; %bb.2156:                             ;   in Loop: Header=BB24_2155 Depth=4
	s_mov_b64 vcc, -1
	s_or_b64 s[56:57], s[56:57], exec
	s_and_saveexec_b64 s[60:61], s[58:59]
	s_cbranch_execz .LBB24_2154
	s_branch .LBB24_2158
.LBB24_2157:                            ;   in Loop: Header=BB24_2155 Depth=4
	s_trap 2
	ds_read_b64 v[4:5], v0
	s_andn2_b64 s[58:59], s[58:59], exec
	s_mov_b32 s74, 0
	s_waitcnt vmcnt(0) lgkmcnt(0)
	flat_load_dword v2, v[4:5] sc0 sc1
	s_waitcnt vmcnt(0) lgkmcnt(0)
	buffer_inv sc0 sc1
	v_cmp_eq_u32_e32 vcc, 0, v2
	s_and_b64 s[60:61], vcc, exec
	s_or_b64 s[58:59], s[58:59], s[60:61]
	s_mov_b64 vcc, -1
	s_or_b64 s[56:57], s[56:57], exec
	s_and_saveexec_b64 s[60:61], s[58:59]
	s_cbranch_execz .LBB24_2154
.LBB24_2158:                            ;   in Loop: Header=BB24_2155 Depth=4
	s_sleep 1
	s_trap 2
	ds_read_b64 v[4:5], v0
	s_waitcnt lgkmcnt(0)
	s_andn2_b64 s[56:57], s[56:57], exec
	v_cmp_ge_u64_e32 vcc, v[4:5], v[70:71]
	s_orn2_b64 vcc, vcc, exec
	s_branch .LBB24_2154
.LBB24_2159:                            ;   in Loop: Header=BB24_2098 Depth=3
	s_or_b64 exec, exec, s[44:45]
	s_and_saveexec_b64 s[44:45], s[46:47]
	s_xor_b64 s[44:45], exec, s[44:45]
	s_cbranch_execz .LBB24_2161
; %bb.2160:                             ;   in Loop: Header=BB24_2098 Depth=3
	ds_write_b32 v0, v52
	s_trap 2
.LBB24_2161:                            ;   in Loop: Header=BB24_2098 Depth=3
	s_or_b64 exec, exec, s[42:43]
	;;#ASMSTART
	s_wakeup
	;;#ASMEND
.LBB24_2162:                            ;   in Loop: Header=BB24_2098 Depth=3
	s_or_b64 exec, exec, s[40:41]
.LBB24_2163:                            ;   in Loop: Header=BB24_2098 Depth=3
	s_andn2_saveexec_b64 s[28:29], s[28:29]
	s_cbranch_execz .LBB24_2165
; %bb.2164:                             ;   in Loop: Header=BB24_2098 Depth=3
	;;#ASMSTART
	s_waitcnt lgkmcnt(0) vmcnt(0)
	;;#ASMEND
	s_barrier
.LBB24_2165:                            ;   in Loop: Header=BB24_2098 Depth=3
	s_or_b64 exec, exec, s[28:29]
	v_and_b32_e32 v2, 16, v122
.LBB24_2166:                            ;   in Loop: Header=BB24_2098 Depth=3
	s_or_b64 exec, exec, s[22:23]
	v_cmp_ne_u32_e32 vcc, 0, v2
	s_xor_b64 s[22:23], s[6:7], -1
	s_and_b64 s[28:29], vcc, s[22:23]
	s_and_saveexec_b64 s[22:23], s[28:29]
	s_cbranch_execz .LBB24_2168
; %bb.2167:                             ;   in Loop: Header=BB24_2098 Depth=3
	flat_store_dword v[68:69], v52 sc0 sc1
.LBB24_2168:                            ;   in Loop: Header=BB24_2098 Depth=3
	s_or_b64 exec, exec, s[22:23]
	v_and_b32_e32 v2, 48, v122
	v_cmp_ne_u32_e32 vcc, 0, v2
	s_and_saveexec_b64 s[22:23], vcc
	s_cbranch_execz .LBB24_2097
; %bb.2169:                             ;   in Loop: Header=BB24_2098 Depth=3
	v_lshl_add_u64 v[76:77], v[76:77], 0, 2
	flat_store_dwordx2 v[64:65], v[76:77] sc0 sc1
	s_branch .LBB24_2097
.LBB24_2170:                            ;   in Loop: Header=BB24_1663 Depth=2
	s_or_b64 exec, exec, s[50:51]
	s_or_b64 exec, exec, s[60:61]
	v_cmp_gt_i32_e32 vcc, 2, v2
	s_and_saveexec_b64 s[24:25], vcc
	s_cbranch_execnz .LBB24_2096
.LBB24_2171:                            ;   in Loop: Header=BB24_1663 Depth=2
	s_or_b64 exec, exec, s[24:25]
	s_add_i32 s22, s30, 1
	s_cmp_eq_u32 s30, s97
	s_cbranch_scc0 .LBB24_2173
	s_branch .LBB24_2174
.LBB24_2172:                            ;   in Loop: Header=BB24_1663 Depth=2
	s_or_b64 exec, exec, s[26:27]
	s_or_b64 exec, exec, s[24:25]
	s_add_i32 s22, s30, 1
	s_cmp_eq_u32 s30, s97
	s_cbranch_scc1 .LBB24_2174
.LBB24_2173:                            ;   in Loop: Header=BB24_1663 Depth=2
	s_mov_b32 s30, s22
	s_branch .LBB24_1663
.LBB24_2174:                            ;   in Loop: Header=BB24_47 Depth=1
	v_mul_lo_u32 v2, v75, s87
	v_mul_lo_u32 v4, v74, s96
	v_mad_u64_u32 v[8:9], s[22:23], v74, s87, 0
	v_add3_u32 v9, v9, v4, v2
	v_sub_co_u32_e32 v4, vcc, v78, v8
	v_mov_b32_e32 v2, 0
	s_nop 0
	v_subb_co_u32_e32 v5, vcc, v79, v9, vcc
	v_cmp_lt_i64_e32 vcc, v[74:75], v[4:5]
	v_mov_b32_e32 v78, 0
	s_nop 0
	v_cndmask_b32_e32 v4, v4, v74, vcc
	v_max_i32_e32 v28, 0, v4
	v_add_u32_e32 v5, 31, v28
	v_ashrrev_i32_e32 v10, 31, v5
	v_lshrrev_b32_e32 v10, 27, v10
	v_add_u32_e32 v5, v5, v10
	v_ashrrev_i32_e32 v5, 5, v5
	v_lshlrev_b32_e32 v5, 4, v5
	v_cmp_lt_i32_e32 vcc, 0, v4
	v_max_i32_e32 v29, s84, v5
	s_and_b64 s[22:23], s[38:39], vcc
	s_and_saveexec_b64 s[60:61], s[22:23]
	s_cbranch_execz .LBB24_2472
; %bb.2175:                             ;   in Loop: Header=BB24_47 Depth=1
	v_lshl_add_u64 v[4:5], v[8:9], 0, v[88:89]
	s_mov_b32 s30, 1
	s_mov_b64 s[52:53], -1
	v_mov_b32_e32 v78, 0
	s_mov_b64 s[50:51], 0
	v_lshlrev_b64 v[88:89], 1, v[4:5]
	s_branch .LBB24_2177
.LBB24_2176:                            ;   in Loop: Header=BB24_2177 Depth=2
	s_or_b64 exec, exec, s[22:23]
	v_add_u32_e32 v78, v29, v78
	v_cmp_ge_i32_e32 vcc, v78, v28
	s_xor_b64 s[22:23], s[52:53], -1
	s_or_b64 s[22:23], s[22:23], vcc
	s_and_b64 s[22:23], exec, s[22:23]
	s_or_b64 s[50:51], s[22:23], s[50:51]
	s_mov_b64 s[52:53], 0
	v_mov_b32_e32 v2, s30
	s_mov_b32 s30, 2
	s_andn2_b64 exec, exec, s[50:51]
	s_cbranch_execz .LBB24_2471
.LBB24_2177:                            ;   Parent Loop BB24_47 Depth=1
                                        ; =>  This Loop Header: Depth=2
                                        ;       Child Loop BB24_2185 Depth 3
                                        ;       Child Loop BB24_2209 Depth 3
	;; [unrolled: 1-line block ×9, first 2 shown]
	s_and_saveexec_b64 s[22:23], s[0:1]
	s_cbranch_execz .LBB24_2179
; %bb.2178:                             ;   in Loop: Header=BB24_2177 Depth=2
	s_trap 2
	ds_read_b128 v[8:11], v0
	v_ashrrev_i32_e32 v79, 31, v78
	v_lshlrev_b64 v[4:5], 1, v[78:79]
	s_waitcnt lgkmcnt(0)
	v_lshl_add_u64 v[8:9], v[8:9], 0, v[88:89]
	v_lshl_add_u64 v[12:13], v[10:11], 0, v[88:89]
	;; [unrolled: 1-line block ×4, first 2 shown]
	v_cmp_ne_u64_e32 vcc, 0, v[10:11]
	ds_write_b64 v0, v[8:9]
	s_nop 0
	v_cndmask_b32_e32 v5, 0, v5, vcc
	v_cndmask_b32_e32 v4, 0, v4, vcc
	ds_write_b64 v0, v[4:5]
.LBB24_2179:                            ;   in Loop: Header=BB24_2177 Depth=2
	s_or_b64 exec, exec, s[22:23]
	v_and_b32_e32 v2, 4, v122
	v_cmp_ne_u32_e32 vcc, 0, v2
	s_and_saveexec_b64 s[24:25], vcc
	s_cbranch_execz .LBB24_2201
; %bb.2180:                             ;   in Loop: Header=BB24_2177 Depth=2
	v_lshl_add_u64 v[8:9], v[76:77], 0, 2
	s_waitcnt vmcnt(0) lgkmcnt(0)
	v_cmp_lt_u64_e32 vcc, v[80:81], v[8:9]
	s_and_saveexec_b64 s[26:27], vcc
	s_cbranch_execz .LBB24_2192
; %bb.2181:                             ;   in Loop: Header=BB24_2177 Depth=2
	v_and_b32_e32 v2, 64, v122
	s_mov_b32 s74, 0
	v_cmp_eq_u32_e32 vcc, 0, v2
	s_mov_b64 s[28:29], 0
                                        ; implicit-def: $sgpr40_sgpr41
                                        ; implicit-def: $sgpr42_sgpr43
                                        ; implicit-def: $sgpr44_sgpr45
	s_branch .LBB24_2185
.LBB24_2182:                            ;   in Loop: Header=BB24_2185 Depth=3
	s_waitcnt vmcnt(0) lgkmcnt(0)
	v_cmp_ge_u64_e64 s[22:23], v[80:81], v[8:9]
	s_or_b64 s[58:59], s[58:59], exec
	s_orn2_b64 s[56:57], s[22:23], exec
.LBB24_2183:                            ;   in Loop: Header=BB24_2185 Depth=3
	s_or_b64 exec, exec, s[64:65]
	s_andn2_b64 s[22:23], s[44:45], exec
	s_and_b64 s[44:45], s[58:59], exec
	s_or_b64 s[44:45], s[22:23], s[44:45]
	s_andn2_b64 s[22:23], s[42:43], exec
	s_and_b64 s[42:43], s[56:57], exec
	s_or_b64 s[42:43], s[22:23], s[42:43]
.LBB24_2184:                            ;   in Loop: Header=BB24_2185 Depth=3
	s_or_b64 exec, exec, s[46:47]
	s_and_b64 s[22:23], exec, s[42:43]
	s_or_b64 s[28:29], s[22:23], s[28:29]
	s_andn2_b64 s[22:23], s[40:41], exec
	s_and_b64 s[40:41], s[44:45], exec
	s_or_b64 s[40:41], s[22:23], s[40:41]
	s_andn2_b64 exec, exec, s[28:29]
	s_cbranch_execz .LBB24_2189
.LBB24_2185:                            ;   Parent Loop BB24_47 Depth=1
                                        ;     Parent Loop BB24_2177 Depth=2
                                        ; =>    This Inner Loop Header: Depth=3
	s_sleep 1
	s_waitcnt vmcnt(0) lgkmcnt(0)
	flat_load_dwordx2 v[80:81], v[64:65] sc0 sc1
	s_or_b64 s[44:45], s[44:45], exec
	s_or_b64 s[42:43], s[42:43], exec
                                        ; implicit-def: $vgpr2
	s_and_saveexec_b64 s[46:47], vcc
	s_cbranch_execz .LBB24_2184
; %bb.2186:                             ;   in Loop: Header=BB24_2185 Depth=3
	s_cmpk_lt_i32 s74, 0x270f
	s_cselect_b64 s[54:55], -1, 0
	s_cmpk_gt_i32 s74, 0x270e
	s_mov_b64 s[56:57], -1
	s_cbranch_scc0 .LBB24_2188
; %bb.2187:                             ;   in Loop: Header=BB24_2185 Depth=3
	s_trap 2
	ds_read_b64 v[4:5], v0
	s_andn2_b64 s[54:55], s[54:55], exec
	s_mov_b32 s74, 0
	s_mov_b64 s[58:59], 0
	s_waitcnt vmcnt(0) lgkmcnt(0)
	flat_load_dword v2, v[4:5] sc0 sc1
	s_waitcnt vmcnt(0) lgkmcnt(0)
	buffer_inv sc0 sc1
	v_cmp_eq_u32_e64 s[22:23], 0, v2
	s_and_b64 s[22:23], s[22:23], exec
	s_or_b64 s[54:55], s[54:55], s[22:23]
	s_and_saveexec_b64 s[64:65], s[54:55]
	s_cbranch_execz .LBB24_2183
	s_branch .LBB24_2182
.LBB24_2188:                            ;   in Loop: Header=BB24_2185 Depth=3
	s_add_i32 s74, s74, 1
	s_mov_b64 s[58:59], -1
                                        ; implicit-def: $vgpr2
	s_and_saveexec_b64 s[64:65], s[54:55]
	s_cbranch_execz .LBB24_2183
	s_branch .LBB24_2182
.LBB24_2189:                            ;   in Loop: Header=BB24_2177 Depth=2
	s_or_b64 exec, exec, s[28:29]
	s_xor_b64 s[22:23], s[40:41], -1
	s_and_saveexec_b64 s[28:29], s[22:23]
	s_xor_b64 s[22:23], exec, s[28:29]
	s_cbranch_execz .LBB24_2191
; %bb.2190:                             ;   in Loop: Header=BB24_2177 Depth=2
	v_or_b32_e32 v122, 64, v122
	s_waitcnt lgkmcnt(0)
	ds_write_b32 v0, v2
	s_trap 2
.LBB24_2191:                            ;   in Loop: Header=BB24_2177 Depth=2
	s_or_b64 exec, exec, s[22:23]
.LBB24_2192:                            ;   in Loop: Header=BB24_2177 Depth=2
	s_or_b64 exec, exec, s[26:27]
	v_and_b32_e32 v2, 0x100, v122
	v_cmp_ne_u32_e32 vcc, 0, v2
	v_and_b32_e32 v2, 7, v76
	s_mov_b64 s[22:23], -1
	;;#ASMSTART
	s_wakeup
	;;#ASMEND
                                        ; implicit-def: $vgpr10_vgpr11
	s_and_saveexec_b64 s[26:27], vcc
	s_cbranch_execz .LBB24_2196
; %bb.2193:                             ;   in Loop: Header=BB24_2177 Depth=2
	v_mad_u64_u32 v[12:13], s[22:23], v2, 24, v[6:7]
	flat_load_dword v4, v[12:13]
                                        ; implicit-def: $vgpr10_vgpr11
	s_waitcnt vmcnt(0) lgkmcnt(0)
	v_cmp_ne_u32_e32 vcc, 1, v4
	v_cmp_eq_u32_e64 s[22:23], 1, v4
	s_and_saveexec_b64 s[28:29], s[22:23]
	s_cbranch_execz .LBB24_2195
; %bb.2194:                             ;   in Loop: Header=BB24_2177 Depth=2
	flat_load_dword v4, v[12:13] offset:4 sc0 sc1
	s_waitcnt vmcnt(0) lgkmcnt(0)
	v_ashrrev_i32_e32 v5, 31, v4
	v_lshrrev_b64 v[10:11], 1, v[4:5]
.LBB24_2195:                            ;   in Loop: Header=BB24_2177 Depth=2
	s_or_b64 exec, exec, s[28:29]
	s_orn2_b64 s[22:23], vcc, exec
.LBB24_2196:                            ;   in Loop: Header=BB24_2177 Depth=2
	s_or_b64 exec, exec, s[26:27]
	s_and_saveexec_b64 s[26:27], s[22:23]
; %bb.2197:                             ;   in Loop: Header=BB24_2177 Depth=2
	v_mad_i64_i32 v[10:11], s[22:23], v2, v30, 0
; %bb.2198:                             ;   in Loop: Header=BB24_2177 Depth=2
	s_or_b64 exec, exec, s[26:27]
	v_and_b32_e32 v2, 0x2000, v122
	v_lshl_add_u64 v[4:5], v[10:11], 1, v[66:67]
	v_cmp_ne_u32_e32 vcc, 0, v2
	ds_write_b64 v0, v[4:5] offset:720
	s_and_saveexec_b64 s[22:23], vcc
	s_cbranch_execz .LBB24_2200
; %bb.2199:                             ;   in Loop: Header=BB24_2177 Depth=2
	ds_read_b64 v[4:5], v0 offset:872
	s_waitcnt lgkmcnt(0)
	v_lshl_add_u64 v[4:5], v[4:5], 0, 1
	ds_write_b64 v0, v[4:5] offset:872
.LBB24_2200:                            ;   in Loop: Header=BB24_2177 Depth=2
	s_or_b64 exec, exec, s[22:23]
	v_mov_b64_e32 v[76:77], v[8:9]
.LBB24_2201:                            ;   in Loop: Header=BB24_2177 Depth=2
	s_or_b64 exec, exec, s[24:25]
	s_and_saveexec_b64 s[22:23], s[4:5]
	s_cbranch_execz .LBB24_2220
; %bb.2202:                             ;   in Loop: Header=BB24_2177 Depth=2
	s_and_saveexec_b64 s[24:25], s[76:77]
	s_xor_b64 s[24:25], exec, s[24:25]
	s_cbranch_execz .LBB24_2217
; %bb.2203:                             ;   in Loop: Header=BB24_2177 Depth=2
	s_and_saveexec_b64 s[26:27], s[12:13]
	s_cbranch_execz .LBB24_2216
; %bb.2204:                             ;   in Loop: Header=BB24_2177 Depth=2
	s_mov_b64 s[40:41], exec
	v_mbcnt_lo_u32_b32 v2, s40, 0
	v_mbcnt_hi_u32_b32 v2, s41, v2
	v_cmp_eq_u32_e32 vcc, 0, v2
	s_waitcnt lgkmcnt(0)
	s_and_saveexec_b64 s[28:29], vcc
	s_cbranch_execz .LBB24_2206
; %bb.2205:                             ;   in Loop: Header=BB24_2177 Depth=2
	s_bcnt1_i32_b64 s40, s[40:41]
	v_mov_b32_e32 v2, s40
	ds_add_u64 v0, v[2:3]
	s_trap 2
.LBB24_2206:                            ;   in Loop: Header=BB24_2177 Depth=2
	s_or_b64 exec, exec, s[28:29]
	s_trap 2
	ds_read_b64 v[4:5], v0
	s_waitcnt lgkmcnt(0)
	v_lshl_add_u64 v[70:71], v[70:71], 0, v[84:85]
	v_cmp_lt_u64_e32 vcc, v[4:5], v[70:71]
	s_and_saveexec_b64 s[28:29], vcc
	s_cbranch_execz .LBB24_2215
; %bb.2207:                             ;   in Loop: Header=BB24_2177 Depth=2
	s_mov_b32 s74, 0
	s_mov_b64 s[40:41], 0
                                        ; implicit-def: $sgpr42_sgpr43
                                        ; implicit-def: $sgpr44_sgpr45
	s_branch .LBB24_2209
.LBB24_2208:                            ;   in Loop: Header=BB24_2209 Depth=3
	s_or_b64 exec, exec, s[56:57]
	s_and_b64 s[46:47], exec, s[58:59]
	s_or_b64 s[40:41], s[46:47], s[40:41]
	s_andn2_b64 s[42:43], s[42:43], exec
	s_and_b64 s[46:47], s[44:45], exec
	s_or_b64 s[42:43], s[42:43], s[46:47]
	s_andn2_b64 exec, exec, s[40:41]
	s_cbranch_execz .LBB24_2213
.LBB24_2209:                            ;   Parent Loop BB24_47 Depth=1
                                        ;     Parent Loop BB24_2177 Depth=2
                                        ; =>    This Inner Loop Header: Depth=3
	s_add_i32 s74, s74, 1
	s_cmpk_lg_i32 s74, 0x2710
	s_cselect_b64 s[46:47], -1, 0
	s_and_b64 vcc, exec, s[46:47]
	s_cbranch_vccz .LBB24_2211
; %bb.2210:                             ;   in Loop: Header=BB24_2209 Depth=3
	s_mov_b64 s[58:59], -1
	s_or_b64 s[44:45], s[44:45], exec
	s_and_saveexec_b64 s[56:57], s[46:47]
	s_cbranch_execz .LBB24_2208
	s_branch .LBB24_2212
.LBB24_2211:                            ;   in Loop: Header=BB24_2209 Depth=3
	s_trap 2
	ds_read_b64 v[4:5], v0
	s_andn2_b64 s[46:47], s[46:47], exec
	s_mov_b32 s74, 0
	s_waitcnt vmcnt(0) lgkmcnt(0)
	flat_load_dword v2, v[4:5] sc0 sc1
	s_waitcnt vmcnt(0) lgkmcnt(0)
	buffer_inv sc0 sc1
	v_cmp_eq_u32_e32 vcc, 0, v2
	s_and_b64 s[56:57], vcc, exec
	s_or_b64 s[46:47], s[46:47], s[56:57]
	s_mov_b64 s[58:59], -1
	s_or_b64 s[44:45], s[44:45], exec
	s_and_saveexec_b64 s[56:57], s[46:47]
	s_cbranch_execz .LBB24_2208
.LBB24_2212:                            ;   in Loop: Header=BB24_2209 Depth=3
	s_sleep 1
	s_trap 2
	ds_read_b64 v[4:5], v0
	s_waitcnt lgkmcnt(0)
	s_andn2_b64 s[44:45], s[44:45], exec
	v_cmp_ge_u64_e32 vcc, v[4:5], v[70:71]
	s_orn2_b64 s[58:59], vcc, exec
	s_branch .LBB24_2208
.LBB24_2213:                            ;   in Loop: Header=BB24_2177 Depth=2
	s_or_b64 exec, exec, s[40:41]
	s_and_saveexec_b64 s[40:41], s[42:43]
	s_xor_b64 s[40:41], exec, s[40:41]
	s_cbranch_execz .LBB24_2215
; %bb.2214:                             ;   in Loop: Header=BB24_2177 Depth=2
	ds_write_b32 v0, v52
	s_trap 2
.LBB24_2215:                            ;   in Loop: Header=BB24_2177 Depth=2
	s_or_b64 exec, exec, s[28:29]
	;;#ASMSTART
	s_wakeup
	;;#ASMEND
.LBB24_2216:                            ;   in Loop: Header=BB24_2177 Depth=2
	s_or_b64 exec, exec, s[26:27]
.LBB24_2217:                            ;   in Loop: Header=BB24_2177 Depth=2
	s_andn2_saveexec_b64 s[24:25], s[24:25]
	s_cbranch_execz .LBB24_2219
; %bb.2218:                             ;   in Loop: Header=BB24_2177 Depth=2
	s_waitcnt lgkmcnt(0)
	s_barrier
.LBB24_2219:                            ;   in Loop: Header=BB24_2177 Depth=2
	s_or_b64 exec, exec, s[24:25]
.LBB24_2220:                            ;   in Loop: Header=BB24_2177 Depth=2
	s_or_b64 exec, exec, s[22:23]
	s_trap 2
	ds_read_b32 v4, v0
	v_and_b32_e32 v2, 0x4000, v122
	v_cmp_ne_u32_e32 vcc, 0, v2
	s_xor_b64 s[22:23], s[2:3], -1
	s_and_b64 s[24:25], s[22:23], vcc
	s_and_saveexec_b64 s[22:23], s[24:25]
	s_cbranch_execz .LBB24_2239
; %bb.2221:                             ;   in Loop: Header=BB24_2177 Depth=2
	s_and_saveexec_b64 s[24:25], s[76:77]
	s_xor_b64 s[24:25], exec, s[24:25]
	s_cbranch_execz .LBB24_2236
; %bb.2222:                             ;   in Loop: Header=BB24_2177 Depth=2
	s_and_saveexec_b64 s[26:27], s[12:13]
	s_cbranch_execz .LBB24_2235
; %bb.2223:                             ;   in Loop: Header=BB24_2177 Depth=2
	s_mov_b64 s[40:41], exec
	v_mbcnt_lo_u32_b32 v2, s40, 0
	v_mbcnt_hi_u32_b32 v2, s41, v2
	v_cmp_eq_u32_e32 vcc, 0, v2
	s_waitcnt lgkmcnt(0)
	s_and_saveexec_b64 s[28:29], vcc
	s_cbranch_execz .LBB24_2225
; %bb.2224:                             ;   in Loop: Header=BB24_2177 Depth=2
	s_bcnt1_i32_b64 s40, s[40:41]
	v_mov_b32_e32 v2, s40
	ds_add_u64 v0, v[2:3]
	s_trap 2
.LBB24_2225:                            ;   in Loop: Header=BB24_2177 Depth=2
	s_or_b64 exec, exec, s[28:29]
	s_trap 2
	ds_read_b64 v[8:9], v0
	s_waitcnt lgkmcnt(0)
	v_lshl_add_u64 v[70:71], v[70:71], 0, v[84:85]
	v_cmp_lt_u64_e32 vcc, v[8:9], v[70:71]
	s_and_saveexec_b64 s[28:29], vcc
	s_cbranch_execz .LBB24_2234
; %bb.2226:                             ;   in Loop: Header=BB24_2177 Depth=2
	s_mov_b32 s74, 0
	s_mov_b64 s[40:41], 0
                                        ; implicit-def: $sgpr42_sgpr43
                                        ; implicit-def: $sgpr44_sgpr45
	s_branch .LBB24_2228
.LBB24_2227:                            ;   in Loop: Header=BB24_2228 Depth=3
	s_or_b64 exec, exec, s[56:57]
	s_and_b64 s[46:47], exec, s[58:59]
	s_or_b64 s[40:41], s[46:47], s[40:41]
	s_andn2_b64 s[42:43], s[42:43], exec
	s_and_b64 s[46:47], s[44:45], exec
	s_or_b64 s[42:43], s[42:43], s[46:47]
	s_andn2_b64 exec, exec, s[40:41]
	s_cbranch_execz .LBB24_2232
.LBB24_2228:                            ;   Parent Loop BB24_47 Depth=1
                                        ;     Parent Loop BB24_2177 Depth=2
                                        ; =>    This Inner Loop Header: Depth=3
	s_add_i32 s74, s74, 1
	s_cmpk_lg_i32 s74, 0x2710
	s_cselect_b64 s[46:47], -1, 0
	s_and_b64 vcc, exec, s[46:47]
	s_cbranch_vccz .LBB24_2230
; %bb.2229:                             ;   in Loop: Header=BB24_2228 Depth=3
	s_mov_b64 s[58:59], -1
	s_or_b64 s[44:45], s[44:45], exec
	s_and_saveexec_b64 s[56:57], s[46:47]
	s_cbranch_execz .LBB24_2227
	s_branch .LBB24_2231
.LBB24_2230:                            ;   in Loop: Header=BB24_2228 Depth=3
	s_trap 2
	ds_read_b64 v[8:9], v0
	s_andn2_b64 s[46:47], s[46:47], exec
	s_mov_b32 s74, 0
	s_waitcnt vmcnt(0) lgkmcnt(0)
	flat_load_dword v2, v[8:9] sc0 sc1
	s_waitcnt vmcnt(0) lgkmcnt(0)
	buffer_inv sc0 sc1
	v_cmp_eq_u32_e32 vcc, 0, v2
	s_and_b64 s[56:57], vcc, exec
	s_or_b64 s[46:47], s[46:47], s[56:57]
	s_mov_b64 s[58:59], -1
	s_or_b64 s[44:45], s[44:45], exec
	s_and_saveexec_b64 s[56:57], s[46:47]
	s_cbranch_execz .LBB24_2227
.LBB24_2231:                            ;   in Loop: Header=BB24_2228 Depth=3
	s_sleep 1
	s_trap 2
	ds_read_b64 v[8:9], v0
	s_waitcnt lgkmcnt(0)
	s_andn2_b64 s[44:45], s[44:45], exec
	v_cmp_ge_u64_e32 vcc, v[8:9], v[70:71]
	s_orn2_b64 s[58:59], vcc, exec
	s_branch .LBB24_2227
.LBB24_2232:                            ;   in Loop: Header=BB24_2177 Depth=2
	s_or_b64 exec, exec, s[40:41]
	s_and_saveexec_b64 s[40:41], s[42:43]
	s_xor_b64 s[40:41], exec, s[40:41]
	s_cbranch_execz .LBB24_2234
; %bb.2233:                             ;   in Loop: Header=BB24_2177 Depth=2
	ds_write_b32 v0, v52
	s_trap 2
.LBB24_2234:                            ;   in Loop: Header=BB24_2177 Depth=2
	s_or_b64 exec, exec, s[28:29]
	;;#ASMSTART
	s_wakeup
	;;#ASMEND
.LBB24_2235:                            ;   in Loop: Header=BB24_2177 Depth=2
	s_or_b64 exec, exec, s[26:27]
.LBB24_2236:                            ;   in Loop: Header=BB24_2177 Depth=2
	s_andn2_saveexec_b64 s[24:25], s[24:25]
	s_cbranch_execz .LBB24_2238
; %bb.2237:                             ;   in Loop: Header=BB24_2177 Depth=2
	s_waitcnt lgkmcnt(0)
	s_barrier
.LBB24_2238:                            ;   in Loop: Header=BB24_2177 Depth=2
	s_or_b64 exec, exec, s[24:25]
.LBB24_2239:                            ;   in Loop: Header=BB24_2177 Depth=2
	s_or_b64 exec, exec, s[22:23]
	s_trap 2
	ds_read_b64 v[90:91], v0
	v_sub_u32_e32 v2, v28, v78
	v_min_i32_e32 v29, v29, v2
	s_waitcnt lgkmcnt(0)
	v_cmp_eq_u64_e32 vcc, 0, v[90:91]
	s_cbranch_vccnz .LBB24_2247
; %bb.2240:                             ;   in Loop: Header=BB24_2177 Depth=2
	s_trap 2
	ds_read_b64 v[92:93], v0
	s_waitcnt lgkmcnt(0)
	v_cmp_eq_u64_e32 vcc, 0, v[92:93]
	s_cbranch_vccnz .LBB24_2247
; %bb.2241:                             ;   in Loop: Header=BB24_2177 Depth=2
	s_trap 2
	ds_read_b64 v[94:95], v0
	s_mov_b64 s[24:25], -1
	s_waitcnt lgkmcnt(0)
	v_readfirstlane_b32 s31, v94
	s_and_saveexec_b64 s[22:23], s[16:17]
	s_cbranch_execz .LBB24_2243
; %bb.2242:                             ;   in Loop: Header=BB24_2177 Depth=2
	ds_read_b32 v2, v0 offset:720
	s_waitcnt lgkmcnt(0)
	v_and_b32_e32 v2, 15, v2
	v_cmp_eq_u32_e32 vcc, 0, v2
	s_orn2_b64 s[24:25], vcc, exec
.LBB24_2243:                            ;   in Loop: Header=BB24_2177 Depth=2
	s_or_b64 exec, exec, s[22:23]
	s_and_saveexec_b64 s[22:23], s[14:15]
	s_cbranch_execz .LBB24_2245
; %bb.2244:                             ;   in Loop: Header=BB24_2177 Depth=2
	ds_read_b32 v2, v0 offset:784
	s_waitcnt lgkmcnt(0)
	v_and_b32_e32 v2, 15, v2
	v_cmp_eq_u32_e32 vcc, 0, v2
	s_and_b64 s[26:27], s[24:25], vcc
	s_andn2_b64 s[24:25], s[24:25], exec
	s_and_b64 s[26:27], s[26:27], exec
	s_or_b64 s[24:25], s[24:25], s[26:27]
.LBB24_2245:                            ;   in Loop: Header=BB24_2177 Depth=2
	s_or_b64 exec, exec, s[22:23]
	v_cmp_eq_u32_e32 vcc, 0, v4
	s_xor_b64 s[24:25], s[24:25], -1
	v_cndmask_b32_e64 v4, 0, 1, s[24:25]
	v_cndmask_b32_e32 v2, 0, v29, vcc
	v_lshlrev_b32_e32 v79, 1, v2
	s_mov_b64 s[22:23], -1
	v_cmp_ne_u32_e32 vcc, 0, v4
	v_mov_b32_e32 v18, 0
	s_cbranch_vccz .LBB24_2252
; %bb.2246:                             ;   in Loop: Header=BB24_2177 Depth=2
	v_mov_b32_e32 v19, v0
	s_and_saveexec_b64 s[24:25], s[22:23]
	s_cbranch_execnz .LBB24_2391
	s_branch .LBB24_2431
.LBB24_2247:                            ;   in Loop: Header=BB24_2177 Depth=2
	s_mov_b64 s[22:23], 0
	s_and_saveexec_b64 s[24:25], s[4:5]
	s_cbranch_execnz .LBB24_2432
.LBB24_2248:                            ;   in Loop: Header=BB24_2177 Depth=2
	s_or_b64 exec, exec, s[24:25]
	s_and_saveexec_b64 s[24:25], s[20:21]
	s_xor_b64 s[24:25], exec, s[24:25]
	s_cbranch_execz .LBB24_2450
.LBB24_2249:                            ;   in Loop: Header=BB24_2177 Depth=2
	v_and_b32_e32 v2, 16, v122
	v_cmp_ne_u32_e32 vcc, 0, v2
	s_and_b64 s[26:27], vcc, s[22:23]
	s_and_saveexec_b64 s[22:23], s[26:27]
	s_cbranch_execz .LBB24_2251
; %bb.2250:                             ;   in Loop: Header=BB24_2177 Depth=2
	buffer_wbl2 sc1
	s_waitcnt vmcnt(0) lgkmcnt(0)
	buffer_inv sc1
.LBB24_2251:                            ;   in Loop: Header=BB24_2177 Depth=2
	s_or_b64 exec, exec, s[22:23]
	s_andn2_saveexec_b64 s[22:23], s[24:25]
	s_cbranch_execz .LBB24_2469
	s_branch .LBB24_2451
.LBB24_2252:                            ;   in Loop: Header=BB24_2177 Depth=2
	v_ashrrev_i32_e32 v4, 31, v79
	v_lshrrev_b32_e32 v4, 20, v4
	v_add_u32_e32 v4, v79, v4
	v_ashrrev_i32_e32 v111, 12, v4
	v_sub_u32_e32 v110, v111, v31
	v_cmp_lt_i32_e32 vcc, 0, v110
	s_and_saveexec_b64 s[24:25], vcc
	s_cbranch_execz .LBB24_2384
; %bb.2253:                             ;   in Loop: Header=BB24_2177 Depth=2
	s_and_b32 s74, s31, 1
	s_cmp_eq_u64 s[74:75], 0
	s_mov_b64 s[26:27], 0
	s_cselect_b64 vcc, -1, 0
	v_mov_b64_e32 v[104:105], v[92:93]
	v_mov_b64_e32 v[106:107], v[90:91]
	;; [unrolled: 1-line block ×3, first 2 shown]
	s_branch .LBB24_2255
.LBB24_2254:                            ;   in Loop: Header=BB24_2255 Depth=3
	s_or_b64 exec, exec, s[28:29]
	v_lshrrev_b32_e32 v8, 16, v8
	v_lshrrev_b32_e32 v4, 16, v4
	v_and_or_b32 v9, v9, s63, v8
	v_and_or_b32 v8, v5, s63, v4
	v_lshrrev_b32_e32 v4, 16, v12
	v_sub_u32_e32 v110, v110, v84
	v_and_or_b32 v10, v10, s63, v4
	v_lshrrev_b32_e32 v4, 16, v13
	v_cmp_gt_i32_e64 s[22:23], 1, v110
	v_and_or_b32 v11, v11, s63, v4
	v_lshl_add_u64 v[108:109], v[108:109], 0, v[44:45]
	v_lshl_add_u64 v[106:107], v[106:107], 0, v[44:45]
	s_or_b64 s[26:27], s[22:23], s[26:27]
	v_lshl_add_u64 v[104:105], v[104:105], 0, v[44:45]
	global_store_dwordx4 v[36:37], v[8:11], off offset:3072
	s_andn2_b64 exec, exec, s[26:27]
	s_cbranch_execz .LBB24_2383
.LBB24_2255:                            ;   Parent Loop BB24_47 Depth=1
                                        ;     Parent Loop BB24_2177 Depth=2
                                        ; =>    This Inner Loop Header: Depth=3
	scratch_load_dwordx2 v[8:9], off, s33 offset:256 ; 8-byte Folded Reload
	s_waitcnt vmcnt(0)
	v_lshl_add_u64 v[4:5], v[8:9], 0, v[108:109]
	v_lshl_add_u64 v[8:9], v[8:9], 0, v[106:107]
	global_load_dwordx4 v[36:39], v[8:9], off nt
	global_load_dwordx4 v[48:51], v[4:5], off nt
	global_load_dwordx4 v[24:27], v[8:9], off offset:1024 nt
	global_load_dwordx4 v[32:35], v[4:5], off offset:1024 nt
	;; [unrolled: 1-line block ×3, first 2 shown]
	s_nop 0
	global_load_dwordx4 v[8:11], v[8:9], off offset:3072 nt
	s_nop 0
	global_load_dwordx4 v[20:23], v[4:5], off offset:2048 nt
	global_load_dwordx4 v[12:15], v[4:5], off offset:3072 nt
	s_waitcnt vmcnt(7)
	v_lshlrev_b32_e32 v4, 16, v36
	s_waitcnt vmcnt(6)
	v_lshlrev_b32_e32 v5, 16, v48
	v_max_f32_e32 v5, v5, v5
	v_max_f32_e32 v4, v4, v4
	v_min_f32_e32 v86, v4, v5
	v_max_f32_e32 v4, v4, v5
	v_cndmask_b32_e32 v5, v4, v86, vcc
	v_and_b32_e32 v4, 0x7f800000, v5
	v_cmp_ne_u32_e64 s[22:23], s73, v4
                                        ; implicit-def: $vgpr4
	s_and_saveexec_b64 s[28:29], s[22:23]
	s_xor_b64 s[22:23], exec, s[28:29]
; %bb.2256:                             ;   in Loop: Header=BB24_2255 Depth=3
	v_bfe_u32 v4, v5, 16, 1
	v_add3_u32 v4, v5, v4, s62
                                        ; implicit-def: $vgpr5
; %bb.2257:                             ;   in Loop: Header=BB24_2255 Depth=3
	s_andn2_saveexec_b64 s[28:29], s[22:23]
; %bb.2258:                             ;   in Loop: Header=BB24_2255 Depth=3
	v_or_b32_e32 v4, 0x10000, v5
	v_cmp_eq_u32_sdwa s[22:23], v5, v3 src0_sel:WORD_0 src1_sel:DWORD
	s_nop 1
	v_cndmask_b32_e64 v4, v4, v5, s[22:23]
; %bb.2259:                             ;   in Loop: Header=BB24_2255 Depth=3
	s_or_b64 exec, exec, s[28:29]
	v_and_b32_e32 v5, 0xffff0000, v36
	v_and_b32_e32 v36, 0xffff0000, v48
	v_max_f32_e32 v36, v36, v36
	v_max_f32_e32 v5, v5, v5
	v_min_f32_e32 v48, v5, v36
	v_max_f32_e32 v5, v5, v36
	v_cndmask_b32_e32 v36, v5, v48, vcc
	v_and_b32_e32 v5, 0x7f800000, v36
	v_cmp_ne_u32_e64 s[22:23], s73, v5
                                        ; implicit-def: $vgpr5
	s_and_saveexec_b64 s[28:29], s[22:23]
	s_xor_b64 s[22:23], exec, s[28:29]
; %bb.2260:                             ;   in Loop: Header=BB24_2255 Depth=3
	v_bfe_u32 v5, v36, 16, 1
	v_add3_u32 v5, v36, v5, s62
                                        ; implicit-def: $vgpr36
; %bb.2261:                             ;   in Loop: Header=BB24_2255 Depth=3
	s_andn2_saveexec_b64 s[28:29], s[22:23]
; %bb.2262:                             ;   in Loop: Header=BB24_2255 Depth=3
	v_or_b32_e32 v5, 0x10000, v36
	v_cmp_eq_u32_sdwa s[22:23], v36, v3 src0_sel:WORD_0 src1_sel:DWORD
	s_nop 1
	v_cndmask_b32_e64 v5, v5, v36, s[22:23]
; %bb.2263:                             ;   in Loop: Header=BB24_2255 Depth=3
	s_or_b64 exec, exec, s[28:29]
	v_lshlrev_b32_e32 v36, 16, v37
	v_lshlrev_b32_e32 v48, 16, v49
	v_max_f32_e32 v48, v48, v48
	v_max_f32_e32 v36, v36, v36
	v_min_f32_e32 v86, v36, v48
	v_max_f32_e32 v36, v36, v48
	v_cndmask_b32_e32 v36, v36, v86, vcc
	v_and_b32_e32 v48, 0x7f800000, v36
	v_cmp_ne_u32_e64 s[22:23], s73, v48
                                        ; implicit-def: $vgpr48
	s_and_saveexec_b64 s[28:29], s[22:23]
	s_xor_b64 s[22:23], exec, s[28:29]
; %bb.2264:                             ;   in Loop: Header=BB24_2255 Depth=3
	v_bfe_u32 v48, v36, 16, 1
	v_add3_u32 v48, v36, v48, s62
                                        ; implicit-def: $vgpr36
; %bb.2265:                             ;   in Loop: Header=BB24_2255 Depth=3
	s_andn2_saveexec_b64 s[28:29], s[22:23]
; %bb.2266:                             ;   in Loop: Header=BB24_2255 Depth=3
	v_or_b32_e32 v48, 0x10000, v36
	v_cmp_eq_u32_sdwa s[22:23], v36, v3 src0_sel:WORD_0 src1_sel:DWORD
	s_nop 1
	v_cndmask_b32_e64 v48, v48, v36, s[22:23]
; %bb.2267:                             ;   in Loop: Header=BB24_2255 Depth=3
	s_or_b64 exec, exec, s[28:29]
	v_and_b32_e32 v36, 0xffff0000, v37
	v_and_b32_e32 v37, 0xffff0000, v49
	v_max_f32_e32 v37, v37, v37
	v_max_f32_e32 v36, v36, v36
	v_min_f32_e32 v49, v36, v37
	v_max_f32_e32 v36, v36, v37
	v_cndmask_b32_e32 v36, v36, v49, vcc
	v_and_b32_e32 v37, 0x7f800000, v36
	v_cmp_ne_u32_e64 s[22:23], s73, v37
                                        ; implicit-def: $vgpr49
	s_and_saveexec_b64 s[28:29], s[22:23]
	s_xor_b64 s[22:23], exec, s[28:29]
; %bb.2268:                             ;   in Loop: Header=BB24_2255 Depth=3
	v_bfe_u32 v37, v36, 16, 1
	v_add3_u32 v49, v36, v37, s62
                                        ; implicit-def: $vgpr36
; %bb.2269:                             ;   in Loop: Header=BB24_2255 Depth=3
	s_andn2_saveexec_b64 s[28:29], s[22:23]
; %bb.2270:                             ;   in Loop: Header=BB24_2255 Depth=3
	v_or_b32_e32 v37, 0x10000, v36
	v_cmp_eq_u32_sdwa s[22:23], v36, v3 src0_sel:WORD_0 src1_sel:DWORD
	s_nop 1
	v_cndmask_b32_e64 v49, v37, v36, s[22:23]
; %bb.2271:                             ;   in Loop: Header=BB24_2255 Depth=3
	s_or_b64 exec, exec, s[28:29]
	v_lshlrev_b32_e32 v36, 16, v38
	v_lshlrev_b32_e32 v37, 16, v50
	v_max_f32_e32 v37, v37, v37
	v_max_f32_e32 v36, v36, v36
	v_min_f32_e32 v86, v36, v37
	v_max_f32_e32 v36, v36, v37
	v_cndmask_b32_e32 v36, v36, v86, vcc
	v_and_b32_e32 v37, 0x7f800000, v36
	v_cmp_ne_u32_e64 s[22:23], s73, v37
                                        ; implicit-def: $vgpr86
	s_and_saveexec_b64 s[28:29], s[22:23]
	s_xor_b64 s[22:23], exec, s[28:29]
; %bb.2272:                             ;   in Loop: Header=BB24_2255 Depth=3
	v_bfe_u32 v37, v36, 16, 1
	v_add3_u32 v86, v36, v37, s62
                                        ; implicit-def: $vgpr36
; %bb.2273:                             ;   in Loop: Header=BB24_2255 Depth=3
	s_andn2_saveexec_b64 s[28:29], s[22:23]
; %bb.2274:                             ;   in Loop: Header=BB24_2255 Depth=3
	v_or_b32_e32 v37, 0x10000, v36
	v_cmp_eq_u32_sdwa s[22:23], v36, v3 src0_sel:WORD_0 src1_sel:DWORD
	s_nop 1
	v_cndmask_b32_e64 v86, v37, v36, s[22:23]
; %bb.2275:                             ;   in Loop: Header=BB24_2255 Depth=3
	s_or_b64 exec, exec, s[28:29]
	v_and_b32_e32 v36, 0xffff0000, v38
	v_and_b32_e32 v37, 0xffff0000, v50
	v_max_f32_e32 v37, v37, v37
	v_max_f32_e32 v36, v36, v36
	v_min_f32_e32 v38, v36, v37
	v_max_f32_e32 v36, v36, v37
	v_cndmask_b32_e32 v36, v36, v38, vcc
	v_and_b32_e32 v37, 0x7f800000, v36
	v_cmp_ne_u32_e64 s[22:23], s73, v37
                                        ; implicit-def: $vgpr38
	s_and_saveexec_b64 s[28:29], s[22:23]
	s_xor_b64 s[22:23], exec, s[28:29]
; %bb.2276:                             ;   in Loop: Header=BB24_2255 Depth=3
	v_bfe_u32 v37, v36, 16, 1
	v_add3_u32 v38, v36, v37, s62
                                        ; implicit-def: $vgpr36
; %bb.2277:                             ;   in Loop: Header=BB24_2255 Depth=3
	s_andn2_saveexec_b64 s[28:29], s[22:23]
; %bb.2278:                             ;   in Loop: Header=BB24_2255 Depth=3
	v_or_b32_e32 v37, 0x10000, v36
	v_cmp_eq_u32_sdwa s[22:23], v36, v3 src0_sel:WORD_0 src1_sel:DWORD
	s_nop 1
	v_cndmask_b32_e64 v38, v37, v36, s[22:23]
; %bb.2279:                             ;   in Loop: Header=BB24_2255 Depth=3
	s_or_b64 exec, exec, s[28:29]
	v_lshlrev_b32_e32 v36, 16, v39
	v_lshlrev_b32_e32 v37, 16, v51
	v_max_f32_e32 v37, v37, v37
	v_max_f32_e32 v36, v36, v36
	v_min_f32_e32 v50, v36, v37
	v_max_f32_e32 v36, v36, v37
	v_cndmask_b32_e32 v36, v36, v50, vcc
	v_and_b32_e32 v37, 0x7f800000, v36
	v_cmp_ne_u32_e64 s[22:23], s73, v37
                                        ; implicit-def: $vgpr50
	s_and_saveexec_b64 s[28:29], s[22:23]
	s_xor_b64 s[22:23], exec, s[28:29]
; %bb.2280:                             ;   in Loop: Header=BB24_2255 Depth=3
	v_bfe_u32 v37, v36, 16, 1
	v_add3_u32 v50, v36, v37, s62
                                        ; implicit-def: $vgpr36
; %bb.2281:                             ;   in Loop: Header=BB24_2255 Depth=3
	s_andn2_saveexec_b64 s[28:29], s[22:23]
; %bb.2282:                             ;   in Loop: Header=BB24_2255 Depth=3
	v_or_b32_e32 v37, 0x10000, v36
	v_cmp_eq_u32_sdwa s[22:23], v36, v3 src0_sel:WORD_0 src1_sel:DWORD
	s_nop 1
	v_cndmask_b32_e64 v50, v37, v36, s[22:23]
; %bb.2283:                             ;   in Loop: Header=BB24_2255 Depth=3
	s_or_b64 exec, exec, s[28:29]
	v_and_b32_e32 v36, 0xffff0000, v39
	v_and_b32_e32 v37, 0xffff0000, v51
	v_max_f32_e32 v37, v37, v37
	v_max_f32_e32 v36, v36, v36
	v_min_f32_e32 v39, v36, v37
	v_max_f32_e32 v36, v36, v37
	v_cndmask_b32_e32 v36, v36, v39, vcc
	v_and_b32_e32 v37, 0x7f800000, v36
	v_cmp_ne_u32_e64 s[22:23], s73, v37
                                        ; implicit-def: $vgpr39
	s_and_saveexec_b64 s[28:29], s[22:23]
	s_xor_b64 s[22:23], exec, s[28:29]
; %bb.2284:                             ;   in Loop: Header=BB24_2255 Depth=3
	v_bfe_u32 v37, v36, 16, 1
	v_add3_u32 v39, v36, v37, s62
                                        ; implicit-def: $vgpr36
; %bb.2285:                             ;   in Loop: Header=BB24_2255 Depth=3
	s_andn2_saveexec_b64 s[28:29], s[22:23]
; %bb.2286:                             ;   in Loop: Header=BB24_2255 Depth=3
	v_or_b32_e32 v37, 0x10000, v36
	v_cmp_eq_u32_sdwa s[22:23], v36, v3 src0_sel:WORD_0 src1_sel:DWORD
	s_nop 1
	v_cndmask_b32_e64 v39, v37, v36, s[22:23]
; %bb.2287:                             ;   in Loop: Header=BB24_2255 Depth=3
	s_or_b64 exec, exec, s[28:29]
	scratch_load_dwordx2 v[36:37], off, s33 offset:256 ; 8-byte Folded Reload
	v_lshrrev_b32_e32 v4, 16, v4
	v_and_or_b32 v96, v5, s63, v4
	v_lshrrev_b32_e32 v4, 16, v86
	v_and_or_b32 v98, v38, s63, v4
	;; [unrolled: 2-line block ×3, first 2 shown]
	s_waitcnt vmcnt(6)
	v_lshlrev_b32_e32 v4, 16, v24
	s_waitcnt vmcnt(5)
	v_lshlrev_b32_e32 v5, 16, v32
	v_max_f32_e32 v5, v5, v5
	v_max_f32_e32 v4, v4, v4
	v_min_f32_e32 v38, v4, v5
	v_max_f32_e32 v4, v4, v5
	v_cndmask_b32_e32 v5, v4, v38, vcc
	v_lshrrev_b32_e32 v48, 16, v48
	v_and_b32_e32 v4, 0x7f800000, v5
	v_and_or_b32 v97, v49, s63, v48
	v_cmp_ne_u32_e64 s[22:23], s73, v4
                                        ; implicit-def: $vgpr4
	s_waitcnt vmcnt(0)
	v_lshl_add_u64 v[36:37], v[36:37], 0, v[104:105]
	global_store_dwordx4 v[36:37], v[96:99], off
	s_and_saveexec_b64 s[28:29], s[22:23]
	s_xor_b64 s[22:23], exec, s[28:29]
; %bb.2288:                             ;   in Loop: Header=BB24_2255 Depth=3
	v_bfe_u32 v4, v5, 16, 1
	v_add3_u32 v4, v5, v4, s62
                                        ; implicit-def: $vgpr5
; %bb.2289:                             ;   in Loop: Header=BB24_2255 Depth=3
	s_andn2_saveexec_b64 s[28:29], s[22:23]
; %bb.2290:                             ;   in Loop: Header=BB24_2255 Depth=3
	v_or_b32_e32 v4, 0x10000, v5
	v_cmp_eq_u32_sdwa s[22:23], v5, v3 src0_sel:WORD_0 src1_sel:DWORD
	s_nop 1
	v_cndmask_b32_e64 v4, v4, v5, s[22:23]
; %bb.2291:                             ;   in Loop: Header=BB24_2255 Depth=3
	s_or_b64 exec, exec, s[28:29]
	v_and_b32_e32 v5, 0xffff0000, v24
	v_and_b32_e32 v24, 0xffff0000, v32
	v_max_f32_e32 v24, v24, v24
	v_max_f32_e32 v5, v5, v5
	v_min_f32_e32 v32, v5, v24
	v_max_f32_e32 v5, v5, v24
	v_cndmask_b32_e32 v24, v5, v32, vcc
	v_and_b32_e32 v5, 0x7f800000, v24
	v_cmp_ne_u32_e64 s[22:23], s73, v5
                                        ; implicit-def: $vgpr5
	s_and_saveexec_b64 s[28:29], s[22:23]
	s_xor_b64 s[22:23], exec, s[28:29]
; %bb.2292:                             ;   in Loop: Header=BB24_2255 Depth=3
	v_bfe_u32 v5, v24, 16, 1
	v_add3_u32 v5, v24, v5, s62
                                        ; implicit-def: $vgpr24
; %bb.2293:                             ;   in Loop: Header=BB24_2255 Depth=3
	s_andn2_saveexec_b64 s[28:29], s[22:23]
; %bb.2294:                             ;   in Loop: Header=BB24_2255 Depth=3
	v_or_b32_e32 v5, 0x10000, v24
	v_cmp_eq_u32_sdwa s[22:23], v24, v3 src0_sel:WORD_0 src1_sel:DWORD
	s_nop 1
	v_cndmask_b32_e64 v5, v5, v24, s[22:23]
; %bb.2295:                             ;   in Loop: Header=BB24_2255 Depth=3
	s_or_b64 exec, exec, s[28:29]
	v_lshlrev_b32_e32 v24, 16, v25
	v_lshlrev_b32_e32 v32, 16, v33
	v_max_f32_e32 v32, v32, v32
	v_max_f32_e32 v24, v24, v24
	v_min_f32_e32 v38, v24, v32
	v_max_f32_e32 v24, v24, v32
	v_cndmask_b32_e32 v32, v24, v38, vcc
	v_and_b32_e32 v24, 0x7f800000, v32
	v_cmp_ne_u32_e64 s[22:23], s73, v24
                                        ; implicit-def: $vgpr24
	s_and_saveexec_b64 s[28:29], s[22:23]
	s_xor_b64 s[22:23], exec, s[28:29]
; %bb.2296:                             ;   in Loop: Header=BB24_2255 Depth=3
	v_bfe_u32 v24, v32, 16, 1
	v_add3_u32 v24, v32, v24, s62
                                        ; implicit-def: $vgpr32
; %bb.2297:                             ;   in Loop: Header=BB24_2255 Depth=3
	s_andn2_saveexec_b64 s[28:29], s[22:23]
; %bb.2298:                             ;   in Loop: Header=BB24_2255 Depth=3
	v_or_b32_e32 v24, 0x10000, v32
	v_cmp_eq_u32_sdwa s[22:23], v32, v3 src0_sel:WORD_0 src1_sel:DWORD
	s_nop 1
	v_cndmask_b32_e64 v24, v24, v32, s[22:23]
; %bb.2299:                             ;   in Loop: Header=BB24_2255 Depth=3
	s_or_b64 exec, exec, s[28:29]
	v_and_b32_e32 v25, 0xffff0000, v25
	v_and_b32_e32 v32, 0xffff0000, v33
	v_max_f32_e32 v32, v32, v32
	v_max_f32_e32 v25, v25, v25
	v_min_f32_e32 v33, v25, v32
	v_max_f32_e32 v25, v25, v32
	v_cndmask_b32_e32 v32, v25, v33, vcc
	v_and_b32_e32 v25, 0x7f800000, v32
	v_cmp_ne_u32_e64 s[22:23], s73, v25
                                        ; implicit-def: $vgpr25
	s_and_saveexec_b64 s[28:29], s[22:23]
	s_xor_b64 s[22:23], exec, s[28:29]
; %bb.2300:                             ;   in Loop: Header=BB24_2255 Depth=3
	v_bfe_u32 v25, v32, 16, 1
	v_add3_u32 v25, v32, v25, s62
                                        ; implicit-def: $vgpr32
; %bb.2301:                             ;   in Loop: Header=BB24_2255 Depth=3
	s_andn2_saveexec_b64 s[28:29], s[22:23]
; %bb.2302:                             ;   in Loop: Header=BB24_2255 Depth=3
	v_or_b32_e32 v25, 0x10000, v32
	v_cmp_eq_u32_sdwa s[22:23], v32, v3 src0_sel:WORD_0 src1_sel:DWORD
	s_nop 1
	v_cndmask_b32_e64 v25, v25, v32, s[22:23]
; %bb.2303:                             ;   in Loop: Header=BB24_2255 Depth=3
	s_or_b64 exec, exec, s[28:29]
	v_lshlrev_b32_e32 v32, 16, v26
	v_lshlrev_b32_e32 v33, 16, v34
	v_max_f32_e32 v33, v33, v33
	v_max_f32_e32 v32, v32, v32
	v_min_f32_e32 v38, v32, v33
	v_max_f32_e32 v32, v32, v33
	v_cndmask_b32_e32 v33, v32, v38, vcc
	v_and_b32_e32 v32, 0x7f800000, v33
	v_cmp_ne_u32_e64 s[22:23], s73, v32
                                        ; implicit-def: $vgpr32
	s_and_saveexec_b64 s[28:29], s[22:23]
	s_xor_b64 s[22:23], exec, s[28:29]
; %bb.2304:                             ;   in Loop: Header=BB24_2255 Depth=3
	v_bfe_u32 v32, v33, 16, 1
	v_add3_u32 v32, v33, v32, s62
                                        ; implicit-def: $vgpr33
; %bb.2305:                             ;   in Loop: Header=BB24_2255 Depth=3
	s_andn2_saveexec_b64 s[28:29], s[22:23]
; %bb.2306:                             ;   in Loop: Header=BB24_2255 Depth=3
	v_or_b32_e32 v32, 0x10000, v33
	v_cmp_eq_u32_sdwa s[22:23], v33, v3 src0_sel:WORD_0 src1_sel:DWORD
	s_nop 1
	v_cndmask_b32_e64 v32, v32, v33, s[22:23]
; %bb.2307:                             ;   in Loop: Header=BB24_2255 Depth=3
	s_or_b64 exec, exec, s[28:29]
	v_and_b32_e32 v26, 0xffff0000, v26
	v_and_b32_e32 v33, 0xffff0000, v34
	v_max_f32_e32 v33, v33, v33
	v_max_f32_e32 v26, v26, v26
	v_min_f32_e32 v34, v26, v33
	v_max_f32_e32 v26, v26, v33
	v_cndmask_b32_e32 v33, v26, v34, vcc
	v_and_b32_e32 v26, 0x7f800000, v33
	v_cmp_ne_u32_e64 s[22:23], s73, v26
                                        ; implicit-def: $vgpr26
	s_and_saveexec_b64 s[28:29], s[22:23]
	s_xor_b64 s[22:23], exec, s[28:29]
; %bb.2308:                             ;   in Loop: Header=BB24_2255 Depth=3
	v_bfe_u32 v26, v33, 16, 1
	v_add3_u32 v26, v33, v26, s62
                                        ; implicit-def: $vgpr33
; %bb.2309:                             ;   in Loop: Header=BB24_2255 Depth=3
	s_andn2_saveexec_b64 s[28:29], s[22:23]
; %bb.2310:                             ;   in Loop: Header=BB24_2255 Depth=3
	v_or_b32_e32 v26, 0x10000, v33
	v_cmp_eq_u32_sdwa s[22:23], v33, v3 src0_sel:WORD_0 src1_sel:DWORD
	s_nop 1
	v_cndmask_b32_e64 v26, v26, v33, s[22:23]
; %bb.2311:                             ;   in Loop: Header=BB24_2255 Depth=3
	s_or_b64 exec, exec, s[28:29]
	v_lshlrev_b32_e32 v33, 16, v27
	v_lshlrev_b32_e32 v34, 16, v35
	v_max_f32_e32 v34, v34, v34
	v_max_f32_e32 v33, v33, v33
	v_min_f32_e32 v38, v33, v34
	v_max_f32_e32 v33, v33, v34
	v_cndmask_b32_e32 v34, v33, v38, vcc
	v_and_b32_e32 v33, 0x7f800000, v34
	v_cmp_ne_u32_e64 s[22:23], s73, v33
                                        ; implicit-def: $vgpr33
	s_and_saveexec_b64 s[28:29], s[22:23]
	s_xor_b64 s[22:23], exec, s[28:29]
; %bb.2312:                             ;   in Loop: Header=BB24_2255 Depth=3
	v_bfe_u32 v33, v34, 16, 1
	v_add3_u32 v33, v34, v33, s62
                                        ; implicit-def: $vgpr34
; %bb.2313:                             ;   in Loop: Header=BB24_2255 Depth=3
	s_andn2_saveexec_b64 s[28:29], s[22:23]
; %bb.2314:                             ;   in Loop: Header=BB24_2255 Depth=3
	v_or_b32_e32 v33, 0x10000, v34
	v_cmp_eq_u32_sdwa s[22:23], v34, v3 src0_sel:WORD_0 src1_sel:DWORD
	s_nop 1
	v_cndmask_b32_e64 v33, v33, v34, s[22:23]
; %bb.2315:                             ;   in Loop: Header=BB24_2255 Depth=3
	s_or_b64 exec, exec, s[28:29]
	v_and_b32_e32 v27, 0xffff0000, v27
	v_and_b32_e32 v34, 0xffff0000, v35
	v_max_f32_e32 v34, v34, v34
	v_max_f32_e32 v27, v27, v27
	v_min_f32_e32 v35, v27, v34
	v_max_f32_e32 v27, v27, v34
	v_cndmask_b32_e32 v34, v27, v35, vcc
	v_and_b32_e32 v27, 0x7f800000, v34
	v_cmp_ne_u32_e64 s[22:23], s73, v27
                                        ; implicit-def: $vgpr27
	s_and_saveexec_b64 s[28:29], s[22:23]
	s_xor_b64 s[22:23], exec, s[28:29]
; %bb.2316:                             ;   in Loop: Header=BB24_2255 Depth=3
	v_bfe_u32 v27, v34, 16, 1
	v_add3_u32 v27, v34, v27, s62
                                        ; implicit-def: $vgpr34
; %bb.2317:                             ;   in Loop: Header=BB24_2255 Depth=3
	s_andn2_saveexec_b64 s[28:29], s[22:23]
; %bb.2318:                             ;   in Loop: Header=BB24_2255 Depth=3
	v_or_b32_e32 v27, 0x10000, v34
	v_cmp_eq_u32_sdwa s[22:23], v34, v3 src0_sel:WORD_0 src1_sel:DWORD
	s_nop 1
	v_cndmask_b32_e64 v27, v27, v34, s[22:23]
; %bb.2319:                             ;   in Loop: Header=BB24_2255 Depth=3
	s_or_b64 exec, exec, s[28:29]
	v_lshrrev_b32_e32 v24, 16, v24
	v_lshrrev_b32_e32 v4, 16, v4
	v_and_or_b32 v25, v25, s63, v24
	v_and_or_b32 v24, v5, s63, v4
	v_lshrrev_b32_e32 v4, 16, v32
	v_and_or_b32 v26, v26, s63, v4
	v_lshrrev_b32_e32 v4, 16, v33
	v_and_or_b32 v27, v27, s63, v4
	v_lshlrev_b32_e32 v4, 16, v16
	v_lshlrev_b32_e32 v5, 16, v20
	v_max_f32_e32 v5, v5, v5
	v_max_f32_e32 v4, v4, v4
	global_store_dwordx4 v[36:37], v[24:27], off offset:1024
	s_nop 1
	v_min_f32_e32 v24, v4, v5
	v_max_f32_e32 v4, v4, v5
	v_cndmask_b32_e32 v5, v4, v24, vcc
	v_and_b32_e32 v4, 0x7f800000, v5
	v_cmp_ne_u32_e64 s[22:23], s73, v4
                                        ; implicit-def: $vgpr4
	s_and_saveexec_b64 s[28:29], s[22:23]
	s_xor_b64 s[22:23], exec, s[28:29]
; %bb.2320:                             ;   in Loop: Header=BB24_2255 Depth=3
	v_bfe_u32 v4, v5, 16, 1
	v_add3_u32 v4, v5, v4, s62
                                        ; implicit-def: $vgpr5
; %bb.2321:                             ;   in Loop: Header=BB24_2255 Depth=3
	s_andn2_saveexec_b64 s[28:29], s[22:23]
; %bb.2322:                             ;   in Loop: Header=BB24_2255 Depth=3
	v_or_b32_e32 v4, 0x10000, v5
	v_cmp_eq_u32_sdwa s[22:23], v5, v3 src0_sel:WORD_0 src1_sel:DWORD
	s_nop 1
	v_cndmask_b32_e64 v4, v4, v5, s[22:23]
; %bb.2323:                             ;   in Loop: Header=BB24_2255 Depth=3
	s_or_b64 exec, exec, s[28:29]
	v_and_b32_e32 v5, 0xffff0000, v16
	v_and_b32_e32 v16, 0xffff0000, v20
	v_max_f32_e32 v16, v16, v16
	v_max_f32_e32 v5, v5, v5
	v_min_f32_e32 v20, v5, v16
	v_max_f32_e32 v5, v5, v16
	v_cndmask_b32_e32 v16, v5, v20, vcc
	v_and_b32_e32 v5, 0x7f800000, v16
	v_cmp_ne_u32_e64 s[22:23], s73, v5
                                        ; implicit-def: $vgpr5
	s_and_saveexec_b64 s[28:29], s[22:23]
	s_xor_b64 s[22:23], exec, s[28:29]
; %bb.2324:                             ;   in Loop: Header=BB24_2255 Depth=3
	v_bfe_u32 v5, v16, 16, 1
	v_add3_u32 v5, v16, v5, s62
                                        ; implicit-def: $vgpr16
; %bb.2325:                             ;   in Loop: Header=BB24_2255 Depth=3
	s_andn2_saveexec_b64 s[28:29], s[22:23]
; %bb.2326:                             ;   in Loop: Header=BB24_2255 Depth=3
	v_or_b32_e32 v5, 0x10000, v16
	v_cmp_eq_u32_sdwa s[22:23], v16, v3 src0_sel:WORD_0 src1_sel:DWORD
	s_nop 1
	v_cndmask_b32_e64 v5, v5, v16, s[22:23]
; %bb.2327:                             ;   in Loop: Header=BB24_2255 Depth=3
	s_or_b64 exec, exec, s[28:29]
	v_lshlrev_b32_e32 v16, 16, v17
	v_lshlrev_b32_e32 v20, 16, v21
	v_max_f32_e32 v20, v20, v20
	v_max_f32_e32 v16, v16, v16
	v_min_f32_e32 v24, v16, v20
	v_max_f32_e32 v16, v16, v20
	v_cndmask_b32_e32 v20, v16, v24, vcc
	v_and_b32_e32 v16, 0x7f800000, v20
	v_cmp_ne_u32_e64 s[22:23], s73, v16
                                        ; implicit-def: $vgpr16
	s_and_saveexec_b64 s[28:29], s[22:23]
	s_xor_b64 s[22:23], exec, s[28:29]
; %bb.2328:                             ;   in Loop: Header=BB24_2255 Depth=3
	v_bfe_u32 v16, v20, 16, 1
	v_add3_u32 v16, v20, v16, s62
                                        ; implicit-def: $vgpr20
; %bb.2329:                             ;   in Loop: Header=BB24_2255 Depth=3
	s_andn2_saveexec_b64 s[28:29], s[22:23]
; %bb.2330:                             ;   in Loop: Header=BB24_2255 Depth=3
	v_or_b32_e32 v16, 0x10000, v20
	v_cmp_eq_u32_sdwa s[22:23], v20, v3 src0_sel:WORD_0 src1_sel:DWORD
	s_nop 1
	v_cndmask_b32_e64 v16, v16, v20, s[22:23]
; %bb.2331:                             ;   in Loop: Header=BB24_2255 Depth=3
	s_or_b64 exec, exec, s[28:29]
	v_and_b32_e32 v17, 0xffff0000, v17
	v_and_b32_e32 v20, 0xffff0000, v21
	v_max_f32_e32 v20, v20, v20
	v_max_f32_e32 v17, v17, v17
	v_min_f32_e32 v21, v17, v20
	v_max_f32_e32 v17, v17, v20
	v_cndmask_b32_e32 v20, v17, v21, vcc
	v_and_b32_e32 v17, 0x7f800000, v20
	v_cmp_ne_u32_e64 s[22:23], s73, v17
                                        ; implicit-def: $vgpr17
	s_and_saveexec_b64 s[28:29], s[22:23]
	s_xor_b64 s[22:23], exec, s[28:29]
; %bb.2332:                             ;   in Loop: Header=BB24_2255 Depth=3
	v_bfe_u32 v17, v20, 16, 1
	v_add3_u32 v17, v20, v17, s62
                                        ; implicit-def: $vgpr20
; %bb.2333:                             ;   in Loop: Header=BB24_2255 Depth=3
	s_andn2_saveexec_b64 s[28:29], s[22:23]
; %bb.2334:                             ;   in Loop: Header=BB24_2255 Depth=3
	v_or_b32_e32 v17, 0x10000, v20
	v_cmp_eq_u32_sdwa s[22:23], v20, v3 src0_sel:WORD_0 src1_sel:DWORD
	s_nop 1
	v_cndmask_b32_e64 v17, v17, v20, s[22:23]
; %bb.2335:                             ;   in Loop: Header=BB24_2255 Depth=3
	s_or_b64 exec, exec, s[28:29]
	v_lshlrev_b32_e32 v20, 16, v18
	v_lshlrev_b32_e32 v21, 16, v22
	v_max_f32_e32 v21, v21, v21
	v_max_f32_e32 v20, v20, v20
	v_min_f32_e32 v24, v20, v21
	v_max_f32_e32 v20, v20, v21
	v_cndmask_b32_e32 v21, v20, v24, vcc
	v_and_b32_e32 v20, 0x7f800000, v21
	v_cmp_ne_u32_e64 s[22:23], s73, v20
                                        ; implicit-def: $vgpr20
	s_and_saveexec_b64 s[28:29], s[22:23]
	s_xor_b64 s[22:23], exec, s[28:29]
; %bb.2336:                             ;   in Loop: Header=BB24_2255 Depth=3
	v_bfe_u32 v20, v21, 16, 1
	v_add3_u32 v20, v21, v20, s62
                                        ; implicit-def: $vgpr21
; %bb.2337:                             ;   in Loop: Header=BB24_2255 Depth=3
	s_andn2_saveexec_b64 s[28:29], s[22:23]
; %bb.2338:                             ;   in Loop: Header=BB24_2255 Depth=3
	v_or_b32_e32 v20, 0x10000, v21
	v_cmp_eq_u32_sdwa s[22:23], v21, v3 src0_sel:WORD_0 src1_sel:DWORD
	s_nop 1
	v_cndmask_b32_e64 v20, v20, v21, s[22:23]
; %bb.2339:                             ;   in Loop: Header=BB24_2255 Depth=3
	s_or_b64 exec, exec, s[28:29]
	v_and_b32_e32 v18, 0xffff0000, v18
	v_and_b32_e32 v21, 0xffff0000, v22
	v_max_f32_e32 v21, v21, v21
	v_max_f32_e32 v18, v18, v18
	v_min_f32_e32 v22, v18, v21
	v_max_f32_e32 v18, v18, v21
	v_cndmask_b32_e32 v21, v18, v22, vcc
	v_and_b32_e32 v18, 0x7f800000, v21
	v_cmp_ne_u32_e64 s[22:23], s73, v18
                                        ; implicit-def: $vgpr18
	s_and_saveexec_b64 s[28:29], s[22:23]
	s_xor_b64 s[22:23], exec, s[28:29]
; %bb.2340:                             ;   in Loop: Header=BB24_2255 Depth=3
	v_bfe_u32 v18, v21, 16, 1
	v_add3_u32 v18, v21, v18, s62
                                        ; implicit-def: $vgpr21
; %bb.2341:                             ;   in Loop: Header=BB24_2255 Depth=3
	s_andn2_saveexec_b64 s[28:29], s[22:23]
; %bb.2342:                             ;   in Loop: Header=BB24_2255 Depth=3
	v_or_b32_e32 v18, 0x10000, v21
	v_cmp_eq_u32_sdwa s[22:23], v21, v3 src0_sel:WORD_0 src1_sel:DWORD
	s_nop 1
	v_cndmask_b32_e64 v18, v18, v21, s[22:23]
; %bb.2343:                             ;   in Loop: Header=BB24_2255 Depth=3
	s_or_b64 exec, exec, s[28:29]
	v_lshlrev_b32_e32 v21, 16, v19
	v_lshlrev_b32_e32 v22, 16, v23
	v_max_f32_e32 v22, v22, v22
	v_max_f32_e32 v21, v21, v21
	v_min_f32_e32 v24, v21, v22
	v_max_f32_e32 v21, v21, v22
	v_cndmask_b32_e32 v22, v21, v24, vcc
	v_and_b32_e32 v21, 0x7f800000, v22
	v_cmp_ne_u32_e64 s[22:23], s73, v21
                                        ; implicit-def: $vgpr21
	s_and_saveexec_b64 s[28:29], s[22:23]
	s_xor_b64 s[22:23], exec, s[28:29]
; %bb.2344:                             ;   in Loop: Header=BB24_2255 Depth=3
	v_bfe_u32 v21, v22, 16, 1
	v_add3_u32 v21, v22, v21, s62
                                        ; implicit-def: $vgpr22
; %bb.2345:                             ;   in Loop: Header=BB24_2255 Depth=3
	s_andn2_saveexec_b64 s[28:29], s[22:23]
; %bb.2346:                             ;   in Loop: Header=BB24_2255 Depth=3
	v_or_b32_e32 v21, 0x10000, v22
	v_cmp_eq_u32_sdwa s[22:23], v22, v3 src0_sel:WORD_0 src1_sel:DWORD
	s_nop 1
	v_cndmask_b32_e64 v21, v21, v22, s[22:23]
; %bb.2347:                             ;   in Loop: Header=BB24_2255 Depth=3
	s_or_b64 exec, exec, s[28:29]
	v_and_b32_e32 v19, 0xffff0000, v19
	v_and_b32_e32 v22, 0xffff0000, v23
	v_max_f32_e32 v22, v22, v22
	v_max_f32_e32 v19, v19, v19
	v_min_f32_e32 v23, v19, v22
	v_max_f32_e32 v19, v19, v22
	v_cndmask_b32_e32 v22, v19, v23, vcc
	v_and_b32_e32 v19, 0x7f800000, v22
	v_cmp_ne_u32_e64 s[22:23], s73, v19
                                        ; implicit-def: $vgpr19
	s_and_saveexec_b64 s[28:29], s[22:23]
	s_xor_b64 s[22:23], exec, s[28:29]
; %bb.2348:                             ;   in Loop: Header=BB24_2255 Depth=3
	v_bfe_u32 v19, v22, 16, 1
	v_add3_u32 v19, v22, v19, s62
                                        ; implicit-def: $vgpr22
; %bb.2349:                             ;   in Loop: Header=BB24_2255 Depth=3
	s_andn2_saveexec_b64 s[28:29], s[22:23]
; %bb.2350:                             ;   in Loop: Header=BB24_2255 Depth=3
	v_or_b32_e32 v19, 0x10000, v22
	v_cmp_eq_u32_sdwa s[22:23], v22, v3 src0_sel:WORD_0 src1_sel:DWORD
	s_nop 1
	v_cndmask_b32_e64 v19, v19, v22, s[22:23]
; %bb.2351:                             ;   in Loop: Header=BB24_2255 Depth=3
	s_or_b64 exec, exec, s[28:29]
	v_lshrrev_b32_e32 v16, 16, v16
	v_lshrrev_b32_e32 v4, 16, v4
	v_and_or_b32 v17, v17, s63, v16
	v_and_or_b32 v16, v5, s63, v4
	v_lshrrev_b32_e32 v4, 16, v20
	v_and_or_b32 v18, v18, s63, v4
	v_lshrrev_b32_e32 v4, 16, v21
	v_and_or_b32 v19, v19, s63, v4
	v_lshlrev_b32_e32 v4, 16, v8
	v_lshlrev_b32_e32 v5, 16, v12
	v_max_f32_e32 v5, v5, v5
	v_max_f32_e32 v4, v4, v4
	global_store_dwordx4 v[36:37], v[16:19], off offset:2048
	s_nop 1
	v_min_f32_e32 v16, v4, v5
	v_max_f32_e32 v4, v4, v5
	v_cndmask_b32_e32 v5, v4, v16, vcc
	v_and_b32_e32 v4, 0x7f800000, v5
	v_cmp_ne_u32_e64 s[22:23], s73, v4
                                        ; implicit-def: $vgpr4
	s_and_saveexec_b64 s[28:29], s[22:23]
	s_xor_b64 s[22:23], exec, s[28:29]
; %bb.2352:                             ;   in Loop: Header=BB24_2255 Depth=3
	v_bfe_u32 v4, v5, 16, 1
	v_add3_u32 v4, v5, v4, s62
                                        ; implicit-def: $vgpr5
; %bb.2353:                             ;   in Loop: Header=BB24_2255 Depth=3
	s_andn2_saveexec_b64 s[28:29], s[22:23]
; %bb.2354:                             ;   in Loop: Header=BB24_2255 Depth=3
	v_or_b32_e32 v4, 0x10000, v5
	v_cmp_eq_u32_sdwa s[22:23], v5, v3 src0_sel:WORD_0 src1_sel:DWORD
	s_nop 1
	v_cndmask_b32_e64 v4, v4, v5, s[22:23]
; %bb.2355:                             ;   in Loop: Header=BB24_2255 Depth=3
	s_or_b64 exec, exec, s[28:29]
	v_and_b32_e32 v5, 0xffff0000, v8
	v_and_b32_e32 v8, 0xffff0000, v12
	v_max_f32_e32 v8, v8, v8
	v_max_f32_e32 v5, v5, v5
	v_min_f32_e32 v12, v5, v8
	v_max_f32_e32 v5, v5, v8
	v_cndmask_b32_e32 v8, v5, v12, vcc
	v_and_b32_e32 v5, 0x7f800000, v8
	v_cmp_ne_u32_e64 s[22:23], s73, v5
                                        ; implicit-def: $vgpr5
	s_and_saveexec_b64 s[28:29], s[22:23]
	s_xor_b64 s[22:23], exec, s[28:29]
; %bb.2356:                             ;   in Loop: Header=BB24_2255 Depth=3
	v_bfe_u32 v5, v8, 16, 1
	v_add3_u32 v5, v8, v5, s62
                                        ; implicit-def: $vgpr8
; %bb.2357:                             ;   in Loop: Header=BB24_2255 Depth=3
	s_andn2_saveexec_b64 s[28:29], s[22:23]
; %bb.2358:                             ;   in Loop: Header=BB24_2255 Depth=3
	v_or_b32_e32 v5, 0x10000, v8
	v_cmp_eq_u32_sdwa s[22:23], v8, v3 src0_sel:WORD_0 src1_sel:DWORD
	s_nop 1
	v_cndmask_b32_e64 v5, v5, v8, s[22:23]
; %bb.2359:                             ;   in Loop: Header=BB24_2255 Depth=3
	s_or_b64 exec, exec, s[28:29]
	v_lshlrev_b32_e32 v8, 16, v9
	v_lshlrev_b32_e32 v12, 16, v13
	v_max_f32_e32 v12, v12, v12
	v_max_f32_e32 v8, v8, v8
	v_min_f32_e32 v16, v8, v12
	v_max_f32_e32 v8, v8, v12
	v_cndmask_b32_e32 v12, v8, v16, vcc
	v_and_b32_e32 v8, 0x7f800000, v12
	v_cmp_ne_u32_e64 s[22:23], s73, v8
                                        ; implicit-def: $vgpr8
	s_and_saveexec_b64 s[28:29], s[22:23]
	s_xor_b64 s[22:23], exec, s[28:29]
; %bb.2360:                             ;   in Loop: Header=BB24_2255 Depth=3
	v_bfe_u32 v8, v12, 16, 1
	v_add3_u32 v8, v12, v8, s62
                                        ; implicit-def: $vgpr12
; %bb.2361:                             ;   in Loop: Header=BB24_2255 Depth=3
	s_andn2_saveexec_b64 s[28:29], s[22:23]
; %bb.2362:                             ;   in Loop: Header=BB24_2255 Depth=3
	v_or_b32_e32 v8, 0x10000, v12
	v_cmp_eq_u32_sdwa s[22:23], v12, v3 src0_sel:WORD_0 src1_sel:DWORD
	s_nop 1
	v_cndmask_b32_e64 v8, v8, v12, s[22:23]
; %bb.2363:                             ;   in Loop: Header=BB24_2255 Depth=3
	s_or_b64 exec, exec, s[28:29]
	v_and_b32_e32 v9, 0xffff0000, v9
	v_and_b32_e32 v12, 0xffff0000, v13
	v_max_f32_e32 v12, v12, v12
	v_max_f32_e32 v9, v9, v9
	v_min_f32_e32 v13, v9, v12
	v_max_f32_e32 v9, v9, v12
	v_cndmask_b32_e32 v12, v9, v13, vcc
	v_and_b32_e32 v9, 0x7f800000, v12
	v_cmp_ne_u32_e64 s[22:23], s73, v9
                                        ; implicit-def: $vgpr9
	s_and_saveexec_b64 s[28:29], s[22:23]
	s_xor_b64 s[22:23], exec, s[28:29]
; %bb.2364:                             ;   in Loop: Header=BB24_2255 Depth=3
	v_bfe_u32 v9, v12, 16, 1
	v_add3_u32 v9, v12, v9, s62
                                        ; implicit-def: $vgpr12
; %bb.2365:                             ;   in Loop: Header=BB24_2255 Depth=3
	s_andn2_saveexec_b64 s[28:29], s[22:23]
; %bb.2366:                             ;   in Loop: Header=BB24_2255 Depth=3
	v_or_b32_e32 v9, 0x10000, v12
	v_cmp_eq_u32_sdwa s[22:23], v12, v3 src0_sel:WORD_0 src1_sel:DWORD
	s_nop 1
	v_cndmask_b32_e64 v9, v9, v12, s[22:23]
; %bb.2367:                             ;   in Loop: Header=BB24_2255 Depth=3
	s_or_b64 exec, exec, s[28:29]
	v_lshlrev_b32_e32 v12, 16, v10
	v_lshlrev_b32_e32 v13, 16, v14
	v_max_f32_e32 v13, v13, v13
	v_max_f32_e32 v12, v12, v12
	v_min_f32_e32 v16, v12, v13
	v_max_f32_e32 v12, v12, v13
	v_cndmask_b32_e32 v13, v12, v16, vcc
	v_and_b32_e32 v12, 0x7f800000, v13
	v_cmp_ne_u32_e64 s[22:23], s73, v12
                                        ; implicit-def: $vgpr12
	s_and_saveexec_b64 s[28:29], s[22:23]
	s_xor_b64 s[22:23], exec, s[28:29]
; %bb.2368:                             ;   in Loop: Header=BB24_2255 Depth=3
	v_bfe_u32 v12, v13, 16, 1
	v_add3_u32 v12, v13, v12, s62
                                        ; implicit-def: $vgpr13
; %bb.2369:                             ;   in Loop: Header=BB24_2255 Depth=3
	s_andn2_saveexec_b64 s[28:29], s[22:23]
; %bb.2370:                             ;   in Loop: Header=BB24_2255 Depth=3
	v_or_b32_e32 v12, 0x10000, v13
	v_cmp_eq_u32_sdwa s[22:23], v13, v3 src0_sel:WORD_0 src1_sel:DWORD
	s_nop 1
	v_cndmask_b32_e64 v12, v12, v13, s[22:23]
; %bb.2371:                             ;   in Loop: Header=BB24_2255 Depth=3
	s_or_b64 exec, exec, s[28:29]
	v_and_b32_e32 v10, 0xffff0000, v10
	v_and_b32_e32 v13, 0xffff0000, v14
	v_max_f32_e32 v13, v13, v13
	v_max_f32_e32 v10, v10, v10
	v_min_f32_e32 v14, v10, v13
	v_max_f32_e32 v10, v10, v13
	v_cndmask_b32_e32 v13, v10, v14, vcc
	v_and_b32_e32 v10, 0x7f800000, v13
	v_cmp_ne_u32_e64 s[22:23], s73, v10
                                        ; implicit-def: $vgpr10
	s_and_saveexec_b64 s[28:29], s[22:23]
	s_xor_b64 s[22:23], exec, s[28:29]
; %bb.2372:                             ;   in Loop: Header=BB24_2255 Depth=3
	v_bfe_u32 v10, v13, 16, 1
	v_add3_u32 v10, v13, v10, s62
                                        ; implicit-def: $vgpr13
; %bb.2373:                             ;   in Loop: Header=BB24_2255 Depth=3
	s_andn2_saveexec_b64 s[28:29], s[22:23]
; %bb.2374:                             ;   in Loop: Header=BB24_2255 Depth=3
	v_or_b32_e32 v10, 0x10000, v13
	v_cmp_eq_u32_sdwa s[22:23], v13, v3 src0_sel:WORD_0 src1_sel:DWORD
	s_nop 1
	v_cndmask_b32_e64 v10, v10, v13, s[22:23]
; %bb.2375:                             ;   in Loop: Header=BB24_2255 Depth=3
	s_or_b64 exec, exec, s[28:29]
	v_lshlrev_b32_e32 v13, 16, v11
	v_lshlrev_b32_e32 v14, 16, v15
	v_max_f32_e32 v14, v14, v14
	v_max_f32_e32 v13, v13, v13
	v_min_f32_e32 v16, v13, v14
	v_max_f32_e32 v13, v13, v14
	v_cndmask_b32_e32 v14, v13, v16, vcc
	v_and_b32_e32 v13, 0x7f800000, v14
	v_cmp_ne_u32_e64 s[22:23], s73, v13
                                        ; implicit-def: $vgpr13
	s_and_saveexec_b64 s[28:29], s[22:23]
	s_xor_b64 s[22:23], exec, s[28:29]
; %bb.2376:                             ;   in Loop: Header=BB24_2255 Depth=3
	v_bfe_u32 v13, v14, 16, 1
	v_add3_u32 v13, v14, v13, s62
                                        ; implicit-def: $vgpr14
; %bb.2377:                             ;   in Loop: Header=BB24_2255 Depth=3
	s_andn2_saveexec_b64 s[28:29], s[22:23]
; %bb.2378:                             ;   in Loop: Header=BB24_2255 Depth=3
	v_or_b32_e32 v13, 0x10000, v14
	v_cmp_eq_u32_sdwa s[22:23], v14, v3 src0_sel:WORD_0 src1_sel:DWORD
	s_nop 1
	v_cndmask_b32_e64 v13, v13, v14, s[22:23]
; %bb.2379:                             ;   in Loop: Header=BB24_2255 Depth=3
	s_or_b64 exec, exec, s[28:29]
	v_and_b32_e32 v11, 0xffff0000, v11
	v_and_b32_e32 v14, 0xffff0000, v15
	v_max_f32_e32 v14, v14, v14
	v_max_f32_e32 v11, v11, v11
	v_min_f32_e32 v15, v11, v14
	v_max_f32_e32 v11, v11, v14
	v_cndmask_b32_e32 v14, v11, v15, vcc
	v_and_b32_e32 v11, 0x7f800000, v14
	v_cmp_ne_u32_e64 s[22:23], s73, v11
                                        ; implicit-def: $vgpr11
	s_and_saveexec_b64 s[28:29], s[22:23]
	s_xor_b64 s[22:23], exec, s[28:29]
; %bb.2380:                             ;   in Loop: Header=BB24_2255 Depth=3
	v_bfe_u32 v11, v14, 16, 1
	v_add3_u32 v11, v14, v11, s62
                                        ; implicit-def: $vgpr14
; %bb.2381:                             ;   in Loop: Header=BB24_2255 Depth=3
	s_andn2_saveexec_b64 s[28:29], s[22:23]
	s_cbranch_execz .LBB24_2254
; %bb.2382:                             ;   in Loop: Header=BB24_2255 Depth=3
	v_or_b32_e32 v11, 0x10000, v14
	v_cmp_eq_u32_sdwa s[22:23], v14, v3 src0_sel:WORD_0 src1_sel:DWORD
	s_nop 1
	v_cndmask_b32_e64 v11, v11, v14, s[22:23]
	s_branch .LBB24_2254
.LBB24_2383:                            ;   in Loop: Header=BB24_2177 Depth=2
	s_or_b64 exec, exec, s[26:27]
.LBB24_2384:                            ;   in Loop: Header=BB24_2177 Depth=2
	s_or_b64 exec, exec, s[24:25]
	v_lshlrev_b32_e32 v12, 12, v111
	v_cmp_ne_u32_e32 vcc, v79, v12
	s_mov_b64 s[22:23], 0
	v_mov_b32_e32 v18, 0
                                        ; implicit-def: $vgpr19
	s_and_saveexec_b64 s[54:55], vcc
	s_cbranch_execz .LBB24_2390
; %bb.2385:                             ;   in Loop: Header=BB24_2177 Depth=2
	v_lshlrev_b32_e32 v4, 6, v110
	v_sub_u32_e32 v4, v123, v4
	v_ashrrev_i32_e32 v8, 31, v4
	v_lshrrev_b32_e32 v8, 26, v8
	v_add_u32_e32 v8, v4, v8
	v_sub_u32_e32 v5, v79, v12
	v_ashrrev_i32_e32 v9, 6, v8
	v_and_b32_e32 v8, 0xffffffc0, v8
	v_sub_u32_e32 v13, v4, v8
	v_ashrrev_i32_e32 v8, 31, v5
	v_lshrrev_b32_e32 v8, 22, v8
	v_add_u32_e32 v8, v5, v8
	v_and_b32_e32 v14, 0xfffffc00, v8
	v_lshlrev_b32_e32 v4, 4, v13
	v_sub_u32_e32 v15, v5, v14
	v_lshl_add_u32 v4, v9, 10, v4
	v_ashrrev_i32_e32 v10, 10, v8
	v_cmp_lt_i32_e32 vcc, 15, v15
	v_sub_u32_e32 v17, v5, v4
	s_nop 0
	v_addc_co_u32_e64 v5, s[22:23], 0, v10, vcc
	v_sub_u32_e32 v16, v5, v9
	v_cmp_lt_i32_e64 s[22:23], 15, v17
	s_and_saveexec_b64 s[64:65], s[22:23]
	s_cbranch_execz .LBB24_2389
; %bb.2386:                             ;   in Loop: Header=BB24_2177 Depth=2
	s_and_b32 s74, s31, 1
	v_add_u32_e32 v8, v4, v12
	s_cmp_eq_u64 s[74:75], 0
	v_ashrrev_i32_e32 v9, 31, v8
	s_mov_b64 s[66:67], 0
	s_cselect_b64 s[22:23], -1, 0
.LBB24_2387:                            ;   Parent Loop BB24_47 Depth=1
                                        ;     Parent Loop BB24_2177 Depth=2
                                        ; =>    This Inner Loop Header: Depth=3
	v_lshl_add_u64 v[18:19], v[90:91], 0, v[8:9]
	v_lshl_add_u64 v[4:5], v[94:95], 0, v[8:9]
	global_load_dwordx4 v[18:21], v[18:19], off nt
	s_nop 0
	global_load_dwordx4 v[22:25], v[4:5], off nt
	v_sub_u32_e32 v17, v17, v100
	v_lshl_add_u64 v[10:11], v[92:93], 0, v[8:9]
	v_sub_u32_e32 v16, v16, v84
	v_lshl_add_u64 v[8:9], v[8:9], 0, v[46:47]
	s_waitcnt vmcnt(0)
	v_and_b32_e32 v4, 0xffff0000, v18
	v_and_b32_e32 v5, 0xffff0000, v22
	v_lshlrev_b32_e32 v18, 16, v18
	v_lshlrev_b32_e32 v22, 16, v22
	v_max_f32_e32 v22, v22, v22
	v_max_f32_e32 v18, v18, v18
	v_min_f32_e32 v26, v18, v22
	v_max_f32_e32 v18, v18, v22
	v_cndmask_b32_e64 v18, v18, v26, s[22:23]
	v_and_b32_e32 v22, 0x7f800000, v18
	v_cmp_eq_u32_e64 s[24:25], s73, v22
	v_bfe_u32 v22, v18, 16, 1
	v_cmp_eq_u32_sdwa s[26:27], v18, v3 src0_sel:WORD_0 src1_sel:DWORD
	v_or_b32_e32 v26, 0x10000, v18
	v_max_f32_e32 v5, v5, v5
	v_max_f32_e32 v4, v4, v4
	v_add3_u32 v22, v18, v22, s62
	v_cndmask_b32_e64 v18, v26, v18, s[26:27]
	v_min_f32_e32 v26, v4, v5
	v_max_f32_e32 v4, v4, v5
	v_cndmask_b32_e64 v4, v4, v26, s[22:23]
	v_and_b32_e32 v5, 0x7f800000, v4
	v_cmp_eq_u32_e64 s[26:27], s73, v5
	v_bfe_u32 v5, v4, 16, 1
	v_cmp_eq_u32_sdwa s[28:29], v4, v3 src0_sel:WORD_0 src1_sel:DWORD
	v_or_b32_e32 v26, 0x10000, v4
	v_add3_u32 v5, v4, v5, s62
	v_cndmask_b32_e64 v4, v26, v4, s[28:29]
	v_and_b32_e32 v26, 0xffff0000, v19
	v_and_b32_e32 v27, 0xffff0000, v23
	v_lshlrev_b32_e32 v19, 16, v19
	v_lshlrev_b32_e32 v23, 16, v23
	v_max_f32_e32 v23, v23, v23
	v_max_f32_e32 v19, v19, v19
	v_min_f32_e32 v32, v19, v23
	v_max_f32_e32 v19, v19, v23
	v_cndmask_b32_e64 v19, v19, v32, s[22:23]
	v_and_b32_e32 v23, 0x7f800000, v19
	v_cmp_eq_u32_e64 s[28:29], s73, v23
	v_bfe_u32 v23, v19, 16, 1
	v_cmp_eq_u32_sdwa s[40:41], v19, v3 src0_sel:WORD_0 src1_sel:DWORD
	v_or_b32_e32 v32, 0x10000, v19
	v_max_f32_e32 v27, v27, v27
	v_max_f32_e32 v26, v26, v26
	v_add3_u32 v23, v19, v23, s62
	v_cndmask_b32_e64 v19, v32, v19, s[40:41]
	v_min_f32_e32 v32, v26, v27
	v_max_f32_e32 v26, v26, v27
	v_cndmask_b32_e64 v26, v26, v32, s[22:23]
	v_and_b32_e32 v27, 0x7f800000, v26
	v_cmp_eq_u32_e64 s[40:41], s73, v27
	v_bfe_u32 v27, v26, 16, 1
	v_cmp_eq_u32_sdwa s[42:43], v26, v3 src0_sel:WORD_0 src1_sel:DWORD
	v_or_b32_e32 v32, 0x10000, v26
	v_add3_u32 v27, v26, v27, s62
	v_cndmask_b32_e64 v26, v32, v26, s[42:43]
	;; [unrolled: 28-line block ×3, first 2 shown]
	v_and_b32_e32 v34, 0xffff0000, v21
	v_and_b32_e32 v35, 0xffff0000, v25
	v_lshlrev_b32_e32 v21, 16, v21
	v_lshlrev_b32_e32 v25, 16, v25
	v_max_f32_e32 v25, v25, v25
	v_max_f32_e32 v21, v21, v21
	v_min_f32_e32 v36, v21, v25
	v_max_f32_e32 v21, v21, v25
	v_cndmask_b32_e64 v21, v21, v36, s[22:23]
	v_and_b32_e32 v25, 0x7f800000, v21
	v_cmp_eq_u32_e64 s[46:47], s73, v25
	v_bfe_u32 v25, v21, 16, 1
	v_cmp_eq_u32_sdwa s[56:57], v21, v3 src0_sel:WORD_0 src1_sel:DWORD
	v_or_b32_e32 v36, 0x10000, v21
	v_max_f32_e32 v35, v35, v35
	v_max_f32_e32 v34, v34, v34
	v_add3_u32 v25, v21, v25, s62
	v_cndmask_b32_e64 v21, v36, v21, s[56:57]
	v_min_f32_e32 v36, v34, v35
	v_max_f32_e32 v34, v34, v35
	v_cndmask_b32_e64 v34, v34, v36, s[22:23]
	v_cndmask_b32_e64 v4, v5, v4, s[26:27]
	;; [unrolled: 1-line block ×3, first 2 shown]
	v_and_b32_e32 v35, 0x7f800000, v34
	v_cndmask_b32_e64 v18, v22, v18, s[24:25]
	v_cndmask_b32_e64 v19, v27, v26, s[40:41]
	v_lshrrev_b32_e32 v5, 16, v5
	v_cmp_eq_u32_e64 s[56:57], s73, v35
	v_bfe_u32 v35, v34, 16, 1
	v_cmp_eq_u32_sdwa s[58:59], v34, v3 src0_sel:WORD_0 src1_sel:DWORD
	v_or_b32_e32 v36, 0x10000, v34
	v_cndmask_b32_e64 v20, v24, v20, s[42:43]
	v_and_or_b32 v19, v19, s63, v5
	v_lshrrev_b32_e32 v5, 16, v18
	v_add3_u32 v35, v34, v35, s62
	v_cndmask_b32_e64 v34, v36, v34, s[58:59]
	v_cndmask_b32_e64 v22, v33, v32, s[44:45]
	;; [unrolled: 1-line block ×3, first 2 shown]
	v_and_or_b32 v18, v4, s63, v5
	v_lshrrev_b32_e32 v4, 16, v20
	v_cndmask_b32_e64 v23, v35, v34, s[56:57]
	v_and_or_b32 v20, v22, s63, v4
	v_lshrrev_b32_e32 v4, 16, v21
	v_cmp_gt_i32_e64 s[24:25], 16, v17
	v_and_or_b32 v21, v23, s63, v4
	s_or_b64 s[66:67], s[24:25], s[66:67]
	global_store_dwordx4 v[10:11], v[18:21], off
	s_andn2_b64 exec, exec, s[66:67]
	s_cbranch_execnz .LBB24_2387
; %bb.2388:                             ;   in Loop: Header=BB24_2177 Depth=2
	s_or_b64 exec, exec, s[66:67]
.LBB24_2389:                            ;   in Loop: Header=BB24_2177 Depth=2
	s_or_b64 exec, exec, s[64:65]
	v_and_b32_e32 v4, 14, v79
	v_sub_u32_e32 v5, v15, v4
	v_cndmask_b32_e32 v5, 0, v5, vcc
	v_cndmask_b32_e32 v79, v15, v4, vcc
	v_cmp_lt_i32_e32 vcc, 0, v16
	v_add3_u32 v18, v14, v12, v5
	s_nop 0
	v_cndmask_b32_e32 v4, 0, v84, vcc
	v_sub_u32_e32 v4, v4, v16
	v_cmp_ne_u32_e32 vcc, 0, v79
	v_lshl_add_u32 v19, v4, 6, v13
	s_and_b64 s[22:23], vcc, exec
.LBB24_2390:                            ;   in Loop: Header=BB24_2177 Depth=2
	s_or_b64 exec, exec, s[54:55]
	s_and_saveexec_b64 s[24:25], s[22:23]
	s_cbranch_execz .LBB24_2431
.LBB24_2391:                            ;   in Loop: Header=BB24_2177 Depth=2
	v_ashrrev_i32_e32 v4, 31, v19
	v_ashrrev_i32_e32 v5, 31, v79
	v_lshrrev_b32_e32 v4, 26, v4
	v_lshrrev_b32_e32 v5, 22, v5
	v_add_u32_e32 v8, v19, v4
	v_add_u32_e32 v5, v79, v5
	v_ashrrev_i32_e32 v4, 6, v8
	v_ashrrev_i32_e32 v20, 10, v5
	v_sub_u32_e32 v5, v20, v4
	v_cmp_lt_i32_e32 vcc, 0, v5
	s_and_saveexec_b64 s[26:27], vcc
	s_cbranch_execz .LBB24_2427
; %bb.2392:                             ;   in Loop: Header=BB24_2177 Depth=2
	v_and_b32_e32 v8, 0x7fffffc0, v8
	v_sub_u32_e32 v8, v19, v8
	v_lshlrev_b32_e32 v8, 1, v8
	v_lshlrev_b32_e32 v9, 10, v4
	s_and_b32 s74, s31, 1
	v_add3_u32 v8, v8, v18, v9
	s_cmp_eq_u64 s[74:75], 0
	v_ashrrev_i32_e32 v9, 31, v8
	s_mov_b64 s[28:29], 0
	s_cselect_b64 vcc, -1, 0
	v_mov_b64_e32 v[10:11], v[92:93]
	v_mov_b64_e32 v[12:13], v[90:91]
	;; [unrolled: 1-line block ×3, first 2 shown]
	s_branch .LBB24_2394
.LBB24_2393:                            ;   in Loop: Header=BB24_2394 Depth=3
	s_or_b64 exec, exec, s[40:41]
	v_sub_u32_e32 v5, v5, v84
	v_cmp_gt_i32_e64 s[22:23], 1, v5
	v_lshl_add_u64 v[14:15], v[14:15], 0, v[46:47]
	v_lshl_add_u64 v[12:13], v[12:13], 0, v[46:47]
	s_or_b64 s[28:29], s[22:23], s[28:29]
	v_lshl_add_u64 v[10:11], v[10:11], 0, v[46:47]
	flat_store_short_d16_hi v[16:17], v22 offset:896 nt
	s_andn2_b64 exec, exec, s[28:29]
	s_cbranch_execz .LBB24_2426
.LBB24_2394:                            ;   Parent Loop BB24_47 Depth=1
                                        ;     Parent Loop BB24_2177 Depth=2
                                        ; =>    This Inner Loop Header: Depth=3
	v_lshl_add_u64 v[16:17], v[8:9], 0, v[14:15]
	v_lshl_add_u64 v[36:37], v[8:9], 0, v[12:13]
	flat_load_ushort v39, v[16:17] nt
	flat_load_ushort v35, v[36:37] offset:256 nt
	flat_load_ushort v33, v[36:37] offset:384 nt
	;; [unrolled: 1-line block ×5, first 2 shown]
	flat_load_ushort v48, v[36:37] nt
	flat_load_ushort v21, v[36:37] offset:896 nt
	s_nop 0
	flat_load_ushort v37, v[36:37] offset:128 nt
	s_nop 0
	flat_load_ushort v36, v[16:17] offset:256 nt
	flat_load_ushort v34, v[16:17] offset:384 nt
	;; [unrolled: 1-line block ×7, first 2 shown]
	s_waitcnt vmcnt(0) lgkmcnt(0)
	v_lshlrev_b32_e32 v17, 16, v39
	v_max_f32_e32 v17, v17, v17
	v_lshlrev_b32_e32 v16, 16, v48
	v_max_f32_e32 v16, v16, v16
	v_min_f32_e32 v39, v16, v17
	v_max_f32_e32 v16, v16, v17
	v_cndmask_b32_e32 v16, v16, v39, vcc
	v_and_b32_e32 v17, 0x7f800000, v16
	v_cmp_ne_u32_e64 s[22:23], s73, v17
                                        ; implicit-def: $vgpr39
	s_and_saveexec_b64 s[40:41], s[22:23]
	s_xor_b64 s[22:23], exec, s[40:41]
; %bb.2395:                             ;   in Loop: Header=BB24_2394 Depth=3
	v_bfe_u32 v17, v16, 16, 1
	v_add3_u32 v39, v16, v17, s62
                                        ; implicit-def: $vgpr16
; %bb.2396:                             ;   in Loop: Header=BB24_2394 Depth=3
	s_andn2_saveexec_b64 s[40:41], s[22:23]
; %bb.2397:                             ;   in Loop: Header=BB24_2394 Depth=3
	v_or_b32_e32 v17, 0x10000, v16
	v_cmp_eq_u32_sdwa s[22:23], v16, v3 src0_sel:WORD_0 src1_sel:DWORD
	s_nop 1
	v_cndmask_b32_e64 v39, v17, v16, s[22:23]
; %bb.2398:                             ;   in Loop: Header=BB24_2394 Depth=3
	s_or_b64 exec, exec, s[40:41]
	v_lshlrev_b32_e32 v37, 16, v37
	v_lshlrev_b32_e32 v38, 16, v38
	v_lshl_add_u64 v[16:17], v[8:9], 0, v[10:11]
	v_max_f32_e32 v38, v38, v38
	v_max_f32_e32 v37, v37, v37
	flat_store_short_d16_hi v[16:17], v39 nt
	v_min_f32_e32 v39, v37, v38
	v_max_f32_e32 v37, v37, v38
	v_cndmask_b32_e32 v37, v37, v39, vcc
	v_and_b32_e32 v38, 0x7f800000, v37
	v_cmp_ne_u32_e64 s[22:23], s73, v38
                                        ; implicit-def: $vgpr38
	s_and_saveexec_b64 s[40:41], s[22:23]
	s_xor_b64 s[22:23], exec, s[40:41]
; %bb.2399:                             ;   in Loop: Header=BB24_2394 Depth=3
	v_bfe_u32 v38, v37, 16, 1
	v_add3_u32 v38, v37, v38, s62
                                        ; implicit-def: $vgpr37
; %bb.2400:                             ;   in Loop: Header=BB24_2394 Depth=3
	s_andn2_saveexec_b64 s[40:41], s[22:23]
; %bb.2401:                             ;   in Loop: Header=BB24_2394 Depth=3
	v_or_b32_e32 v38, 0x10000, v37
	v_cmp_eq_u32_sdwa s[22:23], v37, v3 src0_sel:WORD_0 src1_sel:DWORD
	s_nop 1
	v_cndmask_b32_e64 v38, v38, v37, s[22:23]
; %bb.2402:                             ;   in Loop: Header=BB24_2394 Depth=3
	s_or_b64 exec, exec, s[40:41]
	v_lshlrev_b32_e32 v35, 16, v35
	v_lshlrev_b32_e32 v36, 16, v36
	v_max_f32_e32 v36, v36, v36
	v_max_f32_e32 v35, v35, v35
	v_min_f32_e32 v37, v35, v36
	v_max_f32_e32 v35, v35, v36
	v_cndmask_b32_e32 v35, v35, v37, vcc
	v_and_b32_e32 v36, 0x7f800000, v35
	v_cmp_ne_u32_e64 s[22:23], s73, v36
	flat_store_short_d16_hi v[16:17], v38 offset:128 nt
                                        ; implicit-def: $vgpr36
	s_and_saveexec_b64 s[40:41], s[22:23]
	s_xor_b64 s[22:23], exec, s[40:41]
; %bb.2403:                             ;   in Loop: Header=BB24_2394 Depth=3
	v_bfe_u32 v36, v35, 16, 1
	v_add3_u32 v36, v35, v36, s62
                                        ; implicit-def: $vgpr35
; %bb.2404:                             ;   in Loop: Header=BB24_2394 Depth=3
	s_andn2_saveexec_b64 s[40:41], s[22:23]
; %bb.2405:                             ;   in Loop: Header=BB24_2394 Depth=3
	v_or_b32_e32 v36, 0x10000, v35
	v_cmp_eq_u32_sdwa s[22:23], v35, v3 src0_sel:WORD_0 src1_sel:DWORD
	s_nop 1
	v_cndmask_b32_e64 v36, v36, v35, s[22:23]
; %bb.2406:                             ;   in Loop: Header=BB24_2394 Depth=3
	s_or_b64 exec, exec, s[40:41]
	v_lshlrev_b32_e32 v33, 16, v33
	v_lshlrev_b32_e32 v34, 16, v34
	v_max_f32_e32 v34, v34, v34
	v_max_f32_e32 v33, v33, v33
	v_min_f32_e32 v35, v33, v34
	v_max_f32_e32 v33, v33, v34
	v_cndmask_b32_e32 v33, v33, v35, vcc
	v_and_b32_e32 v34, 0x7f800000, v33
	v_cmp_ne_u32_e64 s[22:23], s73, v34
	flat_store_short_d16_hi v[16:17], v36 offset:256 nt
                                        ; implicit-def: $vgpr34
	s_and_saveexec_b64 s[40:41], s[22:23]
	s_xor_b64 s[22:23], exec, s[40:41]
; %bb.2407:                             ;   in Loop: Header=BB24_2394 Depth=3
	v_bfe_u32 v34, v33, 16, 1
	v_add3_u32 v34, v33, v34, s62
                                        ; implicit-def: $vgpr33
; %bb.2408:                             ;   in Loop: Header=BB24_2394 Depth=3
	s_andn2_saveexec_b64 s[40:41], s[22:23]
; %bb.2409:                             ;   in Loop: Header=BB24_2394 Depth=3
	v_or_b32_e32 v34, 0x10000, v33
	v_cmp_eq_u32_sdwa s[22:23], v33, v3 src0_sel:WORD_0 src1_sel:DWORD
	s_nop 1
	v_cndmask_b32_e64 v34, v34, v33, s[22:23]
; %bb.2410:                             ;   in Loop: Header=BB24_2394 Depth=3
	s_or_b64 exec, exec, s[40:41]
	v_lshlrev_b32_e32 v27, 16, v27
	v_lshlrev_b32_e32 v32, 16, v32
	v_max_f32_e32 v32, v32, v32
	v_max_f32_e32 v27, v27, v27
	v_min_f32_e32 v33, v27, v32
	v_max_f32_e32 v27, v27, v32
	v_cndmask_b32_e32 v27, v27, v33, vcc
	v_and_b32_e32 v32, 0x7f800000, v27
	v_cmp_ne_u32_e64 s[22:23], s73, v32
	flat_store_short_d16_hi v[16:17], v34 offset:384 nt
                                        ; implicit-def: $vgpr32
	s_and_saveexec_b64 s[40:41], s[22:23]
	s_xor_b64 s[22:23], exec, s[40:41]
; %bb.2411:                             ;   in Loop: Header=BB24_2394 Depth=3
	v_bfe_u32 v32, v27, 16, 1
	v_add3_u32 v32, v27, v32, s62
                                        ; implicit-def: $vgpr27
; %bb.2412:                             ;   in Loop: Header=BB24_2394 Depth=3
	s_andn2_saveexec_b64 s[40:41], s[22:23]
; %bb.2413:                             ;   in Loop: Header=BB24_2394 Depth=3
	v_or_b32_e32 v32, 0x10000, v27
	v_cmp_eq_u32_sdwa s[22:23], v27, v3 src0_sel:WORD_0 src1_sel:DWORD
	s_nop 1
	v_cndmask_b32_e64 v32, v32, v27, s[22:23]
; %bb.2414:                             ;   in Loop: Header=BB24_2394 Depth=3
	s_or_b64 exec, exec, s[40:41]
	v_lshlrev_b32_e32 v25, 16, v25
	v_lshlrev_b32_e32 v26, 16, v26
	v_max_f32_e32 v26, v26, v26
	v_max_f32_e32 v25, v25, v25
	v_min_f32_e32 v27, v25, v26
	v_max_f32_e32 v25, v25, v26
	v_cndmask_b32_e32 v25, v25, v27, vcc
	v_and_b32_e32 v26, 0x7f800000, v25
	v_cmp_ne_u32_e64 s[22:23], s73, v26
	flat_store_short_d16_hi v[16:17], v32 offset:512 nt
                                        ; implicit-def: $vgpr26
	s_and_saveexec_b64 s[40:41], s[22:23]
	s_xor_b64 s[22:23], exec, s[40:41]
; %bb.2415:                             ;   in Loop: Header=BB24_2394 Depth=3
	v_bfe_u32 v26, v25, 16, 1
	v_add3_u32 v26, v25, v26, s62
                                        ; implicit-def: $vgpr25
; %bb.2416:                             ;   in Loop: Header=BB24_2394 Depth=3
	s_andn2_saveexec_b64 s[40:41], s[22:23]
; %bb.2417:                             ;   in Loop: Header=BB24_2394 Depth=3
	v_or_b32_e32 v26, 0x10000, v25
	v_cmp_eq_u32_sdwa s[22:23], v25, v3 src0_sel:WORD_0 src1_sel:DWORD
	s_nop 1
	v_cndmask_b32_e64 v26, v26, v25, s[22:23]
; %bb.2418:                             ;   in Loop: Header=BB24_2394 Depth=3
	s_or_b64 exec, exec, s[40:41]
	v_lshlrev_b32_e32 v23, 16, v23
	v_lshlrev_b32_e32 v24, 16, v24
	v_max_f32_e32 v24, v24, v24
	v_max_f32_e32 v23, v23, v23
	v_min_f32_e32 v25, v23, v24
	v_max_f32_e32 v23, v23, v24
	v_cndmask_b32_e32 v23, v23, v25, vcc
	v_and_b32_e32 v24, 0x7f800000, v23
	v_cmp_ne_u32_e64 s[22:23], s73, v24
	flat_store_short_d16_hi v[16:17], v26 offset:640 nt
                                        ; implicit-def: $vgpr24
	s_and_saveexec_b64 s[40:41], s[22:23]
	s_xor_b64 s[22:23], exec, s[40:41]
; %bb.2419:                             ;   in Loop: Header=BB24_2394 Depth=3
	v_bfe_u32 v24, v23, 16, 1
	v_add3_u32 v24, v23, v24, s62
                                        ; implicit-def: $vgpr23
; %bb.2420:                             ;   in Loop: Header=BB24_2394 Depth=3
	s_andn2_saveexec_b64 s[40:41], s[22:23]
; %bb.2421:                             ;   in Loop: Header=BB24_2394 Depth=3
	v_or_b32_e32 v24, 0x10000, v23
	v_cmp_eq_u32_sdwa s[22:23], v23, v3 src0_sel:WORD_0 src1_sel:DWORD
	s_nop 1
	v_cndmask_b32_e64 v24, v24, v23, s[22:23]
; %bb.2422:                             ;   in Loop: Header=BB24_2394 Depth=3
	s_or_b64 exec, exec, s[40:41]
	v_lshlrev_b32_e32 v21, 16, v21
	v_lshlrev_b32_e32 v22, 16, v22
	v_max_f32_e32 v22, v22, v22
	v_max_f32_e32 v21, v21, v21
	v_min_f32_e32 v23, v21, v22
	v_max_f32_e32 v21, v21, v22
	v_cndmask_b32_e32 v21, v21, v23, vcc
	v_and_b32_e32 v22, 0x7f800000, v21
	v_cmp_ne_u32_e64 s[22:23], s73, v22
	flat_store_short_d16_hi v[16:17], v24 offset:768 nt
                                        ; implicit-def: $vgpr22
	s_and_saveexec_b64 s[40:41], s[22:23]
	s_xor_b64 s[22:23], exec, s[40:41]
; %bb.2423:                             ;   in Loop: Header=BB24_2394 Depth=3
	v_bfe_u32 v22, v21, 16, 1
	v_add3_u32 v22, v21, v22, s62
                                        ; implicit-def: $vgpr21
; %bb.2424:                             ;   in Loop: Header=BB24_2394 Depth=3
	s_andn2_saveexec_b64 s[40:41], s[22:23]
	s_cbranch_execz .LBB24_2393
; %bb.2425:                             ;   in Loop: Header=BB24_2394 Depth=3
	v_or_b32_e32 v22, 0x10000, v21
	v_cmp_eq_u32_sdwa s[22:23], v21, v3 src0_sel:WORD_0 src1_sel:DWORD
	s_nop 1
	v_cndmask_b32_e64 v22, v22, v21, s[22:23]
	s_branch .LBB24_2393
.LBB24_2426:                            ;   in Loop: Header=BB24_2177 Depth=2
	s_or_b64 exec, exec, s[28:29]
.LBB24_2427:                            ;   in Loop: Header=BB24_2177 Depth=2
	s_or_b64 exec, exec, s[26:27]
	v_lshlrev_b32_e32 v8, 10, v20
	v_cmp_ne_u32_e32 vcc, v79, v8
	s_and_b64 exec, exec, vcc
	s_cbranch_execz .LBB24_2431
; %bb.2428:                             ;   in Loop: Header=BB24_2177 Depth=2
	v_lshlrev_b32_e32 v4, 6, v4
	v_sub_u32_e32 v4, v19, v4
	v_lshlrev_b32_e32 v5, 6, v5
	v_sub_u32_e32 v4, v4, v5
	v_ashrrev_i32_e32 v5, 31, v4
	v_lshrrev_b32_e32 v5, 26, v5
	v_add_u32_e32 v5, v4, v5
	v_and_b32_e32 v9, 0x7fffffc0, v5
	v_sub_u32_e32 v4, v4, v9
	v_lshlrev_b32_e32 v5, 1, v5
	v_and_b32_e32 v5, 0xffffff80, v5
	v_lshlrev_b32_e32 v4, 1, v4
	v_add3_u32 v5, v5, v4, v8
	v_sub_u32_e32 v4, v79, v5
	v_cmp_lt_i32_e32 vcc, 1, v4
	s_and_b64 exec, exec, vcc
	s_cbranch_execz .LBB24_2431
; %bb.2429:                             ;   in Loop: Header=BB24_2177 Depth=2
	s_and_b32 s74, s31, 1
	v_add_u32_e32 v8, v5, v18
	s_cmp_eq_u64 s[74:75], 0
	v_ashrrev_i32_e32 v9, 31, v8
	s_mov_b64 s[26:27], 0
	s_cselect_b64 vcc, -1, 0
.LBB24_2430:                            ;   Parent Loop BB24_47 Depth=1
                                        ;     Parent Loop BB24_2177 Depth=2
                                        ; =>    This Inner Loop Header: Depth=3
	v_lshl_add_u64 v[12:13], v[90:91], 0, v[8:9]
	v_lshl_add_u64 v[10:11], v[94:95], 0, v[8:9]
	flat_load_ushort v5, v[12:13] nt
	s_nop 0
	flat_load_ushort v12, v[10:11] nt
	v_sub_u32_e32 v4, v4, v114
	v_cmp_gt_i32_e64 s[22:23], 2, v4
	s_or_b64 s[26:27], s[22:23], s[26:27]
	v_lshl_add_u64 v[10:11], v[92:93], 0, v[8:9]
	v_lshl_add_u64 v[8:9], v[8:9], 0, v[56:57]
	s_waitcnt vmcnt(0) lgkmcnt(0)
	v_lshlrev_b32_e32 v5, 16, v5
	v_lshlrev_b32_e32 v12, 16, v12
	v_max_f32_e32 v12, v12, v12
	v_max_f32_e32 v5, v5, v5
	v_min_f32_e32 v13, v5, v12
	v_max_f32_e32 v5, v5, v12
	v_cndmask_b32_e32 v5, v5, v13, vcc
	v_and_b32_e32 v12, 0x7f800000, v5
	v_bfe_u32 v13, v5, 16, 1
	v_or_b32_e32 v14, 0x10000, v5
	v_cmp_eq_u32_sdwa s[22:23], v5, v3 src0_sel:WORD_0 src1_sel:DWORD
	v_add3_u32 v13, v5, v13, s62
	s_nop 0
	v_cndmask_b32_e64 v5, v14, v5, s[22:23]
	v_cmp_eq_u32_e64 s[22:23], s73, v12
	s_nop 1
	v_cndmask_b32_e64 v5, v13, v5, s[22:23]
	flat_store_short_d16_hi v[10:11], v5 nt
	s_andn2_b64 exec, exec, s[26:27]
	s_cbranch_execnz .LBB24_2430
.LBB24_2431:                            ;   in Loop: Header=BB24_2177 Depth=2
	s_or_b64 exec, exec, s[24:25]
	v_cmp_lt_i32_e64 s[22:23], 0, v2
	s_and_saveexec_b64 s[24:25], s[4:5]
	s_cbranch_execz .LBB24_2248
.LBB24_2432:                            ;   in Loop: Header=BB24_2177 Depth=2
	s_and_saveexec_b64 s[26:27], s[76:77]
	s_xor_b64 s[26:27], exec, s[26:27]
	s_cbranch_execz .LBB24_2447
; %bb.2433:                             ;   in Loop: Header=BB24_2177 Depth=2
	s_and_saveexec_b64 s[28:29], s[12:13]
	s_cbranch_execz .LBB24_2446
; %bb.2434:                             ;   in Loop: Header=BB24_2177 Depth=2
	s_mov_b64 s[42:43], exec
	v_mbcnt_lo_u32_b32 v2, s42, 0
	v_mbcnt_hi_u32_b32 v2, s43, v2
	v_cmp_eq_u32_e32 vcc, 0, v2
	s_waitcnt lgkmcnt(0)
	s_and_saveexec_b64 s[40:41], vcc
	s_cbranch_execz .LBB24_2436
; %bb.2435:                             ;   in Loop: Header=BB24_2177 Depth=2
	s_bcnt1_i32_b64 s42, s[42:43]
	v_mov_b32_e32 v2, s42
	ds_add_u64 v0, v[2:3]
	s_trap 2
.LBB24_2436:                            ;   in Loop: Header=BB24_2177 Depth=2
	s_or_b64 exec, exec, s[40:41]
	s_trap 2
	ds_read_b64 v[4:5], v0
	s_waitcnt lgkmcnt(0)
	v_lshl_add_u64 v[70:71], v[70:71], 0, v[84:85]
	v_cmp_lt_u64_e32 vcc, v[4:5], v[70:71]
	s_and_saveexec_b64 s[40:41], vcc
	s_cbranch_execz .LBB24_2445
; %bb.2437:                             ;   in Loop: Header=BB24_2177 Depth=2
	s_mov_b32 s74, 0
	s_mov_b64 s[42:43], 0
                                        ; implicit-def: $sgpr44_sgpr45
                                        ; implicit-def: $sgpr46_sgpr47
	s_branch .LBB24_2439
.LBB24_2438:                            ;   in Loop: Header=BB24_2439 Depth=3
	s_or_b64 exec, exec, s[58:59]
	s_and_b64 s[56:57], exec, vcc
	s_or_b64 s[42:43], s[56:57], s[42:43]
	s_andn2_b64 s[44:45], s[44:45], exec
	s_and_b64 s[56:57], s[46:47], exec
	s_or_b64 s[44:45], s[44:45], s[56:57]
	s_andn2_b64 exec, exec, s[42:43]
	s_cbranch_execz .LBB24_2443
.LBB24_2439:                            ;   Parent Loop BB24_47 Depth=1
                                        ;     Parent Loop BB24_2177 Depth=2
                                        ; =>    This Inner Loop Header: Depth=3
	s_add_i32 s74, s74, 1
	s_cmpk_lg_i32 s74, 0x2710
	s_cselect_b64 s[56:57], -1, 0
	s_and_b64 vcc, exec, s[56:57]
	s_cbranch_vccz .LBB24_2441
; %bb.2440:                             ;   in Loop: Header=BB24_2439 Depth=3
	s_mov_b64 vcc, -1
	s_or_b64 s[46:47], s[46:47], exec
	s_and_saveexec_b64 s[58:59], s[56:57]
	s_cbranch_execz .LBB24_2438
	s_branch .LBB24_2442
.LBB24_2441:                            ;   in Loop: Header=BB24_2439 Depth=3
	s_trap 2
	ds_read_b64 v[4:5], v0
	s_andn2_b64 s[56:57], s[56:57], exec
	s_mov_b32 s74, 0
	s_waitcnt vmcnt(0) lgkmcnt(0)
	flat_load_dword v2, v[4:5] sc0 sc1
	s_waitcnt vmcnt(0) lgkmcnt(0)
	buffer_inv sc0 sc1
	v_cmp_eq_u32_e32 vcc, 0, v2
	s_and_b64 s[58:59], vcc, exec
	s_or_b64 s[56:57], s[56:57], s[58:59]
	s_mov_b64 vcc, -1
	s_or_b64 s[46:47], s[46:47], exec
	s_and_saveexec_b64 s[58:59], s[56:57]
	s_cbranch_execz .LBB24_2438
.LBB24_2442:                            ;   in Loop: Header=BB24_2439 Depth=3
	s_sleep 1
	s_trap 2
	ds_read_b64 v[4:5], v0
	s_waitcnt lgkmcnt(0)
	s_andn2_b64 s[46:47], s[46:47], exec
	v_cmp_ge_u64_e32 vcc, v[4:5], v[70:71]
	s_orn2_b64 vcc, vcc, exec
	s_branch .LBB24_2438
.LBB24_2443:                            ;   in Loop: Header=BB24_2177 Depth=2
	s_or_b64 exec, exec, s[42:43]
	s_and_saveexec_b64 s[42:43], s[44:45]
	s_xor_b64 s[42:43], exec, s[42:43]
	s_cbranch_execz .LBB24_2445
; %bb.2444:                             ;   in Loop: Header=BB24_2177 Depth=2
	ds_write_b32 v0, v52
	s_trap 2
.LBB24_2445:                            ;   in Loop: Header=BB24_2177 Depth=2
	s_or_b64 exec, exec, s[40:41]
	;;#ASMSTART
	s_wakeup
	;;#ASMEND
.LBB24_2446:                            ;   in Loop: Header=BB24_2177 Depth=2
	s_or_b64 exec, exec, s[28:29]
.LBB24_2447:                            ;   in Loop: Header=BB24_2177 Depth=2
	s_andn2_saveexec_b64 s[26:27], s[26:27]
	s_cbranch_execz .LBB24_2449
; %bb.2448:                             ;   in Loop: Header=BB24_2177 Depth=2
	s_waitcnt lgkmcnt(0)
	s_barrier
.LBB24_2449:                            ;   in Loop: Header=BB24_2177 Depth=2
	s_or_b64 exec, exec, s[26:27]
	s_or_b64 exec, exec, s[24:25]
	s_and_saveexec_b64 s[24:25], s[20:21]
	s_xor_b64 s[24:25], exec, s[24:25]
	s_cbranch_execnz .LBB24_2249
.LBB24_2450:                            ;   in Loop: Header=BB24_2177 Depth=2
	s_andn2_saveexec_b64 s[22:23], s[24:25]
	s_cbranch_execz .LBB24_2469
.LBB24_2451:                            ;   in Loop: Header=BB24_2177 Depth=2
	s_and_saveexec_b64 s[24:25], s[76:77]
	s_xor_b64 s[24:25], exec, s[24:25]
	s_cbranch_execz .LBB24_2466
; %bb.2452:                             ;   in Loop: Header=BB24_2177 Depth=2
	s_and_saveexec_b64 s[26:27], s[12:13]
	s_cbranch_execz .LBB24_2465
; %bb.2453:                             ;   in Loop: Header=BB24_2177 Depth=2
	s_mov_b64 s[40:41], exec
	v_mbcnt_lo_u32_b32 v2, s40, 0
	v_mbcnt_hi_u32_b32 v2, s41, v2
	v_cmp_eq_u32_e32 vcc, 0, v2
	;;#ASMSTART
	s_waitcnt lgkmcnt(0) vmcnt(0)
	;;#ASMEND
	s_and_saveexec_b64 s[28:29], vcc
	s_cbranch_execz .LBB24_2455
; %bb.2454:                             ;   in Loop: Header=BB24_2177 Depth=2
	s_bcnt1_i32_b64 s40, s[40:41]
	v_mov_b32_e32 v2, s40
	s_waitcnt lgkmcnt(0)
	ds_add_u64 v0, v[2:3]
	s_trap 2
.LBB24_2455:                            ;   in Loop: Header=BB24_2177 Depth=2
	s_or_b64 exec, exec, s[28:29]
	s_trap 2
	ds_read_b64 v[4:5], v0
	s_waitcnt lgkmcnt(0)
	v_lshl_add_u64 v[70:71], v[70:71], 0, v[84:85]
	v_cmp_lt_u64_e32 vcc, v[4:5], v[70:71]
	s_and_saveexec_b64 s[28:29], vcc
	s_cbranch_execz .LBB24_2464
; %bb.2456:                             ;   in Loop: Header=BB24_2177 Depth=2
	s_mov_b32 s74, 0
	s_mov_b64 s[40:41], 0
                                        ; implicit-def: $sgpr42_sgpr43
                                        ; implicit-def: $sgpr44_sgpr45
	s_branch .LBB24_2458
.LBB24_2457:                            ;   in Loop: Header=BB24_2458 Depth=3
	s_or_b64 exec, exec, s[56:57]
	s_and_b64 s[46:47], exec, s[58:59]
	s_or_b64 s[40:41], s[46:47], s[40:41]
	s_andn2_b64 s[42:43], s[42:43], exec
	s_and_b64 s[46:47], s[44:45], exec
	s_or_b64 s[42:43], s[42:43], s[46:47]
	s_andn2_b64 exec, exec, s[40:41]
	s_cbranch_execz .LBB24_2462
.LBB24_2458:                            ;   Parent Loop BB24_47 Depth=1
                                        ;     Parent Loop BB24_2177 Depth=2
                                        ; =>    This Inner Loop Header: Depth=3
	s_add_i32 s74, s74, 1
	s_cmpk_lg_i32 s74, 0x2710
	s_cselect_b64 s[46:47], -1, 0
	s_and_b64 vcc, exec, s[46:47]
	s_cbranch_vccz .LBB24_2460
; %bb.2459:                             ;   in Loop: Header=BB24_2458 Depth=3
	s_mov_b64 s[58:59], -1
	s_or_b64 s[44:45], s[44:45], exec
	s_and_saveexec_b64 s[56:57], s[46:47]
	s_cbranch_execz .LBB24_2457
	s_branch .LBB24_2461
.LBB24_2460:                            ;   in Loop: Header=BB24_2458 Depth=3
	s_trap 2
	ds_read_b64 v[4:5], v0
	s_andn2_b64 s[46:47], s[46:47], exec
	s_mov_b32 s74, 0
	s_waitcnt vmcnt(0) lgkmcnt(0)
	flat_load_dword v2, v[4:5] sc0 sc1
	s_waitcnt vmcnt(0) lgkmcnt(0)
	buffer_inv sc0 sc1
	v_cmp_eq_u32_e32 vcc, 0, v2
	s_and_b64 s[56:57], vcc, exec
	s_or_b64 s[46:47], s[46:47], s[56:57]
	s_mov_b64 s[58:59], -1
	s_or_b64 s[44:45], s[44:45], exec
	s_and_saveexec_b64 s[56:57], s[46:47]
	s_cbranch_execz .LBB24_2457
.LBB24_2461:                            ;   in Loop: Header=BB24_2458 Depth=3
	s_sleep 1
	s_trap 2
	ds_read_b64 v[4:5], v0
	s_waitcnt lgkmcnt(0)
	s_andn2_b64 s[44:45], s[44:45], exec
	v_cmp_ge_u64_e32 vcc, v[4:5], v[70:71]
	s_orn2_b64 s[58:59], vcc, exec
	s_branch .LBB24_2457
.LBB24_2462:                            ;   in Loop: Header=BB24_2177 Depth=2
	s_or_b64 exec, exec, s[40:41]
	s_and_saveexec_b64 s[40:41], s[42:43]
	s_xor_b64 s[40:41], exec, s[40:41]
	s_cbranch_execz .LBB24_2464
; %bb.2463:                             ;   in Loop: Header=BB24_2177 Depth=2
	ds_write_b32 v0, v52
	s_trap 2
.LBB24_2464:                            ;   in Loop: Header=BB24_2177 Depth=2
	s_or_b64 exec, exec, s[28:29]
	;;#ASMSTART
	s_wakeup
	;;#ASMEND
.LBB24_2465:                            ;   in Loop: Header=BB24_2177 Depth=2
	s_or_b64 exec, exec, s[26:27]
.LBB24_2466:                            ;   in Loop: Header=BB24_2177 Depth=2
	s_andn2_saveexec_b64 s[24:25], s[24:25]
	s_cbranch_execz .LBB24_2468
; %bb.2467:                             ;   in Loop: Header=BB24_2177 Depth=2
	;;#ASMSTART
	s_waitcnt lgkmcnt(0) vmcnt(0)
	;;#ASMEND
	s_barrier
.LBB24_2468:                            ;   in Loop: Header=BB24_2177 Depth=2
	s_or_b64 exec, exec, s[24:25]
.LBB24_2469:                            ;   in Loop: Header=BB24_2177 Depth=2
	s_or_b64 exec, exec, s[22:23]
	v_and_b32_e32 v2, 32, v122
	v_cmp_ne_u32_e32 vcc, 0, v2
	s_and_saveexec_b64 s[22:23], vcc
	s_cbranch_execz .LBB24_2176
; %bb.2470:                             ;   in Loop: Header=BB24_2177 Depth=2
	v_lshl_add_u64 v[76:77], v[76:77], 0, 2
	flat_store_dwordx2 v[64:65], v[76:77] sc0 sc1
	s_branch .LBB24_2176
.LBB24_2471:                            ;   in Loop: Header=BB24_47 Depth=1
	s_or_b64 exec, exec, s[50:51]
.LBB24_2472:                            ;   in Loop: Header=BB24_47 Depth=1
	s_or_b64 exec, exec, s[60:61]
	v_cmp_gt_i32_e32 vcc, 2, v2
	s_and_saveexec_b64 s[24:25], vcc
	s_cbranch_execz .LBB24_46
; %bb.2473:                             ;   in Loop: Header=BB24_47 Depth=1
	v_cmp_eq_u32_e64 s[28:29], 0, v2
	s_mov_b64 s[26:27], 0
	s_branch .LBB24_2475
.LBB24_2474:                            ;   in Loop: Header=BB24_2475 Depth=2
	s_or_b64 exec, exec, s[22:23]
	v_add_u32_e32 v78, v29, v78
	s_mov_b64 s[28:29], 0
	s_andn2_b64 exec, exec, s[26:27]
	s_cbranch_execz .LBB24_45
.LBB24_2475:                            ;   Parent Loop BB24_47 Depth=1
                                        ; =>  This Loop Header: Depth=2
                                        ;       Child Loop BB24_2481 Depth 3
                                        ;       Child Loop BB24_2505 Depth 3
	;; [unrolled: 1-line block ×3, first 2 shown]
	v_and_b32_e32 v2, 4, v122
	v_cmp_ne_u32_e32 vcc, 0, v2
	s_and_saveexec_b64 s[40:41], vcc
	s_cbranch_execz .LBB24_2497
; %bb.2476:                             ;   in Loop: Header=BB24_2475 Depth=2
	v_lshl_add_u64 v[8:9], v[76:77], 0, 2
	s_waitcnt vmcnt(0) lgkmcnt(0)
	v_cmp_lt_u64_e32 vcc, v[80:81], v[8:9]
	s_and_saveexec_b64 s[42:43], vcc
	s_cbranch_execz .LBB24_2488
; %bb.2477:                             ;   in Loop: Header=BB24_2475 Depth=2
	v_and_b32_e32 v2, 64, v122
	s_mov_b32 s74, 0
	v_cmp_eq_u32_e32 vcc, 0, v2
	s_mov_b64 s[44:45], 0
                                        ; implicit-def: $sgpr46_sgpr47
                                        ; implicit-def: $sgpr56_sgpr57
                                        ; implicit-def: $sgpr58_sgpr59
	s_branch .LBB24_2481
.LBB24_2478:                            ;   in Loop: Header=BB24_2481 Depth=3
	s_waitcnt vmcnt(0) lgkmcnt(0)
	v_cmp_ge_u64_e64 s[22:23], v[80:81], v[8:9]
	s_or_b64 s[52:53], s[52:53], exec
	s_orn2_b64 s[50:51], s[22:23], exec
.LBB24_2479:                            ;   in Loop: Header=BB24_2481 Depth=3
	s_or_b64 exec, exec, s[64:65]
	s_andn2_b64 s[22:23], s[58:59], exec
	s_and_b64 s[58:59], s[52:53], exec
	s_or_b64 s[58:59], s[22:23], s[58:59]
	s_andn2_b64 s[22:23], s[56:57], exec
	s_and_b64 s[56:57], s[50:51], exec
	s_or_b64 s[56:57], s[22:23], s[56:57]
.LBB24_2480:                            ;   in Loop: Header=BB24_2481 Depth=3
	s_or_b64 exec, exec, s[60:61]
	s_and_b64 s[22:23], exec, s[56:57]
	s_or_b64 s[44:45], s[22:23], s[44:45]
	s_andn2_b64 s[22:23], s[46:47], exec
	s_and_b64 s[46:47], s[58:59], exec
	s_or_b64 s[46:47], s[22:23], s[46:47]
	s_andn2_b64 exec, exec, s[44:45]
	s_cbranch_execz .LBB24_2485
.LBB24_2481:                            ;   Parent Loop BB24_47 Depth=1
                                        ;     Parent Loop BB24_2475 Depth=2
                                        ; =>    This Inner Loop Header: Depth=3
	s_sleep 1
	s_waitcnt vmcnt(0) lgkmcnt(0)
	flat_load_dwordx2 v[80:81], v[64:65] sc0 sc1
	s_or_b64 s[58:59], s[58:59], exec
	s_or_b64 s[56:57], s[56:57], exec
                                        ; implicit-def: $vgpr2
	s_and_saveexec_b64 s[60:61], vcc
	s_cbranch_execz .LBB24_2480
; %bb.2482:                             ;   in Loop: Header=BB24_2481 Depth=3
	s_cmpk_lt_i32 s74, 0x270f
	s_cselect_b64 s[54:55], -1, 0
	s_cmpk_gt_i32 s74, 0x270e
	s_mov_b64 s[50:51], -1
	s_cbranch_scc0 .LBB24_2484
; %bb.2483:                             ;   in Loop: Header=BB24_2481 Depth=3
	s_trap 2
	ds_read_b64 v[4:5], v0
	s_andn2_b64 s[30:31], s[54:55], exec
	s_mov_b32 s74, 0
	s_mov_b64 s[52:53], 0
	s_waitcnt vmcnt(0) lgkmcnt(0)
	flat_load_dword v2, v[4:5] sc0 sc1
	s_waitcnt vmcnt(0) lgkmcnt(0)
	buffer_inv sc0 sc1
	v_cmp_eq_u32_e64 s[22:23], 0, v2
	s_and_b64 s[22:23], s[22:23], exec
	s_or_b64 s[54:55], s[30:31], s[22:23]
	s_and_saveexec_b64 s[64:65], s[54:55]
	s_cbranch_execz .LBB24_2479
	s_branch .LBB24_2478
.LBB24_2484:                            ;   in Loop: Header=BB24_2481 Depth=3
	s_add_i32 s74, s74, 1
	s_mov_b64 s[52:53], -1
                                        ; implicit-def: $vgpr2
	s_and_saveexec_b64 s[64:65], s[54:55]
	s_cbranch_execz .LBB24_2479
	s_branch .LBB24_2478
.LBB24_2485:                            ;   in Loop: Header=BB24_2475 Depth=2
	s_or_b64 exec, exec, s[44:45]
	s_xor_b64 s[22:23], s[46:47], -1
	s_and_saveexec_b64 s[44:45], s[22:23]
	s_xor_b64 s[22:23], exec, s[44:45]
	s_cbranch_execz .LBB24_2487
; %bb.2486:                             ;   in Loop: Header=BB24_2475 Depth=2
	v_or_b32_e32 v122, 64, v122
	s_waitcnt lgkmcnt(0)
	ds_write_b32 v0, v2
	s_trap 2
.LBB24_2487:                            ;   in Loop: Header=BB24_2475 Depth=2
	s_or_b64 exec, exec, s[22:23]
.LBB24_2488:                            ;   in Loop: Header=BB24_2475 Depth=2
	s_or_b64 exec, exec, s[42:43]
	v_and_b32_e32 v2, 0x100, v122
	v_cmp_ne_u32_e32 vcc, 0, v2
	v_and_b32_e32 v2, 7, v76
	s_mov_b64 s[22:23], -1
	;;#ASMSTART
	s_wakeup
	;;#ASMEND
                                        ; implicit-def: $vgpr10_vgpr11
	s_and_saveexec_b64 s[42:43], vcc
	s_cbranch_execz .LBB24_2492
; %bb.2489:                             ;   in Loop: Header=BB24_2475 Depth=2
	v_mad_u64_u32 v[12:13], s[22:23], v2, 24, v[6:7]
	flat_load_dword v4, v[12:13]
                                        ; implicit-def: $vgpr10_vgpr11
	s_waitcnt vmcnt(0) lgkmcnt(0)
	v_cmp_ne_u32_e32 vcc, 1, v4
	v_cmp_eq_u32_e64 s[22:23], 1, v4
	s_and_saveexec_b64 s[44:45], s[22:23]
	s_cbranch_execz .LBB24_2491
; %bb.2490:                             ;   in Loop: Header=BB24_2475 Depth=2
	flat_load_dword v4, v[12:13] offset:4 sc0 sc1
	s_waitcnt vmcnt(0) lgkmcnt(0)
	v_ashrrev_i32_e32 v5, 31, v4
	v_lshrrev_b64 v[10:11], 1, v[4:5]
.LBB24_2491:                            ;   in Loop: Header=BB24_2475 Depth=2
	s_or_b64 exec, exec, s[44:45]
	s_orn2_b64 s[22:23], vcc, exec
.LBB24_2492:                            ;   in Loop: Header=BB24_2475 Depth=2
	s_or_b64 exec, exec, s[42:43]
	s_and_saveexec_b64 s[42:43], s[22:23]
; %bb.2493:                             ;   in Loop: Header=BB24_2475 Depth=2
	v_mad_i64_i32 v[10:11], s[22:23], v2, v30, 0
; %bb.2494:                             ;   in Loop: Header=BB24_2475 Depth=2
	s_or_b64 exec, exec, s[42:43]
	v_and_b32_e32 v2, 0x2000, v122
	v_lshl_add_u64 v[4:5], v[10:11], 1, v[66:67]
	v_cmp_ne_u32_e32 vcc, 0, v2
	ds_write_b64 v0, v[4:5] offset:720
	s_and_saveexec_b64 s[22:23], vcc
	s_cbranch_execz .LBB24_2496
; %bb.2495:                             ;   in Loop: Header=BB24_2475 Depth=2
	ds_read_b64 v[4:5], v0 offset:872
	s_waitcnt lgkmcnt(0)
	v_lshl_add_u64 v[4:5], v[4:5], 0, 1
	ds_write_b64 v0, v[4:5] offset:872
.LBB24_2496:                            ;   in Loop: Header=BB24_2475 Depth=2
	s_or_b64 exec, exec, s[22:23]
	v_mov_b64_e32 v[76:77], v[8:9]
.LBB24_2497:                            ;   in Loop: Header=BB24_2475 Depth=2
	s_or_b64 exec, exec, s[40:41]
	s_xor_b64 s[22:23], s[28:29], -1
	s_and_b64 s[22:23], exec, s[22:23]
	s_or_b64 s[26:27], s[22:23], s[26:27]
	s_and_saveexec_b64 s[22:23], s[4:5]
	s_cbranch_execz .LBB24_2516
; %bb.2498:                             ;   in Loop: Header=BB24_2475 Depth=2
	s_and_saveexec_b64 s[28:29], s[76:77]
	s_xor_b64 s[28:29], exec, s[28:29]
	s_cbranch_execz .LBB24_2513
; %bb.2499:                             ;   in Loop: Header=BB24_2475 Depth=2
	s_and_saveexec_b64 s[40:41], s[12:13]
	s_cbranch_execz .LBB24_2512
; %bb.2500:                             ;   in Loop: Header=BB24_2475 Depth=2
	s_mov_b64 s[44:45], exec
	v_mbcnt_lo_u32_b32 v2, s44, 0
	v_mbcnt_hi_u32_b32 v2, s45, v2
	v_cmp_eq_u32_e32 vcc, 0, v2
	s_waitcnt lgkmcnt(0)
	s_and_saveexec_b64 s[42:43], vcc
	s_cbranch_execz .LBB24_2502
; %bb.2501:                             ;   in Loop: Header=BB24_2475 Depth=2
	s_bcnt1_i32_b64 s44, s[44:45]
	v_mov_b32_e32 v2, s44
	ds_add_u64 v0, v[2:3]
	s_trap 2
.LBB24_2502:                            ;   in Loop: Header=BB24_2475 Depth=2
	s_or_b64 exec, exec, s[42:43]
	s_trap 2
	ds_read_b64 v[4:5], v0
	s_waitcnt lgkmcnt(0)
	v_lshl_add_u64 v[70:71], v[70:71], 0, v[84:85]
	v_cmp_lt_u64_e32 vcc, v[4:5], v[70:71]
	s_and_saveexec_b64 s[42:43], vcc
	s_cbranch_execz .LBB24_2511
; %bb.2503:                             ;   in Loop: Header=BB24_2475 Depth=2
	s_mov_b32 s74, 0
	s_mov_b64 s[44:45], 0
                                        ; implicit-def: $sgpr46_sgpr47
                                        ; implicit-def: $sgpr56_sgpr57
	s_branch .LBB24_2505
.LBB24_2504:                            ;   in Loop: Header=BB24_2505 Depth=3
	s_or_b64 exec, exec, s[60:61]
	s_and_b64 s[58:59], exec, vcc
	s_or_b64 s[44:45], s[58:59], s[44:45]
	s_andn2_b64 s[46:47], s[46:47], exec
	s_and_b64 s[58:59], s[56:57], exec
	s_or_b64 s[46:47], s[46:47], s[58:59]
	s_andn2_b64 exec, exec, s[44:45]
	s_cbranch_execz .LBB24_2509
.LBB24_2505:                            ;   Parent Loop BB24_47 Depth=1
                                        ;     Parent Loop BB24_2475 Depth=2
                                        ; =>    This Inner Loop Header: Depth=3
	s_add_i32 s74, s74, 1
	s_cmpk_lg_i32 s74, 0x2710
	s_cselect_b64 s[58:59], -1, 0
	s_and_b64 vcc, exec, s[58:59]
	s_cbranch_vccz .LBB24_2507
; %bb.2506:                             ;   in Loop: Header=BB24_2505 Depth=3
	s_mov_b64 vcc, -1
	s_or_b64 s[56:57], s[56:57], exec
	s_and_saveexec_b64 s[60:61], s[58:59]
	s_cbranch_execz .LBB24_2504
	s_branch .LBB24_2508
.LBB24_2507:                            ;   in Loop: Header=BB24_2505 Depth=3
	s_trap 2
	ds_read_b64 v[4:5], v0
	s_andn2_b64 s[58:59], s[58:59], exec
	s_mov_b32 s74, 0
	s_waitcnt vmcnt(0) lgkmcnt(0)
	flat_load_dword v2, v[4:5] sc0 sc1
	s_waitcnt vmcnt(0) lgkmcnt(0)
	buffer_inv sc0 sc1
	v_cmp_eq_u32_e32 vcc, 0, v2
	s_and_b64 s[60:61], vcc, exec
	s_or_b64 s[58:59], s[58:59], s[60:61]
	s_mov_b64 vcc, -1
	s_or_b64 s[56:57], s[56:57], exec
	s_and_saveexec_b64 s[60:61], s[58:59]
	s_cbranch_execz .LBB24_2504
.LBB24_2508:                            ;   in Loop: Header=BB24_2505 Depth=3
	s_sleep 1
	s_trap 2
	ds_read_b64 v[4:5], v0
	s_waitcnt lgkmcnt(0)
	s_andn2_b64 s[56:57], s[56:57], exec
	v_cmp_ge_u64_e32 vcc, v[4:5], v[70:71]
	s_orn2_b64 vcc, vcc, exec
	s_branch .LBB24_2504
.LBB24_2509:                            ;   in Loop: Header=BB24_2475 Depth=2
	s_or_b64 exec, exec, s[44:45]
	s_and_saveexec_b64 s[44:45], s[46:47]
	s_xor_b64 s[44:45], exec, s[44:45]
	s_cbranch_execz .LBB24_2511
; %bb.2510:                             ;   in Loop: Header=BB24_2475 Depth=2
	ds_write_b32 v0, v52
	s_trap 2
.LBB24_2511:                            ;   in Loop: Header=BB24_2475 Depth=2
	s_or_b64 exec, exec, s[42:43]
	;;#ASMSTART
	s_wakeup
	;;#ASMEND
.LBB24_2512:                            ;   in Loop: Header=BB24_2475 Depth=2
	s_or_b64 exec, exec, s[40:41]
.LBB24_2513:                            ;   in Loop: Header=BB24_2475 Depth=2
	s_andn2_saveexec_b64 s[28:29], s[28:29]
	s_cbranch_execz .LBB24_2515
; %bb.2514:                             ;   in Loop: Header=BB24_2475 Depth=2
	s_waitcnt lgkmcnt(0)
	s_barrier
.LBB24_2515:                            ;   in Loop: Header=BB24_2475 Depth=2
	s_or_b64 exec, exec, s[28:29]
.LBB24_2516:                            ;   in Loop: Header=BB24_2475 Depth=2
	s_or_b64 exec, exec, s[22:23]
	v_sub_u32_e32 v2, v28, v78
	v_min_i32_e32 v29, v29, v2
	s_and_saveexec_b64 s[22:23], s[20:21]
	s_xor_b64 s[22:23], exec, s[22:23]
	s_cbranch_execz .LBB24_2520
; %bb.2517:                             ;   in Loop: Header=BB24_2475 Depth=2
	s_trap 2
	ds_read_b32 v2, v0
	v_cmp_lt_i32_e32 vcc, 0, v29
	v_and_b32_e32 v4, 16, v122
	s_waitcnt lgkmcnt(0)
	v_readfirstlane_b32 s28, v2
	s_cmp_eq_u32 s28, 0
	s_cselect_b64 s[28:29], -1, 0
	s_and_b64 s[28:29], vcc, s[28:29]
	v_cmp_ne_u32_e32 vcc, 0, v4
	s_and_b64 s[40:41], vcc, s[28:29]
	s_and_saveexec_b64 s[28:29], s[40:41]
	s_cbranch_execz .LBB24_2519
; %bb.2518:                             ;   in Loop: Header=BB24_2475 Depth=2
	buffer_wbl2 sc1
	s_waitcnt vmcnt(0)
	buffer_inv sc1
.LBB24_2519:                            ;   in Loop: Header=BB24_2475 Depth=2
	s_or_b64 exec, exec, s[28:29]
.LBB24_2520:                            ;   in Loop: Header=BB24_2475 Depth=2
	s_andn2_saveexec_b64 s[22:23], s[22:23]
	s_cbranch_execz .LBB24_2539
; %bb.2521:                             ;   in Loop: Header=BB24_2475 Depth=2
	s_and_saveexec_b64 s[28:29], s[76:77]
	s_xor_b64 s[28:29], exec, s[28:29]
	s_cbranch_execz .LBB24_2536
; %bb.2522:                             ;   in Loop: Header=BB24_2475 Depth=2
	s_and_saveexec_b64 s[40:41], s[12:13]
	s_cbranch_execz .LBB24_2535
; %bb.2523:                             ;   in Loop: Header=BB24_2475 Depth=2
	s_mov_b64 s[44:45], exec
	v_mbcnt_lo_u32_b32 v2, s44, 0
	v_mbcnt_hi_u32_b32 v2, s45, v2
	v_cmp_eq_u32_e32 vcc, 0, v2
	;;#ASMSTART
	s_waitcnt lgkmcnt(0) vmcnt(0)
	;;#ASMEND
	s_and_saveexec_b64 s[42:43], vcc
	s_cbranch_execz .LBB24_2525
; %bb.2524:                             ;   in Loop: Header=BB24_2475 Depth=2
	s_bcnt1_i32_b64 s44, s[44:45]
	v_mov_b32_e32 v2, s44
	s_waitcnt lgkmcnt(0)
	ds_add_u64 v0, v[2:3]
	s_trap 2
.LBB24_2525:                            ;   in Loop: Header=BB24_2475 Depth=2
	s_or_b64 exec, exec, s[42:43]
	s_trap 2
	ds_read_b64 v[4:5], v0
	s_waitcnt lgkmcnt(0)
	v_lshl_add_u64 v[70:71], v[70:71], 0, v[84:85]
	v_cmp_lt_u64_e32 vcc, v[4:5], v[70:71]
	s_and_saveexec_b64 s[42:43], vcc
	s_cbranch_execz .LBB24_2534
; %bb.2526:                             ;   in Loop: Header=BB24_2475 Depth=2
	s_mov_b32 s74, 0
	s_mov_b64 s[44:45], 0
                                        ; implicit-def: $sgpr46_sgpr47
                                        ; implicit-def: $sgpr56_sgpr57
	s_branch .LBB24_2528
.LBB24_2527:                            ;   in Loop: Header=BB24_2528 Depth=3
	s_or_b64 exec, exec, s[60:61]
	s_and_b64 s[58:59], exec, vcc
	s_or_b64 s[44:45], s[58:59], s[44:45]
	s_andn2_b64 s[46:47], s[46:47], exec
	s_and_b64 s[58:59], s[56:57], exec
	s_or_b64 s[46:47], s[46:47], s[58:59]
	s_andn2_b64 exec, exec, s[44:45]
	s_cbranch_execz .LBB24_2532
.LBB24_2528:                            ;   Parent Loop BB24_47 Depth=1
                                        ;     Parent Loop BB24_2475 Depth=2
                                        ; =>    This Inner Loop Header: Depth=3
	s_add_i32 s74, s74, 1
	s_cmpk_lg_i32 s74, 0x2710
	s_cselect_b64 s[58:59], -1, 0
	s_and_b64 vcc, exec, s[58:59]
	s_cbranch_vccz .LBB24_2530
; %bb.2529:                             ;   in Loop: Header=BB24_2528 Depth=3
	s_mov_b64 vcc, -1
	s_or_b64 s[56:57], s[56:57], exec
	s_and_saveexec_b64 s[60:61], s[58:59]
	s_cbranch_execz .LBB24_2527
	s_branch .LBB24_2531
.LBB24_2530:                            ;   in Loop: Header=BB24_2528 Depth=3
	s_trap 2
	ds_read_b64 v[4:5], v0
	s_andn2_b64 s[58:59], s[58:59], exec
	s_mov_b32 s74, 0
	s_waitcnt vmcnt(0) lgkmcnt(0)
	flat_load_dword v2, v[4:5] sc0 sc1
	s_waitcnt vmcnt(0) lgkmcnt(0)
	buffer_inv sc0 sc1
	v_cmp_eq_u32_e32 vcc, 0, v2
	s_and_b64 s[60:61], vcc, exec
	s_or_b64 s[58:59], s[58:59], s[60:61]
	s_mov_b64 vcc, -1
	s_or_b64 s[56:57], s[56:57], exec
	s_and_saveexec_b64 s[60:61], s[58:59]
	s_cbranch_execz .LBB24_2527
.LBB24_2531:                            ;   in Loop: Header=BB24_2528 Depth=3
	s_sleep 1
	s_trap 2
	ds_read_b64 v[4:5], v0
	s_waitcnt lgkmcnt(0)
	s_andn2_b64 s[56:57], s[56:57], exec
	v_cmp_ge_u64_e32 vcc, v[4:5], v[70:71]
	s_orn2_b64 vcc, vcc, exec
	s_branch .LBB24_2527
.LBB24_2532:                            ;   in Loop: Header=BB24_2475 Depth=2
	s_or_b64 exec, exec, s[44:45]
	s_and_saveexec_b64 s[44:45], s[46:47]
	s_xor_b64 s[44:45], exec, s[44:45]
	s_cbranch_execz .LBB24_2534
; %bb.2533:                             ;   in Loop: Header=BB24_2475 Depth=2
	ds_write_b32 v0, v52
	s_trap 2
.LBB24_2534:                            ;   in Loop: Header=BB24_2475 Depth=2
	s_or_b64 exec, exec, s[42:43]
	;;#ASMSTART
	s_wakeup
	;;#ASMEND
.LBB24_2535:                            ;   in Loop: Header=BB24_2475 Depth=2
	s_or_b64 exec, exec, s[40:41]
.LBB24_2536:                            ;   in Loop: Header=BB24_2475 Depth=2
	s_andn2_saveexec_b64 s[28:29], s[28:29]
	s_cbranch_execz .LBB24_2538
; %bb.2537:                             ;   in Loop: Header=BB24_2475 Depth=2
	;;#ASMSTART
	s_waitcnt lgkmcnt(0) vmcnt(0)
	;;#ASMEND
	s_barrier
.LBB24_2538:                            ;   in Loop: Header=BB24_2475 Depth=2
	s_or_b64 exec, exec, s[28:29]
.LBB24_2539:                            ;   in Loop: Header=BB24_2475 Depth=2
	s_or_b64 exec, exec, s[22:23]
	v_and_b32_e32 v2, 32, v122
	v_cmp_ne_u32_e32 vcc, 0, v2
	s_and_saveexec_b64 s[22:23], vcc
	s_cbranch_execz .LBB24_2474
; %bb.2540:                             ;   in Loop: Header=BB24_2475 Depth=2
	v_lshl_add_u64 v[76:77], v[76:77], 0, 2
	flat_store_dwordx2 v[64:65], v[76:77] sc0 sc1
	s_branch .LBB24_2474
.LBB24_2541:
	s_or_b64 exec, exec, s[92:93]
	scratch_load_dword v31, off, s33 offset:320 ; 4-byte Folded Reload
	scratch_load_dword v20, off, s33 offset:324 ; 4-byte Folded Reload
	;; [unrolled: 1-line block ×3, first 2 shown]
	scratch_load_dwordx2 v[24:25], off, s33 offset:332 ; 8-byte Folded Reload
	v_readlane_b32 s8, v126, 4
	v_readlane_b32 s9, v126, 5
.LBB24_2542:
	v_readlane_b32 s0, v126, 2
	v_readlane_b32 s1, v126, 3
	s_or_b64 exec, exec, s[0:1]
	v_and_b32_e32 v0, 0x800, v122
	v_cmp_eq_u32_e32 vcc, 0, v0
	s_and_saveexec_b64 s[2:3], vcc
	s_cbranch_execz .LBB24_2575
; %bb.2543:
	v_and_b32_e32 v0, 48, v122
	v_cmp_ne_u32_e32 vcc, 0, v0
	s_and_saveexec_b64 s[0:1], vcc
	s_cbranch_execz .LBB24_2545
; %bb.2544:
	s_waitcnt vmcnt(0)
	flat_store_dwordx2 v[24:25], v[76:77] offset:104
.LBB24_2545:
	s_or_b64 exec, exec, s[0:1]
	s_movk_i32 s0, 0x88
	v_and_b32_e32 v0, 0x88, v122
	v_cmp_eq_u32_e32 vcc, s0, v0
	s_and_saveexec_b64 s[4:5], vcc
	s_cbranch_execz .LBB24_2555
; %bb.2546:
	v_add_u32_e32 v0, 6, v76
	v_and_b32_e32 v0, 7, v0
	v_mad_u64_u32 v[2:3], s[0:1], v0, 24, v[6:7]
	flat_load_dwordx2 v[0:1], v[2:3] offset:8 sc0 sc1
	s_waitcnt vmcnt(0)
	v_and_b32_e32 v4, 64, v122
	v_cmp_eq_u32_e64 s[0:1], 0, v4
	s_mov_b32 s18, 0
	s_waitcnt lgkmcnt(0)
	v_cmp_ne_u64_e32 vcc, -1, v[0:1]
	s_and_b64 s[0:1], vcc, s[0:1]
	s_and_b64 exec, exec, s[0:1]
	s_cbranch_execz .LBB24_2555
; %bb.2547:
	s_mov_b64 s[0:1], 0
                                        ; implicit-def: $sgpr6_sgpr7
                                        ; implicit-def: $sgpr10_sgpr11
	s_branch .LBB24_2550
.LBB24_2548:                            ;   in Loop: Header=BB24_2550 Depth=1
	flat_load_dwordx2 v[4:5], v[2:3] offset:8 sc0 sc1
	s_waitcnt vmcnt(0)
	s_andn2_b64 s[10:11], s[10:11], exec
	s_waitcnt lgkmcnt(0)
	v_cmp_eq_u64_e32 vcc, -1, v[4:5]
	s_orn2_b64 s[14:15], vcc, exec
.LBB24_2549:                            ;   in Loop: Header=BB24_2550 Depth=1
	s_or_b64 exec, exec, s[16:17]
	s_and_b64 s[12:13], exec, s[14:15]
	s_or_b64 s[0:1], s[12:13], s[0:1]
	s_andn2_b64 s[6:7], s[6:7], exec
	s_and_b64 s[12:13], s[10:11], exec
	s_or_b64 s[6:7], s[6:7], s[12:13]
	s_andn2_b64 exec, exec, s[0:1]
	s_cbranch_execz .LBB24_2553
.LBB24_2550:                            ; =>This Inner Loop Header: Depth=1
	s_cmpk_lt_i32 s18, 0x270f
	s_cselect_b64 s[12:13], -1, 0
	s_and_b64 vcc, exec, s[12:13]
	s_cbranch_vccnz .LBB24_2552
; %bb.2551:                             ;   in Loop: Header=BB24_2550 Depth=1
	s_trap 2
	ds_read_b64 v[0:1], v0
	s_andn2_b64 s[12:13], s[12:13], exec
	s_mov_b32 s18, 0
	s_waitcnt lgkmcnt(0)
	flat_load_dword v0, v[0:1] sc0 sc1
	s_waitcnt vmcnt(0) lgkmcnt(0)
	buffer_inv sc0 sc1
	v_cmp_eq_u32_e32 vcc, 0, v0
	s_and_b64 s[14:15], vcc, exec
	s_or_b64 s[12:13], s[12:13], s[14:15]
	s_mov_b64 s[14:15], -1
	s_or_b64 s[10:11], s[10:11], exec
	s_and_saveexec_b64 s[16:17], s[12:13]
	s_cbranch_execz .LBB24_2549
	s_branch .LBB24_2548
.LBB24_2552:                            ;   in Loop: Header=BB24_2550 Depth=1
	s_add_i32 s18, s18, 1
                                        ; implicit-def: $vgpr0
	s_mov_b64 s[14:15], -1
	s_or_b64 s[10:11], s[10:11], exec
	s_and_saveexec_b64 s[16:17], s[12:13]
	s_cbranch_execz .LBB24_2549
	s_branch .LBB24_2548
.LBB24_2553:
	s_or_b64 exec, exec, s[0:1]
	s_and_saveexec_b64 s[0:1], s[6:7]
	s_xor_b64 s[0:1], exec, s[0:1]
	s_cbranch_execz .LBB24_2555
; %bb.2554:
	ds_write_b32 v0, v0
	s_trap 2
.LBB24_2555:
	s_or_b64 exec, exec, s[4:5]
	v_and_b32_e32 v0, 0x2000, v122
	v_cmp_ne_u32_e32 vcc, 0, v0
	s_and_saveexec_b64 s[0:1], vcc
	s_cbranch_execz .LBB24_2557
; %bb.2556:
	s_trap 2
	scratch_load_dwordx2 v[2:3], off, s33 offset:340 ; 8-byte Folded Reload
	ds_read_b64 v[0:1], v0
	s_waitcnt vmcnt(0) lgkmcnt(0)
	flat_store_dwordx2 v[2:3], v[0:1] offset:16
.LBB24_2557:
	s_or_b64 exec, exec, s[0:1]
	s_waitcnt vmcnt(0)
	v_cmp_ne_u32_e32 vcc, 64, v20
	s_and_b64 exec, exec, vcc
	s_cbranch_execz .LBB24_2575
; %bb.2558:
	v_cmp_ne_u32_sdwa s[0:1], v20, v21 src0_sel:DWORD src1_sel:WORD_0
	s_and_saveexec_b64 s[4:5], s[0:1]
	s_xor_b64 s[0:1], exec, s[4:5]
	s_cbranch_execz .LBB24_2573
; %bb.2559:
	v_and_b32_e32 v0, 63, v31
	v_cmp_eq_u32_e32 vcc, 0, v0
	s_and_saveexec_b64 s[4:5], vcc
	s_cbranch_execz .LBB24_2572
; %bb.2560:
	s_mov_b64 s[10:11], exec
	v_mbcnt_lo_u32_b32 v0, s10, 0
	v_mbcnt_hi_u32_b32 v0, s11, v0
	v_cmp_eq_u32_e32 vcc, 0, v0
	s_waitcnt lgkmcnt(0)
	s_and_saveexec_b64 s[6:7], vcc
	s_cbranch_execz .LBB24_2562
; %bb.2561:
	s_bcnt1_i32_b64 s10, s[10:11]
	v_mov_b32_e32 v0, s10
	v_mov_b32_e32 v1, 0
	ds_add_u64 v0, v[0:1]
	s_trap 2
.LBB24_2562:
	s_or_b64 exec, exec, s[6:7]
	s_trap 2
	ds_read_b64 v[2:3], v0
	s_waitcnt lgkmcnt(0)
	v_lshrrev_b32_e32 v0, 6, v20
	v_mov_b32_e32 v1, 0
	v_lshl_add_u64 v[0:1], v[70:71], 0, v[0:1]
	v_cmp_lt_u64_e32 vcc, v[2:3], v[0:1]
	s_and_saveexec_b64 s[6:7], vcc
	s_cbranch_execz .LBB24_2571
; %bb.2563:
	s_mov_b32 s22, 0
	s_mov_b64 s[10:11], 0
                                        ; implicit-def: $sgpr12_sgpr13
                                        ; implicit-def: $sgpr14_sgpr15
	s_branch .LBB24_2565
.LBB24_2564:                            ;   in Loop: Header=BB24_2565 Depth=1
	s_or_b64 exec, exec, s[18:19]
	s_and_b64 s[16:17], exec, s[20:21]
	s_or_b64 s[10:11], s[16:17], s[10:11]
	s_andn2_b64 s[12:13], s[12:13], exec
	s_and_b64 s[16:17], s[14:15], exec
	s_or_b64 s[12:13], s[12:13], s[16:17]
	s_andn2_b64 exec, exec, s[10:11]
	s_cbranch_execz .LBB24_2569
.LBB24_2565:                            ; =>This Inner Loop Header: Depth=1
	s_add_i32 s22, s22, 1
	s_cmpk_lg_i32 s22, 0x2710
	s_cselect_b64 s[16:17], -1, 0
	s_and_b64 vcc, exec, s[16:17]
	s_cbranch_vccz .LBB24_2567
; %bb.2566:                             ;   in Loop: Header=BB24_2565 Depth=1
	s_mov_b64 s[20:21], -1
	s_or_b64 s[14:15], s[14:15], exec
	s_and_saveexec_b64 s[18:19], s[16:17]
	s_cbranch_execz .LBB24_2564
	s_branch .LBB24_2568
.LBB24_2567:                            ;   in Loop: Header=BB24_2565 Depth=1
	s_trap 2
	ds_read_b64 v[2:3], v0
	s_andn2_b64 s[16:17], s[16:17], exec
	s_mov_b32 s22, 0
	s_waitcnt lgkmcnt(0)
	flat_load_dword v2, v[2:3] sc0 sc1
	s_waitcnt vmcnt(0) lgkmcnt(0)
	buffer_inv sc0 sc1
	v_cmp_eq_u32_e32 vcc, 0, v2
	s_and_b64 s[18:19], vcc, exec
	s_or_b64 s[16:17], s[16:17], s[18:19]
	s_mov_b64 s[20:21], -1
	s_or_b64 s[14:15], s[14:15], exec
	s_and_saveexec_b64 s[18:19], s[16:17]
	s_cbranch_execz .LBB24_2564
.LBB24_2568:                            ;   in Loop: Header=BB24_2565 Depth=1
	s_sleep 1
	s_trap 2
	ds_read_b64 v[2:3], v0
	s_waitcnt lgkmcnt(0)
	s_andn2_b64 s[14:15], s[14:15], exec
	v_cmp_ge_u64_e32 vcc, v[2:3], v[0:1]
	s_orn2_b64 s[20:21], vcc, exec
	s_branch .LBB24_2564
.LBB24_2569:
	s_or_b64 exec, exec, s[10:11]
	s_and_saveexec_b64 s[14:15], s[12:13]
	s_xor_b64 s[12:13], exec, s[14:15]
	s_cbranch_execz .LBB24_2571
; %bb.2570:
	v_mov_b32_e32 v0, 1
	ds_write_b32 v0, v0
	s_trap 2
.LBB24_2571:
	s_or_b64 exec, exec, s[6:7]
	;;#ASMSTART
	s_wakeup
	;;#ASMEND
.LBB24_2572:
	s_or_b64 exec, exec, s[4:5]
.LBB24_2573:
	s_andn2_saveexec_b64 s[0:1], s[0:1]
	s_cbranch_execz .LBB24_2575
; %bb.2574:
	s_waitcnt lgkmcnt(0)
	s_barrier
.LBB24_2575:
	s_or_b64 exec, exec, s[2:3]
.LBB24_2576:
	v_readlane_b32 s0, v126, 0
	v_readlane_b32 s1, v126, 1
	s_andn2_saveexec_b64 s[22:23], s[0:1]
	s_cbranch_execz .LBB24_2578
; %bb.2577:
	s_getpc_b64 s[0:1]
	s_add_u32 s0, s0, __PRETTY_FUNCTION__._ZN10PrimitivesI12hip_bfloat1610FuncMinMaxIS0_E12FanSymmetricILi1EELi0E11ProtoSimpleILi2ELi2ELi1ELi2ELi0ELi0EELi0ELb0ELi0ELi1ELi1EEC2EiiPKiS9_PKvPvmhhhP15ncclDevWorkCollP14ncclDevWorkP2pii@rel32@lo+4
	s_addc_u32 s1, s1, __PRETTY_FUNCTION__._ZN10PrimitivesI12hip_bfloat1610FuncMinMaxIS0_E12FanSymmetricILi1EELi0E11ProtoSimpleILi2ELi2ELi1ELi2ELi0ELi0EELi0ELb0ELi0ELi1ELi1EEC2EiiPKiS9_PKvPvmhhhP15ncclDevWorkCollP14ncclDevWorkP2pii@rel32@hi+12
	s_getpc_b64 s[2:3]
	s_add_u32 s2, s2, __assert_fail@rel32@lo+4
	s_addc_u32 s3, s3, __assert_fail@rel32@hi+12
	v_mov_b32_e32 v0, s0
	v_mov_b32_e32 v1, s1
	s_swappc_b64 s[30:31], s[2:3]
	; divergent unreachable
.LBB24_2578:
	s_or_b64 exec, exec, s[22:23]
	scratch_load_dword v125, off, s33       ; 4-byte Folded Reload
	scratch_load_dword v124, off, s33 offset:4 ; 4-byte Folded Reload
	scratch_load_dword v123, off, s33 offset:8 ; 4-byte Folded Reload
	;; [unrolled: 1-line block ×13, first 2 shown]
	s_waitcnt lgkmcnt(0)
	scratch_load_dword v95, off, s33 offset:56 ; 4-byte Folded Reload
	scratch_load_dword v94, off, s33 offset:60 ; 4-byte Folded Reload
	;; [unrolled: 1-line block ×32, first 2 shown]
	v_readlane_b32 s30, v127, 32
	v_readlane_b32 s31, v127, 33
	;; [unrolled: 1-line block ×34, first 2 shown]
	s_mov_b32 s32, s33
	v_readlane_b32 s0, v127, 34
	s_or_saveexec_b64 s[2:3], -1
	scratch_load_dword v127, off, s33 offset:348 ; 4-byte Folded Reload
	scratch_load_dword v126, off, s33 offset:352 ; 4-byte Folded Reload
	s_mov_b64 exec, s[2:3]
	s_mov_b32 s33, s0
	s_waitcnt vmcnt(0)
	s_setpc_b64 s[30:31]
.Lfunc_end24:
	.size	_ZN12_GLOBAL__N_17runRingI12hip_bfloat1610FuncMinMaxIS1_E11ProtoSimpleILi2ELi2ELi1ELi2ELi0ELi0EELi0ELi1ELi2ELi1EEEviiP15ncclDevWorkColl, .Lfunc_end24-_ZN12_GLOBAL__N_17runRingI12hip_bfloat1610FuncMinMaxIS1_E11ProtoSimpleILi2ELi2ELi1ELi2ELi0ELi0EELi0ELi1ELi2ELi1EEEviiP15ncclDevWorkColl
                                        ; -- End function
	.set .L_ZN12_GLOBAL__N_17runRingI12hip_bfloat1610FuncMinMaxIS1_E11ProtoSimpleILi2ELi2ELi1ELi2ELi0ELi0EELi0ELi1ELi2ELi1EEEviiP15ncclDevWorkColl.num_vgpr, max(128, .L__assert_fail.num_vgpr)
	.set .L_ZN12_GLOBAL__N_17runRingI12hip_bfloat1610FuncMinMaxIS1_E11ProtoSimpleILi2ELi2ELi1ELi2ELi0ELi0EELi0ELi1ELi2ELi1EEEviiP15ncclDevWorkColl.num_agpr, max(0, .L__assert_fail.num_agpr)
	.set .L_ZN12_GLOBAL__N_17runRingI12hip_bfloat1610FuncMinMaxIS1_E11ProtoSimpleILi2ELi2ELi1ELi2ELi0ELi0EELi0ELi1ELi2ELi1EEEviiP15ncclDevWorkColl.numbered_sgpr, max(98, .L__assert_fail.numbered_sgpr)
	.set .L_ZN12_GLOBAL__N_17runRingI12hip_bfloat1610FuncMinMaxIS1_E11ProtoSimpleILi2ELi2ELi1ELi2ELi0ELi0EELi0ELi1ELi2ELi1EEEviiP15ncclDevWorkColl.num_named_barrier, max(0, .L__assert_fail.num_named_barrier)
	.set .L_ZN12_GLOBAL__N_17runRingI12hip_bfloat1610FuncMinMaxIS1_E11ProtoSimpleILi2ELi2ELi1ELi2ELi0ELi0EELi0ELi1ELi2ELi1EEEviiP15ncclDevWorkColl.private_seg_size, 368+max(.L__assert_fail.private_seg_size)
	.set .L_ZN12_GLOBAL__N_17runRingI12hip_bfloat1610FuncMinMaxIS1_E11ProtoSimpleILi2ELi2ELi1ELi2ELi0ELi0EELi0ELi1ELi2ELi1EEEviiP15ncclDevWorkColl.uses_vcc, or(1, .L__assert_fail.uses_vcc)
	.set .L_ZN12_GLOBAL__N_17runRingI12hip_bfloat1610FuncMinMaxIS1_E11ProtoSimpleILi2ELi2ELi1ELi2ELi0ELi0EELi0ELi1ELi2ELi1EEEviiP15ncclDevWorkColl.uses_flat_scratch, or(0, .L__assert_fail.uses_flat_scratch)
	.set .L_ZN12_GLOBAL__N_17runRingI12hip_bfloat1610FuncMinMaxIS1_E11ProtoSimpleILi2ELi2ELi1ELi2ELi0ELi0EELi0ELi1ELi2ELi1EEEviiP15ncclDevWorkColl.has_dyn_sized_stack, or(0, .L__assert_fail.has_dyn_sized_stack)
	.set .L_ZN12_GLOBAL__N_17runRingI12hip_bfloat1610FuncMinMaxIS1_E11ProtoSimpleILi2ELi2ELi1ELi2ELi0ELi0EELi0ELi1ELi2ELi1EEEviiP15ncclDevWorkColl.has_recursion, or(1, .L__assert_fail.has_recursion)
	.set .L_ZN12_GLOBAL__N_17runRingI12hip_bfloat1610FuncMinMaxIS1_E11ProtoSimpleILi2ELi2ELi1ELi2ELi0ELi0EELi0ELi1ELi2ELi1EEEviiP15ncclDevWorkColl.has_indirect_call, or(0, .L__assert_fail.has_indirect_call)
	.section	.AMDGPU.csdata,"",@progbits
; Function info:
; codeLenInByte = 81636
; TotalNumSgprs: 104
; NumVgprs: 128
; NumAgprs: 0
; TotalNumVgprs: 128
; ScratchSize: 432
; MemoryBound: 1
	.text
	.p2align	2                               ; -- Begin function _Z51ncclDevFunc_AllReduce_RING_SIMPLE_MinMax_bf16_1_1_2v
	.type	_Z51ncclDevFunc_AllReduce_RING_SIMPLE_MinMax_bf16_1_1_2v,@function
_Z51ncclDevFunc_AllReduce_RING_SIMPLE_MinMax_bf16_1_1_2v: ; @_Z51ncclDevFunc_AllReduce_RING_SIMPLE_MinMax_bf16_1_1_2v
; %bb.0:
	s_waitcnt vmcnt(0) expcnt(0) lgkmcnt(0)
	s_mov_b32 s0, s33
	s_mov_b32 s33, s32
	s_or_saveexec_b64 s[2:3], -1
	scratch_store_dword off, v44, s33 offset:24 ; 4-byte Folded Spill
	scratch_store_dword off, v45, s33 offset:28 ; 4-byte Folded Spill
	s_mov_b64 exec, s[2:3]
	v_writelane_b32 v45, s0, 38
	v_writelane_b32 v45, s100, 36
	;; [unrolled: 1-line block ×3, first 2 shown]
	s_add_i32 s32, s32, 48
	scratch_store_dword off, v40, s33 offset:16 ; 4-byte Folded Spill
	scratch_store_dword off, v41, s33 offset:12 ; 4-byte Folded Spill
	;; [unrolled: 1-line block ×4, first 2 shown]
	scratch_store_dword off, v126, s33      ; 4-byte Folded Spill
	v_writelane_b32 v45, s34, 0
	v_writelane_b32 v45, s35, 1
	;; [unrolled: 1-line block ×35, first 2 shown]
	s_nop 1
	v_writelane_b32 v45, s31, 35
	s_trap 2
	ds_read_b32 v0, v0
	v_mov_b32_e32 v40, v31
                                        ; implicit-def: $vgpr44 : SGPR spill to VGPR lane
	v_and_b32_e32 v41, 0x3ff, v40
	s_mov_b32 s99, s12
	v_writelane_b32 v44, s8, 0
	s_waitcnt lgkmcnt(0)
	v_cmp_lt_i32_e32 vcc, v41, v0
	v_writelane_b32 v44, s9, 1
	s_and_saveexec_b64 s[0:1], vcc
	s_cbranch_execz .LBB25_5
; %bb.1:
	v_readlane_b32 s4, v44, 0
	v_readlane_b32 s5, v44, 1
	s_load_dword s2, s[4:5], 0x0
	v_mov_b32_e32 v1, 0
	s_mov_b32 s6, 0
	v_mov_b32_e32 v4, v41
                                        ; implicit-def: $vgpr2
	s_waitcnt lgkmcnt(0)
	s_cmp_lt_u32 s99, s2
	s_cselect_b32 s2, 12, 18
	s_add_u32 s2, s4, s2
	s_addc_u32 s3, s5, 0
	global_load_ushort v1, v1, s[2:3]
	s_trap 2
	ds_read_b32 v3, v0
	s_mov_b64 s[2:3], 0
	s_waitcnt vmcnt(0) lgkmcnt(0)
	v_mul_lo_u32 v3, v3, v1
	s_branch .LBB25_3
.LBB25_2:                               ;   in Loop: Header=BB25_3 Depth=1
	s_or_b64 exec, exec, s[4:5]
	v_add_u32_e32 v4, v4, v1
	v_cmp_ge_i32_e32 vcc, v4, v0
	s_or_b64 s[2:3], vcc, s[2:3]
	v_add_u32_e32 v2, v2, v3
	s_andn2_b64 exec, exec, s[2:3]
	s_cbranch_execz .LBB25_5
.LBB25_3:                               ; =>This Inner Loop Header: Depth=1
	ds_read_b32 v5, v2
	s_waitcnt lgkmcnt(0)
	v_and_b32_e32 v5, 0x1000000, v5
	v_cmp_ne_u32_e32 vcc, 0, v5
	s_and_saveexec_b64 s[4:5], vcc
	s_cbranch_execz .LBB25_2
; %bb.4:                                ;   in Loop: Header=BB25_3 Depth=1
	ds_read_b64 v[6:7], v2 offset:104
	s_waitcnt lgkmcnt(0)
	flat_load_ushort v5, v[6:7]
	v_mov_b32_e32 v7, s6
	s_waitcnt vmcnt(0) lgkmcnt(0)
	v_and_b32_e32 v6, 0xffff, v5
	ds_write_b64 v2, v[6:7] offset:104
	s_branch .LBB25_2
.LBB25_5:
	s_or_b64 exec, exec, s[0:1]
	s_waitcnt lgkmcnt(0)
	s_barrier
	s_trap 2
	ds_read_b32 v0, v0
	s_waitcnt lgkmcnt(0)
	v_cmp_gt_i32_e32 vcc, 1, v0
	s_cbranch_vccnz .LBB25_16
; %bb.6:
	s_mov_b32 s98, 0
	v_mov_b32_e32 v43, 6
	s_branch .LBB25_8
.LBB25_7:                               ;   in Loop: Header=BB25_8 Depth=1
	s_or_b64 exec, exec, s[2:3]
	s_trap 2
	ds_read_b32 v0, v0
	s_add_i32 s98, s98, 1
	s_waitcnt lgkmcnt(0)
	v_cmp_lt_i32_e32 vcc, s98, v0
	s_cbranch_vccz .LBB25_16
.LBB25_8:                               ; =>This Inner Loop Header: Depth=1
	s_trap 2
	ds_read_b32 v0, v0
	s_cmp_eq_u32 s98, 0
	s_cbranch_scc1 .LBB25_11
; %bb.9:                                ;   in Loop: Header=BB25_8 Depth=1
	s_trap 2
	s_waitcnt lgkmcnt(0)
	ds_read_b32 v1, v0
	s_waitcnt lgkmcnt(0)
	v_xor_b32_e32 v1, v1, v0
	v_and_b32_e32 v1, 0xff0000, v1
	v_cmp_eq_u32_e32 vcc, 0, v1
	s_cbranch_vccnz .LBB25_11
; %bb.10:                               ;   in Loop: Header=BB25_8 Depth=1
	s_barrier
	ds_read_b32 v0, v0
.LBB25_11:                              ;   in Loop: Header=BB25_8 Depth=1
	s_waitcnt lgkmcnt(0)
	v_lshlrev_b32_sdwa v42, v43, v0 dst_sel:DWORD dst_unused:UNUSED_PAD src0_sel:DWORD src1_sel:BYTE_2
	v_cmp_lt_u32_e32 vcc, v41, v42
	s_and_saveexec_b64 s[2:3], vcc
	s_cbranch_execz .LBB25_7
; %bb.12:                               ;   in Loop: Header=BB25_8 Depth=1
	v_cmp_lt_i32_e32 vcc, -1, v0
	s_mov_b64 s[4:5], src_shared_base
	s_mov_b64 s[0:1], -1
	v_writelane_b32 v44, s2, 2
	s_nop 1
	v_writelane_b32 v44, s3, 3
	s_cbranch_vccnz .LBB25_14
; %bb.13:                               ;   in Loop: Header=BB25_8 Depth=1
	v_readlane_b32 s8, v44, 0
	v_readlane_b32 s9, v44, 1
	v_mov_b32_e32 v3, s5
	v_writelane_b32 v44, s4, 4
	s_getpc_b64 s[0:1]
	s_add_u32 s0, s0, _ZN12_GLOBAL__N_17runRingI12hip_bfloat1610FuncMinMaxIS1_E11ProtoSimpleILi1ELi4ELi1ELi2ELi0ELi0EELi0ELi1ELi2ELi1EEEviiP15ncclDevWorkColl@rel32@lo+4
	s_addc_u32 s1, s1, _ZN12_GLOBAL__N_17runRingI12hip_bfloat1610FuncMinMaxIS1_E11ProtoSimpleILi1ELi4ELi1ELi2ELi0ELi0EELi0ELi1ELi2ELi1EEEviiP15ncclDevWorkColl@rel32@hi+12
	s_mov_b32 s12, s99
	v_mov_b32_e32 v31, v40
	v_mov_b32_e32 v0, v41
	;; [unrolled: 1-line block ×3, first 2 shown]
	v_writelane_b32 v44, s5, 5
	s_or_saveexec_b64 s[100:101], -1
	scratch_store_dword off, v44, s33 offset:20 ; 4-byte Folded Spill
	s_mov_b64 exec, s[100:101]
	s_swappc_b64 s[30:31], s[0:1]
	s_or_saveexec_b64 s[100:101], -1
	scratch_load_dword v44, off, s33 offset:20 ; 4-byte Folded Reload
	s_mov_b64 exec, s[100:101]
	s_waitcnt vmcnt(0)
	v_readlane_b32 s4, v44, 4
	v_readlane_b32 s2, v44, 2
	;; [unrolled: 1-line block ×4, first 2 shown]
	s_mov_b64 s[0:1], 0
.LBB25_14:                              ;   in Loop: Header=BB25_8 Depth=1
	s_andn2_b64 vcc, exec, s[0:1]
	s_cbranch_vccnz .LBB25_7
; %bb.15:                               ;   in Loop: Header=BB25_8 Depth=1
	v_readlane_b32 s8, v44, 0
	s_getpc_b64 s[0:1]
	s_add_u32 s0, s0, _ZN12_GLOBAL__N_17runRingI12hip_bfloat1610FuncMinMaxIS1_E11ProtoSimpleILi2ELi2ELi1ELi2ELi0ELi0EELi0ELi1ELi2ELi1EEEviiP15ncclDevWorkColl@rel32@lo+4
	s_addc_u32 s1, s1, _ZN12_GLOBAL__N_17runRingI12hip_bfloat1610FuncMinMaxIS1_E11ProtoSimpleILi2ELi2ELi1ELi2ELi0ELi0EELi0ELi1ELi2ELi1EEEviiP15ncclDevWorkColl@rel32@hi+12
	v_readlane_b32 s9, v44, 1
	s_mov_b32 s12, s99
	v_mov_b32_e32 v31, v40
	v_mov_b32_e32 v0, v41
	v_mov_b32_e32 v1, v42
	v_mov_b32_e32 v3, s5
	s_or_saveexec_b64 s[100:101], -1
	scratch_store_dword off, v44, s33 offset:20 ; 4-byte Folded Spill
	s_mov_b64 exec, s[100:101]
	s_swappc_b64 s[30:31], s[0:1]
	s_or_saveexec_b64 s[100:101], -1
	scratch_load_dword v44, off, s33 offset:20 ; 4-byte Folded Reload
	s_mov_b64 exec, s[100:101]
	s_waitcnt vmcnt(0)
	v_readlane_b32 s2, v44, 2
	v_readlane_b32 s3, v44, 3
	s_branch .LBB25_7
.LBB25_16:
	scratch_load_dword v126, off, s33       ; 4-byte Folded Reload
	scratch_load_dword v43, off, s33 offset:4 ; 4-byte Folded Reload
	scratch_load_dword v42, off, s33 offset:8 ; 4-byte Folded Reload
	;; [unrolled: 1-line block ×4, first 2 shown]
	v_readlane_b32 s30, v45, 34
	v_readlane_b32 s31, v45, 35
	;; [unrolled: 1-line block ×36, first 2 shown]
	s_mov_b32 s32, s33
	v_readlane_b32 s0, v45, 38
	v_readlane_b32 s100, v45, 36
	;; [unrolled: 1-line block ×3, first 2 shown]
	s_or_saveexec_b64 s[2:3], -1
	scratch_load_dword v44, off, s33 offset:24 ; 4-byte Folded Reload
	scratch_load_dword v45, off, s33 offset:28 ; 4-byte Folded Reload
	s_mov_b64 exec, s[2:3]
	s_mov_b32 s33, s0
	s_waitcnt vmcnt(0)
	s_setpc_b64 s[30:31]
.Lfunc_end25:
	.size	_Z51ncclDevFunc_AllReduce_RING_SIMPLE_MinMax_bf16_1_1_2v, .Lfunc_end25-_Z51ncclDevFunc_AllReduce_RING_SIMPLE_MinMax_bf16_1_1_2v
                                        ; -- End function
	.set .L_Z51ncclDevFunc_AllReduce_RING_SIMPLE_MinMax_bf16_1_1_2v.num_vgpr, max(127, .L_ZN12_GLOBAL__N_17runRingI12hip_bfloat1610FuncMinMaxIS1_E11ProtoSimpleILi1ELi4ELi1ELi2ELi0ELi0EELi0ELi1ELi2ELi1EEEviiP15ncclDevWorkColl.num_vgpr, .L_ZN12_GLOBAL__N_17runRingI12hip_bfloat1610FuncMinMaxIS1_E11ProtoSimpleILi2ELi2ELi1ELi2ELi0ELi0EELi0ELi1ELi2ELi1EEEviiP15ncclDevWorkColl.num_vgpr)
	.set .L_Z51ncclDevFunc_AllReduce_RING_SIMPLE_MinMax_bf16_1_1_2v.num_agpr, max(0, .L_ZN12_GLOBAL__N_17runRingI12hip_bfloat1610FuncMinMaxIS1_E11ProtoSimpleILi1ELi4ELi1ELi2ELi0ELi0EELi0ELi1ELi2ELi1EEEviiP15ncclDevWorkColl.num_agpr, .L_ZN12_GLOBAL__N_17runRingI12hip_bfloat1610FuncMinMaxIS1_E11ProtoSimpleILi2ELi2ELi1ELi2ELi0ELi0EELi0ELi1ELi2ELi1EEEviiP15ncclDevWorkColl.num_agpr)
	.set .L_Z51ncclDevFunc_AllReduce_RING_SIMPLE_MinMax_bf16_1_1_2v.numbered_sgpr, max(102, .L_ZN12_GLOBAL__N_17runRingI12hip_bfloat1610FuncMinMaxIS1_E11ProtoSimpleILi1ELi4ELi1ELi2ELi0ELi0EELi0ELi1ELi2ELi1EEEviiP15ncclDevWorkColl.numbered_sgpr, .L_ZN12_GLOBAL__N_17runRingI12hip_bfloat1610FuncMinMaxIS1_E11ProtoSimpleILi2ELi2ELi1ELi2ELi0ELi0EELi0ELi1ELi2ELi1EEEviiP15ncclDevWorkColl.numbered_sgpr)
	.set .L_Z51ncclDevFunc_AllReduce_RING_SIMPLE_MinMax_bf16_1_1_2v.num_named_barrier, max(0, .L_ZN12_GLOBAL__N_17runRingI12hip_bfloat1610FuncMinMaxIS1_E11ProtoSimpleILi1ELi4ELi1ELi2ELi0ELi0EELi0ELi1ELi2ELi1EEEviiP15ncclDevWorkColl.num_named_barrier, .L_ZN12_GLOBAL__N_17runRingI12hip_bfloat1610FuncMinMaxIS1_E11ProtoSimpleILi2ELi2ELi1ELi2ELi0ELi0EELi0ELi1ELi2ELi1EEEviiP15ncclDevWorkColl.num_named_barrier)
	.set .L_Z51ncclDevFunc_AllReduce_RING_SIMPLE_MinMax_bf16_1_1_2v.private_seg_size, 48+max(.L_ZN12_GLOBAL__N_17runRingI12hip_bfloat1610FuncMinMaxIS1_E11ProtoSimpleILi1ELi4ELi1ELi2ELi0ELi0EELi0ELi1ELi2ELi1EEEviiP15ncclDevWorkColl.private_seg_size, .L_ZN12_GLOBAL__N_17runRingI12hip_bfloat1610FuncMinMaxIS1_E11ProtoSimpleILi2ELi2ELi1ELi2ELi0ELi0EELi0ELi1ELi2ELi1EEEviiP15ncclDevWorkColl.private_seg_size)
	.set .L_Z51ncclDevFunc_AllReduce_RING_SIMPLE_MinMax_bf16_1_1_2v.uses_vcc, or(1, .L_ZN12_GLOBAL__N_17runRingI12hip_bfloat1610FuncMinMaxIS1_E11ProtoSimpleILi1ELi4ELi1ELi2ELi0ELi0EELi0ELi1ELi2ELi1EEEviiP15ncclDevWorkColl.uses_vcc, .L_ZN12_GLOBAL__N_17runRingI12hip_bfloat1610FuncMinMaxIS1_E11ProtoSimpleILi2ELi2ELi1ELi2ELi0ELi0EELi0ELi1ELi2ELi1EEEviiP15ncclDevWorkColl.uses_vcc)
	.set .L_Z51ncclDevFunc_AllReduce_RING_SIMPLE_MinMax_bf16_1_1_2v.uses_flat_scratch, or(0, .L_ZN12_GLOBAL__N_17runRingI12hip_bfloat1610FuncMinMaxIS1_E11ProtoSimpleILi1ELi4ELi1ELi2ELi0ELi0EELi0ELi1ELi2ELi1EEEviiP15ncclDevWorkColl.uses_flat_scratch, .L_ZN12_GLOBAL__N_17runRingI12hip_bfloat1610FuncMinMaxIS1_E11ProtoSimpleILi2ELi2ELi1ELi2ELi0ELi0EELi0ELi1ELi2ELi1EEEviiP15ncclDevWorkColl.uses_flat_scratch)
	.set .L_Z51ncclDevFunc_AllReduce_RING_SIMPLE_MinMax_bf16_1_1_2v.has_dyn_sized_stack, or(0, .L_ZN12_GLOBAL__N_17runRingI12hip_bfloat1610FuncMinMaxIS1_E11ProtoSimpleILi1ELi4ELi1ELi2ELi0ELi0EELi0ELi1ELi2ELi1EEEviiP15ncclDevWorkColl.has_dyn_sized_stack, .L_ZN12_GLOBAL__N_17runRingI12hip_bfloat1610FuncMinMaxIS1_E11ProtoSimpleILi2ELi2ELi1ELi2ELi0ELi0EELi0ELi1ELi2ELi1EEEviiP15ncclDevWorkColl.has_dyn_sized_stack)
	.set .L_Z51ncclDevFunc_AllReduce_RING_SIMPLE_MinMax_bf16_1_1_2v.has_recursion, or(1, .L_ZN12_GLOBAL__N_17runRingI12hip_bfloat1610FuncMinMaxIS1_E11ProtoSimpleILi1ELi4ELi1ELi2ELi0ELi0EELi0ELi1ELi2ELi1EEEviiP15ncclDevWorkColl.has_recursion, .L_ZN12_GLOBAL__N_17runRingI12hip_bfloat1610FuncMinMaxIS1_E11ProtoSimpleILi2ELi2ELi1ELi2ELi0ELi0EELi0ELi1ELi2ELi1EEEviiP15ncclDevWorkColl.has_recursion)
	.set .L_Z51ncclDevFunc_AllReduce_RING_SIMPLE_MinMax_bf16_1_1_2v.has_indirect_call, or(0, .L_ZN12_GLOBAL__N_17runRingI12hip_bfloat1610FuncMinMaxIS1_E11ProtoSimpleILi1ELi4ELi1ELi2ELi0ELi0EELi0ELi1ELi2ELi1EEEviiP15ncclDevWorkColl.has_indirect_call, .L_ZN12_GLOBAL__N_17runRingI12hip_bfloat1610FuncMinMaxIS1_E11ProtoSimpleILi2ELi2ELi1ELi2ELi0ELi0EELi0ELi1ELi2ELi1EEEviiP15ncclDevWorkColl.has_indirect_call)
	.section	.AMDGPU.csdata,"",@progbits
; Function info:
; codeLenInByte = 1536
; TotalNumSgprs: 108
; NumVgprs: 128
; NumAgprs: 0
; TotalNumVgprs: 128
; ScratchSize: 480
; MemoryBound: 0
	.text
	.p2align	2                               ; -- Begin function _ZN12_GLOBAL__N_17runRingI12hip_bfloat1610FuncMinMaxIS1_E11ProtoSimpleILi1ELi4ELi0ELi4ELi0ELi0EELi0ELi0ELi4ELi0EEEviiP15ncclDevWorkColl
	.type	_ZN12_GLOBAL__N_17runRingI12hip_bfloat1610FuncMinMaxIS1_E11ProtoSimpleILi1ELi4ELi0ELi4ELi0ELi0EELi0ELi0ELi4ELi0EEEviiP15ncclDevWorkColl,@function
_ZN12_GLOBAL__N_17runRingI12hip_bfloat1610FuncMinMaxIS1_E11ProtoSimpleILi1ELi4ELi0ELi4ELi0ELi0EELi0ELi0ELi4ELi0EEEviiP15ncclDevWorkColl: ; @_ZN12_GLOBAL__N_17runRingI12hip_bfloat1610FuncMinMaxIS1_E11ProtoSimpleILi1ELi4ELi0ELi4ELi0ELi0EELi0ELi0ELi4ELi0EEEviiP15ncclDevWorkColl
; %bb.0:
	s_waitcnt vmcnt(0) expcnt(0) lgkmcnt(0)
	s_mov_b32 s0, s33
	s_mov_b32 s33, s32
	s_xor_saveexec_b64 s[2:3], -1
	scratch_store_dword off, v55, s33 offset:204 ; 4-byte Folded Spill
	s_mov_b64 exec, s[2:3]
	v_writelane_b32 v55, s0, 30
	s_addk_i32 s32, 0xe0
	scratch_store_dword off, v40, s33 offset:184 ; 4-byte Folded Spill
	scratch_store_dword off, v41, s33 offset:180 ; 4-byte Folded Spill
	;; [unrolled: 1-line block ×46, first 2 shown]
	scratch_store_dword off, v126, s33      ; 4-byte Folded Spill
	v_writelane_b32 v55, s34, 0
	v_writelane_b32 v55, s35, 1
	;; [unrolled: 1-line block ×29, first 2 shown]
	s_nop 1
	v_writelane_b32 v55, s31, 29
	s_trap 2
	flat_load_dword v9, v[2:3]
	ds_read_b32 v6, v0
                                        ; implicit-def: $vgpr14_vgpr15
                                        ; implicit-def: $vgpr28_vgpr29
                                        ; implicit-def: $vgpr4_vgpr5
	s_waitcnt lgkmcnt(0)
	v_readfirstlane_b32 s54, v6
	s_waitcnt vmcnt(0)
	v_cmp_ne_u32_sdwa s[0:1], v6, v9 src0_sel:DWORD src1_sel:BYTE_0
	s_and_saveexec_b64 s[2:3], s[0:1]
	s_xor_b64 s[0:1], exec, s[2:3]
	s_cbranch_execz .LBB26_6
; %bb.1:
	v_not_b32_sdwa v8, v9 dst_sel:DWORD dst_unused:UNUSED_PAD src0_sel:BYTE_0
	v_cmp_ne_u32_sdwa s[2:3], v6, v9 src0_sel:DWORD src1_sel:BYTE_1
                                        ; implicit-def: $vgpr14_vgpr15
                                        ; implicit-def: $vgpr28_vgpr29
                                        ; implicit-def: $vgpr4_vgpr5
	s_and_saveexec_b64 s[4:5], s[2:3]
	s_xor_b64 s[2:3], exec, s[4:5]
	s_cbranch_execz .LBB26_3
; %bb.2:
	flat_load_dwordx4 v[10:13], v[2:3] offset:72
	flat_load_dwordx2 v[4:5], v[2:3] offset:96
	v_add_u32_e32 v6, v6, v8
	v_ashrrev_i32_e32 v7, 31, v6
                                        ; implicit-def: $vgpr9
                                        ; implicit-def: $vgpr8
	s_waitcnt vmcnt(0) lgkmcnt(0)
	v_mul_lo_u32 v7, v12, v7
	v_mad_u64_u32 v[28:29], s[4:5], v12, v6, v[10:11]
	v_mul_lo_u32 v6, v13, v6
	v_lshrrev_b64 v[14:15], 13, v[4:5]
	v_add3_u32 v29, v6, v29, v7
	v_mov_b64_e32 v[4:5], v[12:13]
.LBB26_3:
	s_andn2_saveexec_b64 s[2:3], s[2:3]
	s_cbranch_execz .LBB26_5
; %bb.4:
	flat_load_dwordx4 v[10:13], v[2:3] offset:72
	flat_load_dwordx4 v[4:7], v[2:3] offset:88
	s_waitcnt vmcnt(0) lgkmcnt(0)
	v_add_u32_sdwa v6, v9, v8 dst_sel:DWORD dst_unused:UNUSED_PAD src0_sel:BYTE_1 src1_sel:DWORD
	v_ashrrev_i32_e32 v8, 31, v6
	v_mul_lo_u32 v8, v12, v8
	v_mad_u64_u32 v[28:29], s[4:5], v12, v6, v[10:11]
	v_mul_lo_u32 v6, v13, v6
	v_add3_u32 v29, v6, v29, v8
	v_lshrrev_b32_e32 v14, 2, v7
.LBB26_5:
	s_or_b64 exec, exec, s[2:3]
.LBB26_6:
	s_andn2_saveexec_b64 s[0:1], s[0:1]
	s_cbranch_execz .LBB26_8
; %bb.7:
	flat_load_dwordx2 v[6:7], v[2:3] offset:96
	flat_load_dwordx2 v[4:5], v[2:3] offset:72
	v_mov_b64_e32 v[28:29], 0
	s_waitcnt vmcnt(0) lgkmcnt(0)
	v_lshlrev_b64 v[14:15], 8, v[6:7]
.LBB26_8:
	s_or_b64 exec, exec, s[0:1]
	s_trap 2
	ds_read_b64 v[6:7], v0
	s_waitcnt lgkmcnt(0)
	v_cmp_ne_u32_e32 vcc, -1, v6
	s_nop 1
	v_cndmask_b32_e64 v15, 0, 1, vcc
	v_cmp_ne_u32_e32 vcc, -1, v7
	s_nop 1
	v_addc_co_u32_e64 v8, s[0:1], 0, v15, vcc
	v_lshlrev_b32_e32 v6, 1, v8
	v_cmp_le_u32_e64 s[0:1], v6, v1
	s_and_saveexec_b64 s[2:3], s[0:1]
	s_xor_b64 s[44:45], exec, s[2:3]
	s_cbranch_execz .LBB26_1904
; %bb.9:
	flat_load_dwordx4 v[10:13], v[2:3] offset:16
	flat_load_dwordx2 v[16:17], v[2:3] offset:104
	flat_load_ushort v7, v[2:3] offset:8
	flat_load_dword v6, v[2:3] offset:4
	s_trap 2
	s_load_dword s0, s[8:9], 0x0
	v_mov_b32_e32 v9, 0
	v_mov_b32_e32 v104, 4
	s_waitcnt lgkmcnt(0)
	s_cmp_lt_u32 s12, s0
	s_cselect_b32 s0, 12, 18
	s_add_u32 s0, s8, s0
	s_addc_u32 s1, s9, 0
	global_load_ushort v54, v9, s[0:1]
	ds_read_b32 v9, v0
	v_cmp_ge_u32_e64 s[0:1], v0, v15
	s_waitcnt lgkmcnt(0)
	v_readfirstlane_b32 s22, v9
	s_and_saveexec_b64 s[2:3], s[0:1]
	s_cbranch_execz .LBB26_19
; %bb.10:
	v_cmp_ge_u32_e64 s[0:1], v0, v8
                                        ; implicit-def: $vgpr104
	s_and_saveexec_b64 s[4:5], s[0:1]
	s_xor_b64 s[0:1], exec, s[4:5]
	s_cbranch_execz .LBB26_16
; %bb.11:
	v_cndmask_b32_e64 v9, 0, 1, vcc
	v_sub_u32_e32 v9, v1, v9
	v_cmp_ge_u32_e32 vcc, v0, v9
	s_and_saveexec_b64 s[4:5], vcc
	s_xor_b64 s[4:5], exec, s[4:5]
; %bb.12:
                                        ; implicit-def: $vgpr8
; %bb.13:
	s_or_saveexec_b64 s[4:5], s[4:5]
	v_mov_b32_e32 v104, 16
	s_xor_b64 exec, exec, s[4:5]
; %bb.14:
	v_sub_u32_e32 v8, v1, v8
	v_cmp_lt_i32_e32 vcc, v0, v8
	s_nop 1
	v_cndmask_b32_e64 v104, 32, 0, vcc
; %bb.15:
	s_or_b64 exec, exec, s[4:5]
.LBB26_16:
	s_andn2_saveexec_b64 s[0:1], s[0:1]
; %bb.17:
	v_mov_b32_e32 v104, 8
; %bb.18:
	s_or_b64 exec, exec, s[0:1]
.LBB26_19:
	s_or_b64 exec, exec, s[2:3]
	v_and_b32_e32 v8, 36, v104
	v_cmp_ne_u32_e32 vcc, 0, v8
	v_mov_b32_e32 v8, -1
	s_and_saveexec_b64 s[0:1], vcc
	s_cbranch_execz .LBB26_21
; %bb.20:
	s_trap 2
	ds_read_b32 v8, v0
.LBB26_21:
	s_or_b64 exec, exec, s[0:1]
	v_and_b32_e32 v9, 24, v104
	v_cmp_ne_u32_e64 s[0:1], 0, v9
	s_and_saveexec_b64 s[2:3], s[0:1]
	s_cbranch_execz .LBB26_23
; %bb.22:
	s_trap 2
	s_waitcnt lgkmcnt(0)
	ds_read_b32 v8, v0
.LBB26_23:
	s_or_b64 exec, exec, s[2:3]
	s_waitcnt vmcnt(0)
	v_lshrrev_b64 v[6:7], 31, v[6:7]
	v_and_b32_e32 v20, 3, v6
                                        ; implicit-def: $vgpr6_vgpr7
	v_mov_b64_e32 v[22:23], 0
	s_waitcnt lgkmcnt(0)
	v_ashrrev_i32_e32 v9, 31, v8
                                        ; kill: killed $vgpr6_vgpr7
	v_mov_b64_e32 v[6:7], 0
                                        ; implicit-def: $vgpr30
                                        ; implicit-def: $vgpr58_vgpr59
                                        ; implicit-def: $vgpr66_vgpr67
                                        ; implicit-def: $vgpr80_vgpr81
                                        ; implicit-def: $vgpr64_vgpr65
	s_and_saveexec_b64 s[0:1], vcc
	s_cbranch_execz .LBB26_33
; %bb.24:
	s_trap 2
	ds_read_b64 v[6:7], v0
	v_and_b32_e32 v18, 0xffff, v20
	s_movk_i32 s2, 0xa8
	s_waitcnt lgkmcnt(0)
	v_lshl_add_u64 v[6:7], v[8:9], 3, v[6:7]
	flat_load_dwordx2 v[6:7], v[6:7]
	s_waitcnt vmcnt(0) lgkmcnt(0)
	v_mad_u64_u32 v[18:19], s[2:3], v18, s2, v[6:7]
	flat_load_dword v6, v[18:19] offset:640
	s_waitcnt vmcnt(0) lgkmcnt(0)
	v_cmp_eq_u32_e32 vcc, 1, v6
                                        ; implicit-def: $vgpr6_vgpr7
                                        ; kill: killed $vgpr6_vgpr7
	s_and_saveexec_b64 s[2:3], vcc
	s_cbranch_execz .LBB26_26
; %bb.25:
	flat_load_dwordx2 v[22:23], v[18:19] offset:648
	v_or_b32_e32 v104, 0x2000, v104
	s_waitcnt vmcnt(0) lgkmcnt(0)
	flat_load_dwordx2 v[6:7], v[22:23]
	s_trap 2
	scratch_store_dwordx2 off, v[22:23], s33 offset:196 ; 8-byte Folded Spill
	s_waitcnt vmcnt(0) lgkmcnt(0)
	ds_write_b64 v0, v[6:7]
	flat_load_dwordx2 v[6:7], v[22:23] offset:8
	s_waitcnt vmcnt(0) lgkmcnt(0)
	ds_write_b64 v0, v[6:7]
	flat_load_dwordx2 v[6:7], v[22:23] offset:16
	s_waitcnt vmcnt(0) lgkmcnt(0)
	ds_write_b64 v0, v[6:7]
.LBB26_26:
	s_or_b64 exec, exec, s[2:3]
	flat_load_dwordx2 v[6:7], v[18:19] offset:608
	v_and_b32_e32 v21, 32, v104
	v_cmp_ne_u32_e32 vcc, 0, v21
                                        ; implicit-def: $vgpr64_vgpr65
	s_waitcnt vmcnt(0) lgkmcnt(0)
	v_lshl_add_u64 v[58:59], v[6:7], 0, 3
	v_and_b32_e32 v58, -4, v58
	s_and_saveexec_b64 s[2:3], vcc
	s_cbranch_execz .LBB26_28
; %bb.27:
	flat_load_dwordx2 v[64:65], v[18:19] offset:560
	s_waitcnt vmcnt(0) lgkmcnt(0)
	flat_store_dwordx2 v[64:65], v[58:59] sc0 sc1
.LBB26_28:
	s_or_b64 exec, exec, s[2:3]
	s_mov_b64 s[2:3], 0x1f8
	v_and_b32_e32 v6, 4, v104
	v_lshl_add_u64 v[22:23], v[18:19], 0, s[2:3]
	v_cmp_ne_u32_e32 vcc, 0, v6
	v_mov_b64_e32 v[6:7], 0
                                        ; implicit-def: $vgpr30
                                        ; implicit-def: $vgpr66_vgpr67
                                        ; implicit-def: $vgpr80_vgpr81
	s_and_saveexec_b64 s[2:3], vcc
	s_cbranch_execz .LBB26_32
; %bb.29:
	v_and_b32_e32 v6, 0x800, v104
	v_cmp_eq_u32_e32 vcc, 0, v6
	s_and_saveexec_b64 s[4:5], vcc
	s_cbranch_execz .LBB26_31
; %bb.30:
	s_trap 2
	ds_write_b64 v0, v[22:23]
.LBB26_31:
	s_or_b64 exec, exec, s[4:5]
	flat_load_dwordx2 v[64:65], v[18:19] offset:552
	s_waitcnt vmcnt(0) lgkmcnt(0)
	flat_load_dwordx2 v[80:81], v[64:65] sc0 sc1
	flat_load_dword v21, v[18:19] offset:576
	flat_load_dwordx2 v[6:7], v[18:19] offset:600
	flat_load_dwordx2 v[66:67], v[18:19] offset:520
	v_or_b32_e32 v18, 0x100, v104
	s_waitcnt vmcnt(0) lgkmcnt(0)
	v_ashrrev_i32_e32 v30, 1, v21
	v_cmp_eq_u64_e32 vcc, 0, v[6:7]
	s_nop 1
	v_cndmask_b32_e32 v104, v18, v104, vcc
.LBB26_32:
	s_or_b64 exec, exec, s[2:3]
.LBB26_33:
	s_or_b64 exec, exec, s[0:1]
	v_and_b32_e32 v18, 24, v104
	v_cmp_ne_u32_e32 vcc, 0, v18
                                        ; implicit-def: $vgpr68_vgpr69
	s_and_saveexec_b64 s[0:1], vcc
	s_cbranch_execz .LBB26_41
; %bb.34:
	s_trap 2
	ds_read_b64 v[6:7], v0
	s_movk_i32 s2, 0xa8
	v_or_b32_e32 v18, 0x100, v104
                                        ; implicit-def: $vgpr68_vgpr69
	s_waitcnt lgkmcnt(0)
	v_lshl_add_u64 v[6:7], v[8:9], 3, v[6:7]
	flat_load_dwordx2 v[6:7], v[6:7]
	v_and_b32_e32 v8, 0xffff, v20
	s_waitcnt vmcnt(0) lgkmcnt(0)
	v_mad_u64_u32 v[22:23], s[2:3], v8, s2, v[6:7]
	flat_load_dwordx4 v[6:9], v[22:23] offset:96
	s_waitcnt vmcnt(0) lgkmcnt(0)
	v_cmp_eq_u64_e32 vcc, 0, v[6:7]
	s_nop 1
	v_cndmask_b32_e32 v104, v18, v104, vcc
	v_and_b32_e32 v18, 16, v104
	v_cmp_ne_u32_e32 vcc, 0, v18
	s_and_saveexec_b64 s[2:3], vcc
	s_cbranch_execz .LBB26_36
; %bb.35:
	flat_load_dwordx2 v[64:65], v[22:23] offset:48
	flat_load_dwordx2 v[68:69], v[22:23] offset:120
	;; [unrolled: 1-line block ×3, first 2 shown]
.LBB26_36:
	s_or_b64 exec, exec, s[2:3]
	v_lshl_add_u64 v[58:59], v[8:9], 0, 3
	v_and_b32_e32 v8, 8, v104
	v_and_b32_e32 v58, -4, v58
	v_cmp_ne_u32_e32 vcc, 0, v8
	s_and_saveexec_b64 s[2:3], vcc
	s_cbranch_execz .LBB26_40
; %bb.37:
	v_and_b32_e32 v8, 0x800, v104
	v_cmp_eq_u32_e32 vcc, 0, v8
	s_and_saveexec_b64 s[4:5], vcc
	s_cbranch_execz .LBB26_39
; %bb.38:
	s_trap 2
	ds_write_b64 v0, v[22:23]
.LBB26_39:
	s_or_b64 exec, exec, s[4:5]
	s_waitcnt vmcnt(0) lgkmcnt(0)
	flat_load_dwordx2 v[64:65], v[22:23] offset:56
	s_waitcnt vmcnt(0) lgkmcnt(0)
	flat_load_dwordx2 v[80:81], v[64:65] sc0 sc1
	flat_load_dword v8, v[22:23] offset:72
	flat_load_dwordx2 v[66:67], v[22:23] offset:16
	s_waitcnt vmcnt(0) lgkmcnt(0)
	v_ashrrev_i32_e32 v30, 1, v8
.LBB26_40:
	s_or_b64 exec, exec, s[2:3]
.LBB26_41:
	s_or_b64 exec, exec, s[0:1]
	v_cmp_eq_u32_e64 s[0:1], 0, v0
	s_and_saveexec_b64 s[2:3], s[0:1]
	s_cbranch_execz .LBB26_43
; %bb.42:
	flat_load_dwordx2 v[8:9], v[2:3] offset:32
	ds_write2_b64 v0, v[12:13], v[10:11] offset1:1
	s_trap 2
	s_waitcnt vmcnt(0) lgkmcnt(0)
	ds_write_b64 v0, v[8:9]
	ds_write_b64 v0, v[16:17]
.LBB26_43:
	s_or_b64 exec, exec, s[2:3]
	v_mov_b64_e32 v[70:71], 0
	v_cmp_lt_i64_e32 vcc, 0, v[4:5]
	s_trap 2
	s_and_saveexec_b64 s[46:47], vcc
	s_cbranch_execz .LBB26_1870
; %bb.44:
	flat_load_dword v8, v[2:3] offset:4
	s_ashr_i32 s16, s22, 31
	s_lshr_b32 s23, s16, 29
	s_add_i32 s22, s22, s23
	s_ashr_i32 s55, s54, 31
	s_ashr_i32 s23, s22, 4
	s_add_u32 s74, s54, -1
	s_addc_u32 s75, s55, -1
	s_add_i32 s70, s54, s54
	s_not_b32 s24, s54
	s_cmp_gt_i32 s54, 0
	s_cselect_b32 s24, s24, -1
	s_ashr_i32 s22, s22, 31
	s_lshr_b32 s22, s22, 29
	s_add_i32 s71, s24, s70
	s_add_i32 s23, s23, s22
	s_ashr_i32 s80, s71, 31
	s_ashr_i32 s81, s23, 3
	s_cmp_gt_i32 s54, 2
	v_lshrrev_b32_e32 v84, 6, v1
	v_lshlrev_b32_e32 v10, 1, v1
	s_cselect_b64 s[76:77], -1, 0
	s_add_i32 s24, s54, 1
	v_and_b32_e32 v2, 0x1fffff00, v14
	v_lshlrev_b32_e32 v100, 10, v84
	v_and_b32_e32 v112, 0x7f80, v10
	v_and_b32_e32 v9, 63, v31
	;; [unrolled: 1-line block ×3, first 2 shown]
	v_mad_i64_i32 v[96:97], s[14:15], v2, s54, 0
	v_add_u32_e32 v40, 0xfffffc00, v100
	v_add_u32_e32 v42, 0xffffff80, v112
	v_mov_b32_e32 v3, 0
	v_lshrrev_b32_e32 v106, 6, v0
	s_mov_b64 s[62:63], 0x400
	s_mov_b64 s[72:73], 0x80
	v_cmp_eq_u32_e64 s[14:15], 0, v9
	v_lshlrev_b32_e32 v9, 4, v105
	v_ashrrev_i32_e32 v41, 31, v40
	v_ashrrev_i32_e32 v43, 31, v42
	s_mov_b32 s57, 0
	v_cmp_ge_u32_e64 s[2:3], v0, v1
	v_ashrrev_i32_e32 v83, 31, v30
	v_cmp_eq_u32_e64 s[4:5], 64, v1
	v_cmp_ne_u32_e64 s[6:7], 64, v1
	v_cmp_ne_u32_sdwa s[58:59], v1, v54 src0_sel:DWORD src1_sel:WORD_0
	s_mov_b64 s[60:61], 0
	s_waitcnt vmcnt(0) lgkmcnt(0)
	v_cmp_eq_u64_e64 s[10:11], 0, v[68:69]
	v_cmp_ne_u64_e64 s[12:13], 0, v[68:69]
	s_movk_i32 s64, 0xfc00
	s_movk_i32 s65, 0xff80
	v_mov_b64_e32 v[86:87], 0
	v_mov_b64_e32 v[70:71], 0
	v_mov_b32_e32 v107, 1
	s_movk_i32 s66, 0x108
	s_mov_b32 s67, 0x7f800000
	s_movk_i32 s68, 0x7fff
	s_mov_b32 s69, 0xffff0000
	v_mov_b32_e32 v85, v3
	v_cmp_eq_u32_e64 s[16:17], 0, v105
	v_cmp_lt_u32_e64 s[18:19], v105, v15
	v_lshlrev_b32_e32 v98, 13, v84
	v_mov_b32_e32 v99, v3
	v_mov_b32_e32 v101, v3
	v_lshlrev_b32_e32 v102, 11, v84
	v_mov_b32_e32 v103, v3
	v_mov_b32_e32 v113, v3
	v_cmp_le_u32_e64 s[20:21], v105, v15
	v_mov_b32_e32 v115, v3
	v_lshlrev_b32_e32 v116, 12, v84
	v_mov_b32_e32 v117, v3
	v_mov_b32_e32 v119, v3
	v_lshl_or_b32 v114, v106, 12, v9
	v_lshl_or_b32 v118, v106, 13, v9
	v_lshl_add_u64 v[44:45], v[40:41], 0, s[62:63]
	v_lshl_add_u64 v[46:47], v[42:43], 0, s[72:73]
	s_mov_b64 s[88:89], 0x780
	v_mov_b32_e32 v52, v3
	v_mov_b32_e32 v53, v3
	;; [unrolled: 1-line block ×3, first 2 shown]
	v_and_b32_e32 v8, 1, v8
	v_cmp_eq_u32_e64 s[22:23], 1, v8
	s_xor_b64 s[78:79], s[22:23], -1
	s_cmp_ge_i32 s24, s54
	s_cselect_b32 s25, s54, 0
	s_sub_i32 s83, s24, s25
	s_add_i32 s82, s54, -2
	s_ashr_i32 s84, s83, 31
	v_mov_b32_e32 v109, 0x90
	v_mov_b32_e32 v110, 0xd0
	;; [unrolled: 1-line block ×3, first 2 shown]
	v_mov_b64_e32 v[56:57], v[2:3]
	scratch_store_dwordx2 off, v[22:23], s33 offset:188 ; 8-byte Folded Spill
	s_trap 2
	s_branch .LBB26_47
.LBB26_45:                              ;   in Loop: Header=BB26_47 Depth=1
	s_or_b64 exec, exec, s[24:25]
.LBB26_46:                              ;   in Loop: Header=BB26_47 Depth=1
	s_or_b64 exec, exec, s[28:29]
	v_lshl_add_u64 v[86:87], v[86:87], 0, v[96:97]
	v_cmp_ge_i64_e32 vcc, v[86:87], v[4:5]
	s_or_b64 s[60:61], vcc, s[60:61]
	s_andn2_b64 exec, exec, s[60:61]
	s_cbranch_execz .LBB26_1869
.LBB26_47:                              ; =>This Loop Header: Depth=1
                                        ;     Child Loop BB26_62 Depth 2
                                        ;     Child Loop BB26_86 Depth 2
                                        ;     Child Loop BB26_105 Depth 2
                                        ;     Child Loop BB26_132 Depth 2
                                        ;     Child Loop BB26_137 Depth 2
                                        ;     Child Loop BB26_143 Depth 2
                                        ;     Child Loop BB26_148 Depth 2
                                        ;     Child Loop BB26_157 Depth 2
                                        ;     Child Loop BB26_176 Depth 2
                                        ;     Child Loop BB26_198 Depth 2
                                        ;     Child Loop BB26_227 Depth 2
                                        ;     Child Loop BB26_246 Depth 2
                                        ;     Child Loop BB26_265 Depth 2
                                        ;       Child Loop BB26_274 Depth 3
                                        ;       Child Loop BB26_302 Depth 3
	;; [unrolled: 1-line block ×12, first 2 shown]
                                        ;     Child Loop BB26_721 Depth 2
                                        ;     Child Loop BB26_761 Depth 2
	;; [unrolled: 1-line block ×9, first 2 shown]
                                        ;       Child Loop BB26_1033 Depth 3
                                        ;     Child Loop BB26_1041 Depth 2
                                        ;     Child Loop BB26_1109 Depth 2
                                        ;       Child Loop BB26_1114 Depth 3
                                        ;     Child Loop BB26_1378 Depth 2
                                        ;     Child Loop BB26_1397 Depth 2
	;; [unrolled: 1-line block ×6, first 2 shown]
                                        ;       Child Loop BB26_1428 Depth 3
                                        ;       Child Loop BB26_1468 Depth 3
	;; [unrolled: 1-line block ×9, first 2 shown]
                                        ;         Child Loop BB26_1568 Depth 4
                                        ;       Child Loop BB26_1575 Depth 3
                                        ;       Child Loop BB26_1580 Depth 3
                                        ;         Child Loop BB26_1581 Depth 4
                                        ;       Child Loop BB26_1617 Depth 3
                                        ;       Child Loop BB26_1648 Depth 3
	;; [unrolled: 1-line block ×5, first 2 shown]
                                        ;     Child Loop BB26_1675 Depth 2
                                        ;     Child Loop BB26_1699 Depth 2
	;; [unrolled: 1-line block ×12, first 2 shown]
	v_sub_co_u32_e32 v60, vcc, v4, v86
	s_nop 1
	v_subb_co_u32_e32 v61, vcc, v5, v87, vcc
	v_cmp_lt_i64_e32 vcc, v[60:61], v[96:97]
	s_and_saveexec_b64 s[26:27], vcc
	s_cbranch_execz .LBB26_53
; %bb.48:                               ;   in Loop: Header=BB26_47 Depth=1
	v_lshl_add_u64 v[8:9], s[74:75], 0, v[60:61]
	v_or_b32_e32 v11, s55, v9
	v_mov_b32_e32 v10, v3
	v_cmp_ne_u64_e32 vcc, 0, v[10:11]
                                        ; implicit-def: $vgpr10_vgpr11
	s_and_saveexec_b64 s[24:25], vcc
	s_xor_b64 s[28:29], exec, s[24:25]
	s_cbranch_execz .LBB26_50
; %bb.49:                               ;   in Loop: Header=BB26_47 Depth=1
	s_ashr_i32 s40, s55, 31
	s_add_u32 s24, s54, s40
	s_mov_b32 s41, s40
	s_addc_u32 s25, s55, s40
	s_xor_b64 s[42:43], s[24:25], s[40:41]
	v_cvt_f32_u32_e32 v2, s42
	v_cvt_f32_u32_e32 v10, s43
	s_sub_u32 s41, 0, s42
	s_subb_u32 s56, 0, s43
	v_fmac_f32_e32 v2, 0x4f800000, v10
	v_rcp_f32_e32 v2, v2
	s_nop 0
	v_mul_f32_e32 v2, 0x5f7ffffc, v2
	v_mul_f32_e32 v10, 0x2f800000, v2
	v_trunc_f32_e32 v10, v10
	v_fmac_f32_e32 v2, 0xcf800000, v10
	v_cvt_u32_f32_e32 v10, v10
	v_cvt_u32_f32_e32 v2, v2
	v_readfirstlane_b32 s90, v10
	v_readfirstlane_b32 s24, v2
	s_mul_i32 s25, s41, s90
	s_mul_hi_u32 s92, s41, s24
	s_mul_i32 s91, s56, s24
	s_add_i32 s25, s92, s25
	s_add_i32 s25, s25, s91
	s_mul_i32 s93, s41, s24
	s_mul_i32 s92, s24, s25
	s_mul_hi_u32 s94, s24, s93
	s_mul_hi_u32 s91, s24, s25
	s_add_u32 s92, s94, s92
	s_addc_u32 s91, 0, s91
	s_mul_hi_u32 s95, s90, s93
	s_mul_i32 s93, s90, s93
	s_add_u32 s92, s92, s93
	s_mul_hi_u32 s94, s90, s25
	s_addc_u32 s91, s91, s95
	s_addc_u32 s92, s94, 0
	s_mul_i32 s25, s90, s25
	s_add_u32 s25, s91, s25
	s_addc_u32 s91, 0, s92
	s_add_u32 s92, s24, s25
	s_cselect_b64 s[24:25], -1, 0
	s_cmp_lg_u64 s[24:25], 0
	s_addc_u32 s90, s90, s91
	s_mul_i32 s24, s41, s90
	s_mul_hi_u32 s25, s41, s92
	s_add_i32 s24, s25, s24
	s_mul_i32 s56, s56, s92
	s_add_i32 s24, s24, s56
	s_mul_i32 s41, s41, s92
	s_mul_hi_u32 s56, s90, s41
	s_mul_i32 s91, s90, s41
	s_mul_i32 s94, s92, s24
	s_mul_hi_u32 s41, s92, s41
	s_mul_hi_u32 s93, s92, s24
	s_add_u32 s41, s41, s94
	s_addc_u32 s93, 0, s93
	s_add_u32 s41, s41, s91
	s_mul_hi_u32 s25, s90, s24
	s_addc_u32 s41, s93, s56
	s_addc_u32 s25, s25, 0
	s_mul_i32 s24, s90, s24
	s_add_u32 s24, s41, s24
	s_addc_u32 s41, 0, s25
	s_add_u32 s56, s92, s24
	v_ashrrev_i32_e32 v10, 31, v9
	s_cselect_b64 s[24:25], -1, 0
	v_mov_b32_e32 v11, v10
	s_cmp_lg_u64 s[24:25], 0
	v_lshl_add_u64 v[8:9], v[8:9], 0, v[10:11]
	s_addc_u32 s41, s90, s41
	v_xor_b32_e32 v16, v8, v10
	v_xor_b32_e32 v11, v9, v10
	v_mad_u64_u32 v[8:9], s[24:25], v16, s41, 0
	v_mul_hi_u32 v2, v16, s56
	v_lshl_add_u64 v[8:9], v[2:3], 0, v[8:9]
	v_mad_u64_u32 v[14:15], s[24:25], v11, s56, 0
	v_add_co_u32_e32 v2, vcc, v8, v14
	v_mad_u64_u32 v[12:13], s[24:25], v11, s41, 0
	s_nop 0
	v_addc_co_u32_e32 v2, vcc, v9, v15, vcc
	s_nop 1
	v_addc_co_u32_e32 v13, vcc, 0, v13, vcc
	v_lshl_add_u64 v[8:9], v[2:3], 0, v[12:13]
	v_mul_lo_u32 v2, s43, v8
	v_mul_lo_u32 v14, s42, v9
	v_mad_u64_u32 v[12:13], s[24:25], s42, v8, 0
	v_add3_u32 v2, v13, v14, v2
	v_sub_u32_e32 v13, v11, v2
	v_mov_b32_e32 v14, s43
	v_sub_co_u32_e32 v16, vcc, v16, v12
	s_nop 1
	v_subb_co_u32_e64 v12, s[24:25], v13, v14, vcc
	v_subrev_co_u32_e64 v13, s[24:25], s42, v16
	v_subb_co_u32_e32 v2, vcc, v11, v2, vcc
	s_nop 0
	v_subbrev_co_u32_e64 v12, s[24:25], 0, v12, s[24:25]
	v_cmp_le_u32_e64 s[24:25], s43, v12
	v_cmp_le_u32_e32 vcc, s43, v2
	s_nop 0
	v_cndmask_b32_e64 v14, 0, -1, s[24:25]
	v_cmp_le_u32_e64 s[24:25], s42, v13
	v_cndmask_b32_e64 v11, 0, -1, vcc
	v_cmp_le_u32_e32 vcc, s42, v16
	v_cndmask_b32_e64 v13, 0, -1, s[24:25]
	v_cmp_eq_u32_e64 s[24:25], s43, v12
	s_nop 1
	v_cndmask_b32_e64 v17, v14, v13, s[24:25]
	v_lshl_add_u64 v[12:13], v[8:9], 0, 2
	v_lshl_add_u64 v[14:15], v[8:9], 0, 1
	v_cmp_ne_u32_e64 s[24:25], 0, v17
	s_nop 1
	v_cndmask_b32_e64 v13, v15, v13, s[24:25]
	v_cndmask_b32_e64 v15, 0, -1, vcc
	v_cmp_eq_u32_e32 vcc, s43, v2
	s_nop 1
	v_cndmask_b32_e32 v2, v11, v15, vcc
	v_cmp_ne_u32_e32 vcc, 0, v2
	s_nop 1
	v_cndmask_b32_e32 v2, v9, v13, vcc
	v_cndmask_b32_e64 v9, v14, v12, s[24:25]
	v_cndmask_b32_e32 v8, v8, v9, vcc
	v_xor_b32_e32 v9, s40, v10
	v_xor_b32_e32 v8, v8, v9
	;; [unrolled: 1-line block ×3, first 2 shown]
	v_sub_co_u32_e32 v10, vcc, v8, v9
	s_nop 1
	v_subb_co_u32_e32 v11, vcc, v2, v9, vcc
                                        ; implicit-def: $vgpr8_vgpr9
.LBB26_50:                              ;   in Loop: Header=BB26_47 Depth=1
	s_andn2_saveexec_b64 s[24:25], s[28:29]
	s_cbranch_execz .LBB26_52
; %bb.51:                               ;   in Loop: Header=BB26_47 Depth=1
	v_cvt_f32_u32_e32 v2, s54
	s_sub_i32 s28, 0, s54
	v_rcp_iflag_f32_e32 v2, v2
	s_nop 0
	v_mul_f32_e32 v2, 0x4f7ffffe, v2
	v_cvt_u32_f32_e32 v2, v2
	v_mul_lo_u32 v9, s28, v2
	v_mul_hi_u32 v9, v2, v9
	v_add_u32_e32 v2, v2, v9
	v_mul_hi_u32 v2, v8, v2
	v_mul_lo_u32 v9, v2, s54
	v_sub_u32_e32 v8, v8, v9
	v_add_u32_e32 v10, 1, v2
	v_subrev_u32_e32 v9, s54, v8
	v_cmp_le_u32_e32 vcc, s54, v8
	s_nop 1
	v_cndmask_b32_e32 v8, v8, v9, vcc
	v_cndmask_b32_e32 v2, v2, v10, vcc
	v_add_u32_e32 v9, 1, v2
	v_cmp_le_u32_e32 vcc, s54, v8
	s_nop 1
	v_cndmask_b32_e32 v2, v2, v9, vcc
	v_mov_b64_e32 v[10:11], v[2:3]
.LBB26_52:                              ;   in Loop: Header=BB26_47 Depth=1
	s_or_b64 exec, exec, s[24:25]
	v_lshl_add_u64 v[56:57], v[10:11], 0, 7
	v_and_b32_e32 v56, -8, v56
.LBB26_53:                              ;   in Loop: Header=BB26_47 Depth=1
	s_or_b64 exec, exec, s[26:27]
	v_mul_lo_u32 v2, v57, s71
	v_mul_lo_u32 v8, v56, s80
	v_mad_u64_u32 v[10:11], s[24:25], v56, s71, 0
	v_add3_u32 v11, v11, v8, v2
	v_sub_co_u32_e32 v8, vcc, v60, v10
	v_lshl_add_u64 v[62:63], v[86:87], 0, v[28:29]
	s_nop 0
	v_subb_co_u32_e32 v9, vcc, v61, v11, vcc
	v_cmp_lt_i64_e32 vcc, v[56:57], v[8:9]
	v_mov_b32_e32 v2, 0
	s_nop 0
	v_cndmask_b32_e32 v9, v8, v56, vcc
	v_max_i32_e32 v20, 0, v9
	v_add_u32_e32 v8, 15, v20
	v_ashrrev_i32_e32 v12, 31, v8
	v_lshrrev_b32_e32 v12, 28, v12
	v_add_u32_e32 v8, v8, v12
	v_cmp_gt_i32_e32 vcc, 1, v9
	v_and_b32_e32 v8, -16, v8
	s_or_b64 s[26:27], s[2:3], vcc
	v_max_i32_e32 v8, s81, v8
	s_xor_b64 s[24:25], s[26:27], -1
	s_and_saveexec_b64 s[28:29], s[24:25]
	s_cbranch_execz .LBB26_191
; %bb.54:                               ;   in Loop: Header=BB26_47 Depth=1
	s_and_saveexec_b64 s[24:25], s[0:1]
	s_cbranch_execz .LBB26_56
; %bb.55:                               ;   in Loop: Header=BB26_47 Depth=1
	s_trap 2
	ds_read_b64 v[12:13], v0
	s_waitcnt lgkmcnt(0)
	v_lshl_add_u64 v[12:13], v[62:63], 1, v[12:13]
	v_lshl_add_u64 v[10:11], v[10:11], 1, v[12:13]
	ds_write_b64 v0, v[10:11]
	ds_write_b64 v0, v[52:53]
.LBB26_56:                              ;   in Loop: Header=BB26_47 Depth=1
	s_or_b64 exec, exec, s[24:25]
	v_and_b32_e32 v2, 8, v104
	v_min_i32_e32 v8, v8, v20
	v_cmp_ne_u32_e32 vcc, 0, v2
	s_and_saveexec_b64 s[40:41], vcc
	s_cbranch_execz .LBB26_78
; %bb.57:                               ;   in Loop: Header=BB26_47 Depth=1
	s_waitcnt vmcnt(0) lgkmcnt(0)
	v_lshl_add_u64 v[12:13], v[80:81], 0, 8
	v_lshl_add_u64 v[10:11], v[58:59], 0, 4
	v_cmp_lt_u64_e32 vcc, v[12:13], v[10:11]
	s_and_saveexec_b64 s[42:43], vcc
	s_cbranch_execz .LBB26_69
; %bb.58:                               ;   in Loop: Header=BB26_47 Depth=1
	v_and_b32_e32 v2, 64, v104
	s_mov_b32 s56, 0
	v_cmp_eq_u32_e32 vcc, 0, v2
	s_mov_b64 s[90:91], 0
                                        ; implicit-def: $sgpr92_sgpr93
                                        ; implicit-def: $sgpr94_sgpr95
                                        ; implicit-def: $sgpr30_sgpr31
	s_branch .LBB26_62
.LBB26_59:                              ;   in Loop: Header=BB26_62 Depth=2
	s_waitcnt vmcnt(0) lgkmcnt(0)
	v_lshl_add_u64 v[12:13], v[80:81], 0, 8
	v_cmp_ge_u64_e64 s[24:25], v[12:13], v[10:11]
	s_or_b64 s[38:39], s[38:39], exec
	s_orn2_b64 s[36:37], s[24:25], exec
.LBB26_60:                              ;   in Loop: Header=BB26_62 Depth=2
	s_or_b64 exec, exec, s[50:51]
	s_andn2_b64 s[24:25], s[30:31], exec
	s_and_b64 s[30:31], s[38:39], exec
	s_or_b64 s[30:31], s[24:25], s[30:31]
	s_andn2_b64 s[24:25], s[94:95], exec
	s_and_b64 s[94:95], s[36:37], exec
	s_or_b64 s[94:95], s[24:25], s[94:95]
.LBB26_61:                              ;   in Loop: Header=BB26_62 Depth=2
	s_or_b64 exec, exec, s[34:35]
	s_and_b64 s[24:25], exec, s[94:95]
	s_or_b64 s[90:91], s[24:25], s[90:91]
	s_andn2_b64 s[24:25], s[92:93], exec
	s_and_b64 s[92:93], s[30:31], exec
	s_or_b64 s[92:93], s[24:25], s[92:93]
	s_andn2_b64 exec, exec, s[90:91]
	s_cbranch_execz .LBB26_66
.LBB26_62:                              ;   Parent Loop BB26_47 Depth=1
                                        ; =>  This Inner Loop Header: Depth=2
	s_sleep 1
	s_waitcnt vmcnt(0) lgkmcnt(0)
	flat_load_dwordx2 v[80:81], v[64:65] sc0 sc1
	s_or_b64 s[30:31], s[30:31], exec
	s_or_b64 s[94:95], s[94:95], exec
                                        ; implicit-def: $vgpr2
	s_and_saveexec_b64 s[34:35], vcc
	s_cbranch_execz .LBB26_61
; %bb.63:                               ;   in Loop: Header=BB26_62 Depth=2
	s_cmpk_lt_i32 s56, 0x270f
	s_cselect_b64 s[48:49], -1, 0
	s_cmpk_gt_i32 s56, 0x270e
	s_mov_b64 s[36:37], -1
	s_cbranch_scc0 .LBB26_65
; %bb.64:                               ;   in Loop: Header=BB26_62 Depth=2
	s_trap 2
	ds_read_b64 v[12:13], v0
	s_andn2_b64 s[48:49], s[48:49], exec
	s_mov_b32 s56, 0
	s_mov_b64 s[38:39], 0
	s_waitcnt vmcnt(0) lgkmcnt(0)
	flat_load_dword v2, v[12:13] sc0 sc1
	s_waitcnt vmcnt(0) lgkmcnt(0)
	buffer_inv sc0 sc1
	v_cmp_eq_u32_e64 s[24:25], 0, v2
	s_and_b64 s[24:25], s[24:25], exec
	s_or_b64 s[48:49], s[48:49], s[24:25]
	s_and_saveexec_b64 s[50:51], s[48:49]
	s_cbranch_execz .LBB26_60
	s_branch .LBB26_59
.LBB26_65:                              ;   in Loop: Header=BB26_62 Depth=2
	s_add_i32 s56, s56, 1
	s_mov_b64 s[38:39], -1
                                        ; implicit-def: $vgpr2
	s_and_saveexec_b64 s[50:51], s[48:49]
	s_cbranch_execz .LBB26_60
	s_branch .LBB26_59
.LBB26_66:                              ;   in Loop: Header=BB26_47 Depth=1
	s_or_b64 exec, exec, s[90:91]
	s_xor_b64 s[24:25], s[92:93], -1
	s_and_saveexec_b64 s[90:91], s[24:25]
	s_xor_b64 s[24:25], exec, s[90:91]
	s_cbranch_execz .LBB26_68
; %bb.67:                               ;   in Loop: Header=BB26_47 Depth=1
	v_or_b32_e32 v104, 64, v104
	s_waitcnt lgkmcnt(0)
	ds_write_b32 v0, v2
	s_trap 2
.LBB26_68:                              ;   in Loop: Header=BB26_47 Depth=1
	s_or_b64 exec, exec, s[24:25]
.LBB26_69:                              ;   in Loop: Header=BB26_47 Depth=1
	s_or_b64 exec, exec, s[42:43]
	v_and_b32_e32 v2, 0x100, v104
	v_cmp_ne_u32_e32 vcc, 0, v2
	v_and_b32_e32 v2, 7, v58
	s_mov_b64 s[24:25], -1
	;;#ASMSTART
	s_wakeup
	;;#ASMEND
                                        ; implicit-def: $vgpr12_vgpr13
	s_and_saveexec_b64 s[42:43], vcc
	s_cbranch_execz .LBB26_73
; %bb.70:                               ;   in Loop: Header=BB26_47 Depth=1
	v_mad_u64_u32 v[14:15], s[24:25], v2, 24, v[6:7]
	flat_load_dword v16, v[14:15]
	v_ashrrev_i32_e32 v9, 31, v8
	v_lshlrev_b64 v[12:13], 1, v[8:9]
	flat_store_dwordx2 v[14:15], v[12:13] offset:8
                                        ; implicit-def: $vgpr12_vgpr13
	s_waitcnt vmcnt(0) lgkmcnt(0)
	v_cmp_ne_u32_e32 vcc, 1, v16
	v_cmp_eq_u32_e64 s[24:25], 1, v16
	s_and_saveexec_b64 s[90:91], s[24:25]
	s_cbranch_execz .LBB26_72
; %bb.71:                               ;   in Loop: Header=BB26_47 Depth=1
	flat_load_dword v12, v[14:15] offset:4 sc0 sc1
	s_waitcnt vmcnt(0) lgkmcnt(0)
	v_ashrrev_i32_e32 v13, 31, v12
	v_lshrrev_b64 v[12:13], 1, v[12:13]
.LBB26_72:                              ;   in Loop: Header=BB26_47 Depth=1
	s_or_b64 exec, exec, s[90:91]
	s_orn2_b64 s[24:25], vcc, exec
.LBB26_73:                              ;   in Loop: Header=BB26_47 Depth=1
	s_or_b64 exec, exec, s[42:43]
	s_and_saveexec_b64 s[42:43], s[24:25]
; %bb.74:                               ;   in Loop: Header=BB26_47 Depth=1
	v_mad_i64_i32 v[12:13], s[24:25], v2, v30, 0
; %bb.75:                               ;   in Loop: Header=BB26_47 Depth=1
	s_or_b64 exec, exec, s[42:43]
	v_and_b32_e32 v2, 0x2000, v104
	v_lshl_add_u64 v[12:13], v[12:13], 1, v[66:67]
	v_cmp_ne_u32_e32 vcc, 0, v2
	ds_write_b64 v0, v[12:13] offset:784
	s_and_saveexec_b64 s[24:25], vcc
	s_cbranch_execz .LBB26_77
; %bb.76:                               ;   in Loop: Header=BB26_47 Depth=1
	ds_read_b64 v[12:13], v0 offset:872
	s_waitcnt lgkmcnt(0)
	v_lshl_add_u64 v[12:13], v[12:13], 0, 1
	ds_write_b64 v0, v[12:13] offset:872
.LBB26_77:                              ;   in Loop: Header=BB26_47 Depth=1
	s_or_b64 exec, exec, s[24:25]
	v_mov_b64_e32 v[58:59], v[10:11]
.LBB26_78:                              ;   in Loop: Header=BB26_47 Depth=1
	s_or_b64 exec, exec, s[40:41]
	s_and_saveexec_b64 s[24:25], s[6:7]
	s_cbranch_execz .LBB26_97
; %bb.79:                               ;   in Loop: Header=BB26_47 Depth=1
	s_and_saveexec_b64 s[40:41], s[58:59]
	s_xor_b64 s[40:41], exec, s[40:41]
	s_cbranch_execz .LBB26_94
; %bb.80:                               ;   in Loop: Header=BB26_47 Depth=1
	s_and_saveexec_b64 s[42:43], s[14:15]
	s_cbranch_execz .LBB26_93
; %bb.81:                               ;   in Loop: Header=BB26_47 Depth=1
	s_mov_b64 s[92:93], exec
	v_mbcnt_lo_u32_b32 v2, s92, 0
	v_mbcnt_hi_u32_b32 v2, s93, v2
	v_cmp_eq_u32_e32 vcc, 0, v2
	s_waitcnt lgkmcnt(0)
	s_and_saveexec_b64 s[90:91], vcc
	s_cbranch_execz .LBB26_83
; %bb.82:                               ;   in Loop: Header=BB26_47 Depth=1
	s_bcnt1_i32_b64 s56, s[92:93]
	v_mov_b32_e32 v2, s56
	ds_add_u64 v0, v[2:3]
	s_trap 2
.LBB26_83:                              ;   in Loop: Header=BB26_47 Depth=1
	s_or_b64 exec, exec, s[90:91]
	s_trap 2
	ds_read_b64 v[10:11], v0
	s_waitcnt lgkmcnt(0)
	v_lshl_add_u64 v[70:71], v[70:71], 0, v[84:85]
	v_cmp_lt_u64_e32 vcc, v[10:11], v[70:71]
	s_and_saveexec_b64 s[90:91], vcc
	s_cbranch_execz .LBB26_92
; %bb.84:                               ;   in Loop: Header=BB26_47 Depth=1
	s_mov_b32 s56, 0
	s_mov_b64 s[92:93], 0
                                        ; implicit-def: $sgpr94_sgpr95
                                        ; implicit-def: $sgpr30_sgpr31
	s_branch .LBB26_86
.LBB26_85:                              ;   in Loop: Header=BB26_86 Depth=2
	s_or_b64 exec, exec, s[36:37]
	s_and_b64 vcc, exec, vcc
	s_or_b64 s[92:93], vcc, s[92:93]
	s_andn2_b64 s[94:95], s[94:95], exec
	s_and_b64 vcc, s[30:31], exec
	s_or_b64 s[94:95], s[94:95], vcc
	s_andn2_b64 exec, exec, s[92:93]
	s_cbranch_execz .LBB26_90
.LBB26_86:                              ;   Parent Loop BB26_47 Depth=1
                                        ; =>  This Inner Loop Header: Depth=2
	s_add_i32 s56, s56, 1
	s_cmpk_lg_i32 s56, 0x2710
	s_cselect_b64 s[34:35], -1, 0
	s_and_b64 vcc, exec, s[34:35]
	s_cbranch_vccz .LBB26_88
; %bb.87:                               ;   in Loop: Header=BB26_86 Depth=2
	s_mov_b64 vcc, -1
	s_or_b64 s[30:31], s[30:31], exec
	s_and_saveexec_b64 s[36:37], s[34:35]
	s_cbranch_execz .LBB26_85
	s_branch .LBB26_89
.LBB26_88:                              ;   in Loop: Header=BB26_86 Depth=2
	s_trap 2
	ds_read_b64 v[10:11], v0
	s_andn2_b64 s[34:35], s[34:35], exec
	s_mov_b32 s56, 0
	s_waitcnt vmcnt(0) lgkmcnt(0)
	flat_load_dword v2, v[10:11] sc0 sc1
	s_waitcnt vmcnt(0) lgkmcnt(0)
	buffer_inv sc0 sc1
	v_cmp_eq_u32_e32 vcc, 0, v2
	s_and_b64 vcc, vcc, exec
	s_or_b64 s[34:35], s[34:35], vcc
	s_mov_b64 vcc, -1
	s_or_b64 s[30:31], s[30:31], exec
	s_and_saveexec_b64 s[36:37], s[34:35]
	s_cbranch_execz .LBB26_85
.LBB26_89:                              ;   in Loop: Header=BB26_86 Depth=2
	s_sleep 1
	s_trap 2
	ds_read_b64 v[10:11], v0
	s_waitcnt lgkmcnt(0)
	s_andn2_b64 s[30:31], s[30:31], exec
	v_cmp_ge_u64_e32 vcc, v[10:11], v[70:71]
	s_orn2_b64 vcc, vcc, exec
	s_branch .LBB26_85
.LBB26_90:                              ;   in Loop: Header=BB26_47 Depth=1
	s_or_b64 exec, exec, s[92:93]
	s_and_saveexec_b64 s[92:93], s[94:95]
	s_xor_b64 s[92:93], exec, s[92:93]
	s_cbranch_execz .LBB26_92
; %bb.91:                               ;   in Loop: Header=BB26_47 Depth=1
	ds_write_b32 v0, v107
	s_trap 2
.LBB26_92:                              ;   in Loop: Header=BB26_47 Depth=1
	s_or_b64 exec, exec, s[90:91]
	;;#ASMSTART
	s_wakeup
	;;#ASMEND
.LBB26_93:                              ;   in Loop: Header=BB26_47 Depth=1
	s_or_b64 exec, exec, s[42:43]
.LBB26_94:                              ;   in Loop: Header=BB26_47 Depth=1
	s_andn2_saveexec_b64 s[40:41], s[40:41]
	s_cbranch_execz .LBB26_96
; %bb.95:                               ;   in Loop: Header=BB26_47 Depth=1
	s_waitcnt lgkmcnt(0)
	s_barrier
.LBB26_96:                              ;   in Loop: Header=BB26_47 Depth=1
	s_or_b64 exec, exec, s[40:41]
.LBB26_97:                              ;   in Loop: Header=BB26_47 Depth=1
	s_or_b64 exec, exec, s[24:25]
	s_trap 2
	ds_read_b32 v9, v0
	v_and_b32_e32 v2, 0x4000, v104
	v_cmp_ne_u32_e32 vcc, 0, v2
	s_xor_b64 s[24:25], s[4:5], -1
	s_and_b64 s[40:41], s[24:25], vcc
	s_and_saveexec_b64 s[24:25], s[40:41]
	s_cbranch_execz .LBB26_116
; %bb.98:                               ;   in Loop: Header=BB26_47 Depth=1
	s_and_saveexec_b64 s[40:41], s[58:59]
	s_xor_b64 s[40:41], exec, s[40:41]
	s_cbranch_execz .LBB26_113
; %bb.99:                               ;   in Loop: Header=BB26_47 Depth=1
	s_and_saveexec_b64 s[42:43], s[14:15]
	s_cbranch_execz .LBB26_112
; %bb.100:                              ;   in Loop: Header=BB26_47 Depth=1
	s_mov_b64 s[92:93], exec
	v_mbcnt_lo_u32_b32 v2, s92, 0
	v_mbcnt_hi_u32_b32 v2, s93, v2
	v_cmp_eq_u32_e32 vcc, 0, v2
	s_waitcnt lgkmcnt(0)
	s_and_saveexec_b64 s[90:91], vcc
	s_cbranch_execz .LBB26_102
; %bb.101:                              ;   in Loop: Header=BB26_47 Depth=1
	s_bcnt1_i32_b64 s56, s[92:93]
	v_mov_b32_e32 v2, s56
	ds_add_u64 v0, v[2:3]
	s_trap 2
.LBB26_102:                             ;   in Loop: Header=BB26_47 Depth=1
	s_or_b64 exec, exec, s[90:91]
	s_trap 2
	ds_read_b64 v[10:11], v0
	s_waitcnt lgkmcnt(0)
	v_lshl_add_u64 v[70:71], v[70:71], 0, v[84:85]
	v_cmp_lt_u64_e32 vcc, v[10:11], v[70:71]
	s_and_saveexec_b64 s[90:91], vcc
	s_cbranch_execz .LBB26_111
; %bb.103:                              ;   in Loop: Header=BB26_47 Depth=1
	s_mov_b32 s56, 0
	s_mov_b64 s[92:93], 0
                                        ; implicit-def: $sgpr94_sgpr95
                                        ; implicit-def: $sgpr30_sgpr31
	s_branch .LBB26_105
.LBB26_104:                             ;   in Loop: Header=BB26_105 Depth=2
	s_or_b64 exec, exec, s[36:37]
	s_and_b64 vcc, exec, vcc
	s_or_b64 s[92:93], vcc, s[92:93]
	s_andn2_b64 s[94:95], s[94:95], exec
	s_and_b64 vcc, s[30:31], exec
	s_or_b64 s[94:95], s[94:95], vcc
	s_andn2_b64 exec, exec, s[92:93]
	s_cbranch_execz .LBB26_109
.LBB26_105:                             ;   Parent Loop BB26_47 Depth=1
                                        ; =>  This Inner Loop Header: Depth=2
	s_add_i32 s56, s56, 1
	s_cmpk_lg_i32 s56, 0x2710
	s_cselect_b64 s[34:35], -1, 0
	s_and_b64 vcc, exec, s[34:35]
	s_cbranch_vccz .LBB26_107
; %bb.106:                              ;   in Loop: Header=BB26_105 Depth=2
	s_mov_b64 vcc, -1
	s_or_b64 s[30:31], s[30:31], exec
	s_and_saveexec_b64 s[36:37], s[34:35]
	s_cbranch_execz .LBB26_104
	s_branch .LBB26_108
.LBB26_107:                             ;   in Loop: Header=BB26_105 Depth=2
	s_trap 2
	ds_read_b64 v[10:11], v0
	s_andn2_b64 s[34:35], s[34:35], exec
	s_mov_b32 s56, 0
	s_waitcnt vmcnt(0) lgkmcnt(0)
	flat_load_dword v2, v[10:11] sc0 sc1
	s_waitcnt vmcnt(0) lgkmcnt(0)
	buffer_inv sc0 sc1
	v_cmp_eq_u32_e32 vcc, 0, v2
	s_and_b64 vcc, vcc, exec
	s_or_b64 s[34:35], s[34:35], vcc
	s_mov_b64 vcc, -1
	s_or_b64 s[30:31], s[30:31], exec
	s_and_saveexec_b64 s[36:37], s[34:35]
	s_cbranch_execz .LBB26_104
.LBB26_108:                             ;   in Loop: Header=BB26_105 Depth=2
	s_sleep 1
	s_trap 2
	ds_read_b64 v[10:11], v0
	s_waitcnt lgkmcnt(0)
	s_andn2_b64 s[30:31], s[30:31], exec
	v_cmp_ge_u64_e32 vcc, v[10:11], v[70:71]
	s_orn2_b64 vcc, vcc, exec
	s_branch .LBB26_104
.LBB26_109:                             ;   in Loop: Header=BB26_47 Depth=1
	s_or_b64 exec, exec, s[92:93]
	s_and_saveexec_b64 s[92:93], s[94:95]
	s_xor_b64 s[92:93], exec, s[92:93]
	s_cbranch_execz .LBB26_111
; %bb.110:                              ;   in Loop: Header=BB26_47 Depth=1
	ds_write_b32 v0, v107
	s_trap 2
.LBB26_111:                             ;   in Loop: Header=BB26_47 Depth=1
	s_or_b64 exec, exec, s[90:91]
	;;#ASMSTART
	s_wakeup
	;;#ASMEND
.LBB26_112:                             ;   in Loop: Header=BB26_47 Depth=1
	s_or_b64 exec, exec, s[42:43]
.LBB26_113:                             ;   in Loop: Header=BB26_47 Depth=1
	s_andn2_saveexec_b64 s[40:41], s[40:41]
	s_cbranch_execz .LBB26_115
; %bb.114:                              ;   in Loop: Header=BB26_47 Depth=1
	s_waitcnt lgkmcnt(0)
	s_barrier
.LBB26_115:                             ;   in Loop: Header=BB26_47 Depth=1
	s_or_b64 exec, exec, s[40:41]
.LBB26_116:                             ;   in Loop: Header=BB26_47 Depth=1
	s_or_b64 exec, exec, s[24:25]
	s_trap 2
	ds_read_b64 v[10:11], v0
	s_waitcnt lgkmcnt(0)
	v_cmp_eq_u64_e32 vcc, 0, v[10:11]
	s_cbranch_vccnz .LBB26_124
; %bb.117:                              ;   in Loop: Header=BB26_47 Depth=1
	s_trap 2
	ds_read_b64 v[12:13], v0
	s_waitcnt lgkmcnt(0)
	v_cmp_eq_u64_e32 vcc, 0, v[12:13]
	s_cbranch_vccnz .LBB26_124
; %bb.118:                              ;   in Loop: Header=BB26_47 Depth=1
	s_mov_b64 s[24:25], -1
	s_and_saveexec_b64 s[40:41], s[16:17]
	s_cbranch_execz .LBB26_120
; %bb.119:                              ;   in Loop: Header=BB26_47 Depth=1
	ds_read_b32 v2, v0 offset:720
	s_waitcnt lgkmcnt(0)
	v_and_b32_e32 v2, 15, v2
	v_cmp_eq_u32_e32 vcc, 0, v2
	s_orn2_b64 s[24:25], vcc, exec
.LBB26_120:                             ;   in Loop: Header=BB26_47 Depth=1
	s_or_b64 exec, exec, s[40:41]
	s_and_saveexec_b64 s[40:41], s[18:19]
	s_cbranch_execz .LBB26_122
; %bb.121:                              ;   in Loop: Header=BB26_47 Depth=1
	ds_read_b32 v2, v0 offset:784
	s_waitcnt lgkmcnt(0)
	v_and_b32_e32 v2, 15, v2
	v_cmp_eq_u32_e32 vcc, 0, v2
	s_and_b64 s[42:43], s[24:25], vcc
	s_andn2_b64 s[24:25], s[24:25], exec
	s_and_b64 s[42:43], s[42:43], exec
	s_or_b64 s[24:25], s[24:25], s[42:43]
.LBB26_122:                             ;   in Loop: Header=BB26_47 Depth=1
	s_or_b64 exec, exec, s[40:41]
	v_cmp_eq_u32_e32 vcc, 0, v9
	s_xor_b64 s[24:25], s[24:25], -1
	v_cndmask_b32_e64 v14, 0, 1, s[24:25]
	v_cndmask_b32_e32 v2, 0, v8, vcc
	v_lshlrev_b32_e32 v9, 1, v2
	s_mov_b64 s[42:43], -1
	v_cmp_ne_u32_e32 vcc, 0, v14
	v_mov_b32_e32 v21, 0
	s_cbranch_vccz .LBB26_130
; %bb.123:                              ;   in Loop: Header=BB26_47 Depth=1
	v_mov_b32_e32 v22, v0
	s_and_saveexec_b64 s[24:25], s[42:43]
	s_cbranch_execnz .LBB26_141
	s_branch .LBB26_149
.LBB26_124:                             ;   in Loop: Header=BB26_47 Depth=1
	s_mov_b64 s[24:25], 0
	s_and_saveexec_b64 s[40:41], s[6:7]
	s_cbranch_execnz .LBB26_150
.LBB26_125:                             ;   in Loop: Header=BB26_47 Depth=1
	s_or_b64 exec, exec, s[40:41]
                                        ; implicit-def: $vgpr2
	s_and_saveexec_b64 s[40:41], s[22:23]
	s_xor_b64 s[40:41], exec, s[40:41]
	s_cbranch_execz .LBB26_168
.LBB26_126:                             ;   in Loop: Header=BB26_47 Depth=1
	v_and_b32_e32 v9, 16, v104
	v_cmp_ne_u32_e32 vcc, 0, v9
	v_and_b32_e32 v2, 16, v104
	s_and_b64 s[42:43], vcc, s[24:25]
	s_and_saveexec_b64 s[24:25], s[42:43]
	s_cbranch_execz .LBB26_128
; %bb.127:                              ;   in Loop: Header=BB26_47 Depth=1
	v_mov_b32_e32 v2, 1
	buffer_wbl2 sc1
	s_waitcnt vmcnt(0) lgkmcnt(0)
	buffer_inv sc1
.LBB26_128:                             ;   in Loop: Header=BB26_47 Depth=1
	s_or_b64 exec, exec, s[24:25]
	s_andn2_saveexec_b64 s[24:25], s[40:41]
	s_cbranch_execnz .LBB26_169
.LBB26_129:                             ;   in Loop: Header=BB26_47 Depth=1
	s_or_b64 exec, exec, s[24:25]
	v_cmp_ne_u32_e32 vcc, 0, v2
	s_and_saveexec_b64 s[24:25], vcc
	s_cbranch_execnz .LBB26_187
	s_branch .LBB26_190
.LBB26_130:                             ;   in Loop: Header=BB26_47 Depth=1
	v_ashrrev_i32_e32 v14, 31, v9
	v_lshrrev_b32_e32 v14, 19, v14
	v_add_u32_e32 v14, v9, v14
	v_ashrrev_i32_e32 v19, 13, v14
	v_sub_u32_e32 v18, v19, v106
	v_cmp_lt_i32_e32 vcc, 0, v18
	s_and_saveexec_b64 s[40:41], vcc
	s_cbranch_execz .LBB26_134
; %bb.131:                              ;   in Loop: Header=BB26_47 Depth=1
	s_mov_b64 s[42:43], 0
	v_mov_b64_e32 v[14:15], v[12:13]
	v_mov_b64_e32 v[16:17], v[10:11]
.LBB26_132:                             ;   Parent Loop BB26_47 Depth=1
                                        ; =>  This Inner Loop Header: Depth=2
	v_lshl_add_u64 v[26:27], v[118:119], 0, v[16:17]
	global_load_dwordx4 v[22:25], v[26:27], off nt
	global_load_dwordx4 v[32:35], v[26:27], off offset:1024 nt
	global_load_dwordx4 v[36:39], v[26:27], off offset:2048 nt
	global_load_dwordx4 v[48:51], v[26:27], off offset:3072 nt
	v_add_co_u32_e32 v26, vcc, 0x1000, v26
	v_sub_u32_e32 v18, v18, v84
	s_nop 0
	v_addc_co_u32_e32 v27, vcc, 0, v27, vcc
	global_load_dwordx4 v[72:75], v[26:27], off nt
	global_load_dwordx4 v[76:79], v[26:27], off offset:1024 nt
	global_load_dwordx4 v[88:91], v[26:27], off offset:2048 nt
	;; [unrolled: 1-line block ×3, first 2 shown]
	v_lshl_add_u64 v[26:27], v[118:119], 0, v[14:15]
	v_cmp_gt_i32_e64 s[24:25], 1, v18
	v_lshl_add_u64 v[16:17], v[16:17], 0, v[98:99]
	v_lshl_add_u64 v[14:15], v[14:15], 0, v[98:99]
	v_add_co_u32_e32 v120, vcc, 0x1000, v26
	s_or_b64 s[42:43], s[24:25], s[42:43]
	s_nop 0
	v_addc_co_u32_e32 v121, vcc, 0, v27, vcc
	s_waitcnt vmcnt(0)
	global_store_dwordx4 v[26:27], v[22:25], off
	global_store_dwordx4 v[26:27], v[32:35], off offset:1024
	global_store_dwordx4 v[26:27], v[36:39], off offset:2048
	;; [unrolled: 1-line block ×3, first 2 shown]
	global_store_dwordx4 v[120:121], v[72:75], off
	global_store_dwordx4 v[120:121], v[76:79], off offset:1024
	global_store_dwordx4 v[120:121], v[88:91], off offset:2048
	;; [unrolled: 1-line block ×3, first 2 shown]
	s_andn2_b64 exec, exec, s[42:43]
	s_cbranch_execnz .LBB26_132
; %bb.133:                              ;   in Loop: Header=BB26_47 Depth=1
	s_or_b64 exec, exec, s[42:43]
.LBB26_134:                             ;   in Loop: Header=BB26_47 Depth=1
	s_or_b64 exec, exec, s[40:41]
	v_lshlrev_b32_e32 v16, 13, v19
	v_cmp_ne_u32_e32 vcc, v9, v16
	s_mov_b64 s[42:43], 0
	v_mov_b32_e32 v21, 0
                                        ; implicit-def: $vgpr22
	s_and_saveexec_b64 s[40:41], vcc
	s_cbranch_execz .LBB26_140
; %bb.135:                              ;   in Loop: Header=BB26_47 Depth=1
	v_lshlrev_b32_e32 v14, 6, v18
	v_sub_u32_e32 v14, v105, v14
	v_sub_u32_e32 v15, v9, v16
	v_ashrrev_i32_e32 v17, 31, v14
	v_lshrrev_b32_e32 v17, 26, v17
	v_ashrrev_i32_e32 v18, 31, v15
	v_add_u32_e32 v17, v14, v17
	v_lshrrev_b32_e32 v18, 22, v18
	v_ashrrev_i32_e32 v22, 6, v17
	v_and_b32_e32 v17, 0xffffffc0, v17
	v_add_u32_e32 v18, v15, v18
	v_sub_u32_e32 v17, v14, v17
	v_ashrrev_i32_e32 v23, 10, v18
	v_and_b32_e32 v18, 0xfffffc00, v18
	v_lshlrev_b32_e32 v14, 4, v17
	v_sub_u32_e32 v19, v15, v18
	v_lshl_add_u32 v14, v22, 10, v14
	v_cmp_lt_i32_e32 vcc, 15, v19
	v_sub_u32_e32 v21, v15, v14
	s_nop 0
	v_addc_co_u32_e64 v15, s[24:25], 0, v23, vcc
	v_sub_u32_e32 v22, v15, v22
	v_cmp_lt_i32_e64 s[24:25], 15, v21
	s_and_saveexec_b64 s[42:43], s[24:25]
	s_cbranch_execz .LBB26_139
; %bb.136:                              ;   in Loop: Header=BB26_47 Depth=1
	v_add_u32_e32 v14, v14, v16
	v_ashrrev_i32_e32 v15, 31, v14
	s_mov_b64 s[90:91], 0
.LBB26_137:                             ;   Parent Loop BB26_47 Depth=1
                                        ; =>  This Inner Loop Header: Depth=2
	v_lshl_add_u64 v[24:25], v[10:11], 0, v[14:15]
	global_load_dwordx4 v[24:27], v[24:25], off nt
	v_sub_u32_e32 v21, v21, v100
	v_cmp_gt_i32_e64 s[24:25], 16, v21
	v_lshl_add_u64 v[32:33], v[12:13], 0, v[14:15]
	v_sub_u32_e32 v22, v22, v84
	v_lshl_add_u64 v[14:15], v[14:15], 0, v[100:101]
	s_or_b64 s[90:91], s[24:25], s[90:91]
	s_waitcnt vmcnt(0)
	global_store_dwordx4 v[32:33], v[24:27], off
	s_andn2_b64 exec, exec, s[90:91]
	s_cbranch_execnz .LBB26_137
; %bb.138:                              ;   in Loop: Header=BB26_47 Depth=1
	s_or_b64 exec, exec, s[90:91]
.LBB26_139:                             ;   in Loop: Header=BB26_47 Depth=1
	s_or_b64 exec, exec, s[42:43]
	v_and_b32_e32 v9, 14, v9
	v_sub_u32_e32 v14, v19, v9
	v_cndmask_b32_e32 v14, 0, v14, vcc
	v_cndmask_b32_e32 v9, v19, v9, vcc
	v_cmp_lt_i32_e32 vcc, 0, v22
	v_add3_u32 v21, v18, v16, v14
	s_nop 0
	v_cndmask_b32_e32 v14, 0, v84, vcc
	v_sub_u32_e32 v14, v14, v22
	v_cmp_ne_u32_e32 vcc, 0, v9
	v_lshl_add_u32 v22, v14, 6, v17
	s_and_b64 s[42:43], vcc, exec
.LBB26_140:                             ;   in Loop: Header=BB26_47 Depth=1
	s_or_b64 exec, exec, s[40:41]
	s_and_saveexec_b64 s[24:25], s[42:43]
	s_cbranch_execz .LBB26_149
.LBB26_141:                             ;   in Loop: Header=BB26_47 Depth=1
	v_ashrrev_i32_e32 v14, 31, v22
	v_ashrrev_i32_e32 v15, 31, v9
	v_lshrrev_b32_e32 v14, 26, v14
	v_lshrrev_b32_e32 v15, 21, v15
	v_add_u32_e32 v14, v22, v14
	v_add_u32_e32 v15, v9, v15
	v_ashrrev_i32_e32 v23, 6, v14
	v_ashrrev_i32_e32 v25, 11, v15
	v_sub_u32_e32 v24, v25, v23
	v_cmp_lt_i32_e32 vcc, 0, v24
	s_and_saveexec_b64 s[40:41], vcc
	s_cbranch_execz .LBB26_145
; %bb.142:                              ;   in Loop: Header=BB26_47 Depth=1
	v_and_b32_e32 v14, 0x7fffffc0, v14
	v_sub_u32_e32 v14, v22, v14
	v_lshlrev_b32_e32 v14, 1, v14
	v_lshlrev_b32_e32 v15, 11, v23
	v_add3_u32 v14, v14, v21, v15
	v_ashrrev_i32_e32 v15, 31, v14
	s_mov_b64 s[42:43], 0
	v_mov_b64_e32 v[16:17], v[12:13]
	v_mov_b64_e32 v[18:19], v[10:11]
.LBB26_143:                             ;   Parent Loop BB26_47 Depth=1
                                        ; =>  This Inner Loop Header: Depth=2
	v_lshl_add_u64 v[26:27], v[14:15], 0, v[18:19]
	flat_load_ushort v32, v[26:27] nt
	flat_load_ushort v33, v[26:27] offset:128 nt
	flat_load_ushort v34, v[26:27] offset:256 nt
	flat_load_ushort v35, v[26:27] offset:384 nt
	flat_load_ushort v36, v[26:27] offset:512 nt
	flat_load_ushort v37, v[26:27] offset:640 nt
	flat_load_ushort v38, v[26:27] offset:768 nt
	flat_load_ushort v39, v[26:27] offset:896 nt
	flat_load_ushort v48, v[26:27] offset:1024 nt
	flat_load_ushort v49, v[26:27] offset:1152 nt
	flat_load_ushort v50, v[26:27] offset:1280 nt
	flat_load_ushort v51, v[26:27] offset:1408 nt
	flat_load_ushort v72, v[26:27] offset:1536 nt
	flat_load_ushort v73, v[26:27] offset:1664 nt
	flat_load_ushort v74, v[26:27] offset:1792 nt
	flat_load_ushort v75, v[26:27] offset:1920 nt
	v_sub_u32_e32 v24, v24, v84
	v_cmp_gt_i32_e32 vcc, 1, v24
	v_lshl_add_u64 v[26:27], v[14:15], 0, v[16:17]
	v_lshl_add_u64 v[18:19], v[18:19], 0, v[102:103]
	;; [unrolled: 1-line block ×3, first 2 shown]
	s_or_b64 s[42:43], vcc, s[42:43]
	s_waitcnt vmcnt(0) lgkmcnt(0)
	flat_store_short v[26:27], v32 nt
	flat_store_short v[26:27], v33 offset:128 nt
	flat_store_short v[26:27], v34 offset:256 nt
	;; [unrolled: 1-line block ×15, first 2 shown]
	s_andn2_b64 exec, exec, s[42:43]
	s_cbranch_execnz .LBB26_143
; %bb.144:                              ;   in Loop: Header=BB26_47 Depth=1
	s_or_b64 exec, exec, s[42:43]
.LBB26_145:                             ;   in Loop: Header=BB26_47 Depth=1
	s_or_b64 exec, exec, s[40:41]
	v_lshlrev_b32_e32 v14, 11, v25
	v_cmp_ne_u32_e32 vcc, v9, v14
	s_and_b64 exec, exec, vcc
	s_cbranch_execz .LBB26_149
; %bb.146:                              ;   in Loop: Header=BB26_47 Depth=1
	v_lshlrev_b32_e32 v15, 6, v23
	v_sub_u32_e32 v15, v22, v15
	v_lshlrev_b32_e32 v16, 6, v24
	v_sub_u32_e32 v15, v15, v16
	v_ashrrev_i32_e32 v16, 31, v15
	v_lshrrev_b32_e32 v16, 26, v16
	v_add_u32_e32 v16, v15, v16
	v_and_b32_e32 v17, 0x7fffffc0, v16
	v_sub_u32_e32 v15, v15, v17
	v_lshlrev_b32_e32 v16, 1, v16
	v_and_b32_e32 v16, 0xffffff80, v16
	v_lshlrev_b32_e32 v15, 1, v15
	v_add3_u32 v14, v16, v15, v14
	v_sub_u32_e32 v9, v9, v14
	v_cmp_lt_i32_e32 vcc, 1, v9
	s_and_b64 exec, exec, vcc
	s_cbranch_execz .LBB26_149
; %bb.147:                              ;   in Loop: Header=BB26_47 Depth=1
	v_add_u32_e32 v14, v14, v21
	v_ashrrev_i32_e32 v15, 31, v14
	s_mov_b64 s[40:41], 0
.LBB26_148:                             ;   Parent Loop BB26_47 Depth=1
                                        ; =>  This Inner Loop Header: Depth=2
	v_lshl_add_u64 v[16:17], v[10:11], 0, v[14:15]
	flat_load_ushort v18, v[16:17] nt
	v_sub_u32_e32 v9, v9, v112
	v_cmp_gt_i32_e32 vcc, 2, v9
	v_lshl_add_u64 v[16:17], v[12:13], 0, v[14:15]
	v_lshl_add_u64 v[14:15], v[14:15], 0, v[112:113]
	s_or_b64 s[40:41], vcc, s[40:41]
	s_waitcnt vmcnt(0) lgkmcnt(0)
	flat_store_short v[16:17], v18 nt
	s_andn2_b64 exec, exec, s[40:41]
	s_cbranch_execnz .LBB26_148
.LBB26_149:                             ;   in Loop: Header=BB26_47 Depth=1
	s_or_b64 exec, exec, s[24:25]
	v_cmp_lt_i32_e64 s[24:25], 0, v2
	s_and_saveexec_b64 s[40:41], s[6:7]
	s_cbranch_execz .LBB26_125
.LBB26_150:                             ;   in Loop: Header=BB26_47 Depth=1
	s_and_saveexec_b64 s[42:43], s[58:59]
	s_xor_b64 s[42:43], exec, s[42:43]
	s_cbranch_execz .LBB26_165
; %bb.151:                              ;   in Loop: Header=BB26_47 Depth=1
	s_and_saveexec_b64 s[90:91], s[14:15]
	s_cbranch_execz .LBB26_164
; %bb.152:                              ;   in Loop: Header=BB26_47 Depth=1
	s_mov_b64 s[94:95], exec
	v_mbcnt_lo_u32_b32 v2, s94, 0
	v_mbcnt_hi_u32_b32 v2, s95, v2
	v_cmp_eq_u32_e32 vcc, 0, v2
	s_waitcnt lgkmcnt(0)
	s_and_saveexec_b64 s[92:93], vcc
	s_cbranch_execz .LBB26_154
; %bb.153:                              ;   in Loop: Header=BB26_47 Depth=1
	s_bcnt1_i32_b64 s56, s[94:95]
	v_mov_b32_e32 v2, s56
	ds_add_u64 v0, v[2:3]
	s_trap 2
.LBB26_154:                             ;   in Loop: Header=BB26_47 Depth=1
	s_or_b64 exec, exec, s[92:93]
	s_trap 2
	ds_read_b64 v[10:11], v0
	s_waitcnt lgkmcnt(0)
	v_lshl_add_u64 v[70:71], v[70:71], 0, v[84:85]
	v_cmp_lt_u64_e32 vcc, v[10:11], v[70:71]
	s_and_saveexec_b64 s[92:93], vcc
	s_cbranch_execz .LBB26_163
; %bb.155:                              ;   in Loop: Header=BB26_47 Depth=1
	s_mov_b32 s56, 0
	s_mov_b64 s[94:95], 0
                                        ; implicit-def: $sgpr30_sgpr31
                                        ; implicit-def: $sgpr34_sgpr35
	s_branch .LBB26_157
.LBB26_156:                             ;   in Loop: Header=BB26_157 Depth=2
	s_or_b64 exec, exec, s[38:39]
	s_and_b64 vcc, exec, vcc
	s_or_b64 s[94:95], vcc, s[94:95]
	s_andn2_b64 vcc, s[30:31], exec
	s_and_b64 s[30:31], s[34:35], exec
	s_or_b64 s[30:31], vcc, s[30:31]
	s_andn2_b64 exec, exec, s[94:95]
	s_cbranch_execz .LBB26_161
.LBB26_157:                             ;   Parent Loop BB26_47 Depth=1
                                        ; =>  This Inner Loop Header: Depth=2
	s_add_i32 s56, s56, 1
	s_cmpk_lg_i32 s56, 0x2710
	s_cselect_b64 s[36:37], -1, 0
	s_and_b64 vcc, exec, s[36:37]
	s_cbranch_vccz .LBB26_159
; %bb.158:                              ;   in Loop: Header=BB26_157 Depth=2
	s_mov_b64 vcc, -1
	s_or_b64 s[34:35], s[34:35], exec
	s_and_saveexec_b64 s[38:39], s[36:37]
	s_cbranch_execz .LBB26_156
	s_branch .LBB26_160
.LBB26_159:                             ;   in Loop: Header=BB26_157 Depth=2
	s_trap 2
	ds_read_b64 v[10:11], v0
	s_andn2_b64 s[36:37], s[36:37], exec
	s_mov_b32 s56, 0
	s_waitcnt vmcnt(0) lgkmcnt(0)
	flat_load_dword v2, v[10:11] sc0 sc1
	s_waitcnt vmcnt(0) lgkmcnt(0)
	buffer_inv sc0 sc1
	v_cmp_eq_u32_e32 vcc, 0, v2
	s_and_b64 vcc, vcc, exec
	s_or_b64 s[36:37], s[36:37], vcc
	s_mov_b64 vcc, -1
	s_or_b64 s[34:35], s[34:35], exec
	s_and_saveexec_b64 s[38:39], s[36:37]
	s_cbranch_execz .LBB26_156
.LBB26_160:                             ;   in Loop: Header=BB26_157 Depth=2
	s_sleep 1
	s_trap 2
	ds_read_b64 v[10:11], v0
	s_waitcnt lgkmcnt(0)
	s_andn2_b64 s[34:35], s[34:35], exec
	v_cmp_ge_u64_e32 vcc, v[10:11], v[70:71]
	s_orn2_b64 vcc, vcc, exec
	s_branch .LBB26_156
.LBB26_161:                             ;   in Loop: Header=BB26_47 Depth=1
	s_or_b64 exec, exec, s[94:95]
	s_and_saveexec_b64 s[94:95], s[30:31]
	s_xor_b64 s[94:95], exec, s[94:95]
	s_cbranch_execz .LBB26_163
; %bb.162:                              ;   in Loop: Header=BB26_47 Depth=1
	ds_write_b32 v0, v107
	s_trap 2
.LBB26_163:                             ;   in Loop: Header=BB26_47 Depth=1
	s_or_b64 exec, exec, s[92:93]
	;;#ASMSTART
	s_wakeup
	;;#ASMEND
.LBB26_164:                             ;   in Loop: Header=BB26_47 Depth=1
	s_or_b64 exec, exec, s[90:91]
.LBB26_165:                             ;   in Loop: Header=BB26_47 Depth=1
	s_andn2_saveexec_b64 s[42:43], s[42:43]
	s_cbranch_execz .LBB26_167
; %bb.166:                              ;   in Loop: Header=BB26_47 Depth=1
	s_waitcnt lgkmcnt(0)
	s_barrier
.LBB26_167:                             ;   in Loop: Header=BB26_47 Depth=1
	s_or_b64 exec, exec, s[42:43]
	s_or_b64 exec, exec, s[40:41]
                                        ; implicit-def: $vgpr2
	s_and_saveexec_b64 s[40:41], s[22:23]
	s_xor_b64 s[40:41], exec, s[40:41]
	s_cbranch_execnz .LBB26_126
.LBB26_168:                             ;   in Loop: Header=BB26_47 Depth=1
	s_andn2_saveexec_b64 s[24:25], s[40:41]
	s_cbranch_execz .LBB26_129
.LBB26_169:                             ;   in Loop: Header=BB26_47 Depth=1
	s_and_saveexec_b64 s[40:41], s[58:59]
	s_xor_b64 s[40:41], exec, s[40:41]
	s_cbranch_execz .LBB26_184
; %bb.170:                              ;   in Loop: Header=BB26_47 Depth=1
	s_and_saveexec_b64 s[42:43], s[14:15]
	s_cbranch_execz .LBB26_183
; %bb.171:                              ;   in Loop: Header=BB26_47 Depth=1
	s_mov_b64 s[92:93], exec
	v_mbcnt_lo_u32_b32 v2, s92, 0
	v_mbcnt_hi_u32_b32 v2, s93, v2
	v_cmp_eq_u32_e32 vcc, 0, v2
	;;#ASMSTART
	s_waitcnt lgkmcnt(0) vmcnt(0)
	;;#ASMEND
	s_and_saveexec_b64 s[90:91], vcc
	s_cbranch_execz .LBB26_173
; %bb.172:                              ;   in Loop: Header=BB26_47 Depth=1
	s_bcnt1_i32_b64 s56, s[92:93]
	v_mov_b32_e32 v2, s56
	s_waitcnt lgkmcnt(0)
	ds_add_u64 v0, v[2:3]
	s_trap 2
.LBB26_173:                             ;   in Loop: Header=BB26_47 Depth=1
	s_or_b64 exec, exec, s[90:91]
	s_trap 2
	ds_read_b64 v[10:11], v0
	s_waitcnt lgkmcnt(0)
	v_lshl_add_u64 v[70:71], v[70:71], 0, v[84:85]
	v_cmp_lt_u64_e32 vcc, v[10:11], v[70:71]
	s_and_saveexec_b64 s[90:91], vcc
	s_cbranch_execz .LBB26_182
; %bb.174:                              ;   in Loop: Header=BB26_47 Depth=1
	s_mov_b32 s56, 0
	s_mov_b64 s[92:93], 0
                                        ; implicit-def: $sgpr94_sgpr95
                                        ; implicit-def: $sgpr30_sgpr31
	s_branch .LBB26_176
.LBB26_175:                             ;   in Loop: Header=BB26_176 Depth=2
	s_or_b64 exec, exec, s[36:37]
	s_and_b64 vcc, exec, vcc
	s_or_b64 s[92:93], vcc, s[92:93]
	s_andn2_b64 s[94:95], s[94:95], exec
	s_and_b64 vcc, s[30:31], exec
	s_or_b64 s[94:95], s[94:95], vcc
	s_andn2_b64 exec, exec, s[92:93]
	s_cbranch_execz .LBB26_180
.LBB26_176:                             ;   Parent Loop BB26_47 Depth=1
                                        ; =>  This Inner Loop Header: Depth=2
	s_add_i32 s56, s56, 1
	s_cmpk_lg_i32 s56, 0x2710
	s_cselect_b64 s[34:35], -1, 0
	s_and_b64 vcc, exec, s[34:35]
	s_cbranch_vccz .LBB26_178
; %bb.177:                              ;   in Loop: Header=BB26_176 Depth=2
	s_mov_b64 vcc, -1
	s_or_b64 s[30:31], s[30:31], exec
	s_and_saveexec_b64 s[36:37], s[34:35]
	s_cbranch_execz .LBB26_175
	s_branch .LBB26_179
.LBB26_178:                             ;   in Loop: Header=BB26_176 Depth=2
	s_trap 2
	ds_read_b64 v[10:11], v0
	s_andn2_b64 s[34:35], s[34:35], exec
	s_mov_b32 s56, 0
	s_waitcnt vmcnt(0) lgkmcnt(0)
	flat_load_dword v2, v[10:11] sc0 sc1
	s_waitcnt vmcnt(0) lgkmcnt(0)
	buffer_inv sc0 sc1
	v_cmp_eq_u32_e32 vcc, 0, v2
	s_and_b64 vcc, vcc, exec
	s_or_b64 s[34:35], s[34:35], vcc
	s_mov_b64 vcc, -1
	s_or_b64 s[30:31], s[30:31], exec
	s_and_saveexec_b64 s[36:37], s[34:35]
	s_cbranch_execz .LBB26_175
.LBB26_179:                             ;   in Loop: Header=BB26_176 Depth=2
	s_sleep 1
	s_trap 2
	ds_read_b64 v[10:11], v0
	s_waitcnt lgkmcnt(0)
	s_andn2_b64 s[30:31], s[30:31], exec
	v_cmp_ge_u64_e32 vcc, v[10:11], v[70:71]
	s_orn2_b64 vcc, vcc, exec
	s_branch .LBB26_175
.LBB26_180:                             ;   in Loop: Header=BB26_47 Depth=1
	s_or_b64 exec, exec, s[92:93]
	s_and_saveexec_b64 s[92:93], s[94:95]
	s_xor_b64 s[92:93], exec, s[92:93]
	s_cbranch_execz .LBB26_182
; %bb.181:                              ;   in Loop: Header=BB26_47 Depth=1
	ds_write_b32 v0, v107
	s_trap 2
.LBB26_182:                             ;   in Loop: Header=BB26_47 Depth=1
	s_or_b64 exec, exec, s[90:91]
	;;#ASMSTART
	s_wakeup
	;;#ASMEND
.LBB26_183:                             ;   in Loop: Header=BB26_47 Depth=1
	s_or_b64 exec, exec, s[42:43]
.LBB26_184:                             ;   in Loop: Header=BB26_47 Depth=1
	s_andn2_saveexec_b64 s[40:41], s[40:41]
	s_cbranch_execz .LBB26_186
; %bb.185:                              ;   in Loop: Header=BB26_47 Depth=1
	;;#ASMSTART
	s_waitcnt lgkmcnt(0) vmcnt(0)
	;;#ASMEND
	s_barrier
.LBB26_186:                             ;   in Loop: Header=BB26_47 Depth=1
	s_or_b64 exec, exec, s[40:41]
	v_and_b32_e32 v2, 16, v104
	s_or_b64 exec, exec, s[24:25]
	v_cmp_ne_u32_e32 vcc, 0, v2
	s_and_saveexec_b64 s[24:25], vcc
	s_cbranch_execz .LBB26_190
.LBB26_187:                             ;   in Loop: Header=BB26_47 Depth=1
	s_and_saveexec_b64 s[40:41], s[12:13]
	s_cbranch_execz .LBB26_189
; %bb.188:                              ;   in Loop: Header=BB26_47 Depth=1
	flat_store_dword v[68:69], v107 sc0 sc1
.LBB26_189:                             ;   in Loop: Header=BB26_47 Depth=1
	s_or_b64 exec, exec, s[40:41]
	v_lshl_add_u64 v[58:59], v[58:59], 0, 4
	flat_store_dwordx2 v[64:65], v[58:59] sc0 sc1
.LBB26_190:                             ;   in Loop: Header=BB26_47 Depth=1
	s_or_b64 exec, exec, s[24:25]
	v_mov_b32_e32 v2, v8
.LBB26_191:                             ;   in Loop: Header=BB26_47 Depth=1
	s_or_b64 exec, exec, s[28:29]
	s_and_saveexec_b64 s[28:29], s[26:27]
	s_cbranch_execz .LBB26_261
; %bb.192:                              ;   in Loop: Header=BB26_47 Depth=1
	v_sub_u32_e32 v2, v20, v2
	v_min_i32_e32 v8, v8, v2
	v_and_b32_e32 v2, 8, v104
	v_cmp_ne_u32_e32 vcc, 0, v2
	s_and_saveexec_b64 s[26:27], vcc
	s_cbranch_execz .LBB26_202
; %bb.193:                              ;   in Loop: Header=BB26_47 Depth=1
	s_waitcnt vmcnt(0) lgkmcnt(0)
	v_lshl_add_u64 v[12:13], v[80:81], 0, 8
	v_lshl_add_u64 v[10:11], v[58:59], 0, 4
	v_cmp_lt_u64_e32 vcc, v[12:13], v[10:11]
	s_and_saveexec_b64 s[40:41], vcc
	s_cbranch_execz .LBB26_211
; %bb.194:                              ;   in Loop: Header=BB26_47 Depth=1
	v_and_b32_e32 v2, 64, v104
	s_mov_b32 s56, 0
	v_cmp_eq_u32_e32 vcc, 0, v2
	s_mov_b64 s[42:43], 0
                                        ; implicit-def: $sgpr90_sgpr91
                                        ; implicit-def: $sgpr92_sgpr93
                                        ; implicit-def: $sgpr94_sgpr95
	s_branch .LBB26_198
.LBB26_195:                             ;   in Loop: Header=BB26_198 Depth=2
	s_waitcnt vmcnt(0) lgkmcnt(0)
	v_lshl_add_u64 v[12:13], v[80:81], 0, 8
	v_cmp_ge_u64_e64 s[24:25], v[12:13], v[10:11]
	s_or_b64 s[36:37], s[36:37], exec
	s_orn2_b64 s[34:35], s[24:25], exec
.LBB26_196:                             ;   in Loop: Header=BB26_198 Depth=2
	s_or_b64 exec, exec, s[48:49]
	s_andn2_b64 s[24:25], s[94:95], exec
	s_and_b64 s[94:95], s[36:37], exec
	s_or_b64 s[94:95], s[24:25], s[94:95]
	s_andn2_b64 s[24:25], s[92:93], exec
	s_and_b64 s[92:93], s[34:35], exec
	s_or_b64 s[92:93], s[24:25], s[92:93]
.LBB26_197:                             ;   in Loop: Header=BB26_198 Depth=2
	s_or_b64 exec, exec, s[30:31]
	s_and_b64 s[24:25], exec, s[92:93]
	s_or_b64 s[42:43], s[24:25], s[42:43]
	s_andn2_b64 s[24:25], s[90:91], exec
	s_and_b64 s[90:91], s[94:95], exec
	s_or_b64 s[90:91], s[24:25], s[90:91]
	s_andn2_b64 exec, exec, s[42:43]
	s_cbranch_execz .LBB26_208
.LBB26_198:                             ;   Parent Loop BB26_47 Depth=1
                                        ; =>  This Inner Loop Header: Depth=2
	s_sleep 1
	s_waitcnt vmcnt(0) lgkmcnt(0)
	flat_load_dwordx2 v[80:81], v[64:65] sc0 sc1
	s_or_b64 s[94:95], s[94:95], exec
	s_or_b64 s[92:93], s[92:93], exec
                                        ; implicit-def: $vgpr2
	s_and_saveexec_b64 s[30:31], vcc
	s_cbranch_execz .LBB26_197
; %bb.199:                              ;   in Loop: Header=BB26_198 Depth=2
	s_cmpk_lt_i32 s56, 0x270f
	s_cselect_b64 s[38:39], -1, 0
	s_cmpk_gt_i32 s56, 0x270e
	s_mov_b64 s[34:35], -1
	s_cbranch_scc0 .LBB26_201
; %bb.200:                              ;   in Loop: Header=BB26_198 Depth=2
	s_trap 2
	ds_read_b64 v[12:13], v0
	s_andn2_b64 s[38:39], s[38:39], exec
	s_mov_b32 s56, 0
	s_mov_b64 s[36:37], 0
	s_waitcnt vmcnt(0) lgkmcnt(0)
	flat_load_dword v2, v[12:13] sc0 sc1
	s_waitcnt vmcnt(0) lgkmcnt(0)
	buffer_inv sc0 sc1
	v_cmp_eq_u32_e64 s[24:25], 0, v2
	s_and_b64 s[24:25], s[24:25], exec
	s_or_b64 s[38:39], s[38:39], s[24:25]
	s_and_saveexec_b64 s[48:49], s[38:39]
	s_cbranch_execz .LBB26_196
	s_branch .LBB26_195
.LBB26_201:                             ;   in Loop: Header=BB26_198 Depth=2
	s_add_i32 s56, s56, 1
	s_mov_b64 s[36:37], -1
                                        ; implicit-def: $vgpr2
	s_and_saveexec_b64 s[48:49], s[38:39]
	s_cbranch_execz .LBB26_196
	s_branch .LBB26_195
.LBB26_202:                             ;   in Loop: Header=BB26_47 Depth=1
	s_or_b64 exec, exec, s[26:27]
	s_and_saveexec_b64 s[24:25], s[6:7]
	s_cbranch_execnz .LBB26_220
.LBB26_203:                             ;   in Loop: Header=BB26_47 Depth=1
	s_or_b64 exec, exec, s[24:25]
                                        ; implicit-def: $vgpr2
	s_and_saveexec_b64 s[24:25], s[22:23]
	s_xor_b64 s[24:25], exec, s[24:25]
	s_cbranch_execz .LBB26_238
.LBB26_204:                             ;   in Loop: Header=BB26_47 Depth=1
	s_trap 2
	ds_read_b32 v9, v0
	v_cmp_lt_i32_e32 vcc, 0, v8
	v_and_b32_e32 v8, 16, v104
	v_and_b32_e32 v2, 16, v104
	s_waitcnt lgkmcnt(0)
	v_readfirstlane_b32 s26, v9
	s_cmp_eq_u32 s26, 0
	s_cselect_b64 s[26:27], -1, 0
	s_and_b64 s[26:27], vcc, s[26:27]
	v_cmp_ne_u32_e32 vcc, 0, v8
	s_and_b64 s[40:41], vcc, s[26:27]
	s_and_saveexec_b64 s[26:27], s[40:41]
	s_cbranch_execz .LBB26_206
; %bb.205:                              ;   in Loop: Header=BB26_47 Depth=1
	v_mov_b32_e32 v2, 1
	buffer_wbl2 sc1
	s_waitcnt vmcnt(0)
	buffer_inv sc1
.LBB26_206:                             ;   in Loop: Header=BB26_47 Depth=1
	s_or_b64 exec, exec, s[26:27]
	s_andn2_saveexec_b64 s[24:25], s[24:25]
	s_cbranch_execnz .LBB26_239
.LBB26_207:                             ;   in Loop: Header=BB26_47 Depth=1
	s_or_b64 exec, exec, s[24:25]
	v_cmp_ne_u32_e32 vcc, 0, v2
	s_and_saveexec_b64 s[24:25], vcc
	s_cbranch_execnz .LBB26_257
	s_branch .LBB26_260
.LBB26_208:                             ;   in Loop: Header=BB26_47 Depth=1
	s_or_b64 exec, exec, s[42:43]
	s_xor_b64 s[24:25], s[90:91], -1
	s_and_saveexec_b64 s[42:43], s[24:25]
	s_xor_b64 s[24:25], exec, s[42:43]
	s_cbranch_execz .LBB26_210
; %bb.209:                              ;   in Loop: Header=BB26_47 Depth=1
	v_or_b32_e32 v104, 64, v104
	s_waitcnt lgkmcnt(0)
	ds_write_b32 v0, v2
	s_trap 2
.LBB26_210:                             ;   in Loop: Header=BB26_47 Depth=1
	s_or_b64 exec, exec, s[24:25]
.LBB26_211:                             ;   in Loop: Header=BB26_47 Depth=1
	s_or_b64 exec, exec, s[40:41]
	v_and_b32_e32 v2, 0x100, v104
	v_cmp_ne_u32_e32 vcc, 0, v2
	v_and_b32_e32 v2, 7, v58
	s_mov_b64 s[24:25], -1
	;;#ASMSTART
	s_wakeup
	;;#ASMEND
                                        ; implicit-def: $vgpr12_vgpr13
	s_and_saveexec_b64 s[40:41], vcc
	s_cbranch_execz .LBB26_215
; %bb.212:                              ;   in Loop: Header=BB26_47 Depth=1
	v_mad_u64_u32 v[14:15], s[24:25], v2, 24, v[6:7]
	flat_load_dword v16, v[14:15]
	v_ashrrev_i32_e32 v9, 31, v8
	v_lshlrev_b64 v[12:13], 1, v[8:9]
	flat_store_dwordx2 v[14:15], v[12:13] offset:8
                                        ; implicit-def: $vgpr12_vgpr13
	s_waitcnt vmcnt(0) lgkmcnt(0)
	v_cmp_ne_u32_e32 vcc, 1, v16
	v_cmp_eq_u32_e64 s[24:25], 1, v16
	s_and_saveexec_b64 s[42:43], s[24:25]
	s_cbranch_execz .LBB26_214
; %bb.213:                              ;   in Loop: Header=BB26_47 Depth=1
	flat_load_dword v12, v[14:15] offset:4 sc0 sc1
	s_waitcnt vmcnt(0) lgkmcnt(0)
	v_ashrrev_i32_e32 v13, 31, v12
	v_lshrrev_b64 v[12:13], 1, v[12:13]
.LBB26_214:                             ;   in Loop: Header=BB26_47 Depth=1
	s_or_b64 exec, exec, s[42:43]
	s_orn2_b64 s[24:25], vcc, exec
.LBB26_215:                             ;   in Loop: Header=BB26_47 Depth=1
	s_or_b64 exec, exec, s[40:41]
	s_and_saveexec_b64 s[40:41], s[24:25]
; %bb.216:                              ;   in Loop: Header=BB26_47 Depth=1
	v_mad_i64_i32 v[12:13], s[24:25], v2, v30, 0
; %bb.217:                              ;   in Loop: Header=BB26_47 Depth=1
	s_or_b64 exec, exec, s[40:41]
	v_and_b32_e32 v2, 0x2000, v104
	v_lshl_add_u64 v[12:13], v[12:13], 1, v[66:67]
	v_cmp_ne_u32_e32 vcc, 0, v2
	ds_write_b64 v0, v[12:13] offset:784
	s_and_saveexec_b64 s[24:25], vcc
	s_cbranch_execz .LBB26_219
; %bb.218:                              ;   in Loop: Header=BB26_47 Depth=1
	ds_read_b64 v[12:13], v0 offset:872
	s_waitcnt lgkmcnt(0)
	v_lshl_add_u64 v[12:13], v[12:13], 0, 1
	ds_write_b64 v0, v[12:13] offset:872
.LBB26_219:                             ;   in Loop: Header=BB26_47 Depth=1
	s_or_b64 exec, exec, s[24:25]
	v_mov_b64_e32 v[58:59], v[10:11]
	s_or_b64 exec, exec, s[26:27]
	s_and_saveexec_b64 s[24:25], s[6:7]
	s_cbranch_execz .LBB26_203
.LBB26_220:                             ;   in Loop: Header=BB26_47 Depth=1
	s_and_saveexec_b64 s[26:27], s[58:59]
	s_xor_b64 s[26:27], exec, s[26:27]
	s_cbranch_execz .LBB26_235
; %bb.221:                              ;   in Loop: Header=BB26_47 Depth=1
	s_and_saveexec_b64 s[40:41], s[14:15]
	s_cbranch_execz .LBB26_234
; %bb.222:                              ;   in Loop: Header=BB26_47 Depth=1
	s_mov_b64 s[90:91], exec
	v_mbcnt_lo_u32_b32 v2, s90, 0
	v_mbcnt_hi_u32_b32 v2, s91, v2
	v_cmp_eq_u32_e32 vcc, 0, v2
	s_waitcnt lgkmcnt(0)
	s_and_saveexec_b64 s[42:43], vcc
	s_cbranch_execz .LBB26_224
; %bb.223:                              ;   in Loop: Header=BB26_47 Depth=1
	s_bcnt1_i32_b64 s56, s[90:91]
	v_mov_b32_e32 v2, s56
	ds_add_u64 v0, v[2:3]
	s_trap 2
.LBB26_224:                             ;   in Loop: Header=BB26_47 Depth=1
	s_or_b64 exec, exec, s[42:43]
	s_trap 2
	ds_read_b64 v[10:11], v0
	s_waitcnt lgkmcnt(0)
	v_lshl_add_u64 v[70:71], v[70:71], 0, v[84:85]
	v_cmp_lt_u64_e32 vcc, v[10:11], v[70:71]
	s_and_saveexec_b64 s[42:43], vcc
	s_cbranch_execz .LBB26_233
; %bb.225:                              ;   in Loop: Header=BB26_47 Depth=1
	s_mov_b32 s56, 0
	s_mov_b64 s[90:91], 0
                                        ; implicit-def: $sgpr92_sgpr93
                                        ; implicit-def: $sgpr94_sgpr95
	s_branch .LBB26_227
.LBB26_226:                             ;   in Loop: Header=BB26_227 Depth=2
	s_or_b64 exec, exec, s[34:35]
	s_and_b64 vcc, exec, vcc
	s_or_b64 s[90:91], vcc, s[90:91]
	s_andn2_b64 s[92:93], s[92:93], exec
	s_and_b64 vcc, s[94:95], exec
	s_or_b64 s[92:93], s[92:93], vcc
	s_andn2_b64 exec, exec, s[90:91]
	s_cbranch_execz .LBB26_231
.LBB26_227:                             ;   Parent Loop BB26_47 Depth=1
                                        ; =>  This Inner Loop Header: Depth=2
	s_add_i32 s56, s56, 1
	s_cmpk_lg_i32 s56, 0x2710
	s_cselect_b64 s[30:31], -1, 0
	s_and_b64 vcc, exec, s[30:31]
	s_cbranch_vccz .LBB26_229
; %bb.228:                              ;   in Loop: Header=BB26_227 Depth=2
	s_mov_b64 vcc, -1
	s_or_b64 s[94:95], s[94:95], exec
	s_and_saveexec_b64 s[34:35], s[30:31]
	s_cbranch_execz .LBB26_226
	s_branch .LBB26_230
.LBB26_229:                             ;   in Loop: Header=BB26_227 Depth=2
	s_trap 2
	ds_read_b64 v[10:11], v0
	s_andn2_b64 s[30:31], s[30:31], exec
	s_mov_b32 s56, 0
	s_waitcnt vmcnt(0) lgkmcnt(0)
	flat_load_dword v2, v[10:11] sc0 sc1
	s_waitcnt vmcnt(0) lgkmcnt(0)
	buffer_inv sc0 sc1
	v_cmp_eq_u32_e32 vcc, 0, v2
	s_and_b64 vcc, vcc, exec
	s_or_b64 s[30:31], s[30:31], vcc
	s_mov_b64 vcc, -1
	s_or_b64 s[94:95], s[94:95], exec
	s_and_saveexec_b64 s[34:35], s[30:31]
	s_cbranch_execz .LBB26_226
.LBB26_230:                             ;   in Loop: Header=BB26_227 Depth=2
	s_sleep 1
	s_trap 2
	ds_read_b64 v[10:11], v0
	s_waitcnt lgkmcnt(0)
	s_andn2_b64 s[94:95], s[94:95], exec
	v_cmp_ge_u64_e32 vcc, v[10:11], v[70:71]
	s_orn2_b64 vcc, vcc, exec
	s_branch .LBB26_226
.LBB26_231:                             ;   in Loop: Header=BB26_47 Depth=1
	s_or_b64 exec, exec, s[90:91]
	s_and_saveexec_b64 s[90:91], s[92:93]
	s_xor_b64 s[90:91], exec, s[90:91]
	s_cbranch_execz .LBB26_233
; %bb.232:                              ;   in Loop: Header=BB26_47 Depth=1
	ds_write_b32 v0, v107
	s_trap 2
.LBB26_233:                             ;   in Loop: Header=BB26_47 Depth=1
	s_or_b64 exec, exec, s[42:43]
	;;#ASMSTART
	s_wakeup
	;;#ASMEND
.LBB26_234:                             ;   in Loop: Header=BB26_47 Depth=1
	s_or_b64 exec, exec, s[40:41]
.LBB26_235:                             ;   in Loop: Header=BB26_47 Depth=1
	s_andn2_saveexec_b64 s[26:27], s[26:27]
	s_cbranch_execz .LBB26_237
; %bb.236:                              ;   in Loop: Header=BB26_47 Depth=1
	s_waitcnt lgkmcnt(0)
	s_barrier
.LBB26_237:                             ;   in Loop: Header=BB26_47 Depth=1
	s_or_b64 exec, exec, s[26:27]
	s_or_b64 exec, exec, s[24:25]
                                        ; implicit-def: $vgpr2
	s_and_saveexec_b64 s[24:25], s[22:23]
	s_xor_b64 s[24:25], exec, s[24:25]
	s_cbranch_execnz .LBB26_204
.LBB26_238:                             ;   in Loop: Header=BB26_47 Depth=1
	s_andn2_saveexec_b64 s[24:25], s[24:25]
	s_cbranch_execz .LBB26_207
.LBB26_239:                             ;   in Loop: Header=BB26_47 Depth=1
	s_and_saveexec_b64 s[26:27], s[58:59]
	s_xor_b64 s[26:27], exec, s[26:27]
	s_cbranch_execz .LBB26_254
; %bb.240:                              ;   in Loop: Header=BB26_47 Depth=1
	s_and_saveexec_b64 s[40:41], s[14:15]
	s_cbranch_execz .LBB26_253
; %bb.241:                              ;   in Loop: Header=BB26_47 Depth=1
	s_mov_b64 s[90:91], exec
	v_mbcnt_lo_u32_b32 v2, s90, 0
	v_mbcnt_hi_u32_b32 v2, s91, v2
	v_cmp_eq_u32_e32 vcc, 0, v2
	;;#ASMSTART
	s_waitcnt lgkmcnt(0) vmcnt(0)
	;;#ASMEND
	s_and_saveexec_b64 s[42:43], vcc
	s_cbranch_execz .LBB26_243
; %bb.242:                              ;   in Loop: Header=BB26_47 Depth=1
	s_bcnt1_i32_b64 s56, s[90:91]
	v_mov_b32_e32 v2, s56
	s_waitcnt lgkmcnt(0)
	ds_add_u64 v0, v[2:3]
	s_trap 2
.LBB26_243:                             ;   in Loop: Header=BB26_47 Depth=1
	s_or_b64 exec, exec, s[42:43]
	s_trap 2
	ds_read_b64 v[8:9], v0
	s_waitcnt lgkmcnt(0)
	v_lshl_add_u64 v[70:71], v[70:71], 0, v[84:85]
	v_cmp_lt_u64_e32 vcc, v[8:9], v[70:71]
	s_and_saveexec_b64 s[42:43], vcc
	s_cbranch_execz .LBB26_252
; %bb.244:                              ;   in Loop: Header=BB26_47 Depth=1
	s_mov_b32 s56, 0
	s_mov_b64 s[90:91], 0
                                        ; implicit-def: $sgpr92_sgpr93
                                        ; implicit-def: $sgpr94_sgpr95
	s_branch .LBB26_246
.LBB26_245:                             ;   in Loop: Header=BB26_246 Depth=2
	s_or_b64 exec, exec, s[34:35]
	s_and_b64 vcc, exec, vcc
	s_or_b64 s[90:91], vcc, s[90:91]
	s_andn2_b64 s[92:93], s[92:93], exec
	s_and_b64 vcc, s[94:95], exec
	s_or_b64 s[92:93], s[92:93], vcc
	s_andn2_b64 exec, exec, s[90:91]
	s_cbranch_execz .LBB26_250
.LBB26_246:                             ;   Parent Loop BB26_47 Depth=1
                                        ; =>  This Inner Loop Header: Depth=2
	s_add_i32 s56, s56, 1
	s_cmpk_lg_i32 s56, 0x2710
	s_cselect_b64 s[30:31], -1, 0
	s_and_b64 vcc, exec, s[30:31]
	s_cbranch_vccz .LBB26_248
; %bb.247:                              ;   in Loop: Header=BB26_246 Depth=2
	s_mov_b64 vcc, -1
	s_or_b64 s[94:95], s[94:95], exec
	s_and_saveexec_b64 s[34:35], s[30:31]
	s_cbranch_execz .LBB26_245
	s_branch .LBB26_249
.LBB26_248:                             ;   in Loop: Header=BB26_246 Depth=2
	s_trap 2
	ds_read_b64 v[8:9], v0
	s_andn2_b64 s[30:31], s[30:31], exec
	s_mov_b32 s56, 0
	s_waitcnt vmcnt(0) lgkmcnt(0)
	flat_load_dword v2, v[8:9] sc0 sc1
	s_waitcnt vmcnt(0) lgkmcnt(0)
	buffer_inv sc0 sc1
	v_cmp_eq_u32_e32 vcc, 0, v2
	s_and_b64 vcc, vcc, exec
	s_or_b64 s[30:31], s[30:31], vcc
	s_mov_b64 vcc, -1
	s_or_b64 s[94:95], s[94:95], exec
	s_and_saveexec_b64 s[34:35], s[30:31]
	s_cbranch_execz .LBB26_245
.LBB26_249:                             ;   in Loop: Header=BB26_246 Depth=2
	s_sleep 1
	s_trap 2
	ds_read_b64 v[8:9], v0
	s_waitcnt lgkmcnt(0)
	s_andn2_b64 s[94:95], s[94:95], exec
	v_cmp_ge_u64_e32 vcc, v[8:9], v[70:71]
	s_orn2_b64 vcc, vcc, exec
	s_branch .LBB26_245
.LBB26_250:                             ;   in Loop: Header=BB26_47 Depth=1
	s_or_b64 exec, exec, s[90:91]
	s_and_saveexec_b64 s[90:91], s[92:93]
	s_xor_b64 s[90:91], exec, s[90:91]
	s_cbranch_execz .LBB26_252
; %bb.251:                              ;   in Loop: Header=BB26_47 Depth=1
	ds_write_b32 v0, v107
	s_trap 2
.LBB26_252:                             ;   in Loop: Header=BB26_47 Depth=1
	s_or_b64 exec, exec, s[42:43]
	;;#ASMSTART
	s_wakeup
	;;#ASMEND
.LBB26_253:                             ;   in Loop: Header=BB26_47 Depth=1
	s_or_b64 exec, exec, s[40:41]
.LBB26_254:                             ;   in Loop: Header=BB26_47 Depth=1
	s_andn2_saveexec_b64 s[26:27], s[26:27]
	s_cbranch_execz .LBB26_256
; %bb.255:                              ;   in Loop: Header=BB26_47 Depth=1
	;;#ASMSTART
	s_waitcnt lgkmcnt(0) vmcnt(0)
	;;#ASMEND
	s_barrier
.LBB26_256:                             ;   in Loop: Header=BB26_47 Depth=1
	s_or_b64 exec, exec, s[26:27]
	v_and_b32_e32 v2, 16, v104
	s_or_b64 exec, exec, s[24:25]
	v_cmp_ne_u32_e32 vcc, 0, v2
	s_and_saveexec_b64 s[24:25], vcc
	s_cbranch_execz .LBB26_260
.LBB26_257:                             ;   in Loop: Header=BB26_47 Depth=1
	s_and_saveexec_b64 s[26:27], s[12:13]
	s_cbranch_execz .LBB26_259
; %bb.258:                              ;   in Loop: Header=BB26_47 Depth=1
	flat_store_dword v[68:69], v107 sc0 sc1
.LBB26_259:                             ;   in Loop: Header=BB26_47 Depth=1
	s_or_b64 exec, exec, s[26:27]
	v_lshl_add_u64 v[58:59], v[58:59], 0, 4
	flat_store_dwordx2 v[64:65], v[58:59] sc0 sc1
.LBB26_260:                             ;   in Loop: Header=BB26_47 Depth=1
	s_or_b64 exec, exec, s[24:25]
.LBB26_261:                             ;   in Loop: Header=BB26_47 Depth=1
	s_or_b64 exec, exec, s[28:29]
	v_cndmask_b32_e64 v2, 0, 1, s[76:77]
	v_cmp_ne_u32_e64 s[24:25], 1, v2
	s_andn2_b64 vcc, exec, s[76:77]
	s_cbranch_vccnz .LBB26_708
; %bb.262:                              ;   in Loop: Header=BB26_47 Depth=1
	s_mov_b32 s85, 2
	s_branch .LBB26_265
.LBB26_263:                             ;   in Loop: Header=BB26_265 Depth=2
	s_or_b64 exec, exec, s[26:27]
.LBB26_264:                             ;   in Loop: Header=BB26_265 Depth=2
	s_or_b64 exec, exec, s[28:29]
	s_add_i32 s85, s85, 1
	s_cmp_eq_u32 s85, s54
	s_cbranch_scc1 .LBB26_708
.LBB26_265:                             ;   Parent Loop BB26_47 Depth=1
                                        ; =>  This Loop Header: Depth=2
                                        ;       Child Loop BB26_274 Depth 3
                                        ;       Child Loop BB26_302 Depth 3
                                        ;       Child Loop BB26_321 Depth 3
                                        ;       Child Loop BB26_348 Depth 3
                                        ;       Child Loop BB26_481 Depth 3
                                        ;       Child Loop BB26_519 Depth 3
                                        ;       Child Loop BB26_588 Depth 3
                                        ;       Child Loop BB26_600 Depth 3
                                        ;       Child Loop BB26_619 Depth 3
                                        ;       Child Loop BB26_642 Depth 3
                                        ;       Child Loop BB26_682 Depth 3
                                        ;       Child Loop BB26_655 Depth 3
	s_sub_i32 s26, s70, s85
	s_cmp_ge_i32 s26, s54
	s_cselect_b32 s27, s54, 0
	s_sub_i32 s26, s26, s27
	s_ashr_i32 s27, s26, 31
	v_mul_lo_u32 v2, v56, s27
	v_mul_lo_u32 v10, v57, s26
	v_mad_u64_u32 v[8:9], s[26:27], v56, s26, 0
	v_add3_u32 v9, v9, v2, v10
	v_sub_co_u32_e32 v10, vcc, v60, v8
	s_nop 1
	v_subb_co_u32_e32 v11, vcc, v61, v9, vcc
	v_cmp_lt_i64_e32 vcc, v[56:57], v[10:11]
	s_nop 1
	v_cndmask_b32_e32 v2, v10, v56, vcc
	v_max_i32_e32 v92, 0, v2
	v_add_u32_e32 v10, 15, v92
	v_ashrrev_i32_e32 v11, 31, v10
	v_lshrrev_b32_e32 v11, 28, v11
	v_add_u32_e32 v10, v10, v11
	v_cmp_gt_i32_e32 vcc, 1, v2
	v_and_b32_e32 v10, -16, v10
	s_or_b64 s[40:41], s[2:3], vcc
	v_max_i32_e32 v72, s81, v10
	s_xor_b64 s[26:27], s[40:41], -1
	v_mov_b32_e32 v2, 0
	s_and_saveexec_b64 s[42:43], s[26:27]
	s_cbranch_execz .LBB26_635
; %bb.266:                              ;   in Loop: Header=BB26_265 Depth=2
	s_and_saveexec_b64 s[26:27], s[0:1]
	s_cbranch_execz .LBB26_268
; %bb.267:                              ;   in Loop: Header=BB26_265 Depth=2
	s_trap 2
	ds_read_b64 v[10:11], v0
	s_waitcnt lgkmcnt(0)
	v_lshl_add_u64 v[10:11], v[62:63], 1, v[10:11]
	v_lshl_add_u64 v[8:9], v[8:9], 1, v[10:11]
	ds_write_b64 v0, v[8:9]
	ds_write_b64 v0, v[52:53]
.LBB26_268:                             ;   in Loop: Header=BB26_265 Depth=2
	s_or_b64 exec, exec, s[26:27]
	v_and_b32_e32 v2, 12, v104
	v_min_i32_e32 v72, v72, v92
	v_cmp_ne_u32_e32 vcc, 0, v2
	s_and_saveexec_b64 s[28:29], vcc
	s_cbranch_execz .LBB26_294
; %bb.269:                              ;   in Loop: Header=BB26_265 Depth=2
	v_and_b32_e32 v2, 8, v104
	s_waitcnt vmcnt(0) lgkmcnt(0)
	v_lshl_add_u64 v[10:11], v[80:81], 0, v[2:3]
	v_lshl_add_u64 v[8:9], v[58:59], 0, 4
	v_cmp_lt_u64_e32 vcc, v[10:11], v[8:9]
	s_and_saveexec_b64 s[90:91], vcc
	s_cbranch_execz .LBB26_281
; %bb.270:                              ;   in Loop: Header=BB26_265 Depth=2
	v_and_b32_e32 v10, 64, v104
	s_mov_b32 s56, 0
	v_cmp_eq_u32_e32 vcc, 0, v10
	s_mov_b64 s[92:93], 0
                                        ; implicit-def: $sgpr94_sgpr95
                                        ; implicit-def: $sgpr30_sgpr31
                                        ; implicit-def: $sgpr34_sgpr35
	s_branch .LBB26_274
.LBB26_271:                             ;   in Loop: Header=BB26_274 Depth=3
	s_waitcnt vmcnt(0) lgkmcnt(0)
	v_lshl_add_u64 v[12:13], v[80:81], 0, v[2:3]
	v_cmp_ge_u64_e64 s[26:27], v[12:13], v[8:9]
	s_or_b64 s[48:49], s[48:49], exec
	s_orn2_b64 s[38:39], s[26:27], exec
.LBB26_272:                             ;   in Loop: Header=BB26_274 Depth=3
	s_or_b64 exec, exec, s[52:53]
	s_andn2_b64 s[26:27], s[34:35], exec
	s_and_b64 s[34:35], s[48:49], exec
	s_or_b64 s[34:35], s[26:27], s[34:35]
	s_andn2_b64 s[26:27], s[30:31], exec
	s_and_b64 s[30:31], s[38:39], exec
	s_or_b64 s[30:31], s[26:27], s[30:31]
.LBB26_273:                             ;   in Loop: Header=BB26_274 Depth=3
	s_or_b64 exec, exec, s[36:37]
	s_and_b64 s[26:27], exec, s[30:31]
	s_or_b64 s[92:93], s[26:27], s[92:93]
	s_andn2_b64 s[26:27], s[94:95], exec
	s_and_b64 s[94:95], s[34:35], exec
	s_or_b64 s[94:95], s[26:27], s[94:95]
	s_andn2_b64 exec, exec, s[92:93]
	s_cbranch_execz .LBB26_278
.LBB26_274:                             ;   Parent Loop BB26_47 Depth=1
                                        ;     Parent Loop BB26_265 Depth=2
                                        ; =>    This Inner Loop Header: Depth=3
	s_sleep 1
	s_waitcnt vmcnt(0) lgkmcnt(0)
	flat_load_dwordx2 v[80:81], v[64:65] sc0 sc1
	s_or_b64 s[34:35], s[34:35], exec
	s_or_b64 s[30:31], s[30:31], exec
                                        ; implicit-def: $vgpr10
	s_and_saveexec_b64 s[36:37], vcc
	s_cbranch_execz .LBB26_273
; %bb.275:                              ;   in Loop: Header=BB26_274 Depth=3
	s_cmpk_lt_i32 s56, 0x270f
	s_cselect_b64 s[50:51], -1, 0
	s_cmpk_gt_i32 s56, 0x270e
	s_mov_b64 s[38:39], -1
	s_cbranch_scc0 .LBB26_277
; %bb.276:                              ;   in Loop: Header=BB26_274 Depth=3
	s_trap 2
	ds_read_b64 v[10:11], v0
	s_andn2_b64 s[50:51], s[50:51], exec
	s_mov_b32 s56, 0
	s_mov_b64 s[48:49], 0
	s_waitcnt vmcnt(0) lgkmcnt(0)
	flat_load_dword v10, v[10:11] sc0 sc1
	s_waitcnt vmcnt(0) lgkmcnt(0)
	buffer_inv sc0 sc1
	v_cmp_eq_u32_e64 s[26:27], 0, v10
	s_and_b64 s[26:27], s[26:27], exec
	s_or_b64 s[50:51], s[50:51], s[26:27]
	s_and_saveexec_b64 s[52:53], s[50:51]
	s_cbranch_execz .LBB26_272
	s_branch .LBB26_271
.LBB26_277:                             ;   in Loop: Header=BB26_274 Depth=3
	s_add_i32 s56, s56, 1
	s_mov_b64 s[48:49], -1
                                        ; implicit-def: $vgpr10
	s_and_saveexec_b64 s[52:53], s[50:51]
	s_cbranch_execz .LBB26_272
	s_branch .LBB26_271
.LBB26_278:                             ;   in Loop: Header=BB26_265 Depth=2
	s_or_b64 exec, exec, s[92:93]
	s_xor_b64 s[26:27], s[94:95], -1
	s_and_saveexec_b64 s[92:93], s[26:27]
	s_xor_b64 s[26:27], exec, s[92:93]
	s_cbranch_execz .LBB26_280
; %bb.279:                              ;   in Loop: Header=BB26_265 Depth=2
	v_or_b32_e32 v104, 64, v104
	s_waitcnt lgkmcnt(0)
	ds_write_b32 v0, v10
	s_trap 2
.LBB26_280:                             ;   in Loop: Header=BB26_265 Depth=2
	s_or_b64 exec, exec, s[26:27]
.LBB26_281:                             ;   in Loop: Header=BB26_265 Depth=2
	s_or_b64 exec, exec, s[90:91]
	v_and_b32_e32 v10, 0x108, v104
	v_cmp_ne_u32_e32 vcc, s66, v10
	;;#ASMSTART
	s_wakeup
	;;#ASMEND
                                        ; implicit-def: $vgpr10_vgpr11
	s_and_saveexec_b64 s[26:27], vcc
	s_xor_b64 s[26:27], exec, s[26:27]
; %bb.282:                              ;   in Loop: Header=BB26_265 Depth=2
	v_and_b32_e32 v10, 7, v58
	v_mov_b32_e32 v11, v3
                                        ; implicit-def: $vgpr58_vgpr59
; %bb.283:                              ;   in Loop: Header=BB26_265 Depth=2
	s_andn2_saveexec_b64 s[26:27], s[26:27]
	s_cbranch_execz .LBB26_285
; %bb.284:                              ;   in Loop: Header=BB26_265 Depth=2
	v_and_b32_e32 v10, 7, v58
	v_ashrrev_i32_e32 v73, 31, v72
	v_mov_b32_e32 v11, v3
	v_mad_u64_u32 v[12:13], s[90:91], v10, 24, v[6:7]
	v_lshlrev_b64 v[14:15], 1, v[72:73]
	flat_store_dwordx2 v[12:13], v[14:15] offset:8
.LBB26_285:                             ;   in Loop: Header=BB26_265 Depth=2
	s_or_b64 exec, exec, s[26:27]
	v_and_b32_e32 v12, 0x100, v104
	v_cmp_ne_u32_e32 vcc, 0, v12
	s_mov_b64 s[26:27], -1
                                        ; implicit-def: $vgpr12_vgpr13
	s_and_saveexec_b64 s[90:91], vcc
	s_cbranch_execz .LBB26_289
; %bb.286:                              ;   in Loop: Header=BB26_265 Depth=2
	v_mad_u64_u32 v[14:15], s[26:27], v10, 24, v[6:7]
	v_mov_b32_e32 v12, v15
	v_mad_u64_u32 v[12:13], s[26:27], v11, 24, v[12:13]
	v_mov_b32_e32 v15, v12
	flat_load_dword v12, v[14:15]
	s_waitcnt vmcnt(0) lgkmcnt(0)
	v_cmp_ne_u32_e32 vcc, 1, v12
	v_cmp_eq_u32_e64 s[26:27], 1, v12
                                        ; implicit-def: $vgpr12_vgpr13
	s_and_saveexec_b64 s[92:93], s[26:27]
	s_cbranch_execz .LBB26_288
; %bb.287:                              ;   in Loop: Header=BB26_265 Depth=2
	flat_load_dword v12, v[14:15] offset:4 sc0 sc1
	s_waitcnt vmcnt(0) lgkmcnt(0)
	v_ashrrev_i32_e32 v13, 31, v12
	v_lshrrev_b64 v[12:13], 1, v[12:13]
.LBB26_288:                             ;   in Loop: Header=BB26_265 Depth=2
	s_or_b64 exec, exec, s[92:93]
	s_orn2_b64 s[26:27], vcc, exec
.LBB26_289:                             ;   in Loop: Header=BB26_265 Depth=2
	s_or_b64 exec, exec, s[90:91]
	s_and_saveexec_b64 s[90:91], s[26:27]
; %bb.290:                              ;   in Loop: Header=BB26_265 Depth=2
	v_mul_lo_u32 v11, v11, v30
	v_mul_lo_u32 v14, v10, v83
	v_mad_u64_u32 v[12:13], s[26:27], v10, v30, 0
	v_add3_u32 v13, v13, v14, v11
; %bb.291:                              ;   in Loop: Header=BB26_265 Depth=2
	s_or_b64 exec, exec, s[90:91]
	v_cmp_eq_u32_e32 vcc, 0, v2
	v_lshl_add_u64 v[10:11], v[12:13], 1, v[66:67]
	s_nop 0
	v_cndmask_b32_e32 v2, v108, v109, vcc
	v_add_u32_e32 v2, v0, v2
	ds_write_b64 v2, v[10:11] offset:584
	v_and_b32_e32 v2, 0x2000, v104
	v_cmp_ne_u32_e32 vcc, 0, v2
	s_and_saveexec_b64 s[26:27], vcc
	s_cbranch_execz .LBB26_293
; %bb.292:                              ;   in Loop: Header=BB26_265 Depth=2
	ds_read_b64 v[10:11], v0 offset:872
	s_waitcnt lgkmcnt(0)
	v_lshl_add_u64 v[10:11], v[10:11], 0, 1
	ds_write_b64 v0, v[10:11] offset:872
.LBB26_293:                             ;   in Loop: Header=BB26_265 Depth=2
	s_or_b64 exec, exec, s[26:27]
	v_mov_b64_e32 v[58:59], v[8:9]
.LBB26_294:                             ;   in Loop: Header=BB26_265 Depth=2
	s_or_b64 exec, exec, s[28:29]
	s_and_saveexec_b64 s[26:27], s[6:7]
	s_cbranch_execz .LBB26_313
; %bb.295:                              ;   in Loop: Header=BB26_265 Depth=2
	s_and_saveexec_b64 s[28:29], s[58:59]
	s_xor_b64 s[28:29], exec, s[28:29]
	s_cbranch_execz .LBB26_310
; %bb.296:                              ;   in Loop: Header=BB26_265 Depth=2
	s_and_saveexec_b64 s[90:91], s[14:15]
	s_cbranch_execz .LBB26_309
; %bb.297:                              ;   in Loop: Header=BB26_265 Depth=2
	s_mov_b64 s[94:95], exec
	v_mbcnt_lo_u32_b32 v2, s94, 0
	v_mbcnt_hi_u32_b32 v2, s95, v2
	v_cmp_eq_u32_e32 vcc, 0, v2
	s_waitcnt lgkmcnt(0)
	s_and_saveexec_b64 s[92:93], vcc
	s_cbranch_execz .LBB26_299
; %bb.298:                              ;   in Loop: Header=BB26_265 Depth=2
	s_bcnt1_i32_b64 s56, s[94:95]
	v_mov_b32_e32 v2, s56
	ds_add_u64 v0, v[2:3]
	s_trap 2
.LBB26_299:                             ;   in Loop: Header=BB26_265 Depth=2
	s_or_b64 exec, exec, s[92:93]
	s_trap 2
	ds_read_b64 v[8:9], v0
	s_waitcnt lgkmcnt(0)
	v_lshl_add_u64 v[70:71], v[70:71], 0, v[84:85]
	v_cmp_lt_u64_e32 vcc, v[8:9], v[70:71]
	s_and_saveexec_b64 s[92:93], vcc
	s_cbranch_execz .LBB26_308
; %bb.300:                              ;   in Loop: Header=BB26_265 Depth=2
	s_mov_b32 s56, 0
	s_mov_b64 s[94:95], 0
                                        ; implicit-def: $sgpr30_sgpr31
                                        ; implicit-def: $sgpr34_sgpr35
	s_branch .LBB26_302
.LBB26_301:                             ;   in Loop: Header=BB26_302 Depth=3
	s_or_b64 exec, exec, s[38:39]
	s_and_b64 vcc, exec, vcc
	s_or_b64 s[94:95], vcc, s[94:95]
	s_andn2_b64 vcc, s[30:31], exec
	s_and_b64 s[30:31], s[34:35], exec
	s_or_b64 s[30:31], vcc, s[30:31]
	s_andn2_b64 exec, exec, s[94:95]
	s_cbranch_execz .LBB26_306
.LBB26_302:                             ;   Parent Loop BB26_47 Depth=1
                                        ;     Parent Loop BB26_265 Depth=2
                                        ; =>    This Inner Loop Header: Depth=3
	s_add_i32 s56, s56, 1
	s_cmpk_lg_i32 s56, 0x2710
	s_cselect_b64 s[36:37], -1, 0
	s_and_b64 vcc, exec, s[36:37]
	s_cbranch_vccz .LBB26_304
; %bb.303:                              ;   in Loop: Header=BB26_302 Depth=3
	s_mov_b64 vcc, -1
	s_or_b64 s[34:35], s[34:35], exec
	s_and_saveexec_b64 s[38:39], s[36:37]
	s_cbranch_execz .LBB26_301
	s_branch .LBB26_305
.LBB26_304:                             ;   in Loop: Header=BB26_302 Depth=3
	s_trap 2
	ds_read_b64 v[8:9], v0
	s_andn2_b64 s[36:37], s[36:37], exec
	s_mov_b32 s56, 0
	s_waitcnt vmcnt(0) lgkmcnt(0)
	flat_load_dword v2, v[8:9] sc0 sc1
	s_waitcnt vmcnt(0) lgkmcnt(0)
	buffer_inv sc0 sc1
	v_cmp_eq_u32_e32 vcc, 0, v2
	s_and_b64 vcc, vcc, exec
	s_or_b64 s[36:37], s[36:37], vcc
	s_mov_b64 vcc, -1
	s_or_b64 s[34:35], s[34:35], exec
	s_and_saveexec_b64 s[38:39], s[36:37]
	s_cbranch_execz .LBB26_301
.LBB26_305:                             ;   in Loop: Header=BB26_302 Depth=3
	s_sleep 1
	s_trap 2
	ds_read_b64 v[8:9], v0
	s_waitcnt lgkmcnt(0)
	s_andn2_b64 s[34:35], s[34:35], exec
	v_cmp_ge_u64_e32 vcc, v[8:9], v[70:71]
	s_orn2_b64 vcc, vcc, exec
	s_branch .LBB26_301
.LBB26_306:                             ;   in Loop: Header=BB26_265 Depth=2
	s_or_b64 exec, exec, s[94:95]
	s_and_saveexec_b64 s[94:95], s[30:31]
	s_xor_b64 s[94:95], exec, s[94:95]
	s_cbranch_execz .LBB26_308
; %bb.307:                              ;   in Loop: Header=BB26_265 Depth=2
	ds_write_b32 v0, v107
	s_trap 2
.LBB26_308:                             ;   in Loop: Header=BB26_265 Depth=2
	s_or_b64 exec, exec, s[92:93]
	;;#ASMSTART
	s_wakeup
	;;#ASMEND
.LBB26_309:                             ;   in Loop: Header=BB26_265 Depth=2
	s_or_b64 exec, exec, s[90:91]
.LBB26_310:                             ;   in Loop: Header=BB26_265 Depth=2
	s_andn2_saveexec_b64 s[28:29], s[28:29]
	s_cbranch_execz .LBB26_312
; %bb.311:                              ;   in Loop: Header=BB26_265 Depth=2
	s_waitcnt lgkmcnt(0)
	s_barrier
.LBB26_312:                             ;   in Loop: Header=BB26_265 Depth=2
	s_or_b64 exec, exec, s[28:29]
.LBB26_313:                             ;   in Loop: Header=BB26_265 Depth=2
	s_or_b64 exec, exec, s[26:27]
	s_trap 2
	ds_read_b32 v8, v0
	v_and_b32_e32 v2, 0x4000, v104
	v_cmp_ne_u32_e32 vcc, 0, v2
	s_xor_b64 s[26:27], s[4:5], -1
	s_and_b64 s[28:29], s[26:27], vcc
	s_and_saveexec_b64 s[26:27], s[28:29]
	s_cbranch_execz .LBB26_332
; %bb.314:                              ;   in Loop: Header=BB26_265 Depth=2
	s_and_saveexec_b64 s[28:29], s[58:59]
	s_xor_b64 s[28:29], exec, s[28:29]
	s_cbranch_execz .LBB26_329
; %bb.315:                              ;   in Loop: Header=BB26_265 Depth=2
	s_and_saveexec_b64 s[90:91], s[14:15]
	s_cbranch_execz .LBB26_328
; %bb.316:                              ;   in Loop: Header=BB26_265 Depth=2
	s_mov_b64 s[94:95], exec
	v_mbcnt_lo_u32_b32 v2, s94, 0
	v_mbcnt_hi_u32_b32 v2, s95, v2
	v_cmp_eq_u32_e32 vcc, 0, v2
	s_waitcnt lgkmcnt(0)
	s_and_saveexec_b64 s[92:93], vcc
	s_cbranch_execz .LBB26_318
; %bb.317:                              ;   in Loop: Header=BB26_265 Depth=2
	s_bcnt1_i32_b64 s56, s[94:95]
	v_mov_b32_e32 v2, s56
	ds_add_u64 v0, v[2:3]
	s_trap 2
.LBB26_318:                             ;   in Loop: Header=BB26_265 Depth=2
	s_or_b64 exec, exec, s[92:93]
	s_trap 2
	ds_read_b64 v[10:11], v0
	s_waitcnt lgkmcnt(0)
	v_lshl_add_u64 v[70:71], v[70:71], 0, v[84:85]
	v_cmp_lt_u64_e32 vcc, v[10:11], v[70:71]
	s_and_saveexec_b64 s[92:93], vcc
	s_cbranch_execz .LBB26_327
; %bb.319:                              ;   in Loop: Header=BB26_265 Depth=2
	s_mov_b32 s56, 0
	s_mov_b64 s[94:95], 0
                                        ; implicit-def: $sgpr30_sgpr31
                                        ; implicit-def: $sgpr34_sgpr35
	s_branch .LBB26_321
.LBB26_320:                             ;   in Loop: Header=BB26_321 Depth=3
	s_or_b64 exec, exec, s[38:39]
	s_and_b64 vcc, exec, vcc
	s_or_b64 s[94:95], vcc, s[94:95]
	s_andn2_b64 vcc, s[30:31], exec
	s_and_b64 s[30:31], s[34:35], exec
	s_or_b64 s[30:31], vcc, s[30:31]
	s_andn2_b64 exec, exec, s[94:95]
	s_cbranch_execz .LBB26_325
.LBB26_321:                             ;   Parent Loop BB26_47 Depth=1
                                        ;     Parent Loop BB26_265 Depth=2
                                        ; =>    This Inner Loop Header: Depth=3
	s_add_i32 s56, s56, 1
	s_cmpk_lg_i32 s56, 0x2710
	s_cselect_b64 s[36:37], -1, 0
	s_and_b64 vcc, exec, s[36:37]
	s_cbranch_vccz .LBB26_323
; %bb.322:                              ;   in Loop: Header=BB26_321 Depth=3
	s_mov_b64 vcc, -1
	s_or_b64 s[34:35], s[34:35], exec
	s_and_saveexec_b64 s[38:39], s[36:37]
	s_cbranch_execz .LBB26_320
	s_branch .LBB26_324
.LBB26_323:                             ;   in Loop: Header=BB26_321 Depth=3
	s_trap 2
	ds_read_b64 v[10:11], v0
	s_andn2_b64 s[36:37], s[36:37], exec
	s_mov_b32 s56, 0
	s_waitcnt vmcnt(0) lgkmcnt(0)
	flat_load_dword v2, v[10:11] sc0 sc1
	s_waitcnt vmcnt(0) lgkmcnt(0)
	buffer_inv sc0 sc1
	v_cmp_eq_u32_e32 vcc, 0, v2
	s_and_b64 vcc, vcc, exec
	s_or_b64 s[36:37], s[36:37], vcc
	s_mov_b64 vcc, -1
	s_or_b64 s[34:35], s[34:35], exec
	s_and_saveexec_b64 s[38:39], s[36:37]
	s_cbranch_execz .LBB26_320
.LBB26_324:                             ;   in Loop: Header=BB26_321 Depth=3
	s_sleep 1
	s_trap 2
	ds_read_b64 v[10:11], v0
	s_waitcnt lgkmcnt(0)
	s_andn2_b64 s[34:35], s[34:35], exec
	v_cmp_ge_u64_e32 vcc, v[10:11], v[70:71]
	s_orn2_b64 vcc, vcc, exec
	s_branch .LBB26_320
.LBB26_325:                             ;   in Loop: Header=BB26_265 Depth=2
	s_or_b64 exec, exec, s[94:95]
	s_and_saveexec_b64 s[94:95], s[30:31]
	s_xor_b64 s[94:95], exec, s[94:95]
	s_cbranch_execz .LBB26_327
; %bb.326:                              ;   in Loop: Header=BB26_265 Depth=2
	ds_write_b32 v0, v107
	s_trap 2
.LBB26_327:                             ;   in Loop: Header=BB26_265 Depth=2
	s_or_b64 exec, exec, s[92:93]
	;;#ASMSTART
	s_wakeup
	;;#ASMEND
.LBB26_328:                             ;   in Loop: Header=BB26_265 Depth=2
	s_or_b64 exec, exec, s[90:91]
.LBB26_329:                             ;   in Loop: Header=BB26_265 Depth=2
	s_andn2_saveexec_b64 s[28:29], s[28:29]
	s_cbranch_execz .LBB26_331
; %bb.330:                              ;   in Loop: Header=BB26_265 Depth=2
	s_waitcnt lgkmcnt(0)
	s_barrier
.LBB26_331:                             ;   in Loop: Header=BB26_265 Depth=2
	s_or_b64 exec, exec, s[28:29]
.LBB26_332:                             ;   in Loop: Header=BB26_265 Depth=2
	s_or_b64 exec, exec, s[26:27]
	s_trap 2
	ds_read_b64 v[74:75], v0
	s_waitcnt lgkmcnt(0)
	v_cmp_eq_u64_e32 vcc, 0, v[74:75]
	s_cbranch_vccnz .LBB26_340
; %bb.333:                              ;   in Loop: Header=BB26_265 Depth=2
	s_trap 2
	ds_read_b64 v[76:77], v0
	s_waitcnt lgkmcnt(0)
	v_cmp_eq_u64_e32 vcc, 0, v[76:77]
	s_cbranch_vccnz .LBB26_340
; %bb.334:                              ;   in Loop: Header=BB26_265 Depth=2
	s_trap 2
	ds_read_b64 v[10:11], v0
	s_mov_b64 s[28:29], -1
	s_waitcnt lgkmcnt(0)
	v_readfirstlane_b32 s34, v10
	s_and_saveexec_b64 s[26:27], s[20:21]
	s_cbranch_execz .LBB26_336
; %bb.335:                              ;   in Loop: Header=BB26_265 Depth=2
	ds_read_b32 v2, v0 offset:720
	s_waitcnt lgkmcnt(0)
	v_and_b32_e32 v2, 15, v2
	v_cmp_eq_u32_e32 vcc, 0, v2
	s_orn2_b64 s[28:29], vcc, exec
.LBB26_336:                             ;   in Loop: Header=BB26_265 Depth=2
	s_or_b64 exec, exec, s[26:27]
	s_and_saveexec_b64 s[26:27], s[18:19]
	s_cbranch_execz .LBB26_338
; %bb.337:                              ;   in Loop: Header=BB26_265 Depth=2
	ds_read_b32 v2, v0 offset:784
	s_waitcnt lgkmcnt(0)
	v_and_b32_e32 v2, 15, v2
	v_cmp_eq_u32_e32 vcc, 0, v2
	s_and_b64 s[90:91], s[28:29], vcc
	s_andn2_b64 s[28:29], s[28:29], exec
	s_and_b64 s[90:91], s[90:91], exec
	s_or_b64 s[28:29], s[28:29], s[90:91]
.LBB26_338:                             ;   in Loop: Header=BB26_265 Depth=2
	s_or_b64 exec, exec, s[26:27]
	v_cmp_eq_u32_e32 vcc, 0, v8
	s_xor_b64 s[28:29], s[28:29], -1
	v_cndmask_b32_e64 v8, 0, 1, s[28:29]
	v_cndmask_b32_e32 v2, 0, v72, vcc
	v_lshlrev_b32_e32 v73, 1, v2
	s_mov_b64 s[26:27], -1
	v_cmp_ne_u32_e32 vcc, 0, v8
	v_mov_b32_e32 v14, 0
	s_cbranch_vccz .LBB26_345
; %bb.339:                              ;   in Loop: Header=BB26_265 Depth=2
	v_mov_b32_e32 v15, v0
	s_and_saveexec_b64 s[28:29], s[26:27]
	s_cbranch_execnz .LBB26_516
	s_branch .LBB26_592
.LBB26_340:                             ;   in Loop: Header=BB26_265 Depth=2
	s_mov_b64 s[26:27], 0
	s_and_saveexec_b64 s[28:29], s[6:7]
	s_cbranch_execnz .LBB26_593
.LBB26_341:                             ;   in Loop: Header=BB26_265 Depth=2
	s_or_b64 exec, exec, s[28:29]
                                        ; implicit-def: $vgpr2
	s_and_saveexec_b64 s[28:29], s[22:23]
	s_xor_b64 s[28:29], exec, s[28:29]
	s_cbranch_execz .LBB26_611
.LBB26_342:                             ;   in Loop: Header=BB26_265 Depth=2
	v_and_b32_e32 v8, 16, v104
	v_cmp_ne_u32_e32 vcc, 0, v8
	v_and_b32_e32 v2, 16, v104
	s_and_b64 s[90:91], vcc, s[26:27]
	s_and_saveexec_b64 s[26:27], s[90:91]
	s_cbranch_execz .LBB26_344
; %bb.343:                              ;   in Loop: Header=BB26_265 Depth=2
	v_mov_b32_e32 v2, 1
	buffer_wbl2 sc1
	s_waitcnt vmcnt(0) lgkmcnt(0)
	buffer_inv sc1
.LBB26_344:                             ;   in Loop: Header=BB26_265 Depth=2
	s_or_b64 exec, exec, s[26:27]
	s_andn2_saveexec_b64 s[26:27], s[28:29]
	s_cbranch_execz .LBB26_630
	s_branch .LBB26_612
.LBB26_345:                             ;   in Loop: Header=BB26_265 Depth=2
	v_ashrrev_i32_e32 v8, 31, v73
	v_lshrrev_b32_e32 v8, 20, v8
	v_add_u32_e32 v8, v73, v8
	v_ashrrev_i32_e32 v94, 12, v8
	v_sub_u32_e32 v93, v94, v106
	v_cmp_lt_i32_e32 vcc, 0, v93
	s_and_saveexec_b64 s[28:29], vcc
	s_cbranch_execz .LBB26_477
; %bb.346:                              ;   in Loop: Header=BB26_265 Depth=2
	s_trap 2
	ds_read_b64 v[8:9], v0
	s_and_b32 s56, s34, 1
	s_cmp_eq_u64 s[56:57], 0
	v_lshl_add_u64 v[78:79], v[74:75], 0, v[114:115]
	v_lshl_add_u64 v[88:89], v[76:77], 0, v[114:115]
	s_waitcnt lgkmcnt(0)
	v_lshl_add_u64 v[90:91], v[8:9], 0, v[114:115]
	s_mov_b64 s[90:91], 0
	s_cselect_b64 vcc, -1, 0
	s_branch .LBB26_348
.LBB26_347:                             ;   in Loop: Header=BB26_348 Depth=3
	s_or_b64 exec, exec, s[92:93]
	v_lshrrev_b32_e32 v15, 16, v20
	v_and_or_b32 v17, v17, s69, v15
	v_lshrrev_b32_e32 v15, 16, v35
	v_and_or_b32 v16, v16, s69, v15
	;; [unrolled: 2-line block ×9, first 2 shown]
	v_lshrrev_b32_e32 v15, 16, v95
	v_lshrrev_b32_e32 v12, 16, v12
	v_and_or_b32 v32, v36, s69, v15
	v_lshrrev_b32_e32 v15, 16, v49
	v_and_or_b32 v9, v9, s69, v12
	;; [unrolled: 2-line block ×4, first 2 shown]
	v_lshrrev_b32_e32 v12, 16, v13
	v_sub_u32_e32 v93, v93, v84
	v_and_or_b32 v35, v39, s69, v15
	v_and_or_b32 v10, v10, s69, v12
	v_lshrrev_b32_e32 v12, 16, v14
	v_cmp_gt_i32_e64 s[26:27], 1, v93
	v_and_or_b32 v11, v11, s69, v12
	global_store_dwordx4 v[88:89], v[32:35], off
	global_store_dwordx4 v[88:89], v[24:27], off offset:1024
	global_store_dwordx4 v[88:89], v[16:19], off offset:2048
	;; [unrolled: 1-line block ×3, first 2 shown]
	v_lshl_add_u64 v[78:79], v[78:79], 0, v[116:117]
	v_lshl_add_u64 v[90:91], v[90:91], 0, v[116:117]
	s_or_b64 s[90:91], s[26:27], s[90:91]
	v_lshl_add_u64 v[88:89], v[88:89], 0, v[116:117]
	s_andn2_b64 exec, exec, s[90:91]
	s_cbranch_execz .LBB26_476
.LBB26_348:                             ;   Parent Loop BB26_47 Depth=1
                                        ;     Parent Loop BB26_265 Depth=2
                                        ; =>    This Inner Loop Header: Depth=3
	global_load_dwordx4 v[36:39], v[78:79], off nt
	global_load_dwordx4 v[48:51], v[90:91], off nt
	global_load_dwordx4 v[24:27], v[78:79], off offset:1024 nt
	global_load_dwordx4 v[16:19], v[78:79], off offset:2048 nt
	;; [unrolled: 1-line block ×6, first 2 shown]
	s_waitcnt vmcnt(0)
	v_lshlrev_b32_e32 v82, 16, v36
	v_lshlrev_b32_e32 v95, 16, v48
	v_max_f32_e32 v95, v95, v95
	v_max_f32_e32 v82, v82, v82
	v_min_f32_e32 v120, v82, v95
	v_max_f32_e32 v82, v82, v95
	v_cndmask_b32_e32 v120, v82, v120, vcc
	v_and_b32_e32 v82, 0x7f800000, v120
	v_cmp_ne_u32_e64 s[26:27], s67, v82
                                        ; implicit-def: $vgpr95
	s_and_saveexec_b64 s[92:93], s[26:27]
	s_xor_b64 s[26:27], exec, s[92:93]
; %bb.349:                              ;   in Loop: Header=BB26_348 Depth=3
	v_bfe_u32 v82, v120, 16, 1
	v_add3_u32 v95, v120, v82, s68
                                        ; implicit-def: $vgpr120
; %bb.350:                              ;   in Loop: Header=BB26_348 Depth=3
	s_andn2_saveexec_b64 s[92:93], s[26:27]
; %bb.351:                              ;   in Loop: Header=BB26_348 Depth=3
	v_or_b32_e32 v82, 0x10000, v120
	v_cmp_eq_u32_sdwa s[26:27], v120, v3 src0_sel:WORD_0 src1_sel:DWORD
	s_nop 1
	v_cndmask_b32_e64 v95, v82, v120, s[26:27]
; %bb.352:                              ;   in Loop: Header=BB26_348 Depth=3
	s_or_b64 exec, exec, s[92:93]
	v_and_b32_e32 v36, 0xffff0000, v36
	v_and_b32_e32 v48, 0xffff0000, v48
	v_max_f32_e32 v48, v48, v48
	v_max_f32_e32 v36, v36, v36
	v_min_f32_e32 v82, v36, v48
	v_max_f32_e32 v36, v36, v48
	v_cndmask_b32_e32 v48, v36, v82, vcc
	v_and_b32_e32 v36, 0x7f800000, v48
	v_cmp_ne_u32_e64 s[26:27], s67, v36
                                        ; implicit-def: $vgpr36
	s_and_saveexec_b64 s[92:93], s[26:27]
	s_xor_b64 s[26:27], exec, s[92:93]
; %bb.353:                              ;   in Loop: Header=BB26_348 Depth=3
	v_bfe_u32 v36, v48, 16, 1
	v_add3_u32 v36, v48, v36, s68
                                        ; implicit-def: $vgpr48
; %bb.354:                              ;   in Loop: Header=BB26_348 Depth=3
	s_andn2_saveexec_b64 s[92:93], s[26:27]
; %bb.355:                              ;   in Loop: Header=BB26_348 Depth=3
	v_or_b32_e32 v36, 0x10000, v48
	v_cmp_eq_u32_sdwa s[26:27], v48, v3 src0_sel:WORD_0 src1_sel:DWORD
	s_nop 1
	v_cndmask_b32_e64 v36, v36, v48, s[26:27]
; %bb.356:                              ;   in Loop: Header=BB26_348 Depth=3
	s_or_b64 exec, exec, s[92:93]
	v_lshlrev_b32_e32 v48, 16, v37
	v_lshlrev_b32_e32 v82, 16, v49
	v_max_f32_e32 v82, v82, v82
	v_max_f32_e32 v48, v48, v48
	v_min_f32_e32 v120, v48, v82
	v_max_f32_e32 v48, v48, v82
	v_cndmask_b32_e32 v120, v48, v120, vcc
	v_and_b32_e32 v48, 0x7f800000, v120
	v_cmp_ne_u32_e64 s[26:27], s67, v48
                                        ; implicit-def: $vgpr48
	s_and_saveexec_b64 s[92:93], s[26:27]
	s_xor_b64 s[26:27], exec, s[92:93]
; %bb.357:                              ;   in Loop: Header=BB26_348 Depth=3
	v_bfe_u32 v48, v120, 16, 1
	v_add3_u32 v48, v120, v48, s68
                                        ; implicit-def: $vgpr120
; %bb.358:                              ;   in Loop: Header=BB26_348 Depth=3
	s_andn2_saveexec_b64 s[92:93], s[26:27]
; %bb.359:                              ;   in Loop: Header=BB26_348 Depth=3
	v_or_b32_e32 v48, 0x10000, v120
	v_cmp_eq_u32_sdwa s[26:27], v120, v3 src0_sel:WORD_0 src1_sel:DWORD
	s_nop 1
	v_cndmask_b32_e64 v48, v48, v120, s[26:27]
; %bb.360:                              ;   in Loop: Header=BB26_348 Depth=3
	s_or_b64 exec, exec, s[92:93]
	v_and_b32_e32 v37, 0xffff0000, v37
	v_and_b32_e32 v49, 0xffff0000, v49
	v_max_f32_e32 v49, v49, v49
	v_max_f32_e32 v37, v37, v37
	v_min_f32_e32 v82, v37, v49
	v_max_f32_e32 v37, v37, v49
	v_cndmask_b32_e32 v49, v37, v82, vcc
	v_and_b32_e32 v37, 0x7f800000, v49
	v_cmp_ne_u32_e64 s[26:27], s67, v37
                                        ; implicit-def: $vgpr37
	s_and_saveexec_b64 s[92:93], s[26:27]
	s_xor_b64 s[26:27], exec, s[92:93]
; %bb.361:                              ;   in Loop: Header=BB26_348 Depth=3
	v_bfe_u32 v37, v49, 16, 1
	v_add3_u32 v37, v49, v37, s68
                                        ; implicit-def: $vgpr49
; %bb.362:                              ;   in Loop: Header=BB26_348 Depth=3
	s_andn2_saveexec_b64 s[92:93], s[26:27]
; %bb.363:                              ;   in Loop: Header=BB26_348 Depth=3
	v_or_b32_e32 v37, 0x10000, v49
	v_cmp_eq_u32_sdwa s[26:27], v49, v3 src0_sel:WORD_0 src1_sel:DWORD
	s_nop 1
	v_cndmask_b32_e64 v37, v37, v49, s[26:27]
; %bb.364:                              ;   in Loop: Header=BB26_348 Depth=3
	s_or_b64 exec, exec, s[92:93]
	v_lshlrev_b32_e32 v49, 16, v38
	v_lshlrev_b32_e32 v82, 16, v50
	v_max_f32_e32 v82, v82, v82
	v_max_f32_e32 v49, v49, v49
	v_min_f32_e32 v120, v49, v82
	v_max_f32_e32 v49, v49, v82
	v_cndmask_b32_e32 v120, v49, v120, vcc
	v_and_b32_e32 v49, 0x7f800000, v120
	v_cmp_ne_u32_e64 s[26:27], s67, v49
                                        ; implicit-def: $vgpr49
	s_and_saveexec_b64 s[92:93], s[26:27]
	s_xor_b64 s[26:27], exec, s[92:93]
; %bb.365:                              ;   in Loop: Header=BB26_348 Depth=3
	v_bfe_u32 v49, v120, 16, 1
	v_add3_u32 v49, v120, v49, s68
                                        ; implicit-def: $vgpr120
; %bb.366:                              ;   in Loop: Header=BB26_348 Depth=3
	s_andn2_saveexec_b64 s[92:93], s[26:27]
; %bb.367:                              ;   in Loop: Header=BB26_348 Depth=3
	v_or_b32_e32 v49, 0x10000, v120
	v_cmp_eq_u32_sdwa s[26:27], v120, v3 src0_sel:WORD_0 src1_sel:DWORD
	s_nop 1
	v_cndmask_b32_e64 v49, v49, v120, s[26:27]
; %bb.368:                              ;   in Loop: Header=BB26_348 Depth=3
	s_or_b64 exec, exec, s[92:93]
	v_and_b32_e32 v38, 0xffff0000, v38
	v_and_b32_e32 v50, 0xffff0000, v50
	v_max_f32_e32 v50, v50, v50
	v_max_f32_e32 v38, v38, v38
	v_min_f32_e32 v82, v38, v50
	v_max_f32_e32 v38, v38, v50
	v_cndmask_b32_e32 v50, v38, v82, vcc
	v_and_b32_e32 v38, 0x7f800000, v50
	v_cmp_ne_u32_e64 s[26:27], s67, v38
                                        ; implicit-def: $vgpr38
	s_and_saveexec_b64 s[92:93], s[26:27]
	s_xor_b64 s[26:27], exec, s[92:93]
; %bb.369:                              ;   in Loop: Header=BB26_348 Depth=3
	v_bfe_u32 v38, v50, 16, 1
	v_add3_u32 v38, v50, v38, s68
                                        ; implicit-def: $vgpr50
; %bb.370:                              ;   in Loop: Header=BB26_348 Depth=3
	s_andn2_saveexec_b64 s[92:93], s[26:27]
; %bb.371:                              ;   in Loop: Header=BB26_348 Depth=3
	v_or_b32_e32 v38, 0x10000, v50
	v_cmp_eq_u32_sdwa s[26:27], v50, v3 src0_sel:WORD_0 src1_sel:DWORD
	s_nop 1
	v_cndmask_b32_e64 v38, v38, v50, s[26:27]
; %bb.372:                              ;   in Loop: Header=BB26_348 Depth=3
	s_or_b64 exec, exec, s[92:93]
	v_lshlrev_b32_e32 v50, 16, v39
	v_lshlrev_b32_e32 v82, 16, v51
	v_max_f32_e32 v82, v82, v82
	v_max_f32_e32 v50, v50, v50
	v_min_f32_e32 v120, v50, v82
	v_max_f32_e32 v50, v50, v82
	v_cndmask_b32_e32 v120, v50, v120, vcc
	v_and_b32_e32 v50, 0x7f800000, v120
	v_cmp_ne_u32_e64 s[26:27], s67, v50
                                        ; implicit-def: $vgpr50
	s_and_saveexec_b64 s[92:93], s[26:27]
	s_xor_b64 s[26:27], exec, s[92:93]
; %bb.373:                              ;   in Loop: Header=BB26_348 Depth=3
	v_bfe_u32 v50, v120, 16, 1
	v_add3_u32 v50, v120, v50, s68
                                        ; implicit-def: $vgpr120
; %bb.374:                              ;   in Loop: Header=BB26_348 Depth=3
	s_andn2_saveexec_b64 s[92:93], s[26:27]
; %bb.375:                              ;   in Loop: Header=BB26_348 Depth=3
	v_or_b32_e32 v50, 0x10000, v120
	v_cmp_eq_u32_sdwa s[26:27], v120, v3 src0_sel:WORD_0 src1_sel:DWORD
	s_nop 1
	v_cndmask_b32_e64 v50, v50, v120, s[26:27]
; %bb.376:                              ;   in Loop: Header=BB26_348 Depth=3
	s_or_b64 exec, exec, s[92:93]
	v_and_b32_e32 v39, 0xffff0000, v39
	v_and_b32_e32 v51, 0xffff0000, v51
	v_max_f32_e32 v51, v51, v51
	v_max_f32_e32 v39, v39, v39
	v_min_f32_e32 v82, v39, v51
	v_max_f32_e32 v39, v39, v51
	v_cndmask_b32_e32 v51, v39, v82, vcc
	v_and_b32_e32 v39, 0x7f800000, v51
	v_cmp_ne_u32_e64 s[26:27], s67, v39
                                        ; implicit-def: $vgpr39
	s_and_saveexec_b64 s[92:93], s[26:27]
	s_xor_b64 s[26:27], exec, s[92:93]
; %bb.377:                              ;   in Loop: Header=BB26_348 Depth=3
	v_bfe_u32 v39, v51, 16, 1
	v_add3_u32 v39, v51, v39, s68
                                        ; implicit-def: $vgpr51
; %bb.378:                              ;   in Loop: Header=BB26_348 Depth=3
	s_andn2_saveexec_b64 s[92:93], s[26:27]
; %bb.379:                              ;   in Loop: Header=BB26_348 Depth=3
	v_or_b32_e32 v39, 0x10000, v51
	v_cmp_eq_u32_sdwa s[26:27], v51, v3 src0_sel:WORD_0 src1_sel:DWORD
	s_nop 1
	v_cndmask_b32_e64 v39, v39, v51, s[26:27]
; %bb.380:                              ;   in Loop: Header=BB26_348 Depth=3
	s_or_b64 exec, exec, s[92:93]
	v_lshlrev_b32_e32 v51, 16, v24
	v_lshlrev_b32_e32 v82, 16, v32
	v_max_f32_e32 v82, v82, v82
	v_max_f32_e32 v51, v51, v51
	v_min_f32_e32 v120, v51, v82
	v_max_f32_e32 v51, v51, v82
	v_cndmask_b32_e32 v120, v51, v120, vcc
	v_and_b32_e32 v51, 0x7f800000, v120
	v_cmp_ne_u32_e64 s[26:27], s67, v51
                                        ; implicit-def: $vgpr51
	s_and_saveexec_b64 s[92:93], s[26:27]
	s_xor_b64 s[26:27], exec, s[92:93]
; %bb.381:                              ;   in Loop: Header=BB26_348 Depth=3
	v_bfe_u32 v51, v120, 16, 1
	v_add3_u32 v51, v120, v51, s68
                                        ; implicit-def: $vgpr120
; %bb.382:                              ;   in Loop: Header=BB26_348 Depth=3
	s_andn2_saveexec_b64 s[92:93], s[26:27]
; %bb.383:                              ;   in Loop: Header=BB26_348 Depth=3
	v_or_b32_e32 v51, 0x10000, v120
	v_cmp_eq_u32_sdwa s[26:27], v120, v3 src0_sel:WORD_0 src1_sel:DWORD
	s_nop 1
	v_cndmask_b32_e64 v51, v51, v120, s[26:27]
; %bb.384:                              ;   in Loop: Header=BB26_348 Depth=3
	s_or_b64 exec, exec, s[92:93]
	v_and_b32_e32 v24, 0xffff0000, v24
	v_and_b32_e32 v32, 0xffff0000, v32
	v_max_f32_e32 v32, v32, v32
	v_max_f32_e32 v24, v24, v24
	v_min_f32_e32 v82, v24, v32
	v_max_f32_e32 v24, v24, v32
	v_cndmask_b32_e32 v32, v24, v82, vcc
	v_and_b32_e32 v24, 0x7f800000, v32
	v_cmp_ne_u32_e64 s[26:27], s67, v24
                                        ; implicit-def: $vgpr24
	s_and_saveexec_b64 s[92:93], s[26:27]
	s_xor_b64 s[26:27], exec, s[92:93]
; %bb.385:                              ;   in Loop: Header=BB26_348 Depth=3
	v_bfe_u32 v24, v32, 16, 1
	v_add3_u32 v24, v32, v24, s68
                                        ; implicit-def: $vgpr32
; %bb.386:                              ;   in Loop: Header=BB26_348 Depth=3
	s_andn2_saveexec_b64 s[92:93], s[26:27]
; %bb.387:                              ;   in Loop: Header=BB26_348 Depth=3
	v_or_b32_e32 v24, 0x10000, v32
	v_cmp_eq_u32_sdwa s[26:27], v32, v3 src0_sel:WORD_0 src1_sel:DWORD
	s_nop 1
	v_cndmask_b32_e64 v24, v24, v32, s[26:27]
; %bb.388:                              ;   in Loop: Header=BB26_348 Depth=3
	s_or_b64 exec, exec, s[92:93]
	v_lshlrev_b32_e32 v32, 16, v25
	v_lshlrev_b32_e32 v82, 16, v33
	v_max_f32_e32 v82, v82, v82
	v_max_f32_e32 v32, v32, v32
	v_min_f32_e32 v120, v32, v82
	v_max_f32_e32 v32, v32, v82
	v_cndmask_b32_e32 v120, v32, v120, vcc
	v_and_b32_e32 v32, 0x7f800000, v120
	v_cmp_ne_u32_e64 s[26:27], s67, v32
                                        ; implicit-def: $vgpr32
	s_and_saveexec_b64 s[92:93], s[26:27]
	s_xor_b64 s[26:27], exec, s[92:93]
; %bb.389:                              ;   in Loop: Header=BB26_348 Depth=3
	v_bfe_u32 v32, v120, 16, 1
	v_add3_u32 v32, v120, v32, s68
                                        ; implicit-def: $vgpr120
; %bb.390:                              ;   in Loop: Header=BB26_348 Depth=3
	s_andn2_saveexec_b64 s[92:93], s[26:27]
; %bb.391:                              ;   in Loop: Header=BB26_348 Depth=3
	v_or_b32_e32 v32, 0x10000, v120
	v_cmp_eq_u32_sdwa s[26:27], v120, v3 src0_sel:WORD_0 src1_sel:DWORD
	s_nop 1
	v_cndmask_b32_e64 v32, v32, v120, s[26:27]
; %bb.392:                              ;   in Loop: Header=BB26_348 Depth=3
	s_or_b64 exec, exec, s[92:93]
	v_and_b32_e32 v25, 0xffff0000, v25
	v_and_b32_e32 v33, 0xffff0000, v33
	v_max_f32_e32 v33, v33, v33
	v_max_f32_e32 v25, v25, v25
	v_min_f32_e32 v82, v25, v33
	v_max_f32_e32 v25, v25, v33
	v_cndmask_b32_e32 v33, v25, v82, vcc
	v_and_b32_e32 v25, 0x7f800000, v33
	v_cmp_ne_u32_e64 s[26:27], s67, v25
                                        ; implicit-def: $vgpr25
	s_and_saveexec_b64 s[92:93], s[26:27]
	s_xor_b64 s[26:27], exec, s[92:93]
; %bb.393:                              ;   in Loop: Header=BB26_348 Depth=3
	v_bfe_u32 v25, v33, 16, 1
	v_add3_u32 v25, v33, v25, s68
                                        ; implicit-def: $vgpr33
; %bb.394:                              ;   in Loop: Header=BB26_348 Depth=3
	s_andn2_saveexec_b64 s[92:93], s[26:27]
; %bb.395:                              ;   in Loop: Header=BB26_348 Depth=3
	v_or_b32_e32 v25, 0x10000, v33
	v_cmp_eq_u32_sdwa s[26:27], v33, v3 src0_sel:WORD_0 src1_sel:DWORD
	s_nop 1
	v_cndmask_b32_e64 v25, v25, v33, s[26:27]
; %bb.396:                              ;   in Loop: Header=BB26_348 Depth=3
	s_or_b64 exec, exec, s[92:93]
	v_lshlrev_b32_e32 v33, 16, v26
	v_lshlrev_b32_e32 v82, 16, v34
	v_max_f32_e32 v82, v82, v82
	v_max_f32_e32 v33, v33, v33
	v_min_f32_e32 v120, v33, v82
	v_max_f32_e32 v33, v33, v82
	v_cndmask_b32_e32 v120, v33, v120, vcc
	v_and_b32_e32 v33, 0x7f800000, v120
	v_cmp_ne_u32_e64 s[26:27], s67, v33
                                        ; implicit-def: $vgpr33
	s_and_saveexec_b64 s[92:93], s[26:27]
	s_xor_b64 s[26:27], exec, s[92:93]
; %bb.397:                              ;   in Loop: Header=BB26_348 Depth=3
	v_bfe_u32 v33, v120, 16, 1
	v_add3_u32 v33, v120, v33, s68
                                        ; implicit-def: $vgpr120
; %bb.398:                              ;   in Loop: Header=BB26_348 Depth=3
	s_andn2_saveexec_b64 s[92:93], s[26:27]
; %bb.399:                              ;   in Loop: Header=BB26_348 Depth=3
	v_or_b32_e32 v33, 0x10000, v120
	v_cmp_eq_u32_sdwa s[26:27], v120, v3 src0_sel:WORD_0 src1_sel:DWORD
	s_nop 1
	v_cndmask_b32_e64 v33, v33, v120, s[26:27]
; %bb.400:                              ;   in Loop: Header=BB26_348 Depth=3
	s_or_b64 exec, exec, s[92:93]
	v_and_b32_e32 v26, 0xffff0000, v26
	v_and_b32_e32 v34, 0xffff0000, v34
	v_max_f32_e32 v34, v34, v34
	v_max_f32_e32 v26, v26, v26
	v_min_f32_e32 v82, v26, v34
	v_max_f32_e32 v26, v26, v34
	v_cndmask_b32_e32 v34, v26, v82, vcc
	v_and_b32_e32 v26, 0x7f800000, v34
	v_cmp_ne_u32_e64 s[26:27], s67, v26
                                        ; implicit-def: $vgpr26
	s_and_saveexec_b64 s[92:93], s[26:27]
	s_xor_b64 s[26:27], exec, s[92:93]
; %bb.401:                              ;   in Loop: Header=BB26_348 Depth=3
	v_bfe_u32 v26, v34, 16, 1
	v_add3_u32 v26, v34, v26, s68
                                        ; implicit-def: $vgpr34
; %bb.402:                              ;   in Loop: Header=BB26_348 Depth=3
	s_andn2_saveexec_b64 s[92:93], s[26:27]
; %bb.403:                              ;   in Loop: Header=BB26_348 Depth=3
	v_or_b32_e32 v26, 0x10000, v34
	v_cmp_eq_u32_sdwa s[26:27], v34, v3 src0_sel:WORD_0 src1_sel:DWORD
	s_nop 1
	v_cndmask_b32_e64 v26, v26, v34, s[26:27]
; %bb.404:                              ;   in Loop: Header=BB26_348 Depth=3
	s_or_b64 exec, exec, s[92:93]
	v_lshlrev_b32_e32 v34, 16, v27
	v_lshlrev_b32_e32 v82, 16, v35
	v_max_f32_e32 v82, v82, v82
	v_max_f32_e32 v34, v34, v34
	v_min_f32_e32 v120, v34, v82
	v_max_f32_e32 v34, v34, v82
	v_cndmask_b32_e32 v120, v34, v120, vcc
	v_and_b32_e32 v34, 0x7f800000, v120
	v_cmp_ne_u32_e64 s[26:27], s67, v34
                                        ; implicit-def: $vgpr34
	s_and_saveexec_b64 s[92:93], s[26:27]
	s_xor_b64 s[26:27], exec, s[92:93]
; %bb.405:                              ;   in Loop: Header=BB26_348 Depth=3
	v_bfe_u32 v34, v120, 16, 1
	v_add3_u32 v34, v120, v34, s68
                                        ; implicit-def: $vgpr120
; %bb.406:                              ;   in Loop: Header=BB26_348 Depth=3
	s_andn2_saveexec_b64 s[92:93], s[26:27]
; %bb.407:                              ;   in Loop: Header=BB26_348 Depth=3
	v_or_b32_e32 v34, 0x10000, v120
	v_cmp_eq_u32_sdwa s[26:27], v120, v3 src0_sel:WORD_0 src1_sel:DWORD
	s_nop 1
	v_cndmask_b32_e64 v34, v34, v120, s[26:27]
; %bb.408:                              ;   in Loop: Header=BB26_348 Depth=3
	s_or_b64 exec, exec, s[92:93]
	v_and_b32_e32 v27, 0xffff0000, v27
	v_and_b32_e32 v35, 0xffff0000, v35
	v_max_f32_e32 v35, v35, v35
	v_max_f32_e32 v27, v27, v27
	v_min_f32_e32 v82, v27, v35
	v_max_f32_e32 v27, v27, v35
	v_cndmask_b32_e32 v35, v27, v82, vcc
	v_and_b32_e32 v27, 0x7f800000, v35
	v_cmp_ne_u32_e64 s[26:27], s67, v27
                                        ; implicit-def: $vgpr27
	s_and_saveexec_b64 s[92:93], s[26:27]
	s_xor_b64 s[26:27], exec, s[92:93]
; %bb.409:                              ;   in Loop: Header=BB26_348 Depth=3
	v_bfe_u32 v27, v35, 16, 1
	v_add3_u32 v27, v35, v27, s68
                                        ; implicit-def: $vgpr35
; %bb.410:                              ;   in Loop: Header=BB26_348 Depth=3
	s_andn2_saveexec_b64 s[92:93], s[26:27]
; %bb.411:                              ;   in Loop: Header=BB26_348 Depth=3
	v_or_b32_e32 v27, 0x10000, v35
	v_cmp_eq_u32_sdwa s[26:27], v35, v3 src0_sel:WORD_0 src1_sel:DWORD
	s_nop 1
	v_cndmask_b32_e64 v27, v27, v35, s[26:27]
; %bb.412:                              ;   in Loop: Header=BB26_348 Depth=3
	s_or_b64 exec, exec, s[92:93]
	v_lshlrev_b32_e32 v35, 16, v16
	v_lshlrev_b32_e32 v82, 16, v20
	v_max_f32_e32 v82, v82, v82
	v_max_f32_e32 v35, v35, v35
	v_min_f32_e32 v120, v35, v82
	v_max_f32_e32 v35, v35, v82
	v_cndmask_b32_e32 v120, v35, v120, vcc
	v_and_b32_e32 v35, 0x7f800000, v120
	v_cmp_ne_u32_e64 s[26:27], s67, v35
                                        ; implicit-def: $vgpr35
	s_and_saveexec_b64 s[92:93], s[26:27]
	s_xor_b64 s[26:27], exec, s[92:93]
; %bb.413:                              ;   in Loop: Header=BB26_348 Depth=3
	v_bfe_u32 v35, v120, 16, 1
	v_add3_u32 v35, v120, v35, s68
                                        ; implicit-def: $vgpr120
; %bb.414:                              ;   in Loop: Header=BB26_348 Depth=3
	s_andn2_saveexec_b64 s[92:93], s[26:27]
; %bb.415:                              ;   in Loop: Header=BB26_348 Depth=3
	v_or_b32_e32 v35, 0x10000, v120
	v_cmp_eq_u32_sdwa s[26:27], v120, v3 src0_sel:WORD_0 src1_sel:DWORD
	s_nop 1
	v_cndmask_b32_e64 v35, v35, v120, s[26:27]
; %bb.416:                              ;   in Loop: Header=BB26_348 Depth=3
	s_or_b64 exec, exec, s[92:93]
	v_and_b32_e32 v16, 0xffff0000, v16
	v_and_b32_e32 v20, 0xffff0000, v20
	v_max_f32_e32 v20, v20, v20
	v_max_f32_e32 v16, v16, v16
	v_min_f32_e32 v82, v16, v20
	v_max_f32_e32 v16, v16, v20
	v_cndmask_b32_e32 v20, v16, v82, vcc
	v_and_b32_e32 v16, 0x7f800000, v20
	v_cmp_ne_u32_e64 s[26:27], s67, v16
                                        ; implicit-def: $vgpr16
	s_and_saveexec_b64 s[92:93], s[26:27]
	s_xor_b64 s[26:27], exec, s[92:93]
; %bb.417:                              ;   in Loop: Header=BB26_348 Depth=3
	v_bfe_u32 v16, v20, 16, 1
	v_add3_u32 v16, v20, v16, s68
                                        ; implicit-def: $vgpr20
; %bb.418:                              ;   in Loop: Header=BB26_348 Depth=3
	s_andn2_saveexec_b64 s[92:93], s[26:27]
; %bb.419:                              ;   in Loop: Header=BB26_348 Depth=3
	v_or_b32_e32 v16, 0x10000, v20
	v_cmp_eq_u32_sdwa s[26:27], v20, v3 src0_sel:WORD_0 src1_sel:DWORD
	s_nop 1
	v_cndmask_b32_e64 v16, v16, v20, s[26:27]
; %bb.420:                              ;   in Loop: Header=BB26_348 Depth=3
	s_or_b64 exec, exec, s[92:93]
	v_lshlrev_b32_e32 v20, 16, v17
	v_lshlrev_b32_e32 v82, 16, v21
	v_max_f32_e32 v82, v82, v82
	v_max_f32_e32 v20, v20, v20
	v_min_f32_e32 v120, v20, v82
	v_max_f32_e32 v20, v20, v82
	v_cndmask_b32_e32 v120, v20, v120, vcc
	v_and_b32_e32 v20, 0x7f800000, v120
	v_cmp_ne_u32_e64 s[26:27], s67, v20
                                        ; implicit-def: $vgpr20
	s_and_saveexec_b64 s[92:93], s[26:27]
	s_xor_b64 s[26:27], exec, s[92:93]
; %bb.421:                              ;   in Loop: Header=BB26_348 Depth=3
	v_bfe_u32 v20, v120, 16, 1
	v_add3_u32 v20, v120, v20, s68
                                        ; implicit-def: $vgpr120
; %bb.422:                              ;   in Loop: Header=BB26_348 Depth=3
	s_andn2_saveexec_b64 s[92:93], s[26:27]
; %bb.423:                              ;   in Loop: Header=BB26_348 Depth=3
	v_or_b32_e32 v20, 0x10000, v120
	v_cmp_eq_u32_sdwa s[26:27], v120, v3 src0_sel:WORD_0 src1_sel:DWORD
	s_nop 1
	v_cndmask_b32_e64 v20, v20, v120, s[26:27]
; %bb.424:                              ;   in Loop: Header=BB26_348 Depth=3
	s_or_b64 exec, exec, s[92:93]
	v_and_b32_e32 v17, 0xffff0000, v17
	v_and_b32_e32 v21, 0xffff0000, v21
	v_max_f32_e32 v21, v21, v21
	v_max_f32_e32 v17, v17, v17
	v_min_f32_e32 v82, v17, v21
	v_max_f32_e32 v17, v17, v21
	v_cndmask_b32_e32 v21, v17, v82, vcc
	v_and_b32_e32 v17, 0x7f800000, v21
	v_cmp_ne_u32_e64 s[26:27], s67, v17
                                        ; implicit-def: $vgpr17
	s_and_saveexec_b64 s[92:93], s[26:27]
	s_xor_b64 s[26:27], exec, s[92:93]
; %bb.425:                              ;   in Loop: Header=BB26_348 Depth=3
	v_bfe_u32 v17, v21, 16, 1
	v_add3_u32 v17, v21, v17, s68
                                        ; implicit-def: $vgpr21
; %bb.426:                              ;   in Loop: Header=BB26_348 Depth=3
	s_andn2_saveexec_b64 s[92:93], s[26:27]
; %bb.427:                              ;   in Loop: Header=BB26_348 Depth=3
	v_or_b32_e32 v17, 0x10000, v21
	v_cmp_eq_u32_sdwa s[26:27], v21, v3 src0_sel:WORD_0 src1_sel:DWORD
	s_nop 1
	v_cndmask_b32_e64 v17, v17, v21, s[26:27]
; %bb.428:                              ;   in Loop: Header=BB26_348 Depth=3
	s_or_b64 exec, exec, s[92:93]
	v_lshlrev_b32_e32 v21, 16, v18
	v_lshlrev_b32_e32 v82, 16, v22
	v_max_f32_e32 v82, v82, v82
	v_max_f32_e32 v21, v21, v21
	v_min_f32_e32 v120, v21, v82
	v_max_f32_e32 v21, v21, v82
	v_cndmask_b32_e32 v120, v21, v120, vcc
	v_and_b32_e32 v21, 0x7f800000, v120
	v_cmp_ne_u32_e64 s[26:27], s67, v21
                                        ; implicit-def: $vgpr21
	s_and_saveexec_b64 s[92:93], s[26:27]
	s_xor_b64 s[26:27], exec, s[92:93]
; %bb.429:                              ;   in Loop: Header=BB26_348 Depth=3
	v_bfe_u32 v21, v120, 16, 1
	v_add3_u32 v21, v120, v21, s68
                                        ; implicit-def: $vgpr120
; %bb.430:                              ;   in Loop: Header=BB26_348 Depth=3
	s_andn2_saveexec_b64 s[92:93], s[26:27]
; %bb.431:                              ;   in Loop: Header=BB26_348 Depth=3
	v_or_b32_e32 v21, 0x10000, v120
	v_cmp_eq_u32_sdwa s[26:27], v120, v3 src0_sel:WORD_0 src1_sel:DWORD
	s_nop 1
	v_cndmask_b32_e64 v21, v21, v120, s[26:27]
; %bb.432:                              ;   in Loop: Header=BB26_348 Depth=3
	s_or_b64 exec, exec, s[92:93]
	v_and_b32_e32 v18, 0xffff0000, v18
	v_and_b32_e32 v22, 0xffff0000, v22
	v_max_f32_e32 v22, v22, v22
	v_max_f32_e32 v18, v18, v18
	v_min_f32_e32 v82, v18, v22
	v_max_f32_e32 v18, v18, v22
	v_cndmask_b32_e32 v22, v18, v82, vcc
	v_and_b32_e32 v18, 0x7f800000, v22
	v_cmp_ne_u32_e64 s[26:27], s67, v18
                                        ; implicit-def: $vgpr18
	s_and_saveexec_b64 s[92:93], s[26:27]
	s_xor_b64 s[26:27], exec, s[92:93]
; %bb.433:                              ;   in Loop: Header=BB26_348 Depth=3
	v_bfe_u32 v18, v22, 16, 1
	v_add3_u32 v18, v22, v18, s68
                                        ; implicit-def: $vgpr22
; %bb.434:                              ;   in Loop: Header=BB26_348 Depth=3
	s_andn2_saveexec_b64 s[92:93], s[26:27]
; %bb.435:                              ;   in Loop: Header=BB26_348 Depth=3
	v_or_b32_e32 v18, 0x10000, v22
	v_cmp_eq_u32_sdwa s[26:27], v22, v3 src0_sel:WORD_0 src1_sel:DWORD
	s_nop 1
	v_cndmask_b32_e64 v18, v18, v22, s[26:27]
; %bb.436:                              ;   in Loop: Header=BB26_348 Depth=3
	s_or_b64 exec, exec, s[92:93]
	v_lshlrev_b32_e32 v22, 16, v19
	v_lshlrev_b32_e32 v82, 16, v23
	v_max_f32_e32 v82, v82, v82
	v_max_f32_e32 v22, v22, v22
	v_min_f32_e32 v120, v22, v82
	v_max_f32_e32 v22, v22, v82
	v_cndmask_b32_e32 v120, v22, v120, vcc
	v_and_b32_e32 v22, 0x7f800000, v120
	v_cmp_ne_u32_e64 s[26:27], s67, v22
                                        ; implicit-def: $vgpr22
	s_and_saveexec_b64 s[92:93], s[26:27]
	s_xor_b64 s[26:27], exec, s[92:93]
; %bb.437:                              ;   in Loop: Header=BB26_348 Depth=3
	v_bfe_u32 v22, v120, 16, 1
	v_add3_u32 v22, v120, v22, s68
                                        ; implicit-def: $vgpr120
; %bb.438:                              ;   in Loop: Header=BB26_348 Depth=3
	s_andn2_saveexec_b64 s[92:93], s[26:27]
; %bb.439:                              ;   in Loop: Header=BB26_348 Depth=3
	v_or_b32_e32 v22, 0x10000, v120
	v_cmp_eq_u32_sdwa s[26:27], v120, v3 src0_sel:WORD_0 src1_sel:DWORD
	s_nop 1
	v_cndmask_b32_e64 v22, v22, v120, s[26:27]
; %bb.440:                              ;   in Loop: Header=BB26_348 Depth=3
	s_or_b64 exec, exec, s[92:93]
	v_and_b32_e32 v19, 0xffff0000, v19
	v_and_b32_e32 v23, 0xffff0000, v23
	v_max_f32_e32 v23, v23, v23
	v_max_f32_e32 v19, v19, v19
	v_min_f32_e32 v82, v19, v23
	v_max_f32_e32 v19, v19, v23
	v_cndmask_b32_e32 v23, v19, v82, vcc
	v_and_b32_e32 v19, 0x7f800000, v23
	v_cmp_ne_u32_e64 s[26:27], s67, v19
                                        ; implicit-def: $vgpr19
	s_and_saveexec_b64 s[92:93], s[26:27]
	s_xor_b64 s[26:27], exec, s[92:93]
; %bb.441:                              ;   in Loop: Header=BB26_348 Depth=3
	v_bfe_u32 v19, v23, 16, 1
	v_add3_u32 v19, v23, v19, s68
                                        ; implicit-def: $vgpr23
; %bb.442:                              ;   in Loop: Header=BB26_348 Depth=3
	s_andn2_saveexec_b64 s[92:93], s[26:27]
; %bb.443:                              ;   in Loop: Header=BB26_348 Depth=3
	v_or_b32_e32 v19, 0x10000, v23
	v_cmp_eq_u32_sdwa s[26:27], v23, v3 src0_sel:WORD_0 src1_sel:DWORD
	s_nop 1
	v_cndmask_b32_e64 v19, v19, v23, s[26:27]
; %bb.444:                              ;   in Loop: Header=BB26_348 Depth=3
	s_or_b64 exec, exec, s[92:93]
	v_lshlrev_b32_e32 v23, 16, v8
	v_lshlrev_b32_e32 v82, 16, v12
	v_max_f32_e32 v82, v82, v82
	v_max_f32_e32 v23, v23, v23
	v_min_f32_e32 v120, v23, v82
	v_max_f32_e32 v23, v23, v82
	v_cndmask_b32_e32 v120, v23, v120, vcc
	v_and_b32_e32 v23, 0x7f800000, v120
	v_cmp_ne_u32_e64 s[26:27], s67, v23
                                        ; implicit-def: $vgpr23
	s_and_saveexec_b64 s[92:93], s[26:27]
	s_xor_b64 s[26:27], exec, s[92:93]
; %bb.445:                              ;   in Loop: Header=BB26_348 Depth=3
	v_bfe_u32 v23, v120, 16, 1
	v_add3_u32 v23, v120, v23, s68
                                        ; implicit-def: $vgpr120
; %bb.446:                              ;   in Loop: Header=BB26_348 Depth=3
	s_andn2_saveexec_b64 s[92:93], s[26:27]
; %bb.447:                              ;   in Loop: Header=BB26_348 Depth=3
	v_or_b32_e32 v23, 0x10000, v120
	v_cmp_eq_u32_sdwa s[26:27], v120, v3 src0_sel:WORD_0 src1_sel:DWORD
	s_nop 1
	v_cndmask_b32_e64 v23, v23, v120, s[26:27]
; %bb.448:                              ;   in Loop: Header=BB26_348 Depth=3
	s_or_b64 exec, exec, s[92:93]
	v_and_b32_e32 v8, 0xffff0000, v8
	v_and_b32_e32 v12, 0xffff0000, v12
	v_max_f32_e32 v12, v12, v12
	v_max_f32_e32 v8, v8, v8
	v_min_f32_e32 v82, v8, v12
	v_max_f32_e32 v8, v8, v12
	v_cndmask_b32_e32 v12, v8, v82, vcc
	v_and_b32_e32 v8, 0x7f800000, v12
	v_cmp_ne_u32_e64 s[26:27], s67, v8
                                        ; implicit-def: $vgpr8
	s_and_saveexec_b64 s[92:93], s[26:27]
	s_xor_b64 s[26:27], exec, s[92:93]
; %bb.449:                              ;   in Loop: Header=BB26_348 Depth=3
	v_bfe_u32 v8, v12, 16, 1
	v_add3_u32 v8, v12, v8, s68
                                        ; implicit-def: $vgpr12
; %bb.450:                              ;   in Loop: Header=BB26_348 Depth=3
	s_andn2_saveexec_b64 s[92:93], s[26:27]
; %bb.451:                              ;   in Loop: Header=BB26_348 Depth=3
	v_or_b32_e32 v8, 0x10000, v12
	v_cmp_eq_u32_sdwa s[26:27], v12, v3 src0_sel:WORD_0 src1_sel:DWORD
	s_nop 1
	v_cndmask_b32_e64 v8, v8, v12, s[26:27]
; %bb.452:                              ;   in Loop: Header=BB26_348 Depth=3
	s_or_b64 exec, exec, s[92:93]
	v_lshlrev_b32_e32 v12, 16, v9
	v_lshlrev_b32_e32 v82, 16, v13
	v_max_f32_e32 v82, v82, v82
	v_max_f32_e32 v12, v12, v12
	v_min_f32_e32 v120, v12, v82
	v_max_f32_e32 v12, v12, v82
	v_cndmask_b32_e32 v120, v12, v120, vcc
	v_and_b32_e32 v12, 0x7f800000, v120
	v_cmp_ne_u32_e64 s[26:27], s67, v12
                                        ; implicit-def: $vgpr12
	s_and_saveexec_b64 s[92:93], s[26:27]
	s_xor_b64 s[26:27], exec, s[92:93]
; %bb.453:                              ;   in Loop: Header=BB26_348 Depth=3
	v_bfe_u32 v12, v120, 16, 1
	v_add3_u32 v12, v120, v12, s68
                                        ; implicit-def: $vgpr120
; %bb.454:                              ;   in Loop: Header=BB26_348 Depth=3
	s_andn2_saveexec_b64 s[92:93], s[26:27]
; %bb.455:                              ;   in Loop: Header=BB26_348 Depth=3
	v_or_b32_e32 v12, 0x10000, v120
	v_cmp_eq_u32_sdwa s[26:27], v120, v3 src0_sel:WORD_0 src1_sel:DWORD
	s_nop 1
	v_cndmask_b32_e64 v12, v12, v120, s[26:27]
; %bb.456:                              ;   in Loop: Header=BB26_348 Depth=3
	s_or_b64 exec, exec, s[92:93]
	v_and_b32_e32 v9, 0xffff0000, v9
	v_and_b32_e32 v13, 0xffff0000, v13
	v_max_f32_e32 v13, v13, v13
	v_max_f32_e32 v9, v9, v9
	v_min_f32_e32 v82, v9, v13
	v_max_f32_e32 v9, v9, v13
	v_cndmask_b32_e32 v13, v9, v82, vcc
	v_and_b32_e32 v9, 0x7f800000, v13
	v_cmp_ne_u32_e64 s[26:27], s67, v9
                                        ; implicit-def: $vgpr9
	s_and_saveexec_b64 s[92:93], s[26:27]
	s_xor_b64 s[26:27], exec, s[92:93]
; %bb.457:                              ;   in Loop: Header=BB26_348 Depth=3
	v_bfe_u32 v9, v13, 16, 1
	v_add3_u32 v9, v13, v9, s68
                                        ; implicit-def: $vgpr13
; %bb.458:                              ;   in Loop: Header=BB26_348 Depth=3
	s_andn2_saveexec_b64 s[92:93], s[26:27]
; %bb.459:                              ;   in Loop: Header=BB26_348 Depth=3
	v_or_b32_e32 v9, 0x10000, v13
	v_cmp_eq_u32_sdwa s[26:27], v13, v3 src0_sel:WORD_0 src1_sel:DWORD
	s_nop 1
	v_cndmask_b32_e64 v9, v9, v13, s[26:27]
; %bb.460:                              ;   in Loop: Header=BB26_348 Depth=3
	s_or_b64 exec, exec, s[92:93]
	v_lshlrev_b32_e32 v13, 16, v10
	v_lshlrev_b32_e32 v82, 16, v14
	v_max_f32_e32 v82, v82, v82
	v_max_f32_e32 v13, v13, v13
	v_min_f32_e32 v120, v13, v82
	v_max_f32_e32 v13, v13, v82
	v_cndmask_b32_e32 v120, v13, v120, vcc
	v_and_b32_e32 v13, 0x7f800000, v120
	v_cmp_ne_u32_e64 s[26:27], s67, v13
                                        ; implicit-def: $vgpr13
	s_and_saveexec_b64 s[92:93], s[26:27]
	s_xor_b64 s[26:27], exec, s[92:93]
; %bb.461:                              ;   in Loop: Header=BB26_348 Depth=3
	v_bfe_u32 v13, v120, 16, 1
	v_add3_u32 v13, v120, v13, s68
                                        ; implicit-def: $vgpr120
; %bb.462:                              ;   in Loop: Header=BB26_348 Depth=3
	s_andn2_saveexec_b64 s[92:93], s[26:27]
; %bb.463:                              ;   in Loop: Header=BB26_348 Depth=3
	v_or_b32_e32 v13, 0x10000, v120
	v_cmp_eq_u32_sdwa s[26:27], v120, v3 src0_sel:WORD_0 src1_sel:DWORD
	s_nop 1
	v_cndmask_b32_e64 v13, v13, v120, s[26:27]
; %bb.464:                              ;   in Loop: Header=BB26_348 Depth=3
	s_or_b64 exec, exec, s[92:93]
	v_and_b32_e32 v10, 0xffff0000, v10
	v_and_b32_e32 v14, 0xffff0000, v14
	v_max_f32_e32 v14, v14, v14
	v_max_f32_e32 v10, v10, v10
	v_min_f32_e32 v82, v10, v14
	v_max_f32_e32 v10, v10, v14
	v_cndmask_b32_e32 v14, v10, v82, vcc
	v_and_b32_e32 v10, 0x7f800000, v14
	v_cmp_ne_u32_e64 s[26:27], s67, v10
                                        ; implicit-def: $vgpr10
	s_and_saveexec_b64 s[92:93], s[26:27]
	s_xor_b64 s[26:27], exec, s[92:93]
; %bb.465:                              ;   in Loop: Header=BB26_348 Depth=3
	v_bfe_u32 v10, v14, 16, 1
	v_add3_u32 v10, v14, v10, s68
                                        ; implicit-def: $vgpr14
; %bb.466:                              ;   in Loop: Header=BB26_348 Depth=3
	s_andn2_saveexec_b64 s[92:93], s[26:27]
; %bb.467:                              ;   in Loop: Header=BB26_348 Depth=3
	v_or_b32_e32 v10, 0x10000, v14
	v_cmp_eq_u32_sdwa s[26:27], v14, v3 src0_sel:WORD_0 src1_sel:DWORD
	s_nop 1
	v_cndmask_b32_e64 v10, v10, v14, s[26:27]
; %bb.468:                              ;   in Loop: Header=BB26_348 Depth=3
	s_or_b64 exec, exec, s[92:93]
	v_lshlrev_b32_e32 v14, 16, v11
	v_lshlrev_b32_e32 v82, 16, v15
	v_max_f32_e32 v82, v82, v82
	v_max_f32_e32 v14, v14, v14
	v_min_f32_e32 v120, v14, v82
	v_max_f32_e32 v14, v14, v82
	v_cndmask_b32_e32 v120, v14, v120, vcc
	v_and_b32_e32 v14, 0x7f800000, v120
	v_cmp_ne_u32_e64 s[26:27], s67, v14
                                        ; implicit-def: $vgpr14
	s_and_saveexec_b64 s[92:93], s[26:27]
	s_xor_b64 s[26:27], exec, s[92:93]
; %bb.469:                              ;   in Loop: Header=BB26_348 Depth=3
	v_bfe_u32 v14, v120, 16, 1
	v_add3_u32 v14, v120, v14, s68
                                        ; implicit-def: $vgpr120
; %bb.470:                              ;   in Loop: Header=BB26_348 Depth=3
	s_andn2_saveexec_b64 s[92:93], s[26:27]
; %bb.471:                              ;   in Loop: Header=BB26_348 Depth=3
	v_or_b32_e32 v14, 0x10000, v120
	v_cmp_eq_u32_sdwa s[26:27], v120, v3 src0_sel:WORD_0 src1_sel:DWORD
	s_nop 1
	v_cndmask_b32_e64 v14, v14, v120, s[26:27]
; %bb.472:                              ;   in Loop: Header=BB26_348 Depth=3
	s_or_b64 exec, exec, s[92:93]
	v_and_b32_e32 v11, 0xffff0000, v11
	v_and_b32_e32 v15, 0xffff0000, v15
	v_max_f32_e32 v15, v15, v15
	v_max_f32_e32 v11, v11, v11
	v_min_f32_e32 v82, v11, v15
	v_max_f32_e32 v11, v11, v15
	v_cndmask_b32_e32 v15, v11, v82, vcc
	v_and_b32_e32 v11, 0x7f800000, v15
	v_cmp_ne_u32_e64 s[26:27], s67, v11
                                        ; implicit-def: $vgpr11
	s_and_saveexec_b64 s[92:93], s[26:27]
	s_xor_b64 s[26:27], exec, s[92:93]
; %bb.473:                              ;   in Loop: Header=BB26_348 Depth=3
	v_bfe_u32 v11, v15, 16, 1
	v_add3_u32 v11, v15, v11, s68
                                        ; implicit-def: $vgpr15
; %bb.474:                              ;   in Loop: Header=BB26_348 Depth=3
	s_andn2_saveexec_b64 s[92:93], s[26:27]
	s_cbranch_execz .LBB26_347
; %bb.475:                              ;   in Loop: Header=BB26_348 Depth=3
	v_or_b32_e32 v11, 0x10000, v15
	v_cmp_eq_u32_sdwa s[26:27], v15, v3 src0_sel:WORD_0 src1_sel:DWORD
	s_nop 1
	v_cndmask_b32_e64 v11, v11, v15, s[26:27]
	s_branch .LBB26_347
.LBB26_476:                             ;   in Loop: Header=BB26_265 Depth=2
	s_or_b64 exec, exec, s[90:91]
.LBB26_477:                             ;   in Loop: Header=BB26_265 Depth=2
	s_or_b64 exec, exec, s[28:29]
	v_lshlrev_b32_e32 v22, 12, v94
	v_cmp_ne_u32_e32 vcc, v73, v22
	s_mov_b64 s[26:27], 0
	v_mov_b32_e32 v14, 0
                                        ; implicit-def: $vgpr15
	s_and_saveexec_b64 s[90:91], vcc
	s_cbranch_execz .LBB26_515
; %bb.478:                              ;   in Loop: Header=BB26_265 Depth=2
	v_lshlrev_b32_e32 v8, 6, v93
	v_sub_u32_e32 v8, v105, v8
	v_ashrrev_i32_e32 v10, 31, v8
	v_lshrrev_b32_e32 v10, 26, v10
	v_add_u32_e32 v10, v8, v10
	v_sub_u32_e32 v9, v73, v22
	v_ashrrev_i32_e32 v11, 6, v10
	v_and_b32_e32 v10, 0xffffffc0, v10
	v_sub_u32_e32 v23, v8, v10
	v_ashrrev_i32_e32 v10, 31, v9
	v_lshrrev_b32_e32 v10, 22, v10
	v_add_u32_e32 v10, v9, v10
	v_and_b32_e32 v24, 0xfffffc00, v10
	v_lshlrev_b32_e32 v8, 4, v23
	v_sub_u32_e32 v25, v9, v24
	v_lshl_add_u32 v8, v11, 10, v8
	v_ashrrev_i32_e32 v12, 10, v10
	v_cmp_lt_i32_e32 vcc, 15, v25
	v_sub_u32_e32 v27, v9, v8
	s_nop 0
	v_addc_co_u32_e64 v9, s[26:27], 0, v12, vcc
	v_sub_u32_e32 v26, v9, v11
	v_cmp_lt_i32_e64 s[26:27], 15, v27
	s_and_saveexec_b64 s[92:93], s[26:27]
	s_cbranch_execz .LBB26_514
; %bb.479:                              ;   in Loop: Header=BB26_265 Depth=2
	s_trap 2
	ds_read_b64 v[10:11], v0
	v_add_u32_e32 v8, v8, v22
	s_and_b32 s56, s34, 1
	v_ashrrev_i32_e32 v9, 31, v8
	s_cmp_eq_u64 s[56:57], 0
	v_lshl_add_u64 v[16:17], v[8:9], 0, v[74:75]
	s_waitcnt lgkmcnt(0)
	v_lshl_add_u64 v[18:19], v[10:11], 0, v[8:9]
	v_lshl_add_u64 v[20:21], v[8:9], 0, v[76:77]
	s_mov_b64 s[94:95], 0
	s_cselect_b64 s[26:27], -1, 0
	s_branch .LBB26_481
.LBB26_480:                             ;   in Loop: Header=BB26_481 Depth=3
	s_or_b64 exec, exec, s[30:31]
	v_lshrrev_b32_e32 v12, 16, v12
	v_and_or_b32 v9, v9, s69, v12
	v_lshrrev_b32_e32 v12, 16, v32
	v_and_or_b32 v8, v8, s69, v12
	v_lshrrev_b32_e32 v12, 16, v13
	v_and_or_b32 v10, v10, s69, v12
	v_lshrrev_b32_e32 v12, 16, v14
	v_sub_u32_e32 v27, v27, v100
	v_and_or_b32 v11, v11, s69, v12
	v_cmp_gt_i32_e64 s[28:29], 16, v27
	global_store_dwordx4 v[20:21], v[8:11], off
	v_lshl_add_u64 v[16:17], v[16:17], 0, v[100:101]
	v_lshl_add_u64 v[18:19], v[18:19], 0, v[100:101]
	;; [unrolled: 1-line block ×3, first 2 shown]
	s_or_b64 s[94:95], s[28:29], s[94:95]
	v_sub_u32_e32 v26, v26, v84
	s_andn2_b64 exec, exec, s[94:95]
	s_cbranch_execz .LBB26_513
.LBB26_481:                             ;   Parent Loop BB26_47 Depth=1
                                        ;     Parent Loop BB26_265 Depth=2
                                        ; =>    This Inner Loop Header: Depth=3
	global_load_dwordx4 v[8:11], v[18:19], off nt
	global_load_dwordx4 v[12:15], v[16:17], off nt
	s_waitcnt vmcnt(0)
	v_lshlrev_b32_e32 v32, 16, v8
	v_lshlrev_b32_e32 v33, 16, v12
	v_max_f32_e32 v32, v32, v32
	v_max_f32_e32 v33, v33, v33
	v_min_f32_e32 v34, v33, v32
	v_max_f32_e32 v32, v33, v32
	v_cndmask_b32_e64 v33, v32, v34, s[26:27]
	v_and_b32_e32 v32, 0x7f800000, v33
	v_cmp_ne_u32_e64 s[28:29], s67, v32
                                        ; implicit-def: $vgpr32
	s_and_saveexec_b64 s[30:31], s[28:29]
	s_xor_b64 s[28:29], exec, s[30:31]
; %bb.482:                              ;   in Loop: Header=BB26_481 Depth=3
	v_bfe_u32 v32, v33, 16, 1
	v_add3_u32 v32, v33, v32, s68
                                        ; implicit-def: $vgpr33
; %bb.483:                              ;   in Loop: Header=BB26_481 Depth=3
	s_andn2_saveexec_b64 s[30:31], s[28:29]
; %bb.484:                              ;   in Loop: Header=BB26_481 Depth=3
	v_or_b32_e32 v32, 0x10000, v33
	v_cmp_eq_u32_sdwa s[28:29], v33, v3 src0_sel:WORD_0 src1_sel:DWORD
	s_nop 1
	v_cndmask_b32_e64 v32, v32, v33, s[28:29]
; %bb.485:                              ;   in Loop: Header=BB26_481 Depth=3
	s_or_b64 exec, exec, s[30:31]
	v_and_b32_e32 v8, 0xffff0000, v8
	v_and_b32_e32 v12, 0xffff0000, v12
	v_max_f32_e32 v8, v8, v8
	v_max_f32_e32 v12, v12, v12
	v_min_f32_e32 v33, v12, v8
	v_max_f32_e32 v8, v12, v8
	v_cndmask_b32_e64 v12, v8, v33, s[26:27]
	v_and_b32_e32 v8, 0x7f800000, v12
	v_cmp_ne_u32_e64 s[28:29], s67, v8
                                        ; implicit-def: $vgpr8
	s_and_saveexec_b64 s[30:31], s[28:29]
	s_xor_b64 s[28:29], exec, s[30:31]
; %bb.486:                              ;   in Loop: Header=BB26_481 Depth=3
	v_bfe_u32 v8, v12, 16, 1
	v_add3_u32 v8, v12, v8, s68
                                        ; implicit-def: $vgpr12
; %bb.487:                              ;   in Loop: Header=BB26_481 Depth=3
	s_andn2_saveexec_b64 s[30:31], s[28:29]
; %bb.488:                              ;   in Loop: Header=BB26_481 Depth=3
	v_or_b32_e32 v8, 0x10000, v12
	v_cmp_eq_u32_sdwa s[28:29], v12, v3 src0_sel:WORD_0 src1_sel:DWORD
	s_nop 1
	v_cndmask_b32_e64 v8, v8, v12, s[28:29]
; %bb.489:                              ;   in Loop: Header=BB26_481 Depth=3
	s_or_b64 exec, exec, s[30:31]
	v_lshlrev_b32_e32 v12, 16, v9
	v_lshlrev_b32_e32 v33, 16, v13
	v_max_f32_e32 v12, v12, v12
	v_max_f32_e32 v33, v33, v33
	v_min_f32_e32 v34, v33, v12
	v_max_f32_e32 v12, v33, v12
	v_cndmask_b32_e64 v33, v12, v34, s[26:27]
	v_and_b32_e32 v12, 0x7f800000, v33
	v_cmp_ne_u32_e64 s[28:29], s67, v12
                                        ; implicit-def: $vgpr12
	s_and_saveexec_b64 s[30:31], s[28:29]
	s_xor_b64 s[28:29], exec, s[30:31]
; %bb.490:                              ;   in Loop: Header=BB26_481 Depth=3
	v_bfe_u32 v12, v33, 16, 1
	v_add3_u32 v12, v33, v12, s68
                                        ; implicit-def: $vgpr33
; %bb.491:                              ;   in Loop: Header=BB26_481 Depth=3
	s_andn2_saveexec_b64 s[30:31], s[28:29]
; %bb.492:                              ;   in Loop: Header=BB26_481 Depth=3
	v_or_b32_e32 v12, 0x10000, v33
	v_cmp_eq_u32_sdwa s[28:29], v33, v3 src0_sel:WORD_0 src1_sel:DWORD
	s_nop 1
	v_cndmask_b32_e64 v12, v12, v33, s[28:29]
; %bb.493:                              ;   in Loop: Header=BB26_481 Depth=3
	s_or_b64 exec, exec, s[30:31]
	v_and_b32_e32 v13, 0xffff0000, v13
	v_and_b32_e32 v9, 0xffff0000, v9
	v_max_f32_e32 v9, v9, v9
	v_max_f32_e32 v13, v13, v13
	v_min_f32_e32 v33, v13, v9
	v_max_f32_e32 v9, v13, v9
	v_cndmask_b32_e64 v13, v9, v33, s[26:27]
	v_and_b32_e32 v9, 0x7f800000, v13
	v_cmp_ne_u32_e64 s[28:29], s67, v9
                                        ; implicit-def: $vgpr9
	s_and_saveexec_b64 s[30:31], s[28:29]
	s_xor_b64 s[28:29], exec, s[30:31]
; %bb.494:                              ;   in Loop: Header=BB26_481 Depth=3
	v_bfe_u32 v9, v13, 16, 1
	v_add3_u32 v9, v13, v9, s68
                                        ; implicit-def: $vgpr13
; %bb.495:                              ;   in Loop: Header=BB26_481 Depth=3
	s_andn2_saveexec_b64 s[30:31], s[28:29]
; %bb.496:                              ;   in Loop: Header=BB26_481 Depth=3
	v_or_b32_e32 v9, 0x10000, v13
	v_cmp_eq_u32_sdwa s[28:29], v13, v3 src0_sel:WORD_0 src1_sel:DWORD
	s_nop 1
	v_cndmask_b32_e64 v9, v9, v13, s[28:29]
; %bb.497:                              ;   in Loop: Header=BB26_481 Depth=3
	s_or_b64 exec, exec, s[30:31]
	v_lshlrev_b32_e32 v13, 16, v10
	v_lshlrev_b32_e32 v33, 16, v14
	v_max_f32_e32 v13, v13, v13
	v_max_f32_e32 v33, v33, v33
	v_min_f32_e32 v34, v33, v13
	v_max_f32_e32 v13, v33, v13
	v_cndmask_b32_e64 v33, v13, v34, s[26:27]
	v_and_b32_e32 v13, 0x7f800000, v33
	v_cmp_ne_u32_e64 s[28:29], s67, v13
                                        ; implicit-def: $vgpr13
	s_and_saveexec_b64 s[30:31], s[28:29]
	s_xor_b64 s[28:29], exec, s[30:31]
; %bb.498:                              ;   in Loop: Header=BB26_481 Depth=3
	v_bfe_u32 v13, v33, 16, 1
	v_add3_u32 v13, v33, v13, s68
                                        ; implicit-def: $vgpr33
; %bb.499:                              ;   in Loop: Header=BB26_481 Depth=3
	s_andn2_saveexec_b64 s[30:31], s[28:29]
; %bb.500:                              ;   in Loop: Header=BB26_481 Depth=3
	v_or_b32_e32 v13, 0x10000, v33
	v_cmp_eq_u32_sdwa s[28:29], v33, v3 src0_sel:WORD_0 src1_sel:DWORD
	s_nop 1
	v_cndmask_b32_e64 v13, v13, v33, s[28:29]
; %bb.501:                              ;   in Loop: Header=BB26_481 Depth=3
	s_or_b64 exec, exec, s[30:31]
	v_and_b32_e32 v14, 0xffff0000, v14
	v_and_b32_e32 v10, 0xffff0000, v10
	v_max_f32_e32 v10, v10, v10
	v_max_f32_e32 v14, v14, v14
	v_min_f32_e32 v33, v14, v10
	v_max_f32_e32 v10, v14, v10
	v_cndmask_b32_e64 v14, v10, v33, s[26:27]
	v_and_b32_e32 v10, 0x7f800000, v14
	v_cmp_ne_u32_e64 s[28:29], s67, v10
                                        ; implicit-def: $vgpr10
	s_and_saveexec_b64 s[30:31], s[28:29]
	s_xor_b64 s[28:29], exec, s[30:31]
; %bb.502:                              ;   in Loop: Header=BB26_481 Depth=3
	v_bfe_u32 v10, v14, 16, 1
	v_add3_u32 v10, v14, v10, s68
                                        ; implicit-def: $vgpr14
; %bb.503:                              ;   in Loop: Header=BB26_481 Depth=3
	s_andn2_saveexec_b64 s[30:31], s[28:29]
; %bb.504:                              ;   in Loop: Header=BB26_481 Depth=3
	v_or_b32_e32 v10, 0x10000, v14
	v_cmp_eq_u32_sdwa s[28:29], v14, v3 src0_sel:WORD_0 src1_sel:DWORD
	s_nop 1
	v_cndmask_b32_e64 v10, v10, v14, s[28:29]
; %bb.505:                              ;   in Loop: Header=BB26_481 Depth=3
	s_or_b64 exec, exec, s[30:31]
	v_lshlrev_b32_e32 v14, 16, v11
	v_lshlrev_b32_e32 v33, 16, v15
	v_max_f32_e32 v14, v14, v14
	v_max_f32_e32 v33, v33, v33
	v_min_f32_e32 v34, v33, v14
	v_max_f32_e32 v14, v33, v14
	v_cndmask_b32_e64 v33, v14, v34, s[26:27]
	v_and_b32_e32 v14, 0x7f800000, v33
	v_cmp_ne_u32_e64 s[28:29], s67, v14
                                        ; implicit-def: $vgpr14
	s_and_saveexec_b64 s[30:31], s[28:29]
	s_xor_b64 s[28:29], exec, s[30:31]
; %bb.506:                              ;   in Loop: Header=BB26_481 Depth=3
	v_bfe_u32 v14, v33, 16, 1
	v_add3_u32 v14, v33, v14, s68
                                        ; implicit-def: $vgpr33
; %bb.507:                              ;   in Loop: Header=BB26_481 Depth=3
	s_andn2_saveexec_b64 s[30:31], s[28:29]
; %bb.508:                              ;   in Loop: Header=BB26_481 Depth=3
	v_or_b32_e32 v14, 0x10000, v33
	v_cmp_eq_u32_sdwa s[28:29], v33, v3 src0_sel:WORD_0 src1_sel:DWORD
	s_nop 1
	v_cndmask_b32_e64 v14, v14, v33, s[28:29]
; %bb.509:                              ;   in Loop: Header=BB26_481 Depth=3
	s_or_b64 exec, exec, s[30:31]
	v_and_b32_e32 v15, 0xffff0000, v15
	v_and_b32_e32 v11, 0xffff0000, v11
	v_max_f32_e32 v11, v11, v11
	v_max_f32_e32 v15, v15, v15
	v_min_f32_e32 v33, v15, v11
	v_max_f32_e32 v11, v15, v11
	v_cndmask_b32_e64 v15, v11, v33, s[26:27]
	v_and_b32_e32 v11, 0x7f800000, v15
	v_cmp_ne_u32_e64 s[28:29], s67, v11
                                        ; implicit-def: $vgpr11
	s_and_saveexec_b64 s[30:31], s[28:29]
	s_xor_b64 s[28:29], exec, s[30:31]
; %bb.510:                              ;   in Loop: Header=BB26_481 Depth=3
	v_bfe_u32 v11, v15, 16, 1
	v_add3_u32 v11, v15, v11, s68
                                        ; implicit-def: $vgpr15
; %bb.511:                              ;   in Loop: Header=BB26_481 Depth=3
	s_andn2_saveexec_b64 s[30:31], s[28:29]
	s_cbranch_execz .LBB26_480
; %bb.512:                              ;   in Loop: Header=BB26_481 Depth=3
	v_or_b32_e32 v11, 0x10000, v15
	v_cmp_eq_u32_sdwa s[28:29], v15, v3 src0_sel:WORD_0 src1_sel:DWORD
	s_nop 1
	v_cndmask_b32_e64 v11, v11, v15, s[28:29]
	s_branch .LBB26_480
.LBB26_513:                             ;   in Loop: Header=BB26_265 Depth=2
	s_or_b64 exec, exec, s[94:95]
.LBB26_514:                             ;   in Loop: Header=BB26_265 Depth=2
	s_or_b64 exec, exec, s[92:93]
	v_and_b32_e32 v8, 14, v73
	v_sub_u32_e32 v9, v25, v8
	v_cndmask_b32_e32 v9, 0, v9, vcc
	v_cndmask_b32_e32 v73, v25, v8, vcc
	v_cmp_lt_i32_e32 vcc, 0, v26
	v_add3_u32 v14, v24, v22, v9
	s_nop 0
	v_cndmask_b32_e32 v8, 0, v84, vcc
	v_sub_u32_e32 v8, v8, v26
	v_cmp_ne_u32_e32 vcc, 0, v73
	v_lshl_add_u32 v15, v8, 6, v23
	s_and_b64 s[26:27], vcc, exec
.LBB26_515:                             ;   in Loop: Header=BB26_265 Depth=2
	s_or_b64 exec, exec, s[90:91]
	s_and_saveexec_b64 s[28:29], s[26:27]
	s_cbranch_execz .LBB26_592
.LBB26_516:                             ;   in Loop: Header=BB26_265 Depth=2
	v_ashrrev_i32_e32 v8, 31, v15
	v_ashrrev_i32_e32 v9, 31, v73
	v_lshrrev_b32_e32 v8, 26, v8
	v_lshrrev_b32_e32 v9, 21, v9
	v_add_u32_e32 v8, v15, v8
	v_add_u32_e32 v9, v73, v9
	v_ashrrev_i32_e32 v16, 6, v8
	v_ashrrev_i32_e32 v18, 11, v9
	v_sub_u32_e32 v17, v18, v16
	v_cmp_lt_i32_e32 vcc, 0, v17
	s_and_saveexec_b64 s[90:91], vcc
	s_cbranch_execz .LBB26_584
; %bb.517:                              ;   in Loop: Header=BB26_265 Depth=2
	v_and_b32_e32 v8, 0x7fffffc0, v8
	s_trap 2
	ds_read_b64 v[10:11], v0
	v_sub_u32_e32 v8, v15, v8
	v_lshlrev_b32_e32 v8, 1, v8
	v_lshlrev_b32_e32 v9, 11, v16
	v_add3_u32 v12, v8, v14, v9
	s_and_b32 s56, s34, 1
	v_ashrrev_i32_e32 v13, 31, v12
	s_cmp_eq_u64 s[56:57], 0
	v_lshl_add_u64 v[20:21], v[76:77], 0, s[88:89]
	v_lshl_add_u64 v[8:9], v[12:13], 0, v[74:75]
	s_waitcnt lgkmcnt(0)
	v_lshl_add_u64 v[10:11], v[10:11], 0, v[12:13]
	s_mov_b64 s[92:93], 0
	s_cselect_b64 s[26:27], -1, 0
	v_lshl_add_u64 v[12:13], v[20:21], 0, v[12:13]
	s_branch .LBB26_519
.LBB26_518:                             ;   in Loop: Header=BB26_519 Depth=3
	s_or_b64 exec, exec, s[94:95]
	v_add_co_u32_e32 v88, vcc, 0xfffff880, v12
	v_sub_u32_e32 v17, v17, v84
	s_nop 0
	v_addc_co_u32_e32 v89, vcc, -1, v13, vcc
	flat_store_short_d16_hi v[88:89], v20 nt
	v_add_co_u32_e32 v88, vcc, 0xfffff900, v12
	v_lshl_add_u64 v[8:9], v[8:9], 0, v[102:103]
	s_nop 0
	v_addc_co_u32_e32 v89, vcc, -1, v13, vcc
	v_add_co_u32_e32 v22, vcc, 0xfffff980, v12
	flat_store_short_d16_hi v[88:89], v23 nt
	s_nop 0
	v_addc_co_u32_e32 v23, vcc, -1, v13, vcc
	flat_store_short_d16_hi v[22:23], v25 nt
	v_add_co_u32_e32 v22, vcc, 0xfffffa00, v12
	v_lshl_add_u64 v[10:11], v[10:11], 0, v[102:103]
	s_nop 0
	v_addc_co_u32_e32 v23, vcc, -1, v13, vcc
	flat_store_short_d16_hi v[22:23], v27 nt
	v_add_co_u32_e32 v22, vcc, 0xfffffa80, v12
	s_nop 1
	v_addc_co_u32_e32 v23, vcc, -1, v13, vcc
	flat_store_short_d16_hi v[22:23], v34 nt
	v_add_co_u32_e32 v22, vcc, 0xfffffb00, v12
	s_nop 1
	v_addc_co_u32_e32 v23, vcc, -1, v13, vcc
	flat_store_short_d16_hi v[22:23], v37 nt
	v_add_co_u32_e32 v22, vcc, 0xfffffb80, v12
	s_nop 1
	v_addc_co_u32_e32 v23, vcc, -1, v13, vcc
	flat_store_short_d16_hi v[22:23], v48 nt
	v_add_co_u32_e32 v22, vcc, s64, v12
	s_nop 1
	v_addc_co_u32_e32 v23, vcc, -1, v13, vcc
	flat_store_short_d16_hi v[22:23], v51 nt
	v_add_co_u32_e32 v22, vcc, 0xfffffc80, v12
	s_nop 1
	v_addc_co_u32_e32 v23, vcc, -1, v13, vcc
	flat_store_short_d16_hi v[22:23], v78 nt
	v_add_co_u32_e32 v22, vcc, 0xfffffd00, v12
	s_nop 1
	v_addc_co_u32_e32 v23, vcc, -1, v13, vcc
	flat_store_short_d16_hi v[22:23], v49 nt
	v_add_co_u32_e32 v22, vcc, 0xfffffd80, v12
	s_nop 1
	v_addc_co_u32_e32 v23, vcc, -1, v13, vcc
	flat_store_short_d16_hi v[22:23], v38 nt
	v_add_co_u32_e32 v22, vcc, 0xfffffe00, v12
	s_nop 1
	v_addc_co_u32_e32 v23, vcc, -1, v13, vcc
	flat_store_short_d16_hi v[22:23], v35 nt
	v_add_co_u32_e32 v22, vcc, 0xfffffe80, v12
	s_nop 1
	v_addc_co_u32_e32 v23, vcc, -1, v13, vcc
	flat_store_short_d16_hi v[22:23], v32 nt
	v_add_co_u32_e32 v22, vcc, 0xffffff00, v12
	s_nop 1
	v_addc_co_u32_e32 v23, vcc, -1, v13, vcc
	flat_store_short_d16_hi v[22:23], v24 nt
	v_add_co_u32_e32 v22, vcc, 0xffffff80, v12
	s_nop 1
	v_addc_co_u32_e32 v23, vcc, -1, v13, vcc
	v_cmp_gt_i32_e32 vcc, 1, v17
	flat_store_short_d16_hi v[22:23], v21 nt
	flat_store_short_d16_hi v[12:13], v19 nt
	s_or_b64 s[92:93], vcc, s[92:93]
	v_lshl_add_u64 v[12:13], v[12:13], 0, v[102:103]
	s_andn2_b64 exec, exec, s[92:93]
	s_cbranch_execz .LBB26_583
.LBB26_519:                             ;   Parent Loop BB26_47 Depth=1
                                        ;     Parent Loop BB26_265 Depth=2
                                        ; =>    This Inner Loop Header: Depth=3
	flat_load_ushort v78, v[8:9] offset:1024 nt
	flat_load_ushort v49, v[8:9] offset:1152 nt
	;; [unrolled: 1-line block ×15, first 2 shown]
	flat_load_ushort v20, v[8:9] nt
	flat_load_ushort v120, v[10:11] offset:128 nt
	flat_load_ushort v95, v[10:11] offset:256 nt
	;; [unrolled: 1-line block ×7, first 2 shown]
	flat_load_ushort v82, v[10:11] nt
	flat_load_ushort v88, v[10:11] offset:1024 nt
	flat_load_ushort v79, v[10:11] offset:1152 nt
	;; [unrolled: 1-line block ×8, first 2 shown]
	s_waitcnt vmcnt(0) lgkmcnt(0)
	v_lshlrev_b32_e32 v20, 16, v20
	v_max_f32_e32 v20, v20, v20
	v_lshlrev_b32_e32 v82, 16, v82
	v_max_f32_e32 v82, v82, v82
	v_min_f32_e32 v121, v20, v82
	v_max_f32_e32 v20, v20, v82
	v_cndmask_b32_e64 v121, v20, v121, s[26:27]
	v_and_b32_e32 v20, 0x7f800000, v121
	v_cmp_ne_u32_e32 vcc, s67, v20
                                        ; implicit-def: $vgpr20
	s_and_saveexec_b64 s[94:95], vcc
	s_xor_b64 s[94:95], exec, s[94:95]
; %bb.520:                              ;   in Loop: Header=BB26_519 Depth=3
	v_bfe_u32 v20, v121, 16, 1
	v_add3_u32 v20, v121, v20, s68
                                        ; implicit-def: $vgpr121
; %bb.521:                              ;   in Loop: Header=BB26_519 Depth=3
	s_andn2_saveexec_b64 s[94:95], s[94:95]
; %bb.522:                              ;   in Loop: Header=BB26_519 Depth=3
	v_or_b32_e32 v20, 0x10000, v121
	v_cmp_eq_u32_sdwa vcc, v121, v3 src0_sel:WORD_0 src1_sel:DWORD
	s_nop 1
	v_cndmask_b32_e32 v20, v20, v121, vcc
; %bb.523:                              ;   in Loop: Header=BB26_519 Depth=3
	s_or_b64 exec, exec, s[94:95]
	v_lshlrev_b32_e32 v23, 16, v23
	v_lshlrev_b32_e32 v82, 16, v120
	v_max_f32_e32 v82, v82, v82
	v_max_f32_e32 v23, v23, v23
	v_min_f32_e32 v120, v23, v82
	v_max_f32_e32 v23, v23, v82
	v_cndmask_b32_e64 v120, v23, v120, s[26:27]
	v_and_b32_e32 v23, 0x7f800000, v120
	v_cmp_ne_u32_e32 vcc, s67, v23
                                        ; implicit-def: $vgpr23
	s_and_saveexec_b64 s[94:95], vcc
	s_xor_b64 s[94:95], exec, s[94:95]
; %bb.524:                              ;   in Loop: Header=BB26_519 Depth=3
	v_bfe_u32 v23, v120, 16, 1
	v_add3_u32 v23, v120, v23, s68
                                        ; implicit-def: $vgpr120
; %bb.525:                              ;   in Loop: Header=BB26_519 Depth=3
	s_andn2_saveexec_b64 s[94:95], s[94:95]
; %bb.526:                              ;   in Loop: Header=BB26_519 Depth=3
	v_or_b32_e32 v23, 0x10000, v120
	v_cmp_eq_u32_sdwa vcc, v120, v3 src0_sel:WORD_0 src1_sel:DWORD
	s_nop 1
	v_cndmask_b32_e32 v23, v23, v120, vcc
; %bb.527:                              ;   in Loop: Header=BB26_519 Depth=3
	s_or_b64 exec, exec, s[94:95]
	v_lshlrev_b32_e32 v25, 16, v25
	v_lshlrev_b32_e32 v82, 16, v95
	v_max_f32_e32 v82, v82, v82
	v_max_f32_e32 v25, v25, v25
	v_min_f32_e32 v95, v25, v82
	v_max_f32_e32 v25, v25, v82
	v_cndmask_b32_e64 v95, v25, v95, s[26:27]
	v_and_b32_e32 v25, 0x7f800000, v95
	v_cmp_ne_u32_e32 vcc, s67, v25
                                        ; implicit-def: $vgpr25
	s_and_saveexec_b64 s[94:95], vcc
	s_xor_b64 s[94:95], exec, s[94:95]
; %bb.528:                              ;   in Loop: Header=BB26_519 Depth=3
	v_bfe_u32 v25, v95, 16, 1
	v_add3_u32 v25, v95, v25, s68
                                        ; implicit-def: $vgpr95
; %bb.529:                              ;   in Loop: Header=BB26_519 Depth=3
	s_andn2_saveexec_b64 s[94:95], s[94:95]
; %bb.530:                              ;   in Loop: Header=BB26_519 Depth=3
	v_or_b32_e32 v25, 0x10000, v95
	v_cmp_eq_u32_sdwa vcc, v95, v3 src0_sel:WORD_0 src1_sel:DWORD
	s_nop 1
	v_cndmask_b32_e32 v25, v25, v95, vcc
; %bb.531:                              ;   in Loop: Header=BB26_519 Depth=3
	s_or_b64 exec, exec, s[94:95]
	v_lshlrev_b32_e32 v27, 16, v27
	v_lshlrev_b32_e32 v82, 16, v94
	v_max_f32_e32 v82, v82, v82
	v_max_f32_e32 v27, v27, v27
	v_min_f32_e32 v94, v27, v82
	v_max_f32_e32 v27, v27, v82
	v_cndmask_b32_e64 v94, v27, v94, s[26:27]
	v_and_b32_e32 v27, 0x7f800000, v94
	v_cmp_ne_u32_e32 vcc, s67, v27
                                        ; implicit-def: $vgpr27
	s_and_saveexec_b64 s[94:95], vcc
	s_xor_b64 s[94:95], exec, s[94:95]
; %bb.532:                              ;   in Loop: Header=BB26_519 Depth=3
	v_bfe_u32 v27, v94, 16, 1
	v_add3_u32 v27, v94, v27, s68
                                        ; implicit-def: $vgpr94
; %bb.533:                              ;   in Loop: Header=BB26_519 Depth=3
	s_andn2_saveexec_b64 s[94:95], s[94:95]
; %bb.534:                              ;   in Loop: Header=BB26_519 Depth=3
	v_or_b32_e32 v27, 0x10000, v94
	v_cmp_eq_u32_sdwa vcc, v94, v3 src0_sel:WORD_0 src1_sel:DWORD
	s_nop 1
	v_cndmask_b32_e32 v27, v27, v94, vcc
; %bb.535:                              ;   in Loop: Header=BB26_519 Depth=3
	s_or_b64 exec, exec, s[94:95]
	v_lshlrev_b32_e32 v34, 16, v34
	v_lshlrev_b32_e32 v82, 16, v93
	v_max_f32_e32 v82, v82, v82
	v_max_f32_e32 v34, v34, v34
	v_min_f32_e32 v93, v34, v82
	v_max_f32_e32 v34, v34, v82
	v_cndmask_b32_e64 v93, v34, v93, s[26:27]
	v_and_b32_e32 v34, 0x7f800000, v93
	v_cmp_ne_u32_e32 vcc, s67, v34
                                        ; implicit-def: $vgpr34
	s_and_saveexec_b64 s[94:95], vcc
	s_xor_b64 s[94:95], exec, s[94:95]
; %bb.536:                              ;   in Loop: Header=BB26_519 Depth=3
	v_bfe_u32 v34, v93, 16, 1
	v_add3_u32 v34, v93, v34, s68
                                        ; implicit-def: $vgpr93
; %bb.537:                              ;   in Loop: Header=BB26_519 Depth=3
	s_andn2_saveexec_b64 s[94:95], s[94:95]
; %bb.538:                              ;   in Loop: Header=BB26_519 Depth=3
	v_or_b32_e32 v34, 0x10000, v93
	v_cmp_eq_u32_sdwa vcc, v93, v3 src0_sel:WORD_0 src1_sel:DWORD
	s_nop 1
	v_cndmask_b32_e32 v34, v34, v93, vcc
; %bb.539:                              ;   in Loop: Header=BB26_519 Depth=3
	s_or_b64 exec, exec, s[94:95]
	v_lshlrev_b32_e32 v37, 16, v37
	v_lshlrev_b32_e32 v82, 16, v91
	v_max_f32_e32 v82, v82, v82
	v_max_f32_e32 v37, v37, v37
	v_min_f32_e32 v91, v37, v82
	v_max_f32_e32 v37, v37, v82
	v_cndmask_b32_e64 v91, v37, v91, s[26:27]
	v_and_b32_e32 v37, 0x7f800000, v91
	v_cmp_ne_u32_e32 vcc, s67, v37
                                        ; implicit-def: $vgpr37
	s_and_saveexec_b64 s[94:95], vcc
	s_xor_b64 s[94:95], exec, s[94:95]
; %bb.540:                              ;   in Loop: Header=BB26_519 Depth=3
	v_bfe_u32 v37, v91, 16, 1
	v_add3_u32 v37, v91, v37, s68
                                        ; implicit-def: $vgpr91
; %bb.541:                              ;   in Loop: Header=BB26_519 Depth=3
	s_andn2_saveexec_b64 s[94:95], s[94:95]
; %bb.542:                              ;   in Loop: Header=BB26_519 Depth=3
	v_or_b32_e32 v37, 0x10000, v91
	v_cmp_eq_u32_sdwa vcc, v91, v3 src0_sel:WORD_0 src1_sel:DWORD
	s_nop 1
	v_cndmask_b32_e32 v37, v37, v91, vcc
; %bb.543:                              ;   in Loop: Header=BB26_519 Depth=3
	s_or_b64 exec, exec, s[94:95]
	v_lshlrev_b32_e32 v48, 16, v48
	v_lshlrev_b32_e32 v82, 16, v90
	v_max_f32_e32 v82, v82, v82
	v_max_f32_e32 v48, v48, v48
	v_min_f32_e32 v90, v48, v82
	v_max_f32_e32 v48, v48, v82
	v_cndmask_b32_e64 v90, v48, v90, s[26:27]
	v_and_b32_e32 v48, 0x7f800000, v90
	v_cmp_ne_u32_e32 vcc, s67, v48
                                        ; implicit-def: $vgpr48
	s_and_saveexec_b64 s[94:95], vcc
	s_xor_b64 s[94:95], exec, s[94:95]
; %bb.544:                              ;   in Loop: Header=BB26_519 Depth=3
	v_bfe_u32 v48, v90, 16, 1
	v_add3_u32 v48, v90, v48, s68
                                        ; implicit-def: $vgpr90
; %bb.545:                              ;   in Loop: Header=BB26_519 Depth=3
	s_andn2_saveexec_b64 s[94:95], s[94:95]
; %bb.546:                              ;   in Loop: Header=BB26_519 Depth=3
	v_or_b32_e32 v48, 0x10000, v90
	v_cmp_eq_u32_sdwa vcc, v90, v3 src0_sel:WORD_0 src1_sel:DWORD
	s_nop 1
	v_cndmask_b32_e32 v48, v48, v90, vcc
; %bb.547:                              ;   in Loop: Header=BB26_519 Depth=3
	s_or_b64 exec, exec, s[94:95]
	v_lshlrev_b32_e32 v51, 16, v51
	v_lshlrev_b32_e32 v82, 16, v89
	v_max_f32_e32 v82, v82, v82
	v_max_f32_e32 v51, v51, v51
	v_min_f32_e32 v89, v51, v82
	v_max_f32_e32 v51, v51, v82
	v_cndmask_b32_e64 v89, v51, v89, s[26:27]
	v_and_b32_e32 v51, 0x7f800000, v89
	v_cmp_ne_u32_e32 vcc, s67, v51
                                        ; implicit-def: $vgpr51
	s_and_saveexec_b64 s[94:95], vcc
	s_xor_b64 s[94:95], exec, s[94:95]
; %bb.548:                              ;   in Loop: Header=BB26_519 Depth=3
	v_bfe_u32 v51, v89, 16, 1
	v_add3_u32 v51, v89, v51, s68
                                        ; implicit-def: $vgpr89
; %bb.549:                              ;   in Loop: Header=BB26_519 Depth=3
	s_andn2_saveexec_b64 s[94:95], s[94:95]
; %bb.550:                              ;   in Loop: Header=BB26_519 Depth=3
	v_or_b32_e32 v51, 0x10000, v89
	v_cmp_eq_u32_sdwa vcc, v89, v3 src0_sel:WORD_0 src1_sel:DWORD
	s_nop 1
	v_cndmask_b32_e32 v51, v51, v89, vcc
; %bb.551:                              ;   in Loop: Header=BB26_519 Depth=3
	s_or_b64 exec, exec, s[94:95]
	v_lshlrev_b32_e32 v82, 16, v78
	v_lshlrev_b32_e32 v78, 16, v88
	v_max_f32_e32 v78, v78, v78
	v_max_f32_e32 v82, v82, v82
	v_min_f32_e32 v88, v82, v78
	v_max_f32_e32 v82, v82, v78
	v_cndmask_b32_e64 v88, v82, v88, s[26:27]
	v_and_b32_e32 v82, 0x7f800000, v88
	v_cmp_ne_u32_e32 vcc, s67, v82
                                        ; implicit-def: $vgpr78
	s_and_saveexec_b64 s[94:95], vcc
	s_xor_b64 s[94:95], exec, s[94:95]
; %bb.552:                              ;   in Loop: Header=BB26_519 Depth=3
	v_bfe_u32 v82, v88, 16, 1
	v_add3_u32 v78, v88, v82, s68
                                        ; implicit-def: $vgpr88
; %bb.553:                              ;   in Loop: Header=BB26_519 Depth=3
	s_andn2_saveexec_b64 s[94:95], s[94:95]
; %bb.554:                              ;   in Loop: Header=BB26_519 Depth=3
	v_or_b32_e32 v82, 0x10000, v88
	v_cmp_eq_u32_sdwa vcc, v88, v3 src0_sel:WORD_0 src1_sel:DWORD
	s_nop 1
	v_cndmask_b32_e32 v78, v82, v88, vcc
; %bb.555:                              ;   in Loop: Header=BB26_519 Depth=3
	s_or_b64 exec, exec, s[94:95]
	v_lshlrev_b32_e32 v49, 16, v49
	v_lshlrev_b32_e32 v82, 16, v79
	v_max_f32_e32 v82, v82, v82
	v_max_f32_e32 v49, v49, v49
	v_min_f32_e32 v79, v49, v82
	v_max_f32_e32 v49, v49, v82
	v_cndmask_b32_e64 v79, v49, v79, s[26:27]
	v_and_b32_e32 v49, 0x7f800000, v79
	v_cmp_ne_u32_e32 vcc, s67, v49
                                        ; implicit-def: $vgpr49
	s_and_saveexec_b64 s[94:95], vcc
	s_xor_b64 s[94:95], exec, s[94:95]
; %bb.556:                              ;   in Loop: Header=BB26_519 Depth=3
	v_bfe_u32 v49, v79, 16, 1
	v_add3_u32 v49, v79, v49, s68
                                        ; implicit-def: $vgpr79
; %bb.557:                              ;   in Loop: Header=BB26_519 Depth=3
	s_andn2_saveexec_b64 s[94:95], s[94:95]
; %bb.558:                              ;   in Loop: Header=BB26_519 Depth=3
	v_or_b32_e32 v49, 0x10000, v79
	v_cmp_eq_u32_sdwa vcc, v79, v3 src0_sel:WORD_0 src1_sel:DWORD
	s_nop 1
	v_cndmask_b32_e32 v49, v49, v79, vcc
; %bb.559:                              ;   in Loop: Header=BB26_519 Depth=3
	s_or_b64 exec, exec, s[94:95]
	v_lshlrev_b32_e32 v38, 16, v38
	v_lshlrev_b32_e32 v50, 16, v50
	v_max_f32_e32 v50, v50, v50
	v_max_f32_e32 v38, v38, v38
	v_min_f32_e32 v82, v38, v50
	v_max_f32_e32 v38, v38, v50
	v_cndmask_b32_e64 v50, v38, v82, s[26:27]
	v_and_b32_e32 v38, 0x7f800000, v50
	v_cmp_ne_u32_e32 vcc, s67, v38
                                        ; implicit-def: $vgpr38
	s_and_saveexec_b64 s[94:95], vcc
	s_xor_b64 s[94:95], exec, s[94:95]
; %bb.560:                              ;   in Loop: Header=BB26_519 Depth=3
	v_bfe_u32 v38, v50, 16, 1
	v_add3_u32 v38, v50, v38, s68
                                        ; implicit-def: $vgpr50
; %bb.561:                              ;   in Loop: Header=BB26_519 Depth=3
	s_andn2_saveexec_b64 s[94:95], s[94:95]
; %bb.562:                              ;   in Loop: Header=BB26_519 Depth=3
	v_or_b32_e32 v38, 0x10000, v50
	v_cmp_eq_u32_sdwa vcc, v50, v3 src0_sel:WORD_0 src1_sel:DWORD
	s_nop 1
	v_cndmask_b32_e32 v38, v38, v50, vcc
; %bb.563:                              ;   in Loop: Header=BB26_519 Depth=3
	s_or_b64 exec, exec, s[94:95]
	v_lshlrev_b32_e32 v35, 16, v35
	v_lshlrev_b32_e32 v39, 16, v39
	v_max_f32_e32 v39, v39, v39
	v_max_f32_e32 v35, v35, v35
	v_min_f32_e32 v50, v35, v39
	v_max_f32_e32 v35, v35, v39
	v_cndmask_b32_e64 v39, v35, v50, s[26:27]
	v_and_b32_e32 v35, 0x7f800000, v39
	v_cmp_ne_u32_e32 vcc, s67, v35
                                        ; implicit-def: $vgpr35
	s_and_saveexec_b64 s[94:95], vcc
	s_xor_b64 s[94:95], exec, s[94:95]
; %bb.564:                              ;   in Loop: Header=BB26_519 Depth=3
	v_bfe_u32 v35, v39, 16, 1
	v_add3_u32 v35, v39, v35, s68
                                        ; implicit-def: $vgpr39
; %bb.565:                              ;   in Loop: Header=BB26_519 Depth=3
	s_andn2_saveexec_b64 s[94:95], s[94:95]
; %bb.566:                              ;   in Loop: Header=BB26_519 Depth=3
	v_or_b32_e32 v35, 0x10000, v39
	v_cmp_eq_u32_sdwa vcc, v39, v3 src0_sel:WORD_0 src1_sel:DWORD
	s_nop 1
	v_cndmask_b32_e32 v35, v35, v39, vcc
; %bb.567:                              ;   in Loop: Header=BB26_519 Depth=3
	s_or_b64 exec, exec, s[94:95]
	v_lshlrev_b32_e32 v32, 16, v32
	v_lshlrev_b32_e32 v36, 16, v36
	v_max_f32_e32 v36, v36, v36
	v_max_f32_e32 v32, v32, v32
	v_min_f32_e32 v39, v32, v36
	v_max_f32_e32 v32, v32, v36
	v_cndmask_b32_e64 v36, v32, v39, s[26:27]
	v_and_b32_e32 v32, 0x7f800000, v36
	v_cmp_ne_u32_e32 vcc, s67, v32
                                        ; implicit-def: $vgpr32
	s_and_saveexec_b64 s[94:95], vcc
	s_xor_b64 s[94:95], exec, s[94:95]
; %bb.568:                              ;   in Loop: Header=BB26_519 Depth=3
	v_bfe_u32 v32, v36, 16, 1
	v_add3_u32 v32, v36, v32, s68
                                        ; implicit-def: $vgpr36
; %bb.569:                              ;   in Loop: Header=BB26_519 Depth=3
	s_andn2_saveexec_b64 s[94:95], s[94:95]
; %bb.570:                              ;   in Loop: Header=BB26_519 Depth=3
	v_or_b32_e32 v32, 0x10000, v36
	v_cmp_eq_u32_sdwa vcc, v36, v3 src0_sel:WORD_0 src1_sel:DWORD
	s_nop 1
	v_cndmask_b32_e32 v32, v32, v36, vcc
; %bb.571:                              ;   in Loop: Header=BB26_519 Depth=3
	s_or_b64 exec, exec, s[94:95]
	v_lshlrev_b32_e32 v24, 16, v24
	v_lshlrev_b32_e32 v33, 16, v33
	v_max_f32_e32 v33, v33, v33
	v_max_f32_e32 v24, v24, v24
	v_min_f32_e32 v36, v24, v33
	v_max_f32_e32 v24, v24, v33
	v_cndmask_b32_e64 v33, v24, v36, s[26:27]
	v_and_b32_e32 v24, 0x7f800000, v33
	v_cmp_ne_u32_e32 vcc, s67, v24
                                        ; implicit-def: $vgpr24
	s_and_saveexec_b64 s[94:95], vcc
	s_xor_b64 s[94:95], exec, s[94:95]
; %bb.572:                              ;   in Loop: Header=BB26_519 Depth=3
	v_bfe_u32 v24, v33, 16, 1
	v_add3_u32 v24, v33, v24, s68
                                        ; implicit-def: $vgpr33
; %bb.573:                              ;   in Loop: Header=BB26_519 Depth=3
	s_andn2_saveexec_b64 s[94:95], s[94:95]
; %bb.574:                              ;   in Loop: Header=BB26_519 Depth=3
	v_or_b32_e32 v24, 0x10000, v33
	v_cmp_eq_u32_sdwa vcc, v33, v3 src0_sel:WORD_0 src1_sel:DWORD
	s_nop 1
	v_cndmask_b32_e32 v24, v24, v33, vcc
; %bb.575:                              ;   in Loop: Header=BB26_519 Depth=3
	s_or_b64 exec, exec, s[94:95]
	v_lshlrev_b32_e32 v21, 16, v21
	v_lshlrev_b32_e32 v26, 16, v26
	v_max_f32_e32 v26, v26, v26
	v_max_f32_e32 v21, v21, v21
	v_min_f32_e32 v33, v21, v26
	v_max_f32_e32 v21, v21, v26
	v_cndmask_b32_e64 v26, v21, v33, s[26:27]
	v_and_b32_e32 v21, 0x7f800000, v26
	v_cmp_ne_u32_e32 vcc, s67, v21
                                        ; implicit-def: $vgpr21
	s_and_saveexec_b64 s[94:95], vcc
	s_xor_b64 s[94:95], exec, s[94:95]
; %bb.576:                              ;   in Loop: Header=BB26_519 Depth=3
	v_bfe_u32 v21, v26, 16, 1
	v_add3_u32 v21, v26, v21, s68
                                        ; implicit-def: $vgpr26
; %bb.577:                              ;   in Loop: Header=BB26_519 Depth=3
	s_andn2_saveexec_b64 s[94:95], s[94:95]
; %bb.578:                              ;   in Loop: Header=BB26_519 Depth=3
	v_or_b32_e32 v21, 0x10000, v26
	v_cmp_eq_u32_sdwa vcc, v26, v3 src0_sel:WORD_0 src1_sel:DWORD
	s_nop 1
	v_cndmask_b32_e32 v21, v21, v26, vcc
; %bb.579:                              ;   in Loop: Header=BB26_519 Depth=3
	s_or_b64 exec, exec, s[94:95]
	v_lshlrev_b32_e32 v19, 16, v19
	v_lshlrev_b32_e32 v22, 16, v22
	v_max_f32_e32 v22, v22, v22
	v_max_f32_e32 v19, v19, v19
	v_min_f32_e32 v26, v19, v22
	v_max_f32_e32 v19, v19, v22
	v_cndmask_b32_e64 v22, v19, v26, s[26:27]
	v_and_b32_e32 v19, 0x7f800000, v22
	v_cmp_ne_u32_e32 vcc, s67, v19
                                        ; implicit-def: $vgpr19
	s_and_saveexec_b64 s[94:95], vcc
	s_xor_b64 s[94:95], exec, s[94:95]
; %bb.580:                              ;   in Loop: Header=BB26_519 Depth=3
	v_bfe_u32 v19, v22, 16, 1
	v_add3_u32 v19, v22, v19, s68
                                        ; implicit-def: $vgpr22
; %bb.581:                              ;   in Loop: Header=BB26_519 Depth=3
	s_andn2_saveexec_b64 s[94:95], s[94:95]
	s_cbranch_execz .LBB26_518
; %bb.582:                              ;   in Loop: Header=BB26_519 Depth=3
	v_or_b32_e32 v19, 0x10000, v22
	v_cmp_eq_u32_sdwa vcc, v22, v3 src0_sel:WORD_0 src1_sel:DWORD
	s_nop 1
	v_cndmask_b32_e32 v19, v19, v22, vcc
	s_branch .LBB26_518
.LBB26_583:                             ;   in Loop: Header=BB26_265 Depth=2
	s_or_b64 exec, exec, s[92:93]
.LBB26_584:                             ;   in Loop: Header=BB26_265 Depth=2
	s_or_b64 exec, exec, s[90:91]
	v_lshlrev_b32_e32 v8, 11, v18
	v_cmp_ne_u32_e32 vcc, v73, v8
	s_and_b64 exec, exec, vcc
	s_cbranch_execz .LBB26_592
; %bb.585:                              ;   in Loop: Header=BB26_265 Depth=2
	v_lshlrev_b32_e32 v9, 6, v16
	v_sub_u32_e32 v9, v15, v9
	v_lshlrev_b32_e32 v10, 6, v17
	v_sub_u32_e32 v9, v9, v10
	v_ashrrev_i32_e32 v10, 31, v9
	v_lshrrev_b32_e32 v10, 26, v10
	v_add_u32_e32 v10, v9, v10
	v_and_b32_e32 v11, 0x7fffffc0, v10
	v_sub_u32_e32 v9, v9, v11
	v_lshlrev_b32_e32 v10, 1, v10
	v_and_b32_e32 v10, 0xffffff80, v10
	v_lshlrev_b32_e32 v9, 1, v9
	v_add3_u32 v8, v10, v9, v8
	v_sub_u32_e32 v15, v73, v8
	v_cmp_lt_i32_e32 vcc, 1, v15
	s_and_b64 exec, exec, vcc
	s_cbranch_execz .LBB26_592
; %bb.586:                              ;   in Loop: Header=BB26_265 Depth=2
	s_trap 2
	ds_read_b64 v[10:11], v0
	v_add_u32_e32 v12, v8, v14
	s_and_b32 s56, s34, 1
	v_ashrrev_i32_e32 v13, 31, v12
	s_cmp_eq_u64 s[56:57], 0
	v_lshl_add_u64 v[8:9], v[12:13], 0, v[74:75]
	s_waitcnt lgkmcnt(0)
	v_lshl_add_u64 v[10:11], v[10:11], 0, v[12:13]
	v_lshl_add_u64 v[12:13], v[12:13], 0, v[76:77]
	s_mov_b64 s[90:91], 0
	s_cselect_b64 vcc, -1, 0
	s_branch .LBB26_588
.LBB26_587:                             ;   in Loop: Header=BB26_588 Depth=3
	s_or_b64 exec, exec, s[92:93]
	v_sub_u32_e32 v15, v15, v112
	v_cmp_gt_i32_e64 s[26:27], 2, v15
	flat_store_short_d16_hi v[12:13], v16 nt
	v_lshl_add_u64 v[8:9], v[8:9], 0, v[112:113]
	v_lshl_add_u64 v[10:11], v[10:11], 0, v[112:113]
	s_or_b64 s[90:91], s[26:27], s[90:91]
	v_lshl_add_u64 v[12:13], v[12:13], 0, v[112:113]
	s_andn2_b64 exec, exec, s[90:91]
	s_cbranch_execz .LBB26_592
.LBB26_588:                             ;   Parent Loop BB26_47 Depth=1
                                        ;     Parent Loop BB26_265 Depth=2
                                        ; =>    This Inner Loop Header: Depth=3
	flat_load_ushort v14, v[10:11] nt
	flat_load_ushort v16, v[8:9] nt
	s_waitcnt vmcnt(0) lgkmcnt(0)
	v_lshlrev_b32_e32 v14, 16, v14
	v_lshlrev_b32_e32 v16, 16, v16
	v_max_f32_e32 v14, v14, v14
	v_max_f32_e32 v16, v16, v16
	v_min_f32_e32 v17, v16, v14
	v_max_f32_e32 v14, v16, v14
	v_cndmask_b32_e32 v14, v14, v17, vcc
	v_and_b32_e32 v16, 0x7f800000, v14
	v_cmp_ne_u32_e64 s[26:27], s67, v16
                                        ; implicit-def: $vgpr16
	s_and_saveexec_b64 s[92:93], s[26:27]
	s_xor_b64 s[26:27], exec, s[92:93]
; %bb.589:                              ;   in Loop: Header=BB26_588 Depth=3
	v_bfe_u32 v16, v14, 16, 1
	v_add3_u32 v16, v14, v16, s68
                                        ; implicit-def: $vgpr14
; %bb.590:                              ;   in Loop: Header=BB26_588 Depth=3
	s_andn2_saveexec_b64 s[92:93], s[26:27]
	s_cbranch_execz .LBB26_587
; %bb.591:                              ;   in Loop: Header=BB26_588 Depth=3
	v_or_b32_e32 v16, 0x10000, v14
	v_cmp_eq_u32_sdwa s[26:27], v14, v3 src0_sel:WORD_0 src1_sel:DWORD
	s_nop 1
	v_cndmask_b32_e64 v16, v16, v14, s[26:27]
	s_branch .LBB26_587
.LBB26_592:                             ;   in Loop: Header=BB26_265 Depth=2
	s_or_b64 exec, exec, s[28:29]
	v_cmp_lt_i32_e64 s[26:27], 0, v2
	s_and_saveexec_b64 s[28:29], s[6:7]
	s_cbranch_execz .LBB26_341
.LBB26_593:                             ;   in Loop: Header=BB26_265 Depth=2
	s_and_saveexec_b64 s[90:91], s[58:59]
	s_xor_b64 s[90:91], exec, s[90:91]
	s_cbranch_execz .LBB26_608
; %bb.594:                              ;   in Loop: Header=BB26_265 Depth=2
	s_and_saveexec_b64 s[92:93], s[14:15]
	s_cbranch_execz .LBB26_607
; %bb.595:                              ;   in Loop: Header=BB26_265 Depth=2
	s_mov_b64 s[30:31], exec
	v_mbcnt_lo_u32_b32 v2, s30, 0
	v_mbcnt_hi_u32_b32 v2, s31, v2
	v_cmp_eq_u32_e32 vcc, 0, v2
	s_waitcnt lgkmcnt(0)
	s_and_saveexec_b64 s[94:95], vcc
	s_cbranch_execz .LBB26_597
; %bb.596:                              ;   in Loop: Header=BB26_265 Depth=2
	s_bcnt1_i32_b64 s56, s[30:31]
	v_mov_b32_e32 v2, s56
	ds_add_u64 v0, v[2:3]
	s_trap 2
.LBB26_597:                             ;   in Loop: Header=BB26_265 Depth=2
	s_or_b64 exec, exec, s[94:95]
	s_trap 2
	ds_read_b64 v[8:9], v0
	s_waitcnt lgkmcnt(0)
	v_lshl_add_u64 v[70:71], v[70:71], 0, v[84:85]
	v_cmp_lt_u64_e32 vcc, v[8:9], v[70:71]
	s_and_saveexec_b64 s[94:95], vcc
	s_cbranch_execz .LBB26_606
; %bb.598:                              ;   in Loop: Header=BB26_265 Depth=2
	s_mov_b32 s56, 0
	s_mov_b64 s[30:31], 0
                                        ; implicit-def: $sgpr34_sgpr35
                                        ; implicit-def: $sgpr36_sgpr37
	s_branch .LBB26_600
.LBB26_599:                             ;   in Loop: Header=BB26_600 Depth=3
	s_or_b64 exec, exec, s[48:49]
	s_and_b64 vcc, exec, vcc
	s_or_b64 s[30:31], vcc, s[30:31]
	s_andn2_b64 vcc, s[34:35], exec
	s_and_b64 s[34:35], s[36:37], exec
	s_or_b64 s[34:35], vcc, s[34:35]
	s_andn2_b64 exec, exec, s[30:31]
	s_cbranch_execz .LBB26_604
.LBB26_600:                             ;   Parent Loop BB26_47 Depth=1
                                        ;     Parent Loop BB26_265 Depth=2
                                        ; =>    This Inner Loop Header: Depth=3
	s_add_i32 s56, s56, 1
	s_cmpk_lg_i32 s56, 0x2710
	s_cselect_b64 s[38:39], -1, 0
	s_and_b64 vcc, exec, s[38:39]
	s_cbranch_vccz .LBB26_602
; %bb.601:                              ;   in Loop: Header=BB26_600 Depth=3
	s_mov_b64 vcc, -1
	s_or_b64 s[36:37], s[36:37], exec
	s_and_saveexec_b64 s[48:49], s[38:39]
	s_cbranch_execz .LBB26_599
	s_branch .LBB26_603
.LBB26_602:                             ;   in Loop: Header=BB26_600 Depth=3
	s_trap 2
	ds_read_b64 v[8:9], v0
	s_andn2_b64 s[38:39], s[38:39], exec
	s_mov_b32 s56, 0
	s_waitcnt vmcnt(0) lgkmcnt(0)
	flat_load_dword v2, v[8:9] sc0 sc1
	s_waitcnt vmcnt(0) lgkmcnt(0)
	buffer_inv sc0 sc1
	v_cmp_eq_u32_e32 vcc, 0, v2
	s_and_b64 vcc, vcc, exec
	s_or_b64 s[38:39], s[38:39], vcc
	s_mov_b64 vcc, -1
	s_or_b64 s[36:37], s[36:37], exec
	s_and_saveexec_b64 s[48:49], s[38:39]
	s_cbranch_execz .LBB26_599
.LBB26_603:                             ;   in Loop: Header=BB26_600 Depth=3
	s_sleep 1
	s_trap 2
	ds_read_b64 v[8:9], v0
	s_waitcnt lgkmcnt(0)
	s_andn2_b64 s[36:37], s[36:37], exec
	v_cmp_ge_u64_e32 vcc, v[8:9], v[70:71]
	s_orn2_b64 vcc, vcc, exec
	s_branch .LBB26_599
.LBB26_604:                             ;   in Loop: Header=BB26_265 Depth=2
	s_or_b64 exec, exec, s[30:31]
	s_and_saveexec_b64 vcc, s[34:35]
	s_xor_b64 vcc, exec, vcc
	s_cbranch_execz .LBB26_606
; %bb.605:                              ;   in Loop: Header=BB26_265 Depth=2
	ds_write_b32 v0, v107
	s_trap 2
.LBB26_606:                             ;   in Loop: Header=BB26_265 Depth=2
	s_or_b64 exec, exec, s[94:95]
	;;#ASMSTART
	s_wakeup
	;;#ASMEND
.LBB26_607:                             ;   in Loop: Header=BB26_265 Depth=2
	s_or_b64 exec, exec, s[92:93]
.LBB26_608:                             ;   in Loop: Header=BB26_265 Depth=2
	s_andn2_saveexec_b64 s[90:91], s[90:91]
	s_cbranch_execz .LBB26_610
; %bb.609:                              ;   in Loop: Header=BB26_265 Depth=2
	s_waitcnt lgkmcnt(0)
	s_barrier
.LBB26_610:                             ;   in Loop: Header=BB26_265 Depth=2
	s_or_b64 exec, exec, s[90:91]
	s_or_b64 exec, exec, s[28:29]
                                        ; implicit-def: $vgpr2
	s_and_saveexec_b64 s[28:29], s[22:23]
	s_xor_b64 s[28:29], exec, s[28:29]
	s_cbranch_execnz .LBB26_342
.LBB26_611:                             ;   in Loop: Header=BB26_265 Depth=2
	s_andn2_saveexec_b64 s[26:27], s[28:29]
	s_cbranch_execz .LBB26_630
.LBB26_612:                             ;   in Loop: Header=BB26_265 Depth=2
	s_and_saveexec_b64 s[28:29], s[58:59]
	s_xor_b64 s[28:29], exec, s[28:29]
	s_cbranch_execz .LBB26_627
; %bb.613:                              ;   in Loop: Header=BB26_265 Depth=2
	s_and_saveexec_b64 s[90:91], s[14:15]
	s_cbranch_execz .LBB26_626
; %bb.614:                              ;   in Loop: Header=BB26_265 Depth=2
	s_mov_b64 s[94:95], exec
	v_mbcnt_lo_u32_b32 v2, s94, 0
	v_mbcnt_hi_u32_b32 v2, s95, v2
	v_cmp_eq_u32_e32 vcc, 0, v2
	;;#ASMSTART
	s_waitcnt lgkmcnt(0) vmcnt(0)
	;;#ASMEND
	s_and_saveexec_b64 s[92:93], vcc
	s_cbranch_execz .LBB26_616
; %bb.615:                              ;   in Loop: Header=BB26_265 Depth=2
	s_bcnt1_i32_b64 s56, s[94:95]
	v_mov_b32_e32 v2, s56
	s_waitcnt lgkmcnt(0)
	ds_add_u64 v0, v[2:3]
	s_trap 2
.LBB26_616:                             ;   in Loop: Header=BB26_265 Depth=2
	s_or_b64 exec, exec, s[92:93]
	s_trap 2
	ds_read_b64 v[8:9], v0
	s_waitcnt lgkmcnt(0)
	v_lshl_add_u64 v[70:71], v[70:71], 0, v[84:85]
	v_cmp_lt_u64_e32 vcc, v[8:9], v[70:71]
	s_and_saveexec_b64 s[92:93], vcc
	s_cbranch_execz .LBB26_625
; %bb.617:                              ;   in Loop: Header=BB26_265 Depth=2
	s_mov_b32 s56, 0
	s_mov_b64 s[94:95], 0
                                        ; implicit-def: $sgpr30_sgpr31
                                        ; implicit-def: $sgpr34_sgpr35
	s_branch .LBB26_619
.LBB26_618:                             ;   in Loop: Header=BB26_619 Depth=3
	s_or_b64 exec, exec, s[38:39]
	s_and_b64 vcc, exec, vcc
	s_or_b64 s[94:95], vcc, s[94:95]
	s_andn2_b64 vcc, s[30:31], exec
	s_and_b64 s[30:31], s[34:35], exec
	s_or_b64 s[30:31], vcc, s[30:31]
	s_andn2_b64 exec, exec, s[94:95]
	s_cbranch_execz .LBB26_623
.LBB26_619:                             ;   Parent Loop BB26_47 Depth=1
                                        ;     Parent Loop BB26_265 Depth=2
                                        ; =>    This Inner Loop Header: Depth=3
	s_add_i32 s56, s56, 1
	s_cmpk_lg_i32 s56, 0x2710
	s_cselect_b64 s[36:37], -1, 0
	s_and_b64 vcc, exec, s[36:37]
	s_cbranch_vccz .LBB26_621
; %bb.620:                              ;   in Loop: Header=BB26_619 Depth=3
	s_mov_b64 vcc, -1
	s_or_b64 s[34:35], s[34:35], exec
	s_and_saveexec_b64 s[38:39], s[36:37]
	s_cbranch_execz .LBB26_618
	s_branch .LBB26_622
.LBB26_621:                             ;   in Loop: Header=BB26_619 Depth=3
	s_trap 2
	ds_read_b64 v[8:9], v0
	s_andn2_b64 s[36:37], s[36:37], exec
	s_mov_b32 s56, 0
	s_waitcnt vmcnt(0) lgkmcnt(0)
	flat_load_dword v2, v[8:9] sc0 sc1
	s_waitcnt vmcnt(0) lgkmcnt(0)
	buffer_inv sc0 sc1
	v_cmp_eq_u32_e32 vcc, 0, v2
	s_and_b64 vcc, vcc, exec
	s_or_b64 s[36:37], s[36:37], vcc
	s_mov_b64 vcc, -1
	s_or_b64 s[34:35], s[34:35], exec
	s_and_saveexec_b64 s[38:39], s[36:37]
	s_cbranch_execz .LBB26_618
.LBB26_622:                             ;   in Loop: Header=BB26_619 Depth=3
	s_sleep 1
	s_trap 2
	ds_read_b64 v[8:9], v0
	s_waitcnt lgkmcnt(0)
	s_andn2_b64 s[34:35], s[34:35], exec
	v_cmp_ge_u64_e32 vcc, v[8:9], v[70:71]
	s_orn2_b64 vcc, vcc, exec
	s_branch .LBB26_618
.LBB26_623:                             ;   in Loop: Header=BB26_265 Depth=2
	s_or_b64 exec, exec, s[94:95]
	s_and_saveexec_b64 s[94:95], s[30:31]
	s_xor_b64 s[94:95], exec, s[94:95]
	s_cbranch_execz .LBB26_625
; %bb.624:                              ;   in Loop: Header=BB26_265 Depth=2
	ds_write_b32 v0, v107
	s_trap 2
.LBB26_625:                             ;   in Loop: Header=BB26_265 Depth=2
	s_or_b64 exec, exec, s[92:93]
	;;#ASMSTART
	s_wakeup
	;;#ASMEND
.LBB26_626:                             ;   in Loop: Header=BB26_265 Depth=2
	s_or_b64 exec, exec, s[90:91]
.LBB26_627:                             ;   in Loop: Header=BB26_265 Depth=2
	s_andn2_saveexec_b64 s[28:29], s[28:29]
	s_cbranch_execz .LBB26_629
; %bb.628:                              ;   in Loop: Header=BB26_265 Depth=2
	;;#ASMSTART
	s_waitcnt lgkmcnt(0) vmcnt(0)
	;;#ASMEND
	s_barrier
.LBB26_629:                             ;   in Loop: Header=BB26_265 Depth=2
	s_or_b64 exec, exec, s[28:29]
	v_and_b32_e32 v2, 16, v104
.LBB26_630:                             ;   in Loop: Header=BB26_265 Depth=2
	s_or_b64 exec, exec, s[26:27]
	v_cmp_ne_u32_e32 vcc, 0, v2
	s_xor_b64 s[26:27], s[10:11], -1
	s_and_b64 s[28:29], vcc, s[26:27]
	s_and_saveexec_b64 s[26:27], s[28:29]
	s_cbranch_execz .LBB26_632
; %bb.631:                              ;   in Loop: Header=BB26_265 Depth=2
	flat_store_dword v[68:69], v107 sc0 sc1
.LBB26_632:                             ;   in Loop: Header=BB26_265 Depth=2
	s_or_b64 exec, exec, s[26:27]
	v_and_b32_e32 v2, 48, v104
	v_cmp_ne_u32_e32 vcc, 0, v2
	s_and_saveexec_b64 s[26:27], vcc
	s_cbranch_execz .LBB26_634
; %bb.633:                              ;   in Loop: Header=BB26_265 Depth=2
	v_lshl_add_u64 v[58:59], v[58:59], 0, 4
	flat_store_dwordx2 v[64:65], v[58:59] sc0 sc1
.LBB26_634:                             ;   in Loop: Header=BB26_265 Depth=2
	s_or_b64 exec, exec, s[26:27]
	v_mov_b32_e32 v2, v72
.LBB26_635:                             ;   in Loop: Header=BB26_265 Depth=2
	s_or_b64 exec, exec, s[42:43]
	s_and_saveexec_b64 s[28:29], s[40:41]
	s_cbranch_execz .LBB26_264
; %bb.636:                              ;   in Loop: Header=BB26_265 Depth=2
	v_sub_u32_e32 v2, v92, v2
	v_min_i32_e32 v8, v72, v2
	v_and_b32_e32 v2, 12, v104
	v_cmp_ne_u32_e32 vcc, 0, v2
	s_and_saveexec_b64 s[40:41], vcc
	s_cbranch_execz .LBB26_646
; %bb.637:                              ;   in Loop: Header=BB26_265 Depth=2
	v_and_b32_e32 v2, 8, v104
	s_waitcnt vmcnt(0) lgkmcnt(0)
	v_lshl_add_u64 v[12:13], v[80:81], 0, v[2:3]
	v_lshl_add_u64 v[10:11], v[58:59], 0, 4
	v_cmp_lt_u64_e32 vcc, v[12:13], v[10:11]
	s_and_saveexec_b64 s[42:43], vcc
	s_cbranch_execz .LBB26_662
; %bb.638:                              ;   in Loop: Header=BB26_265 Depth=2
	v_and_b32_e32 v9, 64, v104
	s_mov_b32 s56, 0
	v_cmp_eq_u32_e32 vcc, 0, v9
	s_mov_b64 s[90:91], 0
                                        ; implicit-def: $sgpr92_sgpr93
                                        ; implicit-def: $sgpr94_sgpr95
                                        ; implicit-def: $sgpr30_sgpr31
	s_branch .LBB26_642
.LBB26_639:                             ;   in Loop: Header=BB26_642 Depth=3
	s_waitcnt vmcnt(0) lgkmcnt(0)
	v_lshl_add_u64 v[12:13], v[80:81], 0, v[2:3]
	v_cmp_ge_u64_e64 s[26:27], v[12:13], v[10:11]
	s_or_b64 s[38:39], s[38:39], exec
	s_orn2_b64 s[36:37], s[26:27], exec
.LBB26_640:                             ;   in Loop: Header=BB26_642 Depth=3
	s_or_b64 exec, exec, s[50:51]
	s_andn2_b64 s[26:27], s[30:31], exec
	s_and_b64 s[30:31], s[38:39], exec
	s_or_b64 s[30:31], s[26:27], s[30:31]
	s_andn2_b64 s[26:27], s[94:95], exec
	s_and_b64 s[94:95], s[36:37], exec
	s_or_b64 s[94:95], s[26:27], s[94:95]
.LBB26_641:                             ;   in Loop: Header=BB26_642 Depth=3
	s_or_b64 exec, exec, s[34:35]
	s_and_b64 s[26:27], exec, s[94:95]
	s_or_b64 s[90:91], s[26:27], s[90:91]
	s_andn2_b64 s[26:27], s[92:93], exec
	s_and_b64 s[92:93], s[30:31], exec
	s_or_b64 s[92:93], s[26:27], s[92:93]
	s_andn2_b64 exec, exec, s[90:91]
	s_cbranch_execz .LBB26_659
.LBB26_642:                             ;   Parent Loop BB26_47 Depth=1
                                        ;     Parent Loop BB26_265 Depth=2
                                        ; =>    This Inner Loop Header: Depth=3
	s_sleep 1
	s_waitcnt vmcnt(0) lgkmcnt(0)
	flat_load_dwordx2 v[80:81], v[64:65] sc0 sc1
	s_or_b64 s[30:31], s[30:31], exec
	s_or_b64 s[94:95], s[94:95], exec
                                        ; implicit-def: $vgpr9
	s_and_saveexec_b64 s[34:35], vcc
	s_cbranch_execz .LBB26_641
; %bb.643:                              ;   in Loop: Header=BB26_642 Depth=3
	s_cmpk_lt_i32 s56, 0x270f
	s_cselect_b64 s[48:49], -1, 0
	s_cmpk_gt_i32 s56, 0x270e
	s_mov_b64 s[36:37], -1
	s_cbranch_scc0 .LBB26_645
; %bb.644:                              ;   in Loop: Header=BB26_642 Depth=3
	s_trap 2
	ds_read_b64 v[12:13], v0
	s_andn2_b64 s[48:49], s[48:49], exec
	s_mov_b32 s56, 0
	s_mov_b64 s[38:39], 0
	s_waitcnt vmcnt(0) lgkmcnt(0)
	flat_load_dword v9, v[12:13] sc0 sc1
	s_waitcnt vmcnt(0) lgkmcnt(0)
	buffer_inv sc0 sc1
	v_cmp_eq_u32_e64 s[26:27], 0, v9
	s_and_b64 s[26:27], s[26:27], exec
	s_or_b64 s[48:49], s[48:49], s[26:27]
	s_and_saveexec_b64 s[50:51], s[48:49]
	s_cbranch_execz .LBB26_640
	s_branch .LBB26_639
.LBB26_645:                             ;   in Loop: Header=BB26_642 Depth=3
	s_add_i32 s56, s56, 1
	s_mov_b64 s[38:39], -1
                                        ; implicit-def: $vgpr9
	s_and_saveexec_b64 s[50:51], s[48:49]
	s_cbranch_execz .LBB26_640
	s_branch .LBB26_639
.LBB26_646:                             ;   in Loop: Header=BB26_265 Depth=2
	s_or_b64 exec, exec, s[40:41]
	s_and_saveexec_b64 s[26:27], s[6:7]
	s_cbranch_execnz .LBB26_675
.LBB26_647:                             ;   in Loop: Header=BB26_265 Depth=2
	s_or_b64 exec, exec, s[26:27]
                                        ; implicit-def: $vgpr2
	s_and_saveexec_b64 s[26:27], s[78:79]
	s_xor_b64 s[26:27], exec, s[26:27]
	s_cbranch_execz .LBB26_700
.LBB26_648:                             ;   in Loop: Header=BB26_265 Depth=2
	s_and_saveexec_b64 s[40:41], s[58:59]
	s_xor_b64 s[40:41], exec, s[40:41]
	s_cbranch_execz .LBB26_690
; %bb.649:                              ;   in Loop: Header=BB26_265 Depth=2
	s_and_saveexec_b64 s[42:43], s[14:15]
	s_cbranch_execz .LBB26_689
; %bb.650:                              ;   in Loop: Header=BB26_265 Depth=2
	s_mov_b64 s[92:93], exec
	v_mbcnt_lo_u32_b32 v2, s92, 0
	v_mbcnt_hi_u32_b32 v2, s93, v2
	v_cmp_eq_u32_e32 vcc, 0, v2
	;;#ASMSTART
	s_waitcnt lgkmcnt(0) vmcnt(0)
	;;#ASMEND
	s_and_saveexec_b64 s[90:91], vcc
	s_cbranch_execz .LBB26_652
; %bb.651:                              ;   in Loop: Header=BB26_265 Depth=2
	s_bcnt1_i32_b64 s56, s[92:93]
	v_mov_b32_e32 v2, s56
	s_waitcnt lgkmcnt(0)
	ds_add_u64 v0, v[2:3]
	s_trap 2
.LBB26_652:                             ;   in Loop: Header=BB26_265 Depth=2
	s_or_b64 exec, exec, s[90:91]
	s_trap 2
	ds_read_b64 v[8:9], v0
	s_waitcnt lgkmcnt(0)
	v_lshl_add_u64 v[70:71], v[70:71], 0, v[84:85]
	v_cmp_lt_u64_e32 vcc, v[8:9], v[70:71]
	s_and_saveexec_b64 s[90:91], vcc
	s_cbranch_execz .LBB26_688
; %bb.653:                              ;   in Loop: Header=BB26_265 Depth=2
	s_mov_b32 s56, 0
	s_mov_b64 s[92:93], 0
                                        ; implicit-def: $sgpr94_sgpr95
                                        ; implicit-def: $sgpr30_sgpr31
	s_branch .LBB26_655
.LBB26_654:                             ;   in Loop: Header=BB26_655 Depth=3
	s_or_b64 exec, exec, s[36:37]
	s_and_b64 vcc, exec, vcc
	s_or_b64 s[92:93], vcc, s[92:93]
	s_andn2_b64 s[94:95], s[94:95], exec
	s_and_b64 vcc, s[30:31], exec
	s_or_b64 s[94:95], s[94:95], vcc
	s_andn2_b64 exec, exec, s[92:93]
	s_cbranch_execz .LBB26_686
.LBB26_655:                             ;   Parent Loop BB26_47 Depth=1
                                        ;     Parent Loop BB26_265 Depth=2
                                        ; =>    This Inner Loop Header: Depth=3
	s_add_i32 s56, s56, 1
	s_cmpk_lg_i32 s56, 0x2710
	s_cselect_b64 s[34:35], -1, 0
	s_and_b64 vcc, exec, s[34:35]
	s_cbranch_vccz .LBB26_657
; %bb.656:                              ;   in Loop: Header=BB26_655 Depth=3
	s_mov_b64 vcc, -1
	s_or_b64 s[30:31], s[30:31], exec
	s_and_saveexec_b64 s[36:37], s[34:35]
	s_cbranch_execz .LBB26_654
	s_branch .LBB26_658
.LBB26_657:                             ;   in Loop: Header=BB26_655 Depth=3
	s_trap 2
	ds_read_b64 v[8:9], v0
	s_andn2_b64 s[34:35], s[34:35], exec
	s_mov_b32 s56, 0
	s_waitcnt vmcnt(0) lgkmcnt(0)
	flat_load_dword v2, v[8:9] sc0 sc1
	s_waitcnt vmcnt(0) lgkmcnt(0)
	buffer_inv sc0 sc1
	v_cmp_eq_u32_e32 vcc, 0, v2
	s_and_b64 vcc, vcc, exec
	s_or_b64 s[34:35], s[34:35], vcc
	s_mov_b64 vcc, -1
	s_or_b64 s[30:31], s[30:31], exec
	s_and_saveexec_b64 s[36:37], s[34:35]
	s_cbranch_execz .LBB26_654
.LBB26_658:                             ;   in Loop: Header=BB26_655 Depth=3
	s_sleep 1
	s_trap 2
	ds_read_b64 v[8:9], v0
	s_waitcnt lgkmcnt(0)
	s_andn2_b64 s[30:31], s[30:31], exec
	v_cmp_ge_u64_e32 vcc, v[8:9], v[70:71]
	s_orn2_b64 vcc, vcc, exec
	s_branch .LBB26_654
.LBB26_659:                             ;   in Loop: Header=BB26_265 Depth=2
	s_or_b64 exec, exec, s[90:91]
	s_xor_b64 s[26:27], s[92:93], -1
	s_and_saveexec_b64 s[90:91], s[26:27]
	s_xor_b64 s[26:27], exec, s[90:91]
	s_cbranch_execz .LBB26_661
; %bb.660:                              ;   in Loop: Header=BB26_265 Depth=2
	v_or_b32_e32 v104, 64, v104
	s_waitcnt lgkmcnt(0)
	ds_write_b32 v0, v9
	s_trap 2
.LBB26_661:                             ;   in Loop: Header=BB26_265 Depth=2
	s_or_b64 exec, exec, s[26:27]
.LBB26_662:                             ;   in Loop: Header=BB26_265 Depth=2
	s_or_b64 exec, exec, s[42:43]
	v_and_b32_e32 v9, 0x108, v104
	v_cmp_ne_u32_e32 vcc, s66, v9
	;;#ASMSTART
	s_wakeup
	;;#ASMEND
                                        ; implicit-def: $vgpr12_vgpr13
	s_and_saveexec_b64 s[26:27], vcc
	s_xor_b64 s[26:27], exec, s[26:27]
; %bb.663:                              ;   in Loop: Header=BB26_265 Depth=2
	v_and_b32_e32 v12, 7, v58
	v_mov_b32_e32 v13, v3
                                        ; implicit-def: $vgpr58_vgpr59
; %bb.664:                              ;   in Loop: Header=BB26_265 Depth=2
	s_andn2_saveexec_b64 s[26:27], s[26:27]
	s_cbranch_execz .LBB26_666
; %bb.665:                              ;   in Loop: Header=BB26_265 Depth=2
	v_and_b32_e32 v12, 7, v58
	v_ashrrev_i32_e32 v9, 31, v8
	v_mov_b32_e32 v13, v3
	v_mad_u64_u32 v[14:15], s[42:43], v12, 24, v[6:7]
	v_lshlrev_b64 v[16:17], 1, v[8:9]
	flat_store_dwordx2 v[14:15], v[16:17] offset:8
.LBB26_666:                             ;   in Loop: Header=BB26_265 Depth=2
	s_or_b64 exec, exec, s[26:27]
	v_and_b32_e32 v9, 0x100, v104
	v_cmp_ne_u32_e32 vcc, 0, v9
	s_mov_b64 s[26:27], -1
                                        ; implicit-def: $vgpr14_vgpr15
	s_and_saveexec_b64 s[42:43], vcc
	s_cbranch_execz .LBB26_670
; %bb.667:                              ;   in Loop: Header=BB26_265 Depth=2
	v_mad_u64_u32 v[16:17], s[26:27], v12, 24, v[6:7]
	v_mov_b32_e32 v14, v17
	v_mad_u64_u32 v[14:15], s[26:27], v13, 24, v[14:15]
	v_mov_b32_e32 v17, v14
	flat_load_dword v9, v[16:17]
                                        ; implicit-def: $vgpr14_vgpr15
	s_waitcnt vmcnt(0) lgkmcnt(0)
	v_cmp_ne_u32_e32 vcc, 1, v9
	v_cmp_eq_u32_e64 s[26:27], 1, v9
	s_and_saveexec_b64 s[90:91], s[26:27]
	s_cbranch_execz .LBB26_669
; %bb.668:                              ;   in Loop: Header=BB26_265 Depth=2
	flat_load_dword v14, v[16:17] offset:4 sc0 sc1
	s_waitcnt vmcnt(0) lgkmcnt(0)
	v_ashrrev_i32_e32 v15, 31, v14
	v_lshrrev_b64 v[14:15], 1, v[14:15]
.LBB26_669:                             ;   in Loop: Header=BB26_265 Depth=2
	s_or_b64 exec, exec, s[90:91]
	s_orn2_b64 s[26:27], vcc, exec
.LBB26_670:                             ;   in Loop: Header=BB26_265 Depth=2
	s_or_b64 exec, exec, s[42:43]
	s_and_saveexec_b64 s[42:43], s[26:27]
; %bb.671:                              ;   in Loop: Header=BB26_265 Depth=2
	v_mul_lo_u32 v9, v13, v30
	v_mul_lo_u32 v13, v12, v83
	v_mad_u64_u32 v[14:15], s[26:27], v12, v30, 0
	v_add3_u32 v15, v15, v13, v9
; %bb.672:                              ;   in Loop: Header=BB26_265 Depth=2
	s_or_b64 exec, exec, s[42:43]
	v_cmp_eq_u32_e32 vcc, 0, v2
	v_lshl_add_u64 v[12:13], v[14:15], 1, v[66:67]
	s_nop 0
	v_cndmask_b32_e32 v2, v108, v109, vcc
	v_add_u32_e32 v2, v0, v2
	ds_write_b64 v2, v[12:13] offset:584
	v_and_b32_e32 v2, 0x2000, v104
	v_cmp_ne_u32_e32 vcc, 0, v2
	s_and_saveexec_b64 s[26:27], vcc
	s_cbranch_execz .LBB26_674
; %bb.673:                              ;   in Loop: Header=BB26_265 Depth=2
	ds_read_b64 v[12:13], v0 offset:872
	s_waitcnt lgkmcnt(0)
	v_lshl_add_u64 v[12:13], v[12:13], 0, 1
	ds_write_b64 v0, v[12:13] offset:872
.LBB26_674:                             ;   in Loop: Header=BB26_265 Depth=2
	s_or_b64 exec, exec, s[26:27]
	v_mov_b64_e32 v[58:59], v[10:11]
	s_or_b64 exec, exec, s[40:41]
	s_and_saveexec_b64 s[26:27], s[6:7]
	s_cbranch_execz .LBB26_647
.LBB26_675:                             ;   in Loop: Header=BB26_265 Depth=2
	s_and_saveexec_b64 s[40:41], s[58:59]
	s_xor_b64 s[40:41], exec, s[40:41]
	s_cbranch_execz .LBB26_697
; %bb.676:                              ;   in Loop: Header=BB26_265 Depth=2
	s_and_saveexec_b64 s[42:43], s[14:15]
	s_cbranch_execz .LBB26_696
; %bb.677:                              ;   in Loop: Header=BB26_265 Depth=2
	s_mov_b64 s[92:93], exec
	v_mbcnt_lo_u32_b32 v2, s92, 0
	v_mbcnt_hi_u32_b32 v2, s93, v2
	v_cmp_eq_u32_e32 vcc, 0, v2
	s_waitcnt lgkmcnt(0)
	s_and_saveexec_b64 s[90:91], vcc
	s_cbranch_execz .LBB26_679
; %bb.678:                              ;   in Loop: Header=BB26_265 Depth=2
	s_bcnt1_i32_b64 s56, s[92:93]
	v_mov_b32_e32 v2, s56
	ds_add_u64 v0, v[2:3]
	s_trap 2
.LBB26_679:                             ;   in Loop: Header=BB26_265 Depth=2
	s_or_b64 exec, exec, s[90:91]
	s_trap 2
	ds_read_b64 v[10:11], v0
	s_waitcnt lgkmcnt(0)
	v_lshl_add_u64 v[70:71], v[70:71], 0, v[84:85]
	v_cmp_lt_u64_e32 vcc, v[10:11], v[70:71]
	s_and_saveexec_b64 s[90:91], vcc
	s_cbranch_execz .LBB26_695
; %bb.680:                              ;   in Loop: Header=BB26_265 Depth=2
	s_mov_b32 s56, 0
	s_mov_b64 s[92:93], 0
                                        ; implicit-def: $sgpr94_sgpr95
                                        ; implicit-def: $sgpr30_sgpr31
	s_branch .LBB26_682
.LBB26_681:                             ;   in Loop: Header=BB26_682 Depth=3
	s_or_b64 exec, exec, s[36:37]
	s_and_b64 vcc, exec, vcc
	s_or_b64 s[92:93], vcc, s[92:93]
	s_andn2_b64 s[94:95], s[94:95], exec
	s_and_b64 vcc, s[30:31], exec
	s_or_b64 s[94:95], s[94:95], vcc
	s_andn2_b64 exec, exec, s[92:93]
	s_cbranch_execz .LBB26_693
.LBB26_682:                             ;   Parent Loop BB26_47 Depth=1
                                        ;     Parent Loop BB26_265 Depth=2
                                        ; =>    This Inner Loop Header: Depth=3
	s_add_i32 s56, s56, 1
	s_cmpk_lg_i32 s56, 0x2710
	s_cselect_b64 s[34:35], -1, 0
	s_and_b64 vcc, exec, s[34:35]
	s_cbranch_vccz .LBB26_684
; %bb.683:                              ;   in Loop: Header=BB26_682 Depth=3
	s_mov_b64 vcc, -1
	s_or_b64 s[30:31], s[30:31], exec
	s_and_saveexec_b64 s[36:37], s[34:35]
	s_cbranch_execz .LBB26_681
	s_branch .LBB26_685
.LBB26_684:                             ;   in Loop: Header=BB26_682 Depth=3
	s_trap 2
	ds_read_b64 v[10:11], v0
	s_andn2_b64 s[34:35], s[34:35], exec
	s_mov_b32 s56, 0
	s_waitcnt vmcnt(0) lgkmcnt(0)
	flat_load_dword v2, v[10:11] sc0 sc1
	s_waitcnt vmcnt(0) lgkmcnt(0)
	buffer_inv sc0 sc1
	v_cmp_eq_u32_e32 vcc, 0, v2
	s_and_b64 vcc, vcc, exec
	s_or_b64 s[34:35], s[34:35], vcc
	s_mov_b64 vcc, -1
	s_or_b64 s[30:31], s[30:31], exec
	s_and_saveexec_b64 s[36:37], s[34:35]
	s_cbranch_execz .LBB26_681
.LBB26_685:                             ;   in Loop: Header=BB26_682 Depth=3
	s_sleep 1
	s_trap 2
	ds_read_b64 v[10:11], v0
	s_waitcnt lgkmcnt(0)
	s_andn2_b64 s[30:31], s[30:31], exec
	v_cmp_ge_u64_e32 vcc, v[10:11], v[70:71]
	s_orn2_b64 vcc, vcc, exec
	s_branch .LBB26_681
.LBB26_686:                             ;   in Loop: Header=BB26_265 Depth=2
	s_or_b64 exec, exec, s[92:93]
	s_and_saveexec_b64 s[92:93], s[94:95]
	s_xor_b64 s[92:93], exec, s[92:93]
	s_cbranch_execz .LBB26_688
; %bb.687:                              ;   in Loop: Header=BB26_265 Depth=2
	ds_write_b32 v0, v107
	s_trap 2
.LBB26_688:                             ;   in Loop: Header=BB26_265 Depth=2
	s_or_b64 exec, exec, s[90:91]
	;;#ASMSTART
	s_wakeup
	;;#ASMEND
.LBB26_689:                             ;   in Loop: Header=BB26_265 Depth=2
	s_or_b64 exec, exec, s[42:43]
.LBB26_690:                             ;   in Loop: Header=BB26_265 Depth=2
	s_andn2_saveexec_b64 s[40:41], s[40:41]
	s_cbranch_execz .LBB26_692
; %bb.691:                              ;   in Loop: Header=BB26_265 Depth=2
	;;#ASMSTART
	s_waitcnt lgkmcnt(0) vmcnt(0)
	;;#ASMEND
	s_barrier
.LBB26_692:                             ;   in Loop: Header=BB26_265 Depth=2
	s_or_b64 exec, exec, s[40:41]
	v_and_b32_e32 v2, 16, v104
                                        ; implicit-def: $vgpr8
	s_andn2_saveexec_b64 s[26:27], s[26:27]
	s_cbranch_execz .LBB26_704
	s_branch .LBB26_701
.LBB26_693:                             ;   in Loop: Header=BB26_265 Depth=2
	s_or_b64 exec, exec, s[92:93]
	s_and_saveexec_b64 s[92:93], s[94:95]
	s_xor_b64 s[92:93], exec, s[92:93]
	s_cbranch_execz .LBB26_695
; %bb.694:                              ;   in Loop: Header=BB26_265 Depth=2
	ds_write_b32 v0, v107
	s_trap 2
.LBB26_695:                             ;   in Loop: Header=BB26_265 Depth=2
	s_or_b64 exec, exec, s[90:91]
	;;#ASMSTART
	s_wakeup
	;;#ASMEND
.LBB26_696:                             ;   in Loop: Header=BB26_265 Depth=2
	s_or_b64 exec, exec, s[42:43]
.LBB26_697:                             ;   in Loop: Header=BB26_265 Depth=2
	s_andn2_saveexec_b64 s[40:41], s[40:41]
	s_cbranch_execz .LBB26_699
; %bb.698:                              ;   in Loop: Header=BB26_265 Depth=2
	s_waitcnt lgkmcnt(0)
	s_barrier
.LBB26_699:                             ;   in Loop: Header=BB26_265 Depth=2
	s_or_b64 exec, exec, s[40:41]
	s_or_b64 exec, exec, s[26:27]
                                        ; implicit-def: $vgpr2
	s_and_saveexec_b64 s[26:27], s[78:79]
	s_xor_b64 s[26:27], exec, s[26:27]
	s_cbranch_execnz .LBB26_648
.LBB26_700:                             ;   in Loop: Header=BB26_265 Depth=2
	s_andn2_saveexec_b64 s[26:27], s[26:27]
	s_cbranch_execz .LBB26_704
.LBB26_701:                             ;   in Loop: Header=BB26_265 Depth=2
	s_trap 2
	ds_read_b32 v9, v0
	v_cmp_lt_i32_e32 vcc, 0, v8
	v_and_b32_e32 v8, 16, v104
	v_and_b32_e32 v2, 16, v104
	s_waitcnt lgkmcnt(0)
	v_readfirstlane_b32 s40, v9
	s_cmp_eq_u32 s40, 0
	s_cselect_b64 s[40:41], -1, 0
	s_and_b64 s[40:41], vcc, s[40:41]
	v_cmp_ne_u32_e32 vcc, 0, v8
	s_and_b64 s[42:43], vcc, s[40:41]
	s_and_saveexec_b64 s[40:41], s[42:43]
	s_cbranch_execz .LBB26_703
; %bb.702:                              ;   in Loop: Header=BB26_265 Depth=2
	v_mov_b32_e32 v2, 1
	buffer_wbl2 sc1
	s_waitcnt vmcnt(0)
	buffer_inv sc1
.LBB26_703:                             ;   in Loop: Header=BB26_265 Depth=2
	s_or_b64 exec, exec, s[40:41]
.LBB26_704:                             ;   in Loop: Header=BB26_265 Depth=2
	s_or_b64 exec, exec, s[26:27]
	v_cmp_ne_u32_e32 vcc, 0, v2
	s_xor_b64 s[26:27], s[10:11], -1
	s_and_b64 s[40:41], vcc, s[26:27]
	s_and_saveexec_b64 s[26:27], s[40:41]
	s_cbranch_execz .LBB26_706
; %bb.705:                              ;   in Loop: Header=BB26_265 Depth=2
	flat_store_dword v[68:69], v107 sc0 sc1
.LBB26_706:                             ;   in Loop: Header=BB26_265 Depth=2
	s_or_b64 exec, exec, s[26:27]
	v_and_b32_e32 v2, 48, v104
	v_cmp_ne_u32_e32 vcc, 0, v2
	s_and_saveexec_b64 s[26:27], vcc
	s_cbranch_execz .LBB26_263
; %bb.707:                              ;   in Loop: Header=BB26_265 Depth=2
	v_lshl_add_u64 v[58:59], v[58:59], 0, 4
	flat_store_dwordx2 v[64:65], v[58:59] sc0 sc1
	s_branch .LBB26_263
.LBB26_708:                             ;   in Loop: Header=BB26_47 Depth=1
	v_mul_lo_u32 v2, v57, s54
	v_mul_lo_u32 v10, v56, s55
	v_mad_u64_u32 v[8:9], s[26:27], v56, s54, 0
	v_add3_u32 v9, v9, v10, v2
	v_sub_co_u32_e32 v10, vcc, v60, v8
	v_mov_b32_e32 v2, 0
	s_nop 0
	v_subb_co_u32_e32 v11, vcc, v61, v9, vcc
	v_cmp_lt_i64_e32 vcc, v[56:57], v[10:11]
	s_nop 1
	v_cndmask_b32_e32 v10, v10, v56, vcc
	v_max_i32_e32 v120, 0, v10
	v_add_u32_e32 v11, 15, v120
	v_ashrrev_i32_e32 v12, 31, v11
	v_lshrrev_b32_e32 v12, 28, v12
	v_add_u32_e32 v11, v11, v12
	v_cmp_gt_i32_e32 vcc, 1, v10
	v_and_b32_e32 v11, -16, v11
	s_or_b64 s[90:91], s[2:3], vcc
	v_max_i32_e32 v72, s81, v11
	s_xor_b64 s[26:27], s[90:91], -1
	s_and_saveexec_b64 s[92:93], s[26:27]
	s_cbranch_execz .LBB26_714
; %bb.709:                              ;   in Loop: Header=BB26_47 Depth=1
	s_and_saveexec_b64 s[26:27], s[0:1]
	s_cbranch_execz .LBB26_711
; %bb.710:                              ;   in Loop: Header=BB26_47 Depth=1
	s_trap 2
	ds_read2_b64 v[10:13], v0 offset1:1
	ds_read_b64 v[14:15], v0
	v_lshl_add_u64 v[8:9], v[8:9], 0, v[62:63]
	v_lshlrev_b64 v[8:9], 1, v[8:9]
	s_waitcnt lgkmcnt(0)
	v_lshl_add_u64 v[10:11], v[10:11], 0, v[8:9]
	ds_write_b64 v0, v[10:11]
	v_lshl_add_u64 v[10:11], v[12:13], 0, v[8:9]
	v_lshl_add_u64 v[8:9], v[14:15], 0, v[8:9]
	v_cmp_ne_u64_e32 vcc, 0, v[14:15]
	ds_write_b64 v0, v[10:11]
	s_nop 0
	v_cndmask_b32_e32 v9, 0, v9, vcc
	v_cndmask_b32_e32 v8, 0, v8, vcc
	ds_write_b64 v0, v[8:9]
.LBB26_711:                             ;   in Loop: Header=BB26_47 Depth=1
	s_or_b64 exec, exec, s[26:27]
	v_and_b32_e32 v2, 12, v104
	v_min_i32_e32 v72, v72, v120
	v_cmp_ne_u32_e32 vcc, 0, v2
	s_and_saveexec_b64 s[28:29], vcc
	s_cbranch_execz .LBB26_753
; %bb.712:                              ;   in Loop: Header=BB26_47 Depth=1
	v_and_b32_e32 v2, 8, v104
	s_waitcnt vmcnt(0) lgkmcnt(0)
	v_lshl_add_u64 v[10:11], v[80:81], 0, v[2:3]
	v_lshl_add_u64 v[8:9], v[58:59], 0, 4
	v_cmp_lt_u64_e32 vcc, v[10:11], v[8:9]
	s_and_saveexec_b64 s[40:41], vcc
	s_cbranch_execz .LBB26_740
; %bb.713:                              ;   in Loop: Header=BB26_47 Depth=1
	v_and_b32_e32 v10, 64, v104
	s_mov_b32 s56, 0
	v_cmp_eq_u32_e32 vcc, 0, v10
	s_mov_b64 s[42:43], 0
                                        ; implicit-def: $sgpr94_sgpr95
                                        ; implicit-def: $sgpr30_sgpr31
                                        ; implicit-def: $sgpr34_sgpr35
	s_branch .LBB26_721
.LBB26_714:                             ;   in Loop: Header=BB26_47 Depth=1
	s_or_b64 exec, exec, s[92:93]
	s_and_saveexec_b64 s[28:29], s[90:91]
	s_cbranch_execz .LBB26_1413
.LBB26_715:                             ;   in Loop: Header=BB26_47 Depth=1
	v_sub_u32_e32 v2, v120, v2
	v_min_i32_e32 v8, v72, v2
	v_and_b32_e32 v2, 12, v104
	v_cmp_ne_u32_e32 vcc, 0, v2
	s_and_saveexec_b64 s[40:41], vcc
	s_cbranch_execz .LBB26_732
; %bb.716:                              ;   in Loop: Header=BB26_47 Depth=1
	v_and_b32_e32 v2, 8, v104
	s_waitcnt vmcnt(0) lgkmcnt(0)
	v_lshl_add_u64 v[12:13], v[80:81], 0, v[2:3]
	v_lshl_add_u64 v[10:11], v[58:59], 0, 4
	v_cmp_lt_u64_e32 vcc, v[12:13], v[10:11]
	s_and_saveexec_b64 s[42:43], vcc
	s_cbranch_execz .LBB26_768
; %bb.717:                              ;   in Loop: Header=BB26_47 Depth=1
	v_and_b32_e32 v9, 64, v104
	s_mov_b32 s56, 0
	v_cmp_eq_u32_e32 vcc, 0, v9
	s_mov_b64 s[90:91], 0
                                        ; implicit-def: $sgpr92_sgpr93
                                        ; implicit-def: $sgpr94_sgpr95
                                        ; implicit-def: $sgpr30_sgpr31
	s_branch .LBB26_728
.LBB26_718:                             ;   in Loop: Header=BB26_721 Depth=2
	s_waitcnt vmcnt(0) lgkmcnt(0)
	v_lshl_add_u64 v[12:13], v[80:81], 0, v[2:3]
	v_cmp_ge_u64_e64 s[26:27], v[12:13], v[8:9]
	s_or_b64 s[48:49], s[48:49], exec
	s_orn2_b64 s[38:39], s[26:27], exec
.LBB26_719:                             ;   in Loop: Header=BB26_721 Depth=2
	s_or_b64 exec, exec, s[52:53]
	s_andn2_b64 s[26:27], s[34:35], exec
	s_and_b64 s[34:35], s[48:49], exec
	s_or_b64 s[34:35], s[26:27], s[34:35]
	s_andn2_b64 s[26:27], s[30:31], exec
	s_and_b64 s[30:31], s[38:39], exec
	s_or_b64 s[30:31], s[26:27], s[30:31]
.LBB26_720:                             ;   in Loop: Header=BB26_721 Depth=2
	s_or_b64 exec, exec, s[36:37]
	s_and_b64 s[26:27], exec, s[30:31]
	s_or_b64 s[42:43], s[26:27], s[42:43]
	s_andn2_b64 s[26:27], s[94:95], exec
	s_and_b64 s[94:95], s[34:35], exec
	s_or_b64 s[94:95], s[26:27], s[94:95]
	s_andn2_b64 exec, exec, s[42:43]
	s_cbranch_execz .LBB26_737
.LBB26_721:                             ;   Parent Loop BB26_47 Depth=1
                                        ; =>  This Inner Loop Header: Depth=2
	s_sleep 1
	s_waitcnt vmcnt(0) lgkmcnt(0)
	flat_load_dwordx2 v[80:81], v[64:65] sc0 sc1
	s_or_b64 s[34:35], s[34:35], exec
	s_or_b64 s[30:31], s[30:31], exec
                                        ; implicit-def: $vgpr10
	s_and_saveexec_b64 s[36:37], vcc
	s_cbranch_execz .LBB26_720
; %bb.722:                              ;   in Loop: Header=BB26_721 Depth=2
	s_cmpk_lt_i32 s56, 0x270f
	s_cselect_b64 s[50:51], -1, 0
	s_cmpk_gt_i32 s56, 0x270e
	s_mov_b64 s[38:39], -1
	s_cbranch_scc0 .LBB26_724
; %bb.723:                              ;   in Loop: Header=BB26_721 Depth=2
	s_trap 2
	ds_read_b64 v[10:11], v0
	s_andn2_b64 s[50:51], s[50:51], exec
	s_mov_b32 s56, 0
	s_mov_b64 s[48:49], 0
	s_waitcnt vmcnt(0) lgkmcnt(0)
	flat_load_dword v10, v[10:11] sc0 sc1
	s_waitcnt vmcnt(0) lgkmcnt(0)
	buffer_inv sc0 sc1
	v_cmp_eq_u32_e64 s[26:27], 0, v10
	s_and_b64 s[26:27], s[26:27], exec
	s_or_b64 s[50:51], s[50:51], s[26:27]
	s_and_saveexec_b64 s[52:53], s[50:51]
	s_cbranch_execz .LBB26_719
	s_branch .LBB26_718
.LBB26_724:                             ;   in Loop: Header=BB26_721 Depth=2
	s_add_i32 s56, s56, 1
	s_mov_b64 s[48:49], -1
                                        ; implicit-def: $vgpr10
	s_and_saveexec_b64 s[52:53], s[50:51]
	s_cbranch_execz .LBB26_719
	s_branch .LBB26_718
.LBB26_725:                             ;   in Loop: Header=BB26_728 Depth=2
	s_waitcnt vmcnt(0) lgkmcnt(0)
	v_lshl_add_u64 v[12:13], v[80:81], 0, v[2:3]
	v_cmp_ge_u64_e64 s[26:27], v[12:13], v[10:11]
	s_or_b64 s[38:39], s[38:39], exec
	s_orn2_b64 s[36:37], s[26:27], exec
.LBB26_726:                             ;   in Loop: Header=BB26_728 Depth=2
	s_or_b64 exec, exec, s[50:51]
	s_andn2_b64 s[26:27], s[30:31], exec
	s_and_b64 s[30:31], s[38:39], exec
	s_or_b64 s[30:31], s[26:27], s[30:31]
	s_andn2_b64 s[26:27], s[94:95], exec
	s_and_b64 s[94:95], s[36:37], exec
	s_or_b64 s[94:95], s[26:27], s[94:95]
.LBB26_727:                             ;   in Loop: Header=BB26_728 Depth=2
	s_or_b64 exec, exec, s[34:35]
	s_and_b64 s[26:27], exec, s[94:95]
	s_or_b64 s[90:91], s[26:27], s[90:91]
	s_andn2_b64 s[26:27], s[92:93], exec
	s_and_b64 s[92:93], s[30:31], exec
	s_or_b64 s[92:93], s[26:27], s[92:93]
	s_andn2_b64 exec, exec, s[90:91]
	s_cbranch_execz .LBB26_765
.LBB26_728:                             ;   Parent Loop BB26_47 Depth=1
                                        ; =>  This Inner Loop Header: Depth=2
	s_sleep 1
	s_waitcnt vmcnt(0) lgkmcnt(0)
	flat_load_dwordx2 v[80:81], v[64:65] sc0 sc1
	s_or_b64 s[30:31], s[30:31], exec
	s_or_b64 s[94:95], s[94:95], exec
                                        ; implicit-def: $vgpr9
	s_and_saveexec_b64 s[34:35], vcc
	s_cbranch_execz .LBB26_727
; %bb.729:                              ;   in Loop: Header=BB26_728 Depth=2
	s_cmpk_lt_i32 s56, 0x270f
	s_cselect_b64 s[48:49], -1, 0
	s_cmpk_gt_i32 s56, 0x270e
	s_mov_b64 s[36:37], -1
	s_cbranch_scc0 .LBB26_731
; %bb.730:                              ;   in Loop: Header=BB26_728 Depth=2
	s_trap 2
	ds_read_b64 v[12:13], v0
	s_andn2_b64 s[48:49], s[48:49], exec
	s_mov_b32 s56, 0
	s_mov_b64 s[38:39], 0
	s_waitcnt vmcnt(0) lgkmcnt(0)
	flat_load_dword v9, v[12:13] sc0 sc1
	s_waitcnt vmcnt(0) lgkmcnt(0)
	buffer_inv sc0 sc1
	v_cmp_eq_u32_e64 s[26:27], 0, v9
	s_and_b64 s[26:27], s[26:27], exec
	s_or_b64 s[48:49], s[48:49], s[26:27]
	s_and_saveexec_b64 s[50:51], s[48:49]
	s_cbranch_execz .LBB26_726
	s_branch .LBB26_725
.LBB26_731:                             ;   in Loop: Header=BB26_728 Depth=2
	s_add_i32 s56, s56, 1
	s_mov_b64 s[38:39], -1
                                        ; implicit-def: $vgpr9
	s_and_saveexec_b64 s[50:51], s[48:49]
	s_cbranch_execz .LBB26_726
	s_branch .LBB26_725
.LBB26_732:                             ;   in Loop: Header=BB26_47 Depth=1
	s_or_b64 exec, exec, s[40:41]
	s_and_saveexec_b64 s[26:27], s[6:7]
	s_cbranch_execnz .LBB26_781
.LBB26_733:                             ;   in Loop: Header=BB26_47 Depth=1
	s_or_b64 exec, exec, s[26:27]
                                        ; implicit-def: $vgpr2
	s_and_saveexec_b64 s[26:27], s[22:23]
	s_xor_b64 s[26:27], exec, s[26:27]
	s_cbranch_execz .LBB26_818
.LBB26_734:                             ;   in Loop: Header=BB26_47 Depth=1
	s_trap 2
	ds_read_b32 v9, v0
	v_cmp_lt_i32_e32 vcc, 0, v8
	v_and_b32_e32 v8, 16, v104
	v_and_b32_e32 v2, 16, v104
	s_waitcnt lgkmcnt(0)
	v_readfirstlane_b32 s40, v9
	s_cmp_eq_u32 s40, 0
	s_cselect_b64 s[40:41], -1, 0
	s_and_b64 s[40:41], vcc, s[40:41]
	v_cmp_ne_u32_e32 vcc, 0, v8
	s_and_b64 s[42:43], vcc, s[40:41]
	s_and_saveexec_b64 s[40:41], s[42:43]
	s_cbranch_execz .LBB26_736
; %bb.735:                              ;   in Loop: Header=BB26_47 Depth=1
	v_mov_b32_e32 v2, 1
	buffer_wbl2 sc1
	s_waitcnt vmcnt(0)
	buffer_inv sc1
.LBB26_736:                             ;   in Loop: Header=BB26_47 Depth=1
	s_or_b64 exec, exec, s[40:41]
	s_andn2_saveexec_b64 s[26:27], s[26:27]
	s_cbranch_execz .LBB26_991
	s_branch .LBB26_819
.LBB26_737:                             ;   in Loop: Header=BB26_47 Depth=1
	s_or_b64 exec, exec, s[42:43]
	s_xor_b64 s[26:27], s[94:95], -1
	s_and_saveexec_b64 s[42:43], s[26:27]
	s_xor_b64 s[26:27], exec, s[42:43]
	s_cbranch_execz .LBB26_739
; %bb.738:                              ;   in Loop: Header=BB26_47 Depth=1
	v_or_b32_e32 v104, 64, v104
	s_waitcnt lgkmcnt(0)
	ds_write_b32 v0, v10
	s_trap 2
.LBB26_739:                             ;   in Loop: Header=BB26_47 Depth=1
	s_or_b64 exec, exec, s[26:27]
.LBB26_740:                             ;   in Loop: Header=BB26_47 Depth=1
	s_or_b64 exec, exec, s[40:41]
	v_and_b32_e32 v10, 0x108, v104
	v_cmp_ne_u32_e32 vcc, s66, v10
	;;#ASMSTART
	s_wakeup
	;;#ASMEND
                                        ; implicit-def: $vgpr10_vgpr11
	s_and_saveexec_b64 s[26:27], vcc
	s_xor_b64 s[26:27], exec, s[26:27]
; %bb.741:                              ;   in Loop: Header=BB26_47 Depth=1
	v_and_b32_e32 v10, 7, v58
	v_mov_b32_e32 v11, v3
                                        ; implicit-def: $vgpr58_vgpr59
; %bb.742:                              ;   in Loop: Header=BB26_47 Depth=1
	s_andn2_saveexec_b64 s[26:27], s[26:27]
	s_cbranch_execz .LBB26_744
; %bb.743:                              ;   in Loop: Header=BB26_47 Depth=1
	v_and_b32_e32 v10, 7, v58
	v_ashrrev_i32_e32 v73, 31, v72
	v_mov_b32_e32 v11, v3
	v_mad_u64_u32 v[12:13], s[40:41], v10, 24, v[6:7]
	v_lshlrev_b64 v[14:15], 1, v[72:73]
	flat_store_dwordx2 v[12:13], v[14:15] offset:8
.LBB26_744:                             ;   in Loop: Header=BB26_47 Depth=1
	s_or_b64 exec, exec, s[26:27]
	v_and_b32_e32 v12, 0x100, v104
	v_cmp_ne_u32_e32 vcc, 0, v12
	s_mov_b64 s[26:27], -1
                                        ; implicit-def: $vgpr12_vgpr13
	s_and_saveexec_b64 s[40:41], vcc
	s_cbranch_execz .LBB26_748
; %bb.745:                              ;   in Loop: Header=BB26_47 Depth=1
	v_mad_u64_u32 v[14:15], s[26:27], v10, 24, v[6:7]
	v_mov_b32_e32 v12, v15
	v_mad_u64_u32 v[12:13], s[26:27], v11, 24, v[12:13]
	v_mov_b32_e32 v15, v12
	flat_load_dword v12, v[14:15]
	s_waitcnt vmcnt(0) lgkmcnt(0)
	v_cmp_ne_u32_e32 vcc, 1, v12
	v_cmp_eq_u32_e64 s[26:27], 1, v12
                                        ; implicit-def: $vgpr12_vgpr13
	s_and_saveexec_b64 s[42:43], s[26:27]
	s_cbranch_execz .LBB26_747
; %bb.746:                              ;   in Loop: Header=BB26_47 Depth=1
	flat_load_dword v12, v[14:15] offset:4 sc0 sc1
	s_waitcnt vmcnt(0) lgkmcnt(0)
	v_ashrrev_i32_e32 v13, 31, v12
	v_lshrrev_b64 v[12:13], 1, v[12:13]
.LBB26_747:                             ;   in Loop: Header=BB26_47 Depth=1
	s_or_b64 exec, exec, s[42:43]
	s_orn2_b64 s[26:27], vcc, exec
.LBB26_748:                             ;   in Loop: Header=BB26_47 Depth=1
	s_or_b64 exec, exec, s[40:41]
	s_and_saveexec_b64 s[40:41], s[26:27]
; %bb.749:                              ;   in Loop: Header=BB26_47 Depth=1
	v_mul_lo_u32 v11, v11, v30
	v_mul_lo_u32 v14, v10, v83
	v_mad_u64_u32 v[12:13], s[26:27], v10, v30, 0
	v_add3_u32 v13, v13, v14, v11
; %bb.750:                              ;   in Loop: Header=BB26_47 Depth=1
	s_or_b64 exec, exec, s[40:41]
	v_cmp_eq_u32_e32 vcc, 0, v2
	v_lshl_add_u64 v[10:11], v[12:13], 1, v[66:67]
	s_nop 0
	v_cndmask_b32_e32 v2, v110, v109, vcc
	v_add_u32_e32 v2, v0, v2
	ds_write_b64 v2, v[10:11] offset:584
	v_and_b32_e32 v2, 0x2000, v104
	v_cmp_ne_u32_e32 vcc, 0, v2
	s_and_saveexec_b64 s[26:27], vcc
	s_cbranch_execz .LBB26_752
; %bb.751:                              ;   in Loop: Header=BB26_47 Depth=1
	ds_read_b64 v[10:11], v0 offset:872
	s_waitcnt lgkmcnt(0)
	v_lshl_add_u64 v[10:11], v[10:11], 0, 1
	ds_write_b64 v0, v[10:11] offset:872
.LBB26_752:                             ;   in Loop: Header=BB26_47 Depth=1
	s_or_b64 exec, exec, s[26:27]
	v_mov_b64_e32 v[58:59], v[8:9]
.LBB26_753:                             ;   in Loop: Header=BB26_47 Depth=1
	s_or_b64 exec, exec, s[28:29]
	s_and_saveexec_b64 s[26:27], s[6:7]
	s_cbranch_execz .LBB26_799
; %bb.754:                              ;   in Loop: Header=BB26_47 Depth=1
	s_and_saveexec_b64 s[28:29], s[58:59]
	s_xor_b64 s[28:29], exec, s[28:29]
	s_cbranch_execz .LBB26_796
; %bb.755:                              ;   in Loop: Header=BB26_47 Depth=1
	s_and_saveexec_b64 s[40:41], s[14:15]
	s_cbranch_execz .LBB26_795
; %bb.756:                              ;   in Loop: Header=BB26_47 Depth=1
	s_mov_b64 s[94:95], exec
	v_mbcnt_lo_u32_b32 v2, s94, 0
	v_mbcnt_hi_u32_b32 v2, s95, v2
	v_cmp_eq_u32_e32 vcc, 0, v2
	s_waitcnt lgkmcnt(0)
	s_and_saveexec_b64 s[42:43], vcc
	s_cbranch_execz .LBB26_758
; %bb.757:                              ;   in Loop: Header=BB26_47 Depth=1
	s_bcnt1_i32_b64 s56, s[94:95]
	v_mov_b32_e32 v2, s56
	ds_add_u64 v0, v[2:3]
	s_trap 2
.LBB26_758:                             ;   in Loop: Header=BB26_47 Depth=1
	s_or_b64 exec, exec, s[42:43]
	s_trap 2
	ds_read_b64 v[8:9], v0
	s_waitcnt lgkmcnt(0)
	v_lshl_add_u64 v[70:71], v[70:71], 0, v[84:85]
	v_cmp_lt_u64_e32 vcc, v[8:9], v[70:71]
	s_and_saveexec_b64 s[42:43], vcc
	s_cbranch_execz .LBB26_794
; %bb.759:                              ;   in Loop: Header=BB26_47 Depth=1
	s_mov_b32 s56, 0
	s_mov_b64 s[94:95], 0
                                        ; implicit-def: $sgpr30_sgpr31
                                        ; implicit-def: $sgpr34_sgpr35
	s_branch .LBB26_761
.LBB26_760:                             ;   in Loop: Header=BB26_761 Depth=2
	s_or_b64 exec, exec, s[38:39]
	s_and_b64 vcc, exec, vcc
	s_or_b64 s[94:95], vcc, s[94:95]
	s_andn2_b64 vcc, s[30:31], exec
	s_and_b64 s[30:31], s[34:35], exec
	s_or_b64 s[30:31], vcc, s[30:31]
	s_andn2_b64 exec, exec, s[94:95]
	s_cbranch_execz .LBB26_792
.LBB26_761:                             ;   Parent Loop BB26_47 Depth=1
                                        ; =>  This Inner Loop Header: Depth=2
	s_add_i32 s56, s56, 1
	s_cmpk_lg_i32 s56, 0x2710
	s_cselect_b64 s[36:37], -1, 0
	s_and_b64 vcc, exec, s[36:37]
	s_cbranch_vccz .LBB26_763
; %bb.762:                              ;   in Loop: Header=BB26_761 Depth=2
	s_mov_b64 vcc, -1
	s_or_b64 s[34:35], s[34:35], exec
	s_and_saveexec_b64 s[38:39], s[36:37]
	s_cbranch_execz .LBB26_760
	s_branch .LBB26_764
.LBB26_763:                             ;   in Loop: Header=BB26_761 Depth=2
	s_trap 2
	ds_read_b64 v[8:9], v0
	s_andn2_b64 s[36:37], s[36:37], exec
	s_mov_b32 s56, 0
	s_waitcnt vmcnt(0) lgkmcnt(0)
	flat_load_dword v2, v[8:9] sc0 sc1
	s_waitcnt vmcnt(0) lgkmcnt(0)
	buffer_inv sc0 sc1
	v_cmp_eq_u32_e32 vcc, 0, v2
	s_and_b64 vcc, vcc, exec
	s_or_b64 s[36:37], s[36:37], vcc
	s_mov_b64 vcc, -1
	s_or_b64 s[34:35], s[34:35], exec
	s_and_saveexec_b64 s[38:39], s[36:37]
	s_cbranch_execz .LBB26_760
.LBB26_764:                             ;   in Loop: Header=BB26_761 Depth=2
	s_sleep 1
	s_trap 2
	ds_read_b64 v[8:9], v0
	s_waitcnt lgkmcnt(0)
	s_andn2_b64 s[34:35], s[34:35], exec
	v_cmp_ge_u64_e32 vcc, v[8:9], v[70:71]
	s_orn2_b64 vcc, vcc, exec
	s_branch .LBB26_760
.LBB26_765:                             ;   in Loop: Header=BB26_47 Depth=1
	s_or_b64 exec, exec, s[90:91]
	s_xor_b64 s[26:27], s[92:93], -1
	s_and_saveexec_b64 s[90:91], s[26:27]
	s_xor_b64 s[26:27], exec, s[90:91]
	s_cbranch_execz .LBB26_767
; %bb.766:                              ;   in Loop: Header=BB26_47 Depth=1
	v_or_b32_e32 v104, 64, v104
	s_waitcnt lgkmcnt(0)
	ds_write_b32 v0, v9
	s_trap 2
.LBB26_767:                             ;   in Loop: Header=BB26_47 Depth=1
	s_or_b64 exec, exec, s[26:27]
.LBB26_768:                             ;   in Loop: Header=BB26_47 Depth=1
	s_or_b64 exec, exec, s[42:43]
	v_and_b32_e32 v9, 0x108, v104
	v_cmp_ne_u32_e32 vcc, s66, v9
	;;#ASMSTART
	s_wakeup
	;;#ASMEND
                                        ; implicit-def: $vgpr12_vgpr13
	s_and_saveexec_b64 s[26:27], vcc
	s_xor_b64 s[26:27], exec, s[26:27]
; %bb.769:                              ;   in Loop: Header=BB26_47 Depth=1
	v_and_b32_e32 v12, 7, v58
	v_mov_b32_e32 v13, v3
                                        ; implicit-def: $vgpr58_vgpr59
; %bb.770:                              ;   in Loop: Header=BB26_47 Depth=1
	s_andn2_saveexec_b64 s[26:27], s[26:27]
	s_cbranch_execz .LBB26_772
; %bb.771:                              ;   in Loop: Header=BB26_47 Depth=1
	v_and_b32_e32 v12, 7, v58
	v_ashrrev_i32_e32 v9, 31, v8
	v_mov_b32_e32 v13, v3
	v_mad_u64_u32 v[14:15], s[42:43], v12, 24, v[6:7]
	v_lshlrev_b64 v[16:17], 1, v[8:9]
	flat_store_dwordx2 v[14:15], v[16:17] offset:8
.LBB26_772:                             ;   in Loop: Header=BB26_47 Depth=1
	s_or_b64 exec, exec, s[26:27]
	v_and_b32_e32 v9, 0x100, v104
	v_cmp_ne_u32_e32 vcc, 0, v9
	s_mov_b64 s[26:27], -1
                                        ; implicit-def: $vgpr14_vgpr15
	s_and_saveexec_b64 s[42:43], vcc
	s_cbranch_execz .LBB26_776
; %bb.773:                              ;   in Loop: Header=BB26_47 Depth=1
	v_mad_u64_u32 v[16:17], s[26:27], v12, 24, v[6:7]
	v_mov_b32_e32 v14, v17
	v_mad_u64_u32 v[14:15], s[26:27], v13, 24, v[14:15]
	v_mov_b32_e32 v17, v14
	flat_load_dword v9, v[16:17]
                                        ; implicit-def: $vgpr14_vgpr15
	s_waitcnt vmcnt(0) lgkmcnt(0)
	v_cmp_ne_u32_e32 vcc, 1, v9
	v_cmp_eq_u32_e64 s[26:27], 1, v9
	s_and_saveexec_b64 s[90:91], s[26:27]
	s_cbranch_execz .LBB26_775
; %bb.774:                              ;   in Loop: Header=BB26_47 Depth=1
	flat_load_dword v14, v[16:17] offset:4 sc0 sc1
	s_waitcnt vmcnt(0) lgkmcnt(0)
	v_ashrrev_i32_e32 v15, 31, v14
	v_lshrrev_b64 v[14:15], 1, v[14:15]
.LBB26_775:                             ;   in Loop: Header=BB26_47 Depth=1
	s_or_b64 exec, exec, s[90:91]
	s_orn2_b64 s[26:27], vcc, exec
.LBB26_776:                             ;   in Loop: Header=BB26_47 Depth=1
	s_or_b64 exec, exec, s[42:43]
	s_and_saveexec_b64 s[42:43], s[26:27]
; %bb.777:                              ;   in Loop: Header=BB26_47 Depth=1
	v_mul_lo_u32 v9, v13, v30
	v_mul_lo_u32 v13, v12, v83
	v_mad_u64_u32 v[14:15], s[26:27], v12, v30, 0
	v_add3_u32 v15, v15, v13, v9
; %bb.778:                              ;   in Loop: Header=BB26_47 Depth=1
	s_or_b64 exec, exec, s[42:43]
	v_cmp_eq_u32_e32 vcc, 0, v2
	v_lshl_add_u64 v[12:13], v[14:15], 1, v[66:67]
	s_nop 0
	v_cndmask_b32_e32 v2, v110, v109, vcc
	v_add_u32_e32 v2, v0, v2
	ds_write_b64 v2, v[12:13] offset:584
	v_and_b32_e32 v2, 0x2000, v104
	v_cmp_ne_u32_e32 vcc, 0, v2
	s_and_saveexec_b64 s[26:27], vcc
	s_cbranch_execz .LBB26_780
; %bb.779:                              ;   in Loop: Header=BB26_47 Depth=1
	ds_read_b64 v[12:13], v0 offset:872
	s_waitcnt lgkmcnt(0)
	v_lshl_add_u64 v[12:13], v[12:13], 0, 1
	ds_write_b64 v0, v[12:13] offset:872
.LBB26_780:                             ;   in Loop: Header=BB26_47 Depth=1
	s_or_b64 exec, exec, s[26:27]
	v_mov_b64_e32 v[58:59], v[10:11]
	s_or_b64 exec, exec, s[40:41]
	s_and_saveexec_b64 s[26:27], s[6:7]
	s_cbranch_execz .LBB26_733
.LBB26_781:                             ;   in Loop: Header=BB26_47 Depth=1
	s_and_saveexec_b64 s[40:41], s[58:59]
	s_xor_b64 s[40:41], exec, s[40:41]
	s_cbranch_execz .LBB26_815
; %bb.782:                              ;   in Loop: Header=BB26_47 Depth=1
	s_and_saveexec_b64 s[42:43], s[14:15]
	s_cbranch_execz .LBB26_814
; %bb.783:                              ;   in Loop: Header=BB26_47 Depth=1
	s_mov_b64 s[92:93], exec
	v_mbcnt_lo_u32_b32 v2, s92, 0
	v_mbcnt_hi_u32_b32 v2, s93, v2
	v_cmp_eq_u32_e32 vcc, 0, v2
	s_waitcnt lgkmcnt(0)
	s_and_saveexec_b64 s[90:91], vcc
	s_cbranch_execz .LBB26_785
; %bb.784:                              ;   in Loop: Header=BB26_47 Depth=1
	s_bcnt1_i32_b64 s56, s[92:93]
	v_mov_b32_e32 v2, s56
	ds_add_u64 v0, v[2:3]
	s_trap 2
.LBB26_785:                             ;   in Loop: Header=BB26_47 Depth=1
	s_or_b64 exec, exec, s[90:91]
	s_trap 2
	ds_read_b64 v[10:11], v0
	s_waitcnt lgkmcnt(0)
	v_lshl_add_u64 v[70:71], v[70:71], 0, v[84:85]
	v_cmp_lt_u64_e32 vcc, v[10:11], v[70:71]
	s_and_saveexec_b64 s[90:91], vcc
	s_cbranch_execz .LBB26_813
; %bb.786:                              ;   in Loop: Header=BB26_47 Depth=1
	s_mov_b32 s56, 0
	s_mov_b64 s[92:93], 0
                                        ; implicit-def: $sgpr94_sgpr95
                                        ; implicit-def: $sgpr30_sgpr31
	s_branch .LBB26_788
.LBB26_787:                             ;   in Loop: Header=BB26_788 Depth=2
	s_or_b64 exec, exec, s[36:37]
	s_and_b64 vcc, exec, vcc
	s_or_b64 s[92:93], vcc, s[92:93]
	s_andn2_b64 s[94:95], s[94:95], exec
	s_and_b64 vcc, s[30:31], exec
	s_or_b64 s[94:95], s[94:95], vcc
	s_andn2_b64 exec, exec, s[92:93]
	s_cbranch_execz .LBB26_811
.LBB26_788:                             ;   Parent Loop BB26_47 Depth=1
                                        ; =>  This Inner Loop Header: Depth=2
	s_add_i32 s56, s56, 1
	s_cmpk_lg_i32 s56, 0x2710
	s_cselect_b64 s[34:35], -1, 0
	s_and_b64 vcc, exec, s[34:35]
	s_cbranch_vccz .LBB26_790
; %bb.789:                              ;   in Loop: Header=BB26_788 Depth=2
	s_mov_b64 vcc, -1
	s_or_b64 s[30:31], s[30:31], exec
	s_and_saveexec_b64 s[36:37], s[34:35]
	s_cbranch_execz .LBB26_787
	s_branch .LBB26_791
.LBB26_790:                             ;   in Loop: Header=BB26_788 Depth=2
	s_trap 2
	ds_read_b64 v[10:11], v0
	s_andn2_b64 s[34:35], s[34:35], exec
	s_mov_b32 s56, 0
	s_waitcnt vmcnt(0) lgkmcnt(0)
	flat_load_dword v2, v[10:11] sc0 sc1
	s_waitcnt vmcnt(0) lgkmcnt(0)
	buffer_inv sc0 sc1
	v_cmp_eq_u32_e32 vcc, 0, v2
	s_and_b64 vcc, vcc, exec
	s_or_b64 s[34:35], s[34:35], vcc
	s_mov_b64 vcc, -1
	s_or_b64 s[30:31], s[30:31], exec
	s_and_saveexec_b64 s[36:37], s[34:35]
	s_cbranch_execz .LBB26_787
.LBB26_791:                             ;   in Loop: Header=BB26_788 Depth=2
	s_sleep 1
	s_trap 2
	ds_read_b64 v[10:11], v0
	s_waitcnt lgkmcnt(0)
	s_andn2_b64 s[30:31], s[30:31], exec
	v_cmp_ge_u64_e32 vcc, v[10:11], v[70:71]
	s_orn2_b64 vcc, vcc, exec
	s_branch .LBB26_787
.LBB26_792:                             ;   in Loop: Header=BB26_47 Depth=1
	s_or_b64 exec, exec, s[94:95]
	s_and_saveexec_b64 s[94:95], s[30:31]
	s_xor_b64 s[94:95], exec, s[94:95]
	s_cbranch_execz .LBB26_794
; %bb.793:                              ;   in Loop: Header=BB26_47 Depth=1
	ds_write_b32 v0, v107
	s_trap 2
.LBB26_794:                             ;   in Loop: Header=BB26_47 Depth=1
	s_or_b64 exec, exec, s[42:43]
	;;#ASMSTART
	s_wakeup
	;;#ASMEND
.LBB26_795:                             ;   in Loop: Header=BB26_47 Depth=1
	s_or_b64 exec, exec, s[40:41]
.LBB26_796:                             ;   in Loop: Header=BB26_47 Depth=1
	s_andn2_saveexec_b64 s[28:29], s[28:29]
	s_cbranch_execz .LBB26_798
; %bb.797:                              ;   in Loop: Header=BB26_47 Depth=1
	s_waitcnt lgkmcnt(0)
	s_barrier
.LBB26_798:                             ;   in Loop: Header=BB26_47 Depth=1
	s_or_b64 exec, exec, s[28:29]
.LBB26_799:                             ;   in Loop: Header=BB26_47 Depth=1
	s_or_b64 exec, exec, s[26:27]
	s_trap 2
	ds_read_b32 v8, v0
	v_and_b32_e32 v2, 0x4000, v104
	v_cmp_ne_u32_e32 vcc, 0, v2
	s_xor_b64 s[26:27], s[4:5], -1
	s_and_b64 s[28:29], s[26:27], vcc
	s_and_saveexec_b64 s[26:27], s[28:29]
	s_cbranch_execz .LBB26_837
; %bb.800:                              ;   in Loop: Header=BB26_47 Depth=1
	s_and_saveexec_b64 s[28:29], s[58:59]
	s_xor_b64 s[28:29], exec, s[28:29]
	s_cbranch_execz .LBB26_834
; %bb.801:                              ;   in Loop: Header=BB26_47 Depth=1
	s_and_saveexec_b64 s[40:41], s[14:15]
	s_cbranch_execz .LBB26_833
; %bb.802:                              ;   in Loop: Header=BB26_47 Depth=1
	s_mov_b64 s[94:95], exec
	v_mbcnt_lo_u32_b32 v2, s94, 0
	v_mbcnt_hi_u32_b32 v2, s95, v2
	v_cmp_eq_u32_e32 vcc, 0, v2
	s_waitcnt lgkmcnt(0)
	s_and_saveexec_b64 s[42:43], vcc
	s_cbranch_execz .LBB26_804
; %bb.803:                              ;   in Loop: Header=BB26_47 Depth=1
	s_bcnt1_i32_b64 s56, s[94:95]
	v_mov_b32_e32 v2, s56
	ds_add_u64 v0, v[2:3]
	s_trap 2
.LBB26_804:                             ;   in Loop: Header=BB26_47 Depth=1
	s_or_b64 exec, exec, s[42:43]
	s_trap 2
	ds_read_b64 v[10:11], v0
	s_waitcnt lgkmcnt(0)
	v_lshl_add_u64 v[70:71], v[70:71], 0, v[84:85]
	v_cmp_lt_u64_e32 vcc, v[10:11], v[70:71]
	s_and_saveexec_b64 s[42:43], vcc
	s_cbranch_execz .LBB26_832
; %bb.805:                              ;   in Loop: Header=BB26_47 Depth=1
	s_mov_b32 s56, 0
	s_mov_b64 s[94:95], 0
                                        ; implicit-def: $sgpr30_sgpr31
                                        ; implicit-def: $sgpr34_sgpr35
	s_branch .LBB26_807
.LBB26_806:                             ;   in Loop: Header=BB26_807 Depth=2
	s_or_b64 exec, exec, s[38:39]
	s_and_b64 vcc, exec, vcc
	s_or_b64 s[94:95], vcc, s[94:95]
	s_andn2_b64 vcc, s[30:31], exec
	s_and_b64 s[30:31], s[34:35], exec
	s_or_b64 s[30:31], vcc, s[30:31]
	s_andn2_b64 exec, exec, s[94:95]
	s_cbranch_execz .LBB26_830
.LBB26_807:                             ;   Parent Loop BB26_47 Depth=1
                                        ; =>  This Inner Loop Header: Depth=2
	s_add_i32 s56, s56, 1
	s_cmpk_lg_i32 s56, 0x2710
	s_cselect_b64 s[36:37], -1, 0
	s_and_b64 vcc, exec, s[36:37]
	s_cbranch_vccz .LBB26_809
; %bb.808:                              ;   in Loop: Header=BB26_807 Depth=2
	s_mov_b64 vcc, -1
	s_or_b64 s[34:35], s[34:35], exec
	s_and_saveexec_b64 s[38:39], s[36:37]
	s_cbranch_execz .LBB26_806
	s_branch .LBB26_810
.LBB26_809:                             ;   in Loop: Header=BB26_807 Depth=2
	s_trap 2
	ds_read_b64 v[10:11], v0
	s_andn2_b64 s[36:37], s[36:37], exec
	s_mov_b32 s56, 0
	s_waitcnt vmcnt(0) lgkmcnt(0)
	flat_load_dword v2, v[10:11] sc0 sc1
	s_waitcnt vmcnt(0) lgkmcnt(0)
	buffer_inv sc0 sc1
	v_cmp_eq_u32_e32 vcc, 0, v2
	s_and_b64 vcc, vcc, exec
	s_or_b64 s[36:37], s[36:37], vcc
	s_mov_b64 vcc, -1
	s_or_b64 s[34:35], s[34:35], exec
	s_and_saveexec_b64 s[38:39], s[36:37]
	s_cbranch_execz .LBB26_806
.LBB26_810:                             ;   in Loop: Header=BB26_807 Depth=2
	s_sleep 1
	s_trap 2
	ds_read_b64 v[10:11], v0
	s_waitcnt lgkmcnt(0)
	s_andn2_b64 s[34:35], s[34:35], exec
	v_cmp_ge_u64_e32 vcc, v[10:11], v[70:71]
	s_orn2_b64 vcc, vcc, exec
	s_branch .LBB26_806
.LBB26_811:                             ;   in Loop: Header=BB26_47 Depth=1
	s_or_b64 exec, exec, s[92:93]
	s_and_saveexec_b64 s[92:93], s[94:95]
	s_xor_b64 s[92:93], exec, s[92:93]
	s_cbranch_execz .LBB26_813
; %bb.812:                              ;   in Loop: Header=BB26_47 Depth=1
	ds_write_b32 v0, v107
	s_trap 2
.LBB26_813:                             ;   in Loop: Header=BB26_47 Depth=1
	s_or_b64 exec, exec, s[90:91]
	;;#ASMSTART
	s_wakeup
	;;#ASMEND
.LBB26_814:                             ;   in Loop: Header=BB26_47 Depth=1
	s_or_b64 exec, exec, s[42:43]
.LBB26_815:                             ;   in Loop: Header=BB26_47 Depth=1
	s_andn2_saveexec_b64 s[40:41], s[40:41]
	s_cbranch_execz .LBB26_817
; %bb.816:                              ;   in Loop: Header=BB26_47 Depth=1
	s_waitcnt lgkmcnt(0)
	s_barrier
.LBB26_817:                             ;   in Loop: Header=BB26_47 Depth=1
	s_or_b64 exec, exec, s[40:41]
	s_or_b64 exec, exec, s[26:27]
                                        ; implicit-def: $vgpr2
	s_and_saveexec_b64 s[26:27], s[22:23]
	s_xor_b64 s[26:27], exec, s[26:27]
	s_cbranch_execnz .LBB26_734
.LBB26_818:                             ;   in Loop: Header=BB26_47 Depth=1
	s_andn2_saveexec_b64 s[26:27], s[26:27]
	s_cbranch_execz .LBB26_991
.LBB26_819:                             ;   in Loop: Header=BB26_47 Depth=1
	s_and_saveexec_b64 s[40:41], s[58:59]
	s_xor_b64 s[40:41], exec, s[40:41]
	s_cbranch_execz .LBB26_988
; %bb.820:                              ;   in Loop: Header=BB26_47 Depth=1
	s_and_saveexec_b64 s[42:43], s[14:15]
	s_cbranch_execz .LBB26_987
; %bb.821:                              ;   in Loop: Header=BB26_47 Depth=1
	s_mov_b64 s[92:93], exec
	v_mbcnt_lo_u32_b32 v2, s92, 0
	v_mbcnt_hi_u32_b32 v2, s93, v2
	v_cmp_eq_u32_e32 vcc, 0, v2
	;;#ASMSTART
	s_waitcnt lgkmcnt(0) vmcnt(0)
	;;#ASMEND
	s_and_saveexec_b64 s[90:91], vcc
	s_cbranch_execz .LBB26_823
; %bb.822:                              ;   in Loop: Header=BB26_47 Depth=1
	s_bcnt1_i32_b64 s56, s[92:93]
	v_mov_b32_e32 v2, s56
	s_waitcnt lgkmcnt(0)
	ds_add_u64 v0, v[2:3]
	s_trap 2
.LBB26_823:                             ;   in Loop: Header=BB26_47 Depth=1
	s_or_b64 exec, exec, s[90:91]
	s_trap 2
	ds_read_b64 v[8:9], v0
	s_waitcnt lgkmcnt(0)
	v_lshl_add_u64 v[70:71], v[70:71], 0, v[84:85]
	v_cmp_lt_u64_e32 vcc, v[8:9], v[70:71]
	s_and_saveexec_b64 s[90:91], vcc
	s_cbranch_execz .LBB26_986
; %bb.824:                              ;   in Loop: Header=BB26_47 Depth=1
	s_mov_b32 s56, 0
	s_mov_b64 s[92:93], 0
                                        ; implicit-def: $sgpr94_sgpr95
                                        ; implicit-def: $sgpr30_sgpr31
	s_branch .LBB26_826
.LBB26_825:                             ;   in Loop: Header=BB26_826 Depth=2
	s_or_b64 exec, exec, s[36:37]
	s_and_b64 vcc, exec, vcc
	s_or_b64 s[92:93], vcc, s[92:93]
	s_andn2_b64 s[94:95], s[94:95], exec
	s_and_b64 vcc, s[30:31], exec
	s_or_b64 s[94:95], s[94:95], vcc
	s_andn2_b64 exec, exec, s[92:93]
	s_cbranch_execz .LBB26_984
.LBB26_826:                             ;   Parent Loop BB26_47 Depth=1
                                        ; =>  This Inner Loop Header: Depth=2
	s_add_i32 s56, s56, 1
	s_cmpk_lg_i32 s56, 0x2710
	s_cselect_b64 s[34:35], -1, 0
	s_and_b64 vcc, exec, s[34:35]
	s_cbranch_vccz .LBB26_828
; %bb.827:                              ;   in Loop: Header=BB26_826 Depth=2
	s_mov_b64 vcc, -1
	s_or_b64 s[30:31], s[30:31], exec
	s_and_saveexec_b64 s[36:37], s[34:35]
	s_cbranch_execz .LBB26_825
	s_branch .LBB26_829
.LBB26_828:                             ;   in Loop: Header=BB26_826 Depth=2
	s_trap 2
	ds_read_b64 v[8:9], v0
	s_andn2_b64 s[34:35], s[34:35], exec
	s_mov_b32 s56, 0
	s_waitcnt vmcnt(0) lgkmcnt(0)
	flat_load_dword v2, v[8:9] sc0 sc1
	s_waitcnt vmcnt(0) lgkmcnt(0)
	buffer_inv sc0 sc1
	v_cmp_eq_u32_e32 vcc, 0, v2
	s_and_b64 vcc, vcc, exec
	s_or_b64 s[34:35], s[34:35], vcc
	s_mov_b64 vcc, -1
	s_or_b64 s[30:31], s[30:31], exec
	s_and_saveexec_b64 s[36:37], s[34:35]
	s_cbranch_execz .LBB26_825
.LBB26_829:                             ;   in Loop: Header=BB26_826 Depth=2
	s_sleep 1
	s_trap 2
	ds_read_b64 v[8:9], v0
	s_waitcnt lgkmcnt(0)
	s_andn2_b64 s[30:31], s[30:31], exec
	v_cmp_ge_u64_e32 vcc, v[8:9], v[70:71]
	s_orn2_b64 vcc, vcc, exec
	s_branch .LBB26_825
.LBB26_830:                             ;   in Loop: Header=BB26_47 Depth=1
	s_or_b64 exec, exec, s[94:95]
	s_and_saveexec_b64 s[94:95], s[30:31]
	s_xor_b64 s[94:95], exec, s[94:95]
	s_cbranch_execz .LBB26_832
; %bb.831:                              ;   in Loop: Header=BB26_47 Depth=1
	ds_write_b32 v0, v107
	s_trap 2
.LBB26_832:                             ;   in Loop: Header=BB26_47 Depth=1
	s_or_b64 exec, exec, s[42:43]
	;;#ASMSTART
	s_wakeup
	;;#ASMEND
.LBB26_833:                             ;   in Loop: Header=BB26_47 Depth=1
	s_or_b64 exec, exec, s[40:41]
.LBB26_834:                             ;   in Loop: Header=BB26_47 Depth=1
	s_andn2_saveexec_b64 s[28:29], s[28:29]
	s_cbranch_execz .LBB26_836
; %bb.835:                              ;   in Loop: Header=BB26_47 Depth=1
	s_waitcnt lgkmcnt(0)
	s_barrier
.LBB26_836:                             ;   in Loop: Header=BB26_47 Depth=1
	s_or_b64 exec, exec, s[28:29]
.LBB26_837:                             ;   in Loop: Header=BB26_47 Depth=1
	s_or_b64 exec, exec, s[26:27]
	s_trap 2
	ds_read_b64 v[74:75], v0
	s_waitcnt lgkmcnt(0)
	v_cmp_eq_u64_e32 vcc, 0, v[74:75]
	s_cbranch_vccnz .LBB26_846
; %bb.838:                              ;   in Loop: Header=BB26_47 Depth=1
	s_trap 2
	ds_read_b64 v[76:77], v0
	s_waitcnt lgkmcnt(0)
	v_cmp_eq_u64_e32 vcc, 0, v[76:77]
	s_cbranch_vccnz .LBB26_846
; %bb.839:                              ;   in Loop: Header=BB26_47 Depth=1
	s_trap 2
	ds_read_b64 v[78:79], v0
	v_cmp_eq_u32_e32 vcc, 0, v8
	s_waitcnt lgkmcnt(0)
	v_readfirstlane_b32 s48, v78
	v_cndmask_b32_e32 v2, 0, v72, vcc
	v_cmp_ne_u64_e32 vcc, 0, v[78:79]
	v_lshlrev_b32_e32 v73, 1, v2
	s_cbranch_vccz .LBB26_851
; %bb.840:                              ;   in Loop: Header=BB26_47 Depth=1
	s_mov_b64 s[28:29], -1
	s_and_saveexec_b64 s[26:27], s[20:21]
	s_cbranch_execz .LBB26_842
; %bb.841:                              ;   in Loop: Header=BB26_47 Depth=1
	ds_read_b32 v8, v0 offset:720
	s_waitcnt lgkmcnt(0)
	v_and_b32_e32 v8, 15, v8
	v_cmp_eq_u32_e32 vcc, 0, v8
	s_orn2_b64 s[28:29], vcc, exec
.LBB26_842:                             ;   in Loop: Header=BB26_47 Depth=1
	s_or_b64 exec, exec, s[26:27]
	s_and_saveexec_b64 s[26:27], s[20:21]
	s_cbranch_execz .LBB26_844
; %bb.843:                              ;   in Loop: Header=BB26_47 Depth=1
	ds_read_b32 v8, v0 offset:784
	s_waitcnt lgkmcnt(0)
	v_and_b32_e32 v8, 15, v8
	v_cmp_eq_u32_e32 vcc, 0, v8
	s_and_b64 s[40:41], s[28:29], vcc
	s_andn2_b64 s[28:29], s[28:29], exec
	s_and_b64 s[40:41], s[40:41], exec
	s_or_b64 s[28:29], s[28:29], s[40:41]
.LBB26_844:                             ;   in Loop: Header=BB26_47 Depth=1
	s_or_b64 exec, exec, s[26:27]
	s_xor_b64 s[28:29], s[28:29], -1
	v_cndmask_b32_e64 v8, 0, 1, s[28:29]
	s_mov_b64 s[26:27], -1
	v_mov_b32_e32 v16, 0
	v_cmp_ne_u32_e32 vcc, 0, v8
	v_mov_b32_e32 v17, v73
	v_mov_b32_e32 v18, v0
	s_cbranch_vccz .LBB26_853
; %bb.845:                              ;   in Loop: Header=BB26_47 Depth=1
	s_and_saveexec_b64 s[42:43], s[26:27]
	s_cbranch_execnz .LBB26_1038
	s_branch .LBB26_1116
.LBB26_846:                             ;   in Loop: Header=BB26_47 Depth=1
	s_mov_b64 s[26:27], 0
	s_and_saveexec_b64 s[28:29], s[6:7]
	s_cbranch_execnz .LBB26_1371
.LBB26_847:                             ;   in Loop: Header=BB26_47 Depth=1
	s_or_b64 exec, exec, s[28:29]
                                        ; implicit-def: $vgpr2
	s_and_saveexec_b64 s[28:29], s[22:23]
	s_xor_b64 s[28:29], exec, s[28:29]
	s_cbranch_execz .LBB26_1389
.LBB26_848:                             ;   in Loop: Header=BB26_47 Depth=1
	v_and_b32_e32 v8, 16, v104
	v_cmp_ne_u32_e32 vcc, 0, v8
	v_and_b32_e32 v2, 16, v104
	s_and_b64 s[40:41], vcc, s[26:27]
	s_and_saveexec_b64 s[26:27], s[40:41]
	s_cbranch_execz .LBB26_850
; %bb.849:                              ;   in Loop: Header=BB26_47 Depth=1
	v_mov_b32_e32 v2, 1
	buffer_wbl2 sc1
	s_waitcnt vmcnt(0) lgkmcnt(0)
	buffer_inv sc1
.LBB26_850:                             ;   in Loop: Header=BB26_47 Depth=1
	s_or_b64 exec, exec, s[26:27]
	s_andn2_saveexec_b64 s[26:27], s[28:29]
	s_cbranch_execz .LBB26_1408
	s_branch .LBB26_1390
.LBB26_851:                             ;   in Loop: Header=BB26_47 Depth=1
	s_cbranch_execnz .LBB26_1117
.LBB26_852:                             ;   in Loop: Header=BB26_47 Depth=1
	v_cmp_lt_i32_e64 s[26:27], 0, v2
	s_and_saveexec_b64 s[28:29], s[6:7]
	s_cbranch_execnz .LBB26_1371
	s_branch .LBB26_847
.LBB26_853:                             ;   in Loop: Header=BB26_47 Depth=1
	v_ashrrev_i32_e32 v8, 31, v73
	v_lshrrev_b32_e32 v8, 20, v8
	v_add_u32_e32 v8, v73, v8
	v_ashrrev_i32_e32 v122, 12, v8
	v_sub_u32_e32 v121, v122, v106
	v_cmp_lt_i32_e32 vcc, 0, v121
	s_and_saveexec_b64 s[28:29], vcc
	s_cbranch_execz .LBB26_997
; %bb.854:                              ;   in Loop: Header=BB26_47 Depth=1
	s_trap 2
	ds_read_b64 v[8:9], v0
	s_and_b32 s56, s48, 1
	s_cmp_eq_u64 s[56:57], 0
	v_lshl_add_u64 v[88:89], v[76:77], 0, v[114:115]
	v_lshl_add_u64 v[90:91], v[78:79], 0, v[114:115]
	;; [unrolled: 1-line block ×3, first 2 shown]
	s_waitcnt lgkmcnt(0)
	v_lshl_add_u64 v[94:95], v[8:9], 0, v[114:115]
	s_mov_b64 s[40:41], 0
	s_cselect_b64 vcc, -1, 0
	s_branch .LBB26_856
.LBB26_855:                             ;   in Loop: Header=BB26_856 Depth=2
	s_or_b64 exec, exec, s[42:43]
	v_lshrrev_b32_e32 v15, 16, v20
	v_and_or_b32 v17, v17, s69, v15
	v_lshrrev_b32_e32 v15, 16, v35
	v_and_or_b32 v16, v16, s69, v15
	;; [unrolled: 2-line block ×9, first 2 shown]
	v_lshrrev_b32_e32 v15, 16, v123
	v_lshrrev_b32_e32 v12, 16, v12
	v_and_or_b32 v32, v36, s69, v15
	v_lshrrev_b32_e32 v15, 16, v49
	v_and_or_b32 v9, v9, s69, v12
	;; [unrolled: 2-line block ×4, first 2 shown]
	v_lshrrev_b32_e32 v12, 16, v13
	v_sub_u32_e32 v121, v121, v84
	v_and_or_b32 v35, v39, s69, v15
	v_and_or_b32 v10, v10, s69, v12
	v_lshrrev_b32_e32 v12, 16, v14
	v_cmp_gt_i32_e64 s[26:27], 1, v121
	v_and_or_b32 v11, v11, s69, v12
	global_store_dwordx4 v[88:89], v[32:35], off
	global_store_dwordx4 v[88:89], v[24:27], off offset:1024
	global_store_dwordx4 v[88:89], v[16:19], off offset:2048
	;; [unrolled: 1-line block ×3, first 2 shown]
	global_store_dwordx4 v[90:91], v[32:35], off
	global_store_dwordx4 v[90:91], v[24:27], off offset:1024
	global_store_dwordx4 v[90:91], v[16:19], off offset:2048
	;; [unrolled: 1-line block ×3, first 2 shown]
	v_lshl_add_u64 v[92:93], v[92:93], 0, v[116:117]
	v_lshl_add_u64 v[94:95], v[94:95], 0, v[116:117]
	v_lshl_add_u64 v[88:89], v[88:89], 0, v[116:117]
	s_or_b64 s[40:41], s[26:27], s[40:41]
	v_lshl_add_u64 v[90:91], v[90:91], 0, v[116:117]
	s_andn2_b64 exec, exec, s[40:41]
	s_cbranch_execz .LBB26_996
.LBB26_856:                             ;   Parent Loop BB26_47 Depth=1
                                        ; =>  This Inner Loop Header: Depth=2
	global_load_dwordx4 v[36:39], v[92:93], off nt
	global_load_dwordx4 v[48:51], v[94:95], off nt
	global_load_dwordx4 v[24:27], v[92:93], off offset:1024 nt
	global_load_dwordx4 v[16:19], v[92:93], off offset:2048 nt
	global_load_dwordx4 v[8:11], v[92:93], off offset:3072 nt
	global_load_dwordx4 v[32:35], v[94:95], off offset:1024 nt
	global_load_dwordx4 v[20:23], v[94:95], off offset:2048 nt
	global_load_dwordx4 v[12:15], v[94:95], off offset:3072 nt
	s_waitcnt vmcnt(0)
	v_lshlrev_b32_e32 v123, 16, v36
	v_lshlrev_b32_e32 v124, 16, v48
	v_max_f32_e32 v124, v124, v124
	v_max_f32_e32 v123, v123, v123
	v_min_f32_e32 v125, v123, v124
	v_max_f32_e32 v123, v123, v124
	v_cndmask_b32_e32 v124, v123, v125, vcc
	v_and_b32_e32 v123, 0x7f800000, v124
	v_cmp_ne_u32_e64 s[26:27], s67, v123
                                        ; implicit-def: $vgpr123
	s_and_saveexec_b64 s[42:43], s[26:27]
	s_xor_b64 s[26:27], exec, s[42:43]
; %bb.857:                              ;   in Loop: Header=BB26_856 Depth=2
	v_bfe_u32 v123, v124, 16, 1
	v_add3_u32 v123, v124, v123, s68
                                        ; implicit-def: $vgpr124
; %bb.858:                              ;   in Loop: Header=BB26_856 Depth=2
	s_andn2_saveexec_b64 s[42:43], s[26:27]
; %bb.859:                              ;   in Loop: Header=BB26_856 Depth=2
	v_or_b32_e32 v123, 0x10000, v124
	v_cmp_eq_u32_sdwa s[26:27], v124, v3 src0_sel:WORD_0 src1_sel:DWORD
	s_nop 1
	v_cndmask_b32_e64 v123, v123, v124, s[26:27]
; %bb.860:                              ;   in Loop: Header=BB26_856 Depth=2
	s_or_b64 exec, exec, s[42:43]
	v_and_b32_e32 v36, 0xffff0000, v36
	v_and_b32_e32 v48, 0xffff0000, v48
	v_max_f32_e32 v48, v48, v48
	v_max_f32_e32 v36, v36, v36
	v_min_f32_e32 v124, v36, v48
	v_max_f32_e32 v36, v36, v48
	v_cndmask_b32_e32 v48, v36, v124, vcc
	v_and_b32_e32 v36, 0x7f800000, v48
	v_cmp_ne_u32_e64 s[26:27], s67, v36
                                        ; implicit-def: $vgpr36
	s_and_saveexec_b64 s[42:43], s[26:27]
	s_xor_b64 s[26:27], exec, s[42:43]
; %bb.861:                              ;   in Loop: Header=BB26_856 Depth=2
	v_bfe_u32 v36, v48, 16, 1
	v_add3_u32 v36, v48, v36, s68
                                        ; implicit-def: $vgpr48
; %bb.862:                              ;   in Loop: Header=BB26_856 Depth=2
	s_andn2_saveexec_b64 s[42:43], s[26:27]
; %bb.863:                              ;   in Loop: Header=BB26_856 Depth=2
	v_or_b32_e32 v36, 0x10000, v48
	v_cmp_eq_u32_sdwa s[26:27], v48, v3 src0_sel:WORD_0 src1_sel:DWORD
	s_nop 1
	v_cndmask_b32_e64 v36, v36, v48, s[26:27]
; %bb.864:                              ;   in Loop: Header=BB26_856 Depth=2
	s_or_b64 exec, exec, s[42:43]
	v_lshlrev_b32_e32 v48, 16, v37
	v_lshlrev_b32_e32 v124, 16, v49
	v_max_f32_e32 v124, v124, v124
	v_max_f32_e32 v48, v48, v48
	v_min_f32_e32 v125, v48, v124
	v_max_f32_e32 v48, v48, v124
	v_cndmask_b32_e32 v124, v48, v125, vcc
	v_and_b32_e32 v48, 0x7f800000, v124
	v_cmp_ne_u32_e64 s[26:27], s67, v48
                                        ; implicit-def: $vgpr48
	s_and_saveexec_b64 s[42:43], s[26:27]
	s_xor_b64 s[26:27], exec, s[42:43]
; %bb.865:                              ;   in Loop: Header=BB26_856 Depth=2
	v_bfe_u32 v48, v124, 16, 1
	v_add3_u32 v48, v124, v48, s68
                                        ; implicit-def: $vgpr124
; %bb.866:                              ;   in Loop: Header=BB26_856 Depth=2
	s_andn2_saveexec_b64 s[42:43], s[26:27]
; %bb.867:                              ;   in Loop: Header=BB26_856 Depth=2
	v_or_b32_e32 v48, 0x10000, v124
	v_cmp_eq_u32_sdwa s[26:27], v124, v3 src0_sel:WORD_0 src1_sel:DWORD
	s_nop 1
	v_cndmask_b32_e64 v48, v48, v124, s[26:27]
; %bb.868:                              ;   in Loop: Header=BB26_856 Depth=2
	s_or_b64 exec, exec, s[42:43]
	v_and_b32_e32 v37, 0xffff0000, v37
	v_and_b32_e32 v49, 0xffff0000, v49
	v_max_f32_e32 v49, v49, v49
	v_max_f32_e32 v37, v37, v37
	v_min_f32_e32 v124, v37, v49
	v_max_f32_e32 v37, v37, v49
	v_cndmask_b32_e32 v49, v37, v124, vcc
	v_and_b32_e32 v37, 0x7f800000, v49
	v_cmp_ne_u32_e64 s[26:27], s67, v37
                                        ; implicit-def: $vgpr37
	s_and_saveexec_b64 s[42:43], s[26:27]
	s_xor_b64 s[26:27], exec, s[42:43]
; %bb.869:                              ;   in Loop: Header=BB26_856 Depth=2
	v_bfe_u32 v37, v49, 16, 1
	v_add3_u32 v37, v49, v37, s68
                                        ; implicit-def: $vgpr49
; %bb.870:                              ;   in Loop: Header=BB26_856 Depth=2
	s_andn2_saveexec_b64 s[42:43], s[26:27]
; %bb.871:                              ;   in Loop: Header=BB26_856 Depth=2
	v_or_b32_e32 v37, 0x10000, v49
	v_cmp_eq_u32_sdwa s[26:27], v49, v3 src0_sel:WORD_0 src1_sel:DWORD
	s_nop 1
	v_cndmask_b32_e64 v37, v37, v49, s[26:27]
; %bb.872:                              ;   in Loop: Header=BB26_856 Depth=2
	s_or_b64 exec, exec, s[42:43]
	v_lshlrev_b32_e32 v49, 16, v38
	v_lshlrev_b32_e32 v124, 16, v50
	v_max_f32_e32 v124, v124, v124
	v_max_f32_e32 v49, v49, v49
	v_min_f32_e32 v125, v49, v124
	v_max_f32_e32 v49, v49, v124
	v_cndmask_b32_e32 v124, v49, v125, vcc
	v_and_b32_e32 v49, 0x7f800000, v124
	v_cmp_ne_u32_e64 s[26:27], s67, v49
                                        ; implicit-def: $vgpr49
	s_and_saveexec_b64 s[42:43], s[26:27]
	s_xor_b64 s[26:27], exec, s[42:43]
; %bb.873:                              ;   in Loop: Header=BB26_856 Depth=2
	v_bfe_u32 v49, v124, 16, 1
	v_add3_u32 v49, v124, v49, s68
                                        ; implicit-def: $vgpr124
; %bb.874:                              ;   in Loop: Header=BB26_856 Depth=2
	s_andn2_saveexec_b64 s[42:43], s[26:27]
; %bb.875:                              ;   in Loop: Header=BB26_856 Depth=2
	v_or_b32_e32 v49, 0x10000, v124
	v_cmp_eq_u32_sdwa s[26:27], v124, v3 src0_sel:WORD_0 src1_sel:DWORD
	s_nop 1
	v_cndmask_b32_e64 v49, v49, v124, s[26:27]
; %bb.876:                              ;   in Loop: Header=BB26_856 Depth=2
	s_or_b64 exec, exec, s[42:43]
	v_and_b32_e32 v38, 0xffff0000, v38
	v_and_b32_e32 v50, 0xffff0000, v50
	v_max_f32_e32 v50, v50, v50
	v_max_f32_e32 v38, v38, v38
	v_min_f32_e32 v124, v38, v50
	v_max_f32_e32 v38, v38, v50
	v_cndmask_b32_e32 v50, v38, v124, vcc
	v_and_b32_e32 v38, 0x7f800000, v50
	v_cmp_ne_u32_e64 s[26:27], s67, v38
                                        ; implicit-def: $vgpr38
	s_and_saveexec_b64 s[42:43], s[26:27]
	s_xor_b64 s[26:27], exec, s[42:43]
; %bb.877:                              ;   in Loop: Header=BB26_856 Depth=2
	v_bfe_u32 v38, v50, 16, 1
	v_add3_u32 v38, v50, v38, s68
                                        ; implicit-def: $vgpr50
; %bb.878:                              ;   in Loop: Header=BB26_856 Depth=2
	s_andn2_saveexec_b64 s[42:43], s[26:27]
; %bb.879:                              ;   in Loop: Header=BB26_856 Depth=2
	v_or_b32_e32 v38, 0x10000, v50
	v_cmp_eq_u32_sdwa s[26:27], v50, v3 src0_sel:WORD_0 src1_sel:DWORD
	s_nop 1
	v_cndmask_b32_e64 v38, v38, v50, s[26:27]
; %bb.880:                              ;   in Loop: Header=BB26_856 Depth=2
	s_or_b64 exec, exec, s[42:43]
	v_lshlrev_b32_e32 v50, 16, v39
	v_lshlrev_b32_e32 v124, 16, v51
	v_max_f32_e32 v124, v124, v124
	v_max_f32_e32 v50, v50, v50
	v_min_f32_e32 v125, v50, v124
	v_max_f32_e32 v50, v50, v124
	v_cndmask_b32_e32 v124, v50, v125, vcc
	v_and_b32_e32 v50, 0x7f800000, v124
	v_cmp_ne_u32_e64 s[26:27], s67, v50
                                        ; implicit-def: $vgpr50
	s_and_saveexec_b64 s[42:43], s[26:27]
	s_xor_b64 s[26:27], exec, s[42:43]
; %bb.881:                              ;   in Loop: Header=BB26_856 Depth=2
	v_bfe_u32 v50, v124, 16, 1
	v_add3_u32 v50, v124, v50, s68
                                        ; implicit-def: $vgpr124
; %bb.882:                              ;   in Loop: Header=BB26_856 Depth=2
	s_andn2_saveexec_b64 s[42:43], s[26:27]
; %bb.883:                              ;   in Loop: Header=BB26_856 Depth=2
	v_or_b32_e32 v50, 0x10000, v124
	v_cmp_eq_u32_sdwa s[26:27], v124, v3 src0_sel:WORD_0 src1_sel:DWORD
	s_nop 1
	v_cndmask_b32_e64 v50, v50, v124, s[26:27]
; %bb.884:                              ;   in Loop: Header=BB26_856 Depth=2
	s_or_b64 exec, exec, s[42:43]
	v_and_b32_e32 v39, 0xffff0000, v39
	v_and_b32_e32 v51, 0xffff0000, v51
	v_max_f32_e32 v51, v51, v51
	v_max_f32_e32 v39, v39, v39
	v_min_f32_e32 v124, v39, v51
	v_max_f32_e32 v39, v39, v51
	v_cndmask_b32_e32 v51, v39, v124, vcc
	v_and_b32_e32 v39, 0x7f800000, v51
	v_cmp_ne_u32_e64 s[26:27], s67, v39
                                        ; implicit-def: $vgpr39
	s_and_saveexec_b64 s[42:43], s[26:27]
	s_xor_b64 s[26:27], exec, s[42:43]
; %bb.885:                              ;   in Loop: Header=BB26_856 Depth=2
	v_bfe_u32 v39, v51, 16, 1
	v_add3_u32 v39, v51, v39, s68
                                        ; implicit-def: $vgpr51
; %bb.886:                              ;   in Loop: Header=BB26_856 Depth=2
	s_andn2_saveexec_b64 s[42:43], s[26:27]
; %bb.887:                              ;   in Loop: Header=BB26_856 Depth=2
	v_or_b32_e32 v39, 0x10000, v51
	v_cmp_eq_u32_sdwa s[26:27], v51, v3 src0_sel:WORD_0 src1_sel:DWORD
	s_nop 1
	v_cndmask_b32_e64 v39, v39, v51, s[26:27]
; %bb.888:                              ;   in Loop: Header=BB26_856 Depth=2
	s_or_b64 exec, exec, s[42:43]
	v_lshlrev_b32_e32 v51, 16, v24
	v_lshlrev_b32_e32 v124, 16, v32
	v_max_f32_e32 v124, v124, v124
	v_max_f32_e32 v51, v51, v51
	v_min_f32_e32 v125, v51, v124
	v_max_f32_e32 v51, v51, v124
	v_cndmask_b32_e32 v124, v51, v125, vcc
	v_and_b32_e32 v51, 0x7f800000, v124
	v_cmp_ne_u32_e64 s[26:27], s67, v51
                                        ; implicit-def: $vgpr51
	s_and_saveexec_b64 s[42:43], s[26:27]
	s_xor_b64 s[26:27], exec, s[42:43]
; %bb.889:                              ;   in Loop: Header=BB26_856 Depth=2
	v_bfe_u32 v51, v124, 16, 1
	v_add3_u32 v51, v124, v51, s68
                                        ; implicit-def: $vgpr124
; %bb.890:                              ;   in Loop: Header=BB26_856 Depth=2
	s_andn2_saveexec_b64 s[42:43], s[26:27]
; %bb.891:                              ;   in Loop: Header=BB26_856 Depth=2
	v_or_b32_e32 v51, 0x10000, v124
	v_cmp_eq_u32_sdwa s[26:27], v124, v3 src0_sel:WORD_0 src1_sel:DWORD
	s_nop 1
	v_cndmask_b32_e64 v51, v51, v124, s[26:27]
; %bb.892:                              ;   in Loop: Header=BB26_856 Depth=2
	s_or_b64 exec, exec, s[42:43]
	v_and_b32_e32 v24, 0xffff0000, v24
	v_and_b32_e32 v32, 0xffff0000, v32
	v_max_f32_e32 v32, v32, v32
	v_max_f32_e32 v24, v24, v24
	v_min_f32_e32 v124, v24, v32
	v_max_f32_e32 v24, v24, v32
	v_cndmask_b32_e32 v32, v24, v124, vcc
	v_and_b32_e32 v24, 0x7f800000, v32
	v_cmp_ne_u32_e64 s[26:27], s67, v24
                                        ; implicit-def: $vgpr24
	s_and_saveexec_b64 s[42:43], s[26:27]
	s_xor_b64 s[26:27], exec, s[42:43]
; %bb.893:                              ;   in Loop: Header=BB26_856 Depth=2
	v_bfe_u32 v24, v32, 16, 1
	v_add3_u32 v24, v32, v24, s68
                                        ; implicit-def: $vgpr32
; %bb.894:                              ;   in Loop: Header=BB26_856 Depth=2
	s_andn2_saveexec_b64 s[42:43], s[26:27]
; %bb.895:                              ;   in Loop: Header=BB26_856 Depth=2
	v_or_b32_e32 v24, 0x10000, v32
	v_cmp_eq_u32_sdwa s[26:27], v32, v3 src0_sel:WORD_0 src1_sel:DWORD
	s_nop 1
	v_cndmask_b32_e64 v24, v24, v32, s[26:27]
; %bb.896:                              ;   in Loop: Header=BB26_856 Depth=2
	s_or_b64 exec, exec, s[42:43]
	v_lshlrev_b32_e32 v32, 16, v25
	v_lshlrev_b32_e32 v124, 16, v33
	v_max_f32_e32 v124, v124, v124
	v_max_f32_e32 v32, v32, v32
	v_min_f32_e32 v125, v32, v124
	v_max_f32_e32 v32, v32, v124
	v_cndmask_b32_e32 v124, v32, v125, vcc
	v_and_b32_e32 v32, 0x7f800000, v124
	v_cmp_ne_u32_e64 s[26:27], s67, v32
                                        ; implicit-def: $vgpr32
	s_and_saveexec_b64 s[42:43], s[26:27]
	s_xor_b64 s[26:27], exec, s[42:43]
; %bb.897:                              ;   in Loop: Header=BB26_856 Depth=2
	v_bfe_u32 v32, v124, 16, 1
	v_add3_u32 v32, v124, v32, s68
                                        ; implicit-def: $vgpr124
; %bb.898:                              ;   in Loop: Header=BB26_856 Depth=2
	s_andn2_saveexec_b64 s[42:43], s[26:27]
; %bb.899:                              ;   in Loop: Header=BB26_856 Depth=2
	v_or_b32_e32 v32, 0x10000, v124
	v_cmp_eq_u32_sdwa s[26:27], v124, v3 src0_sel:WORD_0 src1_sel:DWORD
	s_nop 1
	v_cndmask_b32_e64 v32, v32, v124, s[26:27]
; %bb.900:                              ;   in Loop: Header=BB26_856 Depth=2
	s_or_b64 exec, exec, s[42:43]
	v_and_b32_e32 v25, 0xffff0000, v25
	v_and_b32_e32 v33, 0xffff0000, v33
	v_max_f32_e32 v33, v33, v33
	v_max_f32_e32 v25, v25, v25
	v_min_f32_e32 v124, v25, v33
	v_max_f32_e32 v25, v25, v33
	v_cndmask_b32_e32 v33, v25, v124, vcc
	v_and_b32_e32 v25, 0x7f800000, v33
	v_cmp_ne_u32_e64 s[26:27], s67, v25
                                        ; implicit-def: $vgpr25
	s_and_saveexec_b64 s[42:43], s[26:27]
	s_xor_b64 s[26:27], exec, s[42:43]
; %bb.901:                              ;   in Loop: Header=BB26_856 Depth=2
	v_bfe_u32 v25, v33, 16, 1
	v_add3_u32 v25, v33, v25, s68
                                        ; implicit-def: $vgpr33
; %bb.902:                              ;   in Loop: Header=BB26_856 Depth=2
	s_andn2_saveexec_b64 s[42:43], s[26:27]
; %bb.903:                              ;   in Loop: Header=BB26_856 Depth=2
	v_or_b32_e32 v25, 0x10000, v33
	v_cmp_eq_u32_sdwa s[26:27], v33, v3 src0_sel:WORD_0 src1_sel:DWORD
	s_nop 1
	v_cndmask_b32_e64 v25, v25, v33, s[26:27]
; %bb.904:                              ;   in Loop: Header=BB26_856 Depth=2
	s_or_b64 exec, exec, s[42:43]
	v_lshlrev_b32_e32 v33, 16, v26
	v_lshlrev_b32_e32 v124, 16, v34
	v_max_f32_e32 v124, v124, v124
	v_max_f32_e32 v33, v33, v33
	v_min_f32_e32 v125, v33, v124
	v_max_f32_e32 v33, v33, v124
	v_cndmask_b32_e32 v124, v33, v125, vcc
	v_and_b32_e32 v33, 0x7f800000, v124
	v_cmp_ne_u32_e64 s[26:27], s67, v33
                                        ; implicit-def: $vgpr33
	s_and_saveexec_b64 s[42:43], s[26:27]
	s_xor_b64 s[26:27], exec, s[42:43]
; %bb.905:                              ;   in Loop: Header=BB26_856 Depth=2
	v_bfe_u32 v33, v124, 16, 1
	v_add3_u32 v33, v124, v33, s68
                                        ; implicit-def: $vgpr124
; %bb.906:                              ;   in Loop: Header=BB26_856 Depth=2
	s_andn2_saveexec_b64 s[42:43], s[26:27]
; %bb.907:                              ;   in Loop: Header=BB26_856 Depth=2
	v_or_b32_e32 v33, 0x10000, v124
	v_cmp_eq_u32_sdwa s[26:27], v124, v3 src0_sel:WORD_0 src1_sel:DWORD
	s_nop 1
	v_cndmask_b32_e64 v33, v33, v124, s[26:27]
; %bb.908:                              ;   in Loop: Header=BB26_856 Depth=2
	s_or_b64 exec, exec, s[42:43]
	v_and_b32_e32 v26, 0xffff0000, v26
	v_and_b32_e32 v34, 0xffff0000, v34
	v_max_f32_e32 v34, v34, v34
	v_max_f32_e32 v26, v26, v26
	v_min_f32_e32 v124, v26, v34
	v_max_f32_e32 v26, v26, v34
	v_cndmask_b32_e32 v34, v26, v124, vcc
	v_and_b32_e32 v26, 0x7f800000, v34
	v_cmp_ne_u32_e64 s[26:27], s67, v26
                                        ; implicit-def: $vgpr26
	s_and_saveexec_b64 s[42:43], s[26:27]
	s_xor_b64 s[26:27], exec, s[42:43]
; %bb.909:                              ;   in Loop: Header=BB26_856 Depth=2
	v_bfe_u32 v26, v34, 16, 1
	v_add3_u32 v26, v34, v26, s68
                                        ; implicit-def: $vgpr34
; %bb.910:                              ;   in Loop: Header=BB26_856 Depth=2
	s_andn2_saveexec_b64 s[42:43], s[26:27]
; %bb.911:                              ;   in Loop: Header=BB26_856 Depth=2
	v_or_b32_e32 v26, 0x10000, v34
	v_cmp_eq_u32_sdwa s[26:27], v34, v3 src0_sel:WORD_0 src1_sel:DWORD
	s_nop 1
	v_cndmask_b32_e64 v26, v26, v34, s[26:27]
; %bb.912:                              ;   in Loop: Header=BB26_856 Depth=2
	s_or_b64 exec, exec, s[42:43]
	v_lshlrev_b32_e32 v34, 16, v27
	v_lshlrev_b32_e32 v124, 16, v35
	v_max_f32_e32 v124, v124, v124
	v_max_f32_e32 v34, v34, v34
	v_min_f32_e32 v125, v34, v124
	v_max_f32_e32 v34, v34, v124
	v_cndmask_b32_e32 v124, v34, v125, vcc
	v_and_b32_e32 v34, 0x7f800000, v124
	v_cmp_ne_u32_e64 s[26:27], s67, v34
                                        ; implicit-def: $vgpr34
	s_and_saveexec_b64 s[42:43], s[26:27]
	s_xor_b64 s[26:27], exec, s[42:43]
; %bb.913:                              ;   in Loop: Header=BB26_856 Depth=2
	v_bfe_u32 v34, v124, 16, 1
	v_add3_u32 v34, v124, v34, s68
                                        ; implicit-def: $vgpr124
; %bb.914:                              ;   in Loop: Header=BB26_856 Depth=2
	s_andn2_saveexec_b64 s[42:43], s[26:27]
; %bb.915:                              ;   in Loop: Header=BB26_856 Depth=2
	v_or_b32_e32 v34, 0x10000, v124
	v_cmp_eq_u32_sdwa s[26:27], v124, v3 src0_sel:WORD_0 src1_sel:DWORD
	s_nop 1
	v_cndmask_b32_e64 v34, v34, v124, s[26:27]
; %bb.916:                              ;   in Loop: Header=BB26_856 Depth=2
	s_or_b64 exec, exec, s[42:43]
	v_and_b32_e32 v27, 0xffff0000, v27
	v_and_b32_e32 v35, 0xffff0000, v35
	v_max_f32_e32 v35, v35, v35
	v_max_f32_e32 v27, v27, v27
	v_min_f32_e32 v124, v27, v35
	v_max_f32_e32 v27, v27, v35
	v_cndmask_b32_e32 v35, v27, v124, vcc
	v_and_b32_e32 v27, 0x7f800000, v35
	v_cmp_ne_u32_e64 s[26:27], s67, v27
                                        ; implicit-def: $vgpr27
	s_and_saveexec_b64 s[42:43], s[26:27]
	s_xor_b64 s[26:27], exec, s[42:43]
; %bb.917:                              ;   in Loop: Header=BB26_856 Depth=2
	v_bfe_u32 v27, v35, 16, 1
	v_add3_u32 v27, v35, v27, s68
                                        ; implicit-def: $vgpr35
; %bb.918:                              ;   in Loop: Header=BB26_856 Depth=2
	s_andn2_saveexec_b64 s[42:43], s[26:27]
; %bb.919:                              ;   in Loop: Header=BB26_856 Depth=2
	v_or_b32_e32 v27, 0x10000, v35
	v_cmp_eq_u32_sdwa s[26:27], v35, v3 src0_sel:WORD_0 src1_sel:DWORD
	s_nop 1
	v_cndmask_b32_e64 v27, v27, v35, s[26:27]
; %bb.920:                              ;   in Loop: Header=BB26_856 Depth=2
	s_or_b64 exec, exec, s[42:43]
	v_lshlrev_b32_e32 v35, 16, v16
	v_lshlrev_b32_e32 v124, 16, v20
	v_max_f32_e32 v124, v124, v124
	v_max_f32_e32 v35, v35, v35
	v_min_f32_e32 v125, v35, v124
	v_max_f32_e32 v35, v35, v124
	v_cndmask_b32_e32 v124, v35, v125, vcc
	v_and_b32_e32 v35, 0x7f800000, v124
	v_cmp_ne_u32_e64 s[26:27], s67, v35
                                        ; implicit-def: $vgpr35
	s_and_saveexec_b64 s[42:43], s[26:27]
	s_xor_b64 s[26:27], exec, s[42:43]
; %bb.921:                              ;   in Loop: Header=BB26_856 Depth=2
	v_bfe_u32 v35, v124, 16, 1
	v_add3_u32 v35, v124, v35, s68
                                        ; implicit-def: $vgpr124
; %bb.922:                              ;   in Loop: Header=BB26_856 Depth=2
	s_andn2_saveexec_b64 s[42:43], s[26:27]
; %bb.923:                              ;   in Loop: Header=BB26_856 Depth=2
	v_or_b32_e32 v35, 0x10000, v124
	v_cmp_eq_u32_sdwa s[26:27], v124, v3 src0_sel:WORD_0 src1_sel:DWORD
	s_nop 1
	v_cndmask_b32_e64 v35, v35, v124, s[26:27]
; %bb.924:                              ;   in Loop: Header=BB26_856 Depth=2
	s_or_b64 exec, exec, s[42:43]
	v_and_b32_e32 v16, 0xffff0000, v16
	v_and_b32_e32 v20, 0xffff0000, v20
	v_max_f32_e32 v20, v20, v20
	v_max_f32_e32 v16, v16, v16
	v_min_f32_e32 v124, v16, v20
	v_max_f32_e32 v16, v16, v20
	v_cndmask_b32_e32 v20, v16, v124, vcc
	v_and_b32_e32 v16, 0x7f800000, v20
	v_cmp_ne_u32_e64 s[26:27], s67, v16
                                        ; implicit-def: $vgpr16
	s_and_saveexec_b64 s[42:43], s[26:27]
	s_xor_b64 s[26:27], exec, s[42:43]
; %bb.925:                              ;   in Loop: Header=BB26_856 Depth=2
	v_bfe_u32 v16, v20, 16, 1
	v_add3_u32 v16, v20, v16, s68
                                        ; implicit-def: $vgpr20
; %bb.926:                              ;   in Loop: Header=BB26_856 Depth=2
	s_andn2_saveexec_b64 s[42:43], s[26:27]
; %bb.927:                              ;   in Loop: Header=BB26_856 Depth=2
	v_or_b32_e32 v16, 0x10000, v20
	v_cmp_eq_u32_sdwa s[26:27], v20, v3 src0_sel:WORD_0 src1_sel:DWORD
	s_nop 1
	v_cndmask_b32_e64 v16, v16, v20, s[26:27]
; %bb.928:                              ;   in Loop: Header=BB26_856 Depth=2
	s_or_b64 exec, exec, s[42:43]
	v_lshlrev_b32_e32 v20, 16, v17
	v_lshlrev_b32_e32 v124, 16, v21
	v_max_f32_e32 v124, v124, v124
	v_max_f32_e32 v20, v20, v20
	v_min_f32_e32 v125, v20, v124
	v_max_f32_e32 v20, v20, v124
	v_cndmask_b32_e32 v124, v20, v125, vcc
	v_and_b32_e32 v20, 0x7f800000, v124
	v_cmp_ne_u32_e64 s[26:27], s67, v20
                                        ; implicit-def: $vgpr20
	s_and_saveexec_b64 s[42:43], s[26:27]
	s_xor_b64 s[26:27], exec, s[42:43]
; %bb.929:                              ;   in Loop: Header=BB26_856 Depth=2
	v_bfe_u32 v20, v124, 16, 1
	v_add3_u32 v20, v124, v20, s68
                                        ; implicit-def: $vgpr124
; %bb.930:                              ;   in Loop: Header=BB26_856 Depth=2
	s_andn2_saveexec_b64 s[42:43], s[26:27]
; %bb.931:                              ;   in Loop: Header=BB26_856 Depth=2
	v_or_b32_e32 v20, 0x10000, v124
	v_cmp_eq_u32_sdwa s[26:27], v124, v3 src0_sel:WORD_0 src1_sel:DWORD
	s_nop 1
	v_cndmask_b32_e64 v20, v20, v124, s[26:27]
; %bb.932:                              ;   in Loop: Header=BB26_856 Depth=2
	s_or_b64 exec, exec, s[42:43]
	v_and_b32_e32 v17, 0xffff0000, v17
	v_and_b32_e32 v21, 0xffff0000, v21
	v_max_f32_e32 v21, v21, v21
	v_max_f32_e32 v17, v17, v17
	v_min_f32_e32 v124, v17, v21
	v_max_f32_e32 v17, v17, v21
	v_cndmask_b32_e32 v21, v17, v124, vcc
	v_and_b32_e32 v17, 0x7f800000, v21
	v_cmp_ne_u32_e64 s[26:27], s67, v17
                                        ; implicit-def: $vgpr17
	s_and_saveexec_b64 s[42:43], s[26:27]
	s_xor_b64 s[26:27], exec, s[42:43]
; %bb.933:                              ;   in Loop: Header=BB26_856 Depth=2
	v_bfe_u32 v17, v21, 16, 1
	v_add3_u32 v17, v21, v17, s68
                                        ; implicit-def: $vgpr21
; %bb.934:                              ;   in Loop: Header=BB26_856 Depth=2
	s_andn2_saveexec_b64 s[42:43], s[26:27]
; %bb.935:                              ;   in Loop: Header=BB26_856 Depth=2
	v_or_b32_e32 v17, 0x10000, v21
	v_cmp_eq_u32_sdwa s[26:27], v21, v3 src0_sel:WORD_0 src1_sel:DWORD
	s_nop 1
	v_cndmask_b32_e64 v17, v17, v21, s[26:27]
; %bb.936:                              ;   in Loop: Header=BB26_856 Depth=2
	s_or_b64 exec, exec, s[42:43]
	v_lshlrev_b32_e32 v21, 16, v18
	v_lshlrev_b32_e32 v124, 16, v22
	v_max_f32_e32 v124, v124, v124
	v_max_f32_e32 v21, v21, v21
	v_min_f32_e32 v125, v21, v124
	v_max_f32_e32 v21, v21, v124
	v_cndmask_b32_e32 v124, v21, v125, vcc
	v_and_b32_e32 v21, 0x7f800000, v124
	v_cmp_ne_u32_e64 s[26:27], s67, v21
                                        ; implicit-def: $vgpr21
	s_and_saveexec_b64 s[42:43], s[26:27]
	s_xor_b64 s[26:27], exec, s[42:43]
; %bb.937:                              ;   in Loop: Header=BB26_856 Depth=2
	v_bfe_u32 v21, v124, 16, 1
	v_add3_u32 v21, v124, v21, s68
                                        ; implicit-def: $vgpr124
; %bb.938:                              ;   in Loop: Header=BB26_856 Depth=2
	s_andn2_saveexec_b64 s[42:43], s[26:27]
; %bb.939:                              ;   in Loop: Header=BB26_856 Depth=2
	v_or_b32_e32 v21, 0x10000, v124
	v_cmp_eq_u32_sdwa s[26:27], v124, v3 src0_sel:WORD_0 src1_sel:DWORD
	s_nop 1
	v_cndmask_b32_e64 v21, v21, v124, s[26:27]
; %bb.940:                              ;   in Loop: Header=BB26_856 Depth=2
	s_or_b64 exec, exec, s[42:43]
	v_and_b32_e32 v18, 0xffff0000, v18
	v_and_b32_e32 v22, 0xffff0000, v22
	v_max_f32_e32 v22, v22, v22
	v_max_f32_e32 v18, v18, v18
	v_min_f32_e32 v124, v18, v22
	v_max_f32_e32 v18, v18, v22
	v_cndmask_b32_e32 v22, v18, v124, vcc
	v_and_b32_e32 v18, 0x7f800000, v22
	v_cmp_ne_u32_e64 s[26:27], s67, v18
                                        ; implicit-def: $vgpr18
	s_and_saveexec_b64 s[42:43], s[26:27]
	s_xor_b64 s[26:27], exec, s[42:43]
; %bb.941:                              ;   in Loop: Header=BB26_856 Depth=2
	v_bfe_u32 v18, v22, 16, 1
	v_add3_u32 v18, v22, v18, s68
                                        ; implicit-def: $vgpr22
; %bb.942:                              ;   in Loop: Header=BB26_856 Depth=2
	s_andn2_saveexec_b64 s[42:43], s[26:27]
; %bb.943:                              ;   in Loop: Header=BB26_856 Depth=2
	v_or_b32_e32 v18, 0x10000, v22
	v_cmp_eq_u32_sdwa s[26:27], v22, v3 src0_sel:WORD_0 src1_sel:DWORD
	s_nop 1
	v_cndmask_b32_e64 v18, v18, v22, s[26:27]
; %bb.944:                              ;   in Loop: Header=BB26_856 Depth=2
	s_or_b64 exec, exec, s[42:43]
	v_lshlrev_b32_e32 v22, 16, v19
	v_lshlrev_b32_e32 v124, 16, v23
	v_max_f32_e32 v124, v124, v124
	v_max_f32_e32 v22, v22, v22
	v_min_f32_e32 v125, v22, v124
	v_max_f32_e32 v22, v22, v124
	v_cndmask_b32_e32 v124, v22, v125, vcc
	v_and_b32_e32 v22, 0x7f800000, v124
	v_cmp_ne_u32_e64 s[26:27], s67, v22
                                        ; implicit-def: $vgpr22
	s_and_saveexec_b64 s[42:43], s[26:27]
	s_xor_b64 s[26:27], exec, s[42:43]
; %bb.945:                              ;   in Loop: Header=BB26_856 Depth=2
	v_bfe_u32 v22, v124, 16, 1
	v_add3_u32 v22, v124, v22, s68
                                        ; implicit-def: $vgpr124
; %bb.946:                              ;   in Loop: Header=BB26_856 Depth=2
	s_andn2_saveexec_b64 s[42:43], s[26:27]
; %bb.947:                              ;   in Loop: Header=BB26_856 Depth=2
	v_or_b32_e32 v22, 0x10000, v124
	v_cmp_eq_u32_sdwa s[26:27], v124, v3 src0_sel:WORD_0 src1_sel:DWORD
	s_nop 1
	v_cndmask_b32_e64 v22, v22, v124, s[26:27]
; %bb.948:                              ;   in Loop: Header=BB26_856 Depth=2
	s_or_b64 exec, exec, s[42:43]
	v_and_b32_e32 v19, 0xffff0000, v19
	v_and_b32_e32 v23, 0xffff0000, v23
	v_max_f32_e32 v23, v23, v23
	v_max_f32_e32 v19, v19, v19
	v_min_f32_e32 v124, v19, v23
	v_max_f32_e32 v19, v19, v23
	v_cndmask_b32_e32 v23, v19, v124, vcc
	v_and_b32_e32 v19, 0x7f800000, v23
	v_cmp_ne_u32_e64 s[26:27], s67, v19
                                        ; implicit-def: $vgpr19
	s_and_saveexec_b64 s[42:43], s[26:27]
	s_xor_b64 s[26:27], exec, s[42:43]
; %bb.949:                              ;   in Loop: Header=BB26_856 Depth=2
	v_bfe_u32 v19, v23, 16, 1
	v_add3_u32 v19, v23, v19, s68
                                        ; implicit-def: $vgpr23
; %bb.950:                              ;   in Loop: Header=BB26_856 Depth=2
	s_andn2_saveexec_b64 s[42:43], s[26:27]
; %bb.951:                              ;   in Loop: Header=BB26_856 Depth=2
	v_or_b32_e32 v19, 0x10000, v23
	v_cmp_eq_u32_sdwa s[26:27], v23, v3 src0_sel:WORD_0 src1_sel:DWORD
	s_nop 1
	v_cndmask_b32_e64 v19, v19, v23, s[26:27]
; %bb.952:                              ;   in Loop: Header=BB26_856 Depth=2
	s_or_b64 exec, exec, s[42:43]
	v_lshlrev_b32_e32 v23, 16, v8
	v_lshlrev_b32_e32 v124, 16, v12
	v_max_f32_e32 v124, v124, v124
	v_max_f32_e32 v23, v23, v23
	v_min_f32_e32 v125, v23, v124
	v_max_f32_e32 v23, v23, v124
	v_cndmask_b32_e32 v124, v23, v125, vcc
	v_and_b32_e32 v23, 0x7f800000, v124
	v_cmp_ne_u32_e64 s[26:27], s67, v23
                                        ; implicit-def: $vgpr23
	s_and_saveexec_b64 s[42:43], s[26:27]
	s_xor_b64 s[26:27], exec, s[42:43]
; %bb.953:                              ;   in Loop: Header=BB26_856 Depth=2
	v_bfe_u32 v23, v124, 16, 1
	v_add3_u32 v23, v124, v23, s68
                                        ; implicit-def: $vgpr124
; %bb.954:                              ;   in Loop: Header=BB26_856 Depth=2
	s_andn2_saveexec_b64 s[42:43], s[26:27]
; %bb.955:                              ;   in Loop: Header=BB26_856 Depth=2
	v_or_b32_e32 v23, 0x10000, v124
	v_cmp_eq_u32_sdwa s[26:27], v124, v3 src0_sel:WORD_0 src1_sel:DWORD
	s_nop 1
	v_cndmask_b32_e64 v23, v23, v124, s[26:27]
; %bb.956:                              ;   in Loop: Header=BB26_856 Depth=2
	s_or_b64 exec, exec, s[42:43]
	v_and_b32_e32 v8, 0xffff0000, v8
	v_and_b32_e32 v12, 0xffff0000, v12
	v_max_f32_e32 v12, v12, v12
	v_max_f32_e32 v8, v8, v8
	v_min_f32_e32 v124, v8, v12
	v_max_f32_e32 v8, v8, v12
	v_cndmask_b32_e32 v12, v8, v124, vcc
	v_and_b32_e32 v8, 0x7f800000, v12
	v_cmp_ne_u32_e64 s[26:27], s67, v8
                                        ; implicit-def: $vgpr8
	s_and_saveexec_b64 s[42:43], s[26:27]
	s_xor_b64 s[26:27], exec, s[42:43]
; %bb.957:                              ;   in Loop: Header=BB26_856 Depth=2
	v_bfe_u32 v8, v12, 16, 1
	v_add3_u32 v8, v12, v8, s68
                                        ; implicit-def: $vgpr12
; %bb.958:                              ;   in Loop: Header=BB26_856 Depth=2
	s_andn2_saveexec_b64 s[42:43], s[26:27]
; %bb.959:                              ;   in Loop: Header=BB26_856 Depth=2
	v_or_b32_e32 v8, 0x10000, v12
	v_cmp_eq_u32_sdwa s[26:27], v12, v3 src0_sel:WORD_0 src1_sel:DWORD
	s_nop 1
	v_cndmask_b32_e64 v8, v8, v12, s[26:27]
; %bb.960:                              ;   in Loop: Header=BB26_856 Depth=2
	s_or_b64 exec, exec, s[42:43]
	v_lshlrev_b32_e32 v12, 16, v9
	v_lshlrev_b32_e32 v124, 16, v13
	v_max_f32_e32 v124, v124, v124
	v_max_f32_e32 v12, v12, v12
	v_min_f32_e32 v125, v12, v124
	v_max_f32_e32 v12, v12, v124
	v_cndmask_b32_e32 v124, v12, v125, vcc
	v_and_b32_e32 v12, 0x7f800000, v124
	v_cmp_ne_u32_e64 s[26:27], s67, v12
                                        ; implicit-def: $vgpr12
	s_and_saveexec_b64 s[42:43], s[26:27]
	s_xor_b64 s[26:27], exec, s[42:43]
; %bb.961:                              ;   in Loop: Header=BB26_856 Depth=2
	v_bfe_u32 v12, v124, 16, 1
	v_add3_u32 v12, v124, v12, s68
                                        ; implicit-def: $vgpr124
; %bb.962:                              ;   in Loop: Header=BB26_856 Depth=2
	s_andn2_saveexec_b64 s[42:43], s[26:27]
; %bb.963:                              ;   in Loop: Header=BB26_856 Depth=2
	v_or_b32_e32 v12, 0x10000, v124
	v_cmp_eq_u32_sdwa s[26:27], v124, v3 src0_sel:WORD_0 src1_sel:DWORD
	s_nop 1
	v_cndmask_b32_e64 v12, v12, v124, s[26:27]
; %bb.964:                              ;   in Loop: Header=BB26_856 Depth=2
	s_or_b64 exec, exec, s[42:43]
	v_and_b32_e32 v9, 0xffff0000, v9
	v_and_b32_e32 v13, 0xffff0000, v13
	v_max_f32_e32 v13, v13, v13
	v_max_f32_e32 v9, v9, v9
	v_min_f32_e32 v124, v9, v13
	v_max_f32_e32 v9, v9, v13
	v_cndmask_b32_e32 v13, v9, v124, vcc
	v_and_b32_e32 v9, 0x7f800000, v13
	v_cmp_ne_u32_e64 s[26:27], s67, v9
                                        ; implicit-def: $vgpr9
	s_and_saveexec_b64 s[42:43], s[26:27]
	s_xor_b64 s[26:27], exec, s[42:43]
; %bb.965:                              ;   in Loop: Header=BB26_856 Depth=2
	v_bfe_u32 v9, v13, 16, 1
	v_add3_u32 v9, v13, v9, s68
                                        ; implicit-def: $vgpr13
; %bb.966:                              ;   in Loop: Header=BB26_856 Depth=2
	s_andn2_saveexec_b64 s[42:43], s[26:27]
; %bb.967:                              ;   in Loop: Header=BB26_856 Depth=2
	v_or_b32_e32 v9, 0x10000, v13
	v_cmp_eq_u32_sdwa s[26:27], v13, v3 src0_sel:WORD_0 src1_sel:DWORD
	s_nop 1
	v_cndmask_b32_e64 v9, v9, v13, s[26:27]
; %bb.968:                              ;   in Loop: Header=BB26_856 Depth=2
	s_or_b64 exec, exec, s[42:43]
	v_lshlrev_b32_e32 v13, 16, v10
	v_lshlrev_b32_e32 v124, 16, v14
	v_max_f32_e32 v124, v124, v124
	v_max_f32_e32 v13, v13, v13
	v_min_f32_e32 v125, v13, v124
	v_max_f32_e32 v13, v13, v124
	v_cndmask_b32_e32 v124, v13, v125, vcc
	v_and_b32_e32 v13, 0x7f800000, v124
	v_cmp_ne_u32_e64 s[26:27], s67, v13
                                        ; implicit-def: $vgpr13
	s_and_saveexec_b64 s[42:43], s[26:27]
	s_xor_b64 s[26:27], exec, s[42:43]
; %bb.969:                              ;   in Loop: Header=BB26_856 Depth=2
	v_bfe_u32 v13, v124, 16, 1
	v_add3_u32 v13, v124, v13, s68
                                        ; implicit-def: $vgpr124
; %bb.970:                              ;   in Loop: Header=BB26_856 Depth=2
	s_andn2_saveexec_b64 s[42:43], s[26:27]
; %bb.971:                              ;   in Loop: Header=BB26_856 Depth=2
	v_or_b32_e32 v13, 0x10000, v124
	v_cmp_eq_u32_sdwa s[26:27], v124, v3 src0_sel:WORD_0 src1_sel:DWORD
	s_nop 1
	v_cndmask_b32_e64 v13, v13, v124, s[26:27]
; %bb.972:                              ;   in Loop: Header=BB26_856 Depth=2
	s_or_b64 exec, exec, s[42:43]
	v_and_b32_e32 v10, 0xffff0000, v10
	v_and_b32_e32 v14, 0xffff0000, v14
	v_max_f32_e32 v14, v14, v14
	v_max_f32_e32 v10, v10, v10
	v_min_f32_e32 v124, v10, v14
	v_max_f32_e32 v10, v10, v14
	v_cndmask_b32_e32 v14, v10, v124, vcc
	v_and_b32_e32 v10, 0x7f800000, v14
	v_cmp_ne_u32_e64 s[26:27], s67, v10
                                        ; implicit-def: $vgpr10
	s_and_saveexec_b64 s[42:43], s[26:27]
	s_xor_b64 s[26:27], exec, s[42:43]
; %bb.973:                              ;   in Loop: Header=BB26_856 Depth=2
	v_bfe_u32 v10, v14, 16, 1
	v_add3_u32 v10, v14, v10, s68
                                        ; implicit-def: $vgpr14
; %bb.974:                              ;   in Loop: Header=BB26_856 Depth=2
	s_andn2_saveexec_b64 s[42:43], s[26:27]
; %bb.975:                              ;   in Loop: Header=BB26_856 Depth=2
	v_or_b32_e32 v10, 0x10000, v14
	v_cmp_eq_u32_sdwa s[26:27], v14, v3 src0_sel:WORD_0 src1_sel:DWORD
	s_nop 1
	v_cndmask_b32_e64 v10, v10, v14, s[26:27]
; %bb.976:                              ;   in Loop: Header=BB26_856 Depth=2
	s_or_b64 exec, exec, s[42:43]
	v_lshlrev_b32_e32 v14, 16, v11
	v_lshlrev_b32_e32 v124, 16, v15
	v_max_f32_e32 v124, v124, v124
	v_max_f32_e32 v14, v14, v14
	v_min_f32_e32 v125, v14, v124
	v_max_f32_e32 v14, v14, v124
	v_cndmask_b32_e32 v124, v14, v125, vcc
	v_and_b32_e32 v14, 0x7f800000, v124
	v_cmp_ne_u32_e64 s[26:27], s67, v14
                                        ; implicit-def: $vgpr14
	s_and_saveexec_b64 s[42:43], s[26:27]
	s_xor_b64 s[26:27], exec, s[42:43]
; %bb.977:                              ;   in Loop: Header=BB26_856 Depth=2
	v_bfe_u32 v14, v124, 16, 1
	v_add3_u32 v14, v124, v14, s68
                                        ; implicit-def: $vgpr124
; %bb.978:                              ;   in Loop: Header=BB26_856 Depth=2
	s_andn2_saveexec_b64 s[42:43], s[26:27]
; %bb.979:                              ;   in Loop: Header=BB26_856 Depth=2
	v_or_b32_e32 v14, 0x10000, v124
	v_cmp_eq_u32_sdwa s[26:27], v124, v3 src0_sel:WORD_0 src1_sel:DWORD
	s_nop 1
	v_cndmask_b32_e64 v14, v14, v124, s[26:27]
; %bb.980:                              ;   in Loop: Header=BB26_856 Depth=2
	s_or_b64 exec, exec, s[42:43]
	v_and_b32_e32 v11, 0xffff0000, v11
	v_and_b32_e32 v15, 0xffff0000, v15
	v_max_f32_e32 v15, v15, v15
	v_max_f32_e32 v11, v11, v11
	v_min_f32_e32 v124, v11, v15
	v_max_f32_e32 v11, v11, v15
	v_cndmask_b32_e32 v15, v11, v124, vcc
	v_and_b32_e32 v11, 0x7f800000, v15
	v_cmp_ne_u32_e64 s[26:27], s67, v11
                                        ; implicit-def: $vgpr11
	s_and_saveexec_b64 s[42:43], s[26:27]
	s_xor_b64 s[26:27], exec, s[42:43]
; %bb.981:                              ;   in Loop: Header=BB26_856 Depth=2
	v_bfe_u32 v11, v15, 16, 1
	v_add3_u32 v11, v15, v11, s68
                                        ; implicit-def: $vgpr15
; %bb.982:                              ;   in Loop: Header=BB26_856 Depth=2
	s_andn2_saveexec_b64 s[42:43], s[26:27]
	s_cbranch_execz .LBB26_855
; %bb.983:                              ;   in Loop: Header=BB26_856 Depth=2
	v_or_b32_e32 v11, 0x10000, v15
	v_cmp_eq_u32_sdwa s[26:27], v15, v3 src0_sel:WORD_0 src1_sel:DWORD
	s_nop 1
	v_cndmask_b32_e64 v11, v11, v15, s[26:27]
	s_branch .LBB26_855
.LBB26_984:                             ;   in Loop: Header=BB26_47 Depth=1
	s_or_b64 exec, exec, s[92:93]
	s_and_saveexec_b64 s[92:93], s[94:95]
	s_xor_b64 s[92:93], exec, s[92:93]
	s_cbranch_execz .LBB26_986
; %bb.985:                              ;   in Loop: Header=BB26_47 Depth=1
	ds_write_b32 v0, v107
	s_trap 2
.LBB26_986:                             ;   in Loop: Header=BB26_47 Depth=1
	s_or_b64 exec, exec, s[90:91]
	;;#ASMSTART
	s_wakeup
	;;#ASMEND
.LBB26_987:                             ;   in Loop: Header=BB26_47 Depth=1
	s_or_b64 exec, exec, s[42:43]
.LBB26_988:                             ;   in Loop: Header=BB26_47 Depth=1
	s_andn2_saveexec_b64 s[40:41], s[40:41]
	s_cbranch_execz .LBB26_990
; %bb.989:                              ;   in Loop: Header=BB26_47 Depth=1
	;;#ASMSTART
	s_waitcnt lgkmcnt(0) vmcnt(0)
	;;#ASMEND
	s_barrier
.LBB26_990:                             ;   in Loop: Header=BB26_47 Depth=1
	s_or_b64 exec, exec, s[40:41]
	v_and_b32_e32 v2, 16, v104
.LBB26_991:                             ;   in Loop: Header=BB26_47 Depth=1
	s_or_b64 exec, exec, s[26:27]
	v_cmp_ne_u32_e32 vcc, 0, v2
	s_xor_b64 s[26:27], s[10:11], -1
	s_and_b64 s[40:41], vcc, s[26:27]
	s_and_saveexec_b64 s[26:27], s[40:41]
	s_cbranch_execz .LBB26_993
; %bb.992:                              ;   in Loop: Header=BB26_47 Depth=1
	flat_store_dword v[68:69], v107 sc0 sc1
.LBB26_993:                             ;   in Loop: Header=BB26_47 Depth=1
	s_or_b64 exec, exec, s[26:27]
	v_and_b32_e32 v2, 48, v104
	v_cmp_ne_u32_e32 vcc, 0, v2
	s_and_saveexec_b64 s[26:27], vcc
	s_cbranch_execz .LBB26_995
; %bb.994:                              ;   in Loop: Header=BB26_47 Depth=1
	v_lshl_add_u64 v[58:59], v[58:59], 0, 4
	flat_store_dwordx2 v[64:65], v[58:59] sc0 sc1
.LBB26_995:                             ;   in Loop: Header=BB26_47 Depth=1
	s_or_b64 exec, exec, s[26:27]
	s_or_b64 exec, exec, s[28:29]
	s_and_b64 vcc, exec, s[24:25]
	s_cbranch_vccnz .LBB26_1666
	s_branch .LBB26_1414
.LBB26_996:                             ;   in Loop: Header=BB26_47 Depth=1
	s_or_b64 exec, exec, s[40:41]
.LBB26_997:                             ;   in Loop: Header=BB26_47 Depth=1
	s_or_b64 exec, exec, s[28:29]
	v_lshlrev_b32_e32 v24, 12, v122
	v_cmp_ne_u32_e32 vcc, v73, v24
	s_mov_b64 s[26:27], 0
	v_mov_b32_e32 v16, 0
                                        ; implicit-def: $vgpr17
                                        ; implicit-def: $vgpr18
	s_and_saveexec_b64 s[94:95], vcc
	s_cbranch_execz .LBB26_1037
; %bb.998:                              ;   in Loop: Header=BB26_47 Depth=1
	v_lshlrev_b32_e32 v8, 6, v121
	v_sub_u32_e32 v8, v105, v8
	v_ashrrev_i32_e32 v10, 31, v8
	v_lshrrev_b32_e32 v10, 26, v10
	v_add_u32_e32 v10, v8, v10
	v_sub_u32_e32 v9, v73, v24
	v_ashrrev_i32_e32 v11, 6, v10
	v_and_b32_e32 v10, 0xffffffc0, v10
	v_sub_u32_e32 v25, v8, v10
	v_ashrrev_i32_e32 v10, 31, v9
	v_lshrrev_b32_e32 v10, 22, v10
	v_add_u32_e32 v10, v9, v10
	v_and_b32_e32 v26, 0xfffffc00, v10
	v_lshlrev_b32_e32 v8, 4, v25
	v_sub_u32_e32 v27, v9, v26
	v_lshl_add_u32 v8, v11, 10, v8
	v_ashrrev_i32_e32 v12, 10, v10
	v_cmp_lt_i32_e64 s[26:27], 15, v27
	v_sub_u32_e32 v33, v9, v8
	s_nop 0
	v_addc_co_u32_e64 v9, vcc, 0, v12, s[26:27]
	v_sub_u32_e32 v32, v9, v11
	v_cmp_lt_i32_e32 vcc, 15, v33
	s_and_saveexec_b64 s[30:31], vcc
	s_cbranch_execz .LBB26_1036
; %bb.999:                              ;   in Loop: Header=BB26_47 Depth=1
	s_trap 2
	ds_read_b64 v[10:11], v0
	v_add_u32_e32 v8, v8, v24
	s_and_b32 s56, s48, 1
	v_ashrrev_i32_e32 v9, 31, v8
	s_cmp_eq_u64 s[56:57], 0
	v_lshl_add_u64 v[16:17], v[8:9], 0, v[76:77]
	v_lshl_add_u64 v[18:19], v[8:9], 0, v[78:79]
	;; [unrolled: 1-line block ×3, first 2 shown]
	s_waitcnt lgkmcnt(0)
	v_lshl_add_u64 v[22:23], v[10:11], 0, v[8:9]
	s_mov_b64 s[34:35], 0
	s_cselect_b64 s[28:29], -1, 0
.LBB26_1000:                            ;   Parent Loop BB26_47 Depth=1
                                        ; =>  This Loop Header: Depth=2
                                        ;       Child Loop BB26_1033 Depth 3
	global_load_dwordx4 v[8:11], v[22:23], off nt
	global_load_dwordx4 v[12:15], v[20:21], off nt
	s_waitcnt vmcnt(0)
	v_lshlrev_b32_e32 v34, 16, v8
	v_lshlrev_b32_e32 v35, 16, v12
	v_max_f32_e32 v34, v34, v34
	v_max_f32_e32 v35, v35, v35
	v_min_f32_e32 v36, v35, v34
	v_max_f32_e32 v34, v35, v34
	v_cndmask_b32_e64 v35, v34, v36, s[28:29]
	v_and_b32_e32 v34, 0x7f800000, v35
	v_cmp_ne_u32_e32 vcc, s67, v34
                                        ; implicit-def: $vgpr34
	s_and_saveexec_b64 s[40:41], vcc
	s_xor_b64 s[40:41], exec, s[40:41]
; %bb.1001:                             ;   in Loop: Header=BB26_1000 Depth=2
	v_bfe_u32 v34, v35, 16, 1
	v_add3_u32 v34, v35, v34, s68
                                        ; implicit-def: $vgpr35
; %bb.1002:                             ;   in Loop: Header=BB26_1000 Depth=2
	s_andn2_saveexec_b64 s[40:41], s[40:41]
; %bb.1003:                             ;   in Loop: Header=BB26_1000 Depth=2
	v_or_b32_e32 v34, 0x10000, v35
	v_cmp_eq_u32_sdwa vcc, v35, v3 src0_sel:WORD_0 src1_sel:DWORD
	s_nop 1
	v_cndmask_b32_e32 v34, v34, v35, vcc
; %bb.1004:                             ;   in Loop: Header=BB26_1000 Depth=2
	s_or_b64 exec, exec, s[40:41]
	v_and_b32_e32 v8, 0xffff0000, v8
	v_and_b32_e32 v12, 0xffff0000, v12
	v_max_f32_e32 v8, v8, v8
	v_max_f32_e32 v12, v12, v12
	v_min_f32_e32 v35, v12, v8
	v_max_f32_e32 v8, v12, v8
	v_cndmask_b32_e64 v12, v8, v35, s[28:29]
	v_and_b32_e32 v8, 0x7f800000, v12
	v_cmp_ne_u32_e32 vcc, s67, v8
                                        ; implicit-def: $vgpr8
	s_and_saveexec_b64 s[40:41], vcc
	s_xor_b64 s[40:41], exec, s[40:41]
; %bb.1005:                             ;   in Loop: Header=BB26_1000 Depth=2
	v_bfe_u32 v8, v12, 16, 1
	v_add3_u32 v8, v12, v8, s68
                                        ; implicit-def: $vgpr12
; %bb.1006:                             ;   in Loop: Header=BB26_1000 Depth=2
	s_andn2_saveexec_b64 s[40:41], s[40:41]
; %bb.1007:                             ;   in Loop: Header=BB26_1000 Depth=2
	v_or_b32_e32 v8, 0x10000, v12
	v_cmp_eq_u32_sdwa vcc, v12, v3 src0_sel:WORD_0 src1_sel:DWORD
	s_nop 1
	v_cndmask_b32_e32 v8, v8, v12, vcc
; %bb.1008:                             ;   in Loop: Header=BB26_1000 Depth=2
	s_or_b64 exec, exec, s[40:41]
	v_lshlrev_b32_e32 v12, 16, v9
	v_lshlrev_b32_e32 v35, 16, v13
	v_max_f32_e32 v12, v12, v12
	v_max_f32_e32 v35, v35, v35
	v_min_f32_e32 v36, v35, v12
	v_max_f32_e32 v12, v35, v12
	v_cndmask_b32_e64 v35, v12, v36, s[28:29]
	v_and_b32_e32 v12, 0x7f800000, v35
	v_cmp_ne_u32_e32 vcc, s67, v12
                                        ; implicit-def: $vgpr12
	s_and_saveexec_b64 s[40:41], vcc
	s_xor_b64 s[40:41], exec, s[40:41]
; %bb.1009:                             ;   in Loop: Header=BB26_1000 Depth=2
	v_bfe_u32 v12, v35, 16, 1
	v_add3_u32 v12, v35, v12, s68
                                        ; implicit-def: $vgpr35
; %bb.1010:                             ;   in Loop: Header=BB26_1000 Depth=2
	s_andn2_saveexec_b64 s[40:41], s[40:41]
; %bb.1011:                             ;   in Loop: Header=BB26_1000 Depth=2
	v_or_b32_e32 v12, 0x10000, v35
	v_cmp_eq_u32_sdwa vcc, v35, v3 src0_sel:WORD_0 src1_sel:DWORD
	s_nop 1
	v_cndmask_b32_e32 v12, v12, v35, vcc
; %bb.1012:                             ;   in Loop: Header=BB26_1000 Depth=2
	s_or_b64 exec, exec, s[40:41]
	v_and_b32_e32 v13, 0xffff0000, v13
	v_and_b32_e32 v9, 0xffff0000, v9
	v_max_f32_e32 v9, v9, v9
	v_max_f32_e32 v13, v13, v13
	v_min_f32_e32 v35, v13, v9
	v_max_f32_e32 v9, v13, v9
	v_cndmask_b32_e64 v13, v9, v35, s[28:29]
	v_and_b32_e32 v9, 0x7f800000, v13
	v_cmp_ne_u32_e32 vcc, s67, v9
                                        ; implicit-def: $vgpr9
	s_and_saveexec_b64 s[40:41], vcc
	s_xor_b64 s[40:41], exec, s[40:41]
; %bb.1013:                             ;   in Loop: Header=BB26_1000 Depth=2
	v_bfe_u32 v9, v13, 16, 1
	v_add3_u32 v9, v13, v9, s68
                                        ; implicit-def: $vgpr13
; %bb.1014:                             ;   in Loop: Header=BB26_1000 Depth=2
	s_andn2_saveexec_b64 s[40:41], s[40:41]
; %bb.1015:                             ;   in Loop: Header=BB26_1000 Depth=2
	v_or_b32_e32 v9, 0x10000, v13
	v_cmp_eq_u32_sdwa vcc, v13, v3 src0_sel:WORD_0 src1_sel:DWORD
	s_nop 1
	v_cndmask_b32_e32 v9, v9, v13, vcc
; %bb.1016:                             ;   in Loop: Header=BB26_1000 Depth=2
	s_or_b64 exec, exec, s[40:41]
	v_lshlrev_b32_e32 v13, 16, v10
	v_lshlrev_b32_e32 v35, 16, v14
	v_max_f32_e32 v13, v13, v13
	v_max_f32_e32 v35, v35, v35
	v_min_f32_e32 v36, v35, v13
	v_max_f32_e32 v13, v35, v13
	v_cndmask_b32_e64 v35, v13, v36, s[28:29]
	v_and_b32_e32 v13, 0x7f800000, v35
	v_cmp_ne_u32_e32 vcc, s67, v13
                                        ; implicit-def: $vgpr13
	s_and_saveexec_b64 s[40:41], vcc
	s_xor_b64 s[40:41], exec, s[40:41]
; %bb.1017:                             ;   in Loop: Header=BB26_1000 Depth=2
	v_bfe_u32 v13, v35, 16, 1
	v_add3_u32 v13, v35, v13, s68
                                        ; implicit-def: $vgpr35
; %bb.1018:                             ;   in Loop: Header=BB26_1000 Depth=2
	s_andn2_saveexec_b64 s[40:41], s[40:41]
; %bb.1019:                             ;   in Loop: Header=BB26_1000 Depth=2
	v_or_b32_e32 v13, 0x10000, v35
	v_cmp_eq_u32_sdwa vcc, v35, v3 src0_sel:WORD_0 src1_sel:DWORD
	s_nop 1
	v_cndmask_b32_e32 v13, v13, v35, vcc
; %bb.1020:                             ;   in Loop: Header=BB26_1000 Depth=2
	s_or_b64 exec, exec, s[40:41]
	v_and_b32_e32 v14, 0xffff0000, v14
	v_and_b32_e32 v10, 0xffff0000, v10
	v_max_f32_e32 v10, v10, v10
	v_max_f32_e32 v14, v14, v14
	v_min_f32_e32 v35, v14, v10
	v_max_f32_e32 v10, v14, v10
	v_cndmask_b32_e64 v14, v10, v35, s[28:29]
	v_and_b32_e32 v10, 0x7f800000, v14
	v_cmp_ne_u32_e32 vcc, s67, v10
                                        ; implicit-def: $vgpr10
	s_and_saveexec_b64 s[40:41], vcc
	s_xor_b64 s[40:41], exec, s[40:41]
; %bb.1021:                             ;   in Loop: Header=BB26_1000 Depth=2
	v_bfe_u32 v10, v14, 16, 1
	v_add3_u32 v10, v14, v10, s68
                                        ; implicit-def: $vgpr14
; %bb.1022:                             ;   in Loop: Header=BB26_1000 Depth=2
	s_andn2_saveexec_b64 s[40:41], s[40:41]
; %bb.1023:                             ;   in Loop: Header=BB26_1000 Depth=2
	v_or_b32_e32 v10, 0x10000, v14
	v_cmp_eq_u32_sdwa vcc, v14, v3 src0_sel:WORD_0 src1_sel:DWORD
	s_nop 1
	v_cndmask_b32_e32 v10, v10, v14, vcc
; %bb.1024:                             ;   in Loop: Header=BB26_1000 Depth=2
	s_or_b64 exec, exec, s[40:41]
	v_lshlrev_b32_e32 v14, 16, v11
	v_lshlrev_b32_e32 v35, 16, v15
	v_max_f32_e32 v14, v14, v14
	v_max_f32_e32 v35, v35, v35
	v_min_f32_e32 v36, v35, v14
	v_max_f32_e32 v14, v35, v14
	v_cndmask_b32_e64 v35, v14, v36, s[28:29]
	v_and_b32_e32 v14, 0x7f800000, v35
	v_cmp_ne_u32_e32 vcc, s67, v14
                                        ; implicit-def: $vgpr14
	s_and_saveexec_b64 s[40:41], vcc
	s_xor_b64 s[40:41], exec, s[40:41]
; %bb.1025:                             ;   in Loop: Header=BB26_1000 Depth=2
	v_bfe_u32 v14, v35, 16, 1
	v_add3_u32 v14, v35, v14, s68
                                        ; implicit-def: $vgpr35
; %bb.1026:                             ;   in Loop: Header=BB26_1000 Depth=2
	s_andn2_saveexec_b64 s[40:41], s[40:41]
; %bb.1027:                             ;   in Loop: Header=BB26_1000 Depth=2
	v_or_b32_e32 v14, 0x10000, v35
	v_cmp_eq_u32_sdwa vcc, v35, v3 src0_sel:WORD_0 src1_sel:DWORD
	s_nop 1
	v_cndmask_b32_e32 v14, v14, v35, vcc
; %bb.1028:                             ;   in Loop: Header=BB26_1000 Depth=2
	s_or_b64 exec, exec, s[40:41]
	v_and_b32_e32 v15, 0xffff0000, v15
	v_and_b32_e32 v11, 0xffff0000, v11
	v_max_f32_e32 v11, v11, v11
	v_max_f32_e32 v15, v15, v15
	v_min_f32_e32 v35, v15, v11
	v_max_f32_e32 v11, v15, v11
	v_cndmask_b32_e64 v15, v11, v35, s[28:29]
	v_and_b32_e32 v11, 0x7f800000, v15
	v_cmp_ne_u32_e32 vcc, s67, v11
                                        ; implicit-def: $vgpr11
	s_and_saveexec_b64 s[40:41], vcc
	s_xor_b64 s[40:41], exec, s[40:41]
; %bb.1029:                             ;   in Loop: Header=BB26_1000 Depth=2
	v_bfe_u32 v11, v15, 16, 1
	v_add3_u32 v11, v15, v11, s68
                                        ; implicit-def: $vgpr15
; %bb.1030:                             ;   in Loop: Header=BB26_1000 Depth=2
	s_andn2_saveexec_b64 s[40:41], s[40:41]
; %bb.1031:                             ;   in Loop: Header=BB26_1000 Depth=2
	v_or_b32_e32 v11, 0x10000, v15
	v_cmp_eq_u32_sdwa vcc, v15, v3 src0_sel:WORD_0 src1_sel:DWORD
	s_nop 1
	v_cndmask_b32_e32 v11, v11, v15, vcc
; %bb.1032:                             ;   in Loop: Header=BB26_1000 Depth=2
	s_or_b64 exec, exec, s[40:41]
	v_lshrrev_b32_e32 v12, 16, v12
	v_and_or_b32 v9, v9, s69, v12
	v_lshrrev_b32_e32 v12, 16, v34
	v_and_or_b32 v8, v8, s69, v12
	;; [unrolled: 2-line block ×4, first 2 shown]
	s_mov_b64 s[38:39], 0
	s_mov_b64 s[36:37], -1
.LBB26_1033:                            ;   Parent Loop BB26_47 Depth=1
                                        ;     Parent Loop BB26_1000 Depth=2
                                        ; =>    This Inner Loop Header: Depth=3
	s_cmp_eq_u32 s38, 1
	s_cselect_b64 vcc, -1, 0
	v_cndmask_b32_e32 v13, v17, v19, vcc
	s_cmp_eq_u32 s38, 0
	v_cndmask_b32_e32 v12, v16, v18, vcc
	global_store_dwordx4 v[12:13], v[8:11], off
	v_lshl_add_u64 v[12:13], v[12:13], 0, s[62:63]
	s_cselect_b64 s[40:41], -1, 0
	s_and_b64 s[42:43], exec, s[36:37]
	s_mov_b64 s[38:39], 1
	s_mov_b64 s[36:37], 0
	v_cndmask_b32_e32 v19, v19, v13, vcc
	v_cndmask_b32_e32 v18, v18, v12, vcc
	v_cndmask_b32_e64 v17, v17, v13, s[40:41]
	v_cndmask_b32_e64 v16, v16, v12, s[40:41]
	s_mov_b64 vcc, s[42:43]
	s_cbranch_vccnz .LBB26_1033
; %bb.1034:                             ;   in Loop: Header=BB26_1000 Depth=2
	v_sub_u32_e32 v33, v33, v100
	v_cmp_gt_i32_e32 vcc, 16, v33
	v_lshl_add_u64 v[20:21], v[20:21], 0, v[44:45]
	v_lshl_add_u64 v[22:23], v[22:23], 0, v[44:45]
	;; [unrolled: 1-line block ×4, first 2 shown]
	s_or_b64 s[34:35], vcc, s[34:35]
	v_sub_u32_e32 v32, v32, v84
	s_andn2_b64 exec, exec, s[34:35]
	s_cbranch_execnz .LBB26_1000
; %bb.1035:                             ;   in Loop: Header=BB26_47 Depth=1
	s_or_b64 exec, exec, s[34:35]
.LBB26_1036:                            ;   in Loop: Header=BB26_47 Depth=1
	s_or_b64 exec, exec, s[30:31]
	v_and_b32_e32 v8, 14, v73
	v_cmp_lt_i32_e32 vcc, 0, v32
	v_sub_u32_e32 v9, v27, v8
	v_cndmask_b32_e64 v17, v27, v8, s[26:27]
	v_cndmask_b32_e32 v8, 0, v84, vcc
	v_cndmask_b32_e64 v9, 0, v9, s[26:27]
	v_sub_u32_e32 v8, v8, v32
	v_cmp_ne_u32_e32 vcc, 0, v17
	v_add3_u32 v16, v26, v24, v9
	v_lshl_add_u32 v18, v8, 6, v25
	s_and_b64 s[26:27], vcc, exec
.LBB26_1037:                            ;   in Loop: Header=BB26_47 Depth=1
	s_or_b64 exec, exec, s[94:95]
	s_and_saveexec_b64 s[42:43], s[26:27]
	s_cbranch_execz .LBB26_1116
.LBB26_1038:                            ;   in Loop: Header=BB26_47 Depth=1
	v_ashrrev_i32_e32 v8, 31, v18
	v_ashrrev_i32_e32 v9, 31, v17
	v_lshrrev_b32_e32 v8, 26, v8
	v_lshrrev_b32_e32 v9, 21, v9
	v_add_u32_e32 v8, v18, v8
	v_add_u32_e32 v9, v17, v9
	v_ashrrev_i32_e32 v19, 6, v8
	v_ashrrev_i32_e32 v21, 11, v9
	v_sub_u32_e32 v20, v21, v19
	v_cmp_lt_i32_e32 vcc, 0, v20
	s_and_saveexec_b64 s[28:29], vcc
	s_cbranch_execz .LBB26_1106
; %bb.1039:                             ;   in Loop: Header=BB26_47 Depth=1
	v_and_b32_e32 v8, 0x7fffffc0, v8
	s_trap 2
	ds_read_b64 v[22:23], v0
	v_sub_u32_e32 v8, v18, v8
	v_lshlrev_b32_e32 v8, 1, v8
	v_lshlrev_b32_e32 v9, 11, v19
	v_add3_u32 v14, v8, v16, v9
	s_and_b32 s56, s48, 1
	v_ashrrev_i32_e32 v15, 31, v14
	s_cmp_eq_u64 s[56:57], 0
	v_lshl_add_u64 v[8:9], v[14:15], 0, v[76:77]
	v_lshl_add_u64 v[10:11], v[14:15], 0, v[78:79]
	;; [unrolled: 1-line block ×3, first 2 shown]
	s_waitcnt lgkmcnt(0)
	v_lshl_add_u64 v[14:15], v[22:23], 0, v[14:15]
	s_mov_b64 s[40:41], 0
	s_cselect_b64 vcc, -1, 0
	s_branch .LBB26_1041
.LBB26_1040:                            ;   in Loop: Header=BB26_1041 Depth=2
	s_or_b64 exec, exec, s[94:95]
	v_sub_u32_e32 v20, v20, v84
	v_lshrrev_b32_e32 v23, 16, v23
	v_cmp_gt_i32_e64 s[26:27], 1, v20
	v_lshrrev_b32_e32 v24, 16, v24
	v_lshrrev_b32_e32 v25, 16, v27
	;; [unrolled: 1-line block ×15, first 2 shown]
	flat_store_short v[8:9], v23 nt
	flat_store_short v[8:9], v26 offset:128 nt
	flat_store_short v[8:9], v33 offset:256 nt
	;; [unrolled: 1-line block ×15, first 2 shown]
	flat_store_short v[10:11], v23 nt
	flat_store_short v[10:11], v26 offset:128 nt
	flat_store_short v[10:11], v33 offset:256 nt
	;; [unrolled: 1-line block ×15, first 2 shown]
	v_lshl_add_u64 v[12:13], v[12:13], 0, v[102:103]
	v_lshl_add_u64 v[14:15], v[14:15], 0, v[102:103]
	;; [unrolled: 1-line block ×3, first 2 shown]
	s_or_b64 s[40:41], s[26:27], s[40:41]
	v_lshl_add_u64 v[10:11], v[10:11], 0, v[102:103]
	s_andn2_b64 exec, exec, s[40:41]
	s_cbranch_execz .LBB26_1105
.LBB26_1041:                            ;   Parent Loop BB26_47 Depth=1
                                        ; =>  This Inner Loop Header: Depth=2
	flat_load_ushort v90, v[12:13] offset:1024 nt
	flat_load_ushort v51, v[12:13] offset:1152 nt
	;; [unrolled: 1-line block ×15, first 2 shown]
	flat_load_ushort v23, v[12:13] nt
	flat_load_ushort v125, v[14:15] offset:128 nt
	flat_load_ushort v124, v[14:15] offset:256 nt
	;; [unrolled: 1-line block ×7, first 2 shown]
	flat_load_ushort v126, v[14:15] nt
	flat_load_ushort v93, v[14:15] offset:1024 nt
	flat_load_ushort v91, v[14:15] offset:1152 nt
	;; [unrolled: 1-line block ×8, first 2 shown]
	s_waitcnt vmcnt(0) lgkmcnt(0)
	v_lshlrev_b32_e32 v23, 16, v23
	v_max_f32_e32 v23, v23, v23
	v_lshlrev_b32_e32 v126, 16, v126
	v_max_f32_e32 v126, v126, v126
	v_min_f32_e32 v82, v23, v126
	v_max_f32_e32 v23, v23, v126
	v_cndmask_b32_e32 v126, v23, v82, vcc
	v_and_b32_e32 v23, 0x7f800000, v126
	v_cmp_ne_u32_e64 s[26:27], s67, v23
                                        ; implicit-def: $vgpr23
	s_and_saveexec_b64 s[94:95], s[26:27]
	s_xor_b64 s[26:27], exec, s[94:95]
; %bb.1042:                             ;   in Loop: Header=BB26_1041 Depth=2
	v_bfe_u32 v23, v126, 16, 1
	v_add3_u32 v23, v126, v23, s68
                                        ; implicit-def: $vgpr126
; %bb.1043:                             ;   in Loop: Header=BB26_1041 Depth=2
	s_andn2_saveexec_b64 s[94:95], s[26:27]
; %bb.1044:                             ;   in Loop: Header=BB26_1041 Depth=2
	v_or_b32_e32 v23, 0x10000, v126
	v_cmp_eq_u32_sdwa s[26:27], v126, v3 src0_sel:WORD_0 src1_sel:DWORD
	s_nop 1
	v_cndmask_b32_e64 v23, v23, v126, s[26:27]
; %bb.1045:                             ;   in Loop: Header=BB26_1041 Depth=2
	s_or_b64 exec, exec, s[94:95]
	v_lshlrev_b32_e32 v26, 16, v26
	v_lshlrev_b32_e32 v82, 16, v125
	v_max_f32_e32 v82, v82, v82
	v_max_f32_e32 v26, v26, v26
	v_min_f32_e32 v125, v26, v82
	v_max_f32_e32 v26, v26, v82
	v_cndmask_b32_e32 v125, v26, v125, vcc
	v_and_b32_e32 v26, 0x7f800000, v125
	v_cmp_ne_u32_e64 s[26:27], s67, v26
                                        ; implicit-def: $vgpr26
	s_and_saveexec_b64 s[94:95], s[26:27]
	s_xor_b64 s[26:27], exec, s[94:95]
; %bb.1046:                             ;   in Loop: Header=BB26_1041 Depth=2
	v_bfe_u32 v26, v125, 16, 1
	v_add3_u32 v26, v125, v26, s68
                                        ; implicit-def: $vgpr125
; %bb.1047:                             ;   in Loop: Header=BB26_1041 Depth=2
	s_andn2_saveexec_b64 s[94:95], s[26:27]
; %bb.1048:                             ;   in Loop: Header=BB26_1041 Depth=2
	v_or_b32_e32 v26, 0x10000, v125
	v_cmp_eq_u32_sdwa s[26:27], v125, v3 src0_sel:WORD_0 src1_sel:DWORD
	s_nop 1
	v_cndmask_b32_e64 v26, v26, v125, s[26:27]
; %bb.1049:                             ;   in Loop: Header=BB26_1041 Depth=2
	s_or_b64 exec, exec, s[94:95]
	v_lshlrev_b32_e32 v33, 16, v33
	v_lshlrev_b32_e32 v82, 16, v124
	v_max_f32_e32 v82, v82, v82
	v_max_f32_e32 v33, v33, v33
	v_min_f32_e32 v124, v33, v82
	v_max_f32_e32 v33, v33, v82
	v_cndmask_b32_e32 v124, v33, v124, vcc
	v_and_b32_e32 v33, 0x7f800000, v124
	v_cmp_ne_u32_e64 s[26:27], s67, v33
                                        ; implicit-def: $vgpr33
	s_and_saveexec_b64 s[94:95], s[26:27]
	s_xor_b64 s[26:27], exec, s[94:95]
; %bb.1050:                             ;   in Loop: Header=BB26_1041 Depth=2
	v_bfe_u32 v33, v124, 16, 1
	v_add3_u32 v33, v124, v33, s68
                                        ; implicit-def: $vgpr124
; %bb.1051:                             ;   in Loop: Header=BB26_1041 Depth=2
	s_andn2_saveexec_b64 s[94:95], s[26:27]
; %bb.1052:                             ;   in Loop: Header=BB26_1041 Depth=2
	v_or_b32_e32 v33, 0x10000, v124
	v_cmp_eq_u32_sdwa s[26:27], v124, v3 src0_sel:WORD_0 src1_sel:DWORD
	s_nop 1
	v_cndmask_b32_e64 v33, v33, v124, s[26:27]
; %bb.1053:                             ;   in Loop: Header=BB26_1041 Depth=2
	s_or_b64 exec, exec, s[94:95]
	v_lshlrev_b32_e32 v36, 16, v36
	v_lshlrev_b32_e32 v82, 16, v123
	v_max_f32_e32 v82, v82, v82
	v_max_f32_e32 v36, v36, v36
	v_min_f32_e32 v123, v36, v82
	v_max_f32_e32 v36, v36, v82
	v_cndmask_b32_e32 v123, v36, v123, vcc
	v_and_b32_e32 v36, 0x7f800000, v123
	v_cmp_ne_u32_e64 s[26:27], s67, v36
                                        ; implicit-def: $vgpr36
	s_and_saveexec_b64 s[94:95], s[26:27]
	s_xor_b64 s[26:27], exec, s[94:95]
; %bb.1054:                             ;   in Loop: Header=BB26_1041 Depth=2
	v_bfe_u32 v36, v123, 16, 1
	v_add3_u32 v36, v123, v36, s68
                                        ; implicit-def: $vgpr123
; %bb.1055:                             ;   in Loop: Header=BB26_1041 Depth=2
	s_andn2_saveexec_b64 s[94:95], s[26:27]
; %bb.1056:                             ;   in Loop: Header=BB26_1041 Depth=2
	v_or_b32_e32 v36, 0x10000, v123
	v_cmp_eq_u32_sdwa s[26:27], v123, v3 src0_sel:WORD_0 src1_sel:DWORD
	s_nop 1
	v_cndmask_b32_e64 v36, v36, v123, s[26:27]
; %bb.1057:                             ;   in Loop: Header=BB26_1041 Depth=2
	s_or_b64 exec, exec, s[94:95]
	v_lshlrev_b32_e32 v39, 16, v39
	v_lshlrev_b32_e32 v82, 16, v122
	v_max_f32_e32 v82, v82, v82
	v_max_f32_e32 v39, v39, v39
	v_min_f32_e32 v122, v39, v82
	v_max_f32_e32 v39, v39, v82
	v_cndmask_b32_e32 v122, v39, v122, vcc
	v_and_b32_e32 v39, 0x7f800000, v122
	v_cmp_ne_u32_e64 s[26:27], s67, v39
                                        ; implicit-def: $vgpr39
	s_and_saveexec_b64 s[94:95], s[26:27]
	s_xor_b64 s[26:27], exec, s[94:95]
; %bb.1058:                             ;   in Loop: Header=BB26_1041 Depth=2
	v_bfe_u32 v39, v122, 16, 1
	v_add3_u32 v39, v122, v39, s68
                                        ; implicit-def: $vgpr122
; %bb.1059:                             ;   in Loop: Header=BB26_1041 Depth=2
	s_andn2_saveexec_b64 s[94:95], s[26:27]
; %bb.1060:                             ;   in Loop: Header=BB26_1041 Depth=2
	v_or_b32_e32 v39, 0x10000, v122
	v_cmp_eq_u32_sdwa s[26:27], v122, v3 src0_sel:WORD_0 src1_sel:DWORD
	s_nop 1
	v_cndmask_b32_e64 v39, v39, v122, s[26:27]
; %bb.1061:                             ;   in Loop: Header=BB26_1041 Depth=2
	s_or_b64 exec, exec, s[94:95]
	v_lshlrev_b32_e32 v50, 16, v50
	v_lshlrev_b32_e32 v82, 16, v121
	v_max_f32_e32 v82, v82, v82
	v_max_f32_e32 v50, v50, v50
	v_min_f32_e32 v121, v50, v82
	v_max_f32_e32 v50, v50, v82
	v_cndmask_b32_e32 v121, v50, v121, vcc
	v_and_b32_e32 v50, 0x7f800000, v121
	v_cmp_ne_u32_e64 s[26:27], s67, v50
                                        ; implicit-def: $vgpr50
	s_and_saveexec_b64 s[94:95], s[26:27]
	s_xor_b64 s[26:27], exec, s[94:95]
; %bb.1062:                             ;   in Loop: Header=BB26_1041 Depth=2
	v_bfe_u32 v50, v121, 16, 1
	v_add3_u32 v50, v121, v50, s68
                                        ; implicit-def: $vgpr121
; %bb.1063:                             ;   in Loop: Header=BB26_1041 Depth=2
	s_andn2_saveexec_b64 s[94:95], s[26:27]
; %bb.1064:                             ;   in Loop: Header=BB26_1041 Depth=2
	v_or_b32_e32 v50, 0x10000, v121
	v_cmp_eq_u32_sdwa s[26:27], v121, v3 src0_sel:WORD_0 src1_sel:DWORD
	s_nop 1
	v_cndmask_b32_e64 v50, v50, v121, s[26:27]
; %bb.1065:                             ;   in Loop: Header=BB26_1041 Depth=2
	s_or_b64 exec, exec, s[94:95]
	v_lshlrev_b32_e32 v82, 16, v89
	v_lshlrev_b32_e32 v89, 16, v95
	v_max_f32_e32 v89, v89, v89
	v_max_f32_e32 v82, v82, v82
	v_min_f32_e32 v95, v82, v89
	v_max_f32_e32 v82, v82, v89
	v_cndmask_b32_e32 v95, v82, v95, vcc
	v_and_b32_e32 v82, 0x7f800000, v95
	v_cmp_ne_u32_e64 s[26:27], s67, v82
                                        ; implicit-def: $vgpr89
	s_and_saveexec_b64 s[94:95], s[26:27]
	s_xor_b64 s[26:27], exec, s[94:95]
; %bb.1066:                             ;   in Loop: Header=BB26_1041 Depth=2
	v_bfe_u32 v82, v95, 16, 1
	v_add3_u32 v89, v95, v82, s68
                                        ; implicit-def: $vgpr95
; %bb.1067:                             ;   in Loop: Header=BB26_1041 Depth=2
	s_andn2_saveexec_b64 s[94:95], s[26:27]
; %bb.1068:                             ;   in Loop: Header=BB26_1041 Depth=2
	v_or_b32_e32 v82, 0x10000, v95
	v_cmp_eq_u32_sdwa s[26:27], v95, v3 src0_sel:WORD_0 src1_sel:DWORD
	s_nop 1
	v_cndmask_b32_e64 v89, v82, v95, s[26:27]
; %bb.1069:                             ;   in Loop: Header=BB26_1041 Depth=2
	s_or_b64 exec, exec, s[94:95]
	v_lshlrev_b32_e32 v82, 16, v92
	v_lshlrev_b32_e32 v92, 16, v94
	v_max_f32_e32 v92, v92, v92
	v_max_f32_e32 v82, v82, v82
	v_min_f32_e32 v94, v82, v92
	v_max_f32_e32 v82, v82, v92
	v_cndmask_b32_e32 v94, v82, v94, vcc
	v_and_b32_e32 v82, 0x7f800000, v94
	v_cmp_ne_u32_e64 s[26:27], s67, v82
                                        ; implicit-def: $vgpr92
	s_and_saveexec_b64 s[94:95], s[26:27]
	s_xor_b64 s[26:27], exec, s[94:95]
; %bb.1070:                             ;   in Loop: Header=BB26_1041 Depth=2
	v_bfe_u32 v82, v94, 16, 1
	v_add3_u32 v92, v94, v82, s68
                                        ; implicit-def: $vgpr94
; %bb.1071:                             ;   in Loop: Header=BB26_1041 Depth=2
	s_andn2_saveexec_b64 s[94:95], s[26:27]
; %bb.1072:                             ;   in Loop: Header=BB26_1041 Depth=2
	v_or_b32_e32 v82, 0x10000, v94
	v_cmp_eq_u32_sdwa s[26:27], v94, v3 src0_sel:WORD_0 src1_sel:DWORD
	s_nop 1
	v_cndmask_b32_e64 v92, v82, v94, s[26:27]
; %bb.1073:                             ;   in Loop: Header=BB26_1041 Depth=2
	s_or_b64 exec, exec, s[94:95]
	v_lshlrev_b32_e32 v82, 16, v90
	v_lshlrev_b32_e32 v90, 16, v93
	v_max_f32_e32 v90, v90, v90
	v_max_f32_e32 v82, v82, v82
	v_min_f32_e32 v93, v82, v90
	v_max_f32_e32 v82, v82, v90
	v_cndmask_b32_e32 v93, v82, v93, vcc
	v_and_b32_e32 v82, 0x7f800000, v93
	v_cmp_ne_u32_e64 s[26:27], s67, v82
                                        ; implicit-def: $vgpr90
	s_and_saveexec_b64 s[94:95], s[26:27]
	s_xor_b64 s[26:27], exec, s[94:95]
; %bb.1074:                             ;   in Loop: Header=BB26_1041 Depth=2
	v_bfe_u32 v82, v93, 16, 1
	v_add3_u32 v90, v93, v82, s68
                                        ; implicit-def: $vgpr93
; %bb.1075:                             ;   in Loop: Header=BB26_1041 Depth=2
	s_andn2_saveexec_b64 s[94:95], s[26:27]
; %bb.1076:                             ;   in Loop: Header=BB26_1041 Depth=2
	v_or_b32_e32 v82, 0x10000, v93
	v_cmp_eq_u32_sdwa s[26:27], v93, v3 src0_sel:WORD_0 src1_sel:DWORD
	s_nop 1
	v_cndmask_b32_e64 v90, v82, v93, s[26:27]
; %bb.1077:                             ;   in Loop: Header=BB26_1041 Depth=2
	s_or_b64 exec, exec, s[94:95]
	v_lshlrev_b32_e32 v51, 16, v51
	v_lshlrev_b32_e32 v82, 16, v91
	v_max_f32_e32 v82, v82, v82
	v_max_f32_e32 v51, v51, v51
	v_min_f32_e32 v91, v51, v82
	v_max_f32_e32 v51, v51, v82
	v_cndmask_b32_e32 v91, v51, v91, vcc
	v_and_b32_e32 v51, 0x7f800000, v91
	v_cmp_ne_u32_e64 s[26:27], s67, v51
                                        ; implicit-def: $vgpr51
	s_and_saveexec_b64 s[94:95], s[26:27]
	s_xor_b64 s[26:27], exec, s[94:95]
; %bb.1078:                             ;   in Loop: Header=BB26_1041 Depth=2
	v_bfe_u32 v51, v91, 16, 1
	v_add3_u32 v51, v91, v51, s68
                                        ; implicit-def: $vgpr91
; %bb.1079:                             ;   in Loop: Header=BB26_1041 Depth=2
	s_andn2_saveexec_b64 s[94:95], s[26:27]
; %bb.1080:                             ;   in Loop: Header=BB26_1041 Depth=2
	v_or_b32_e32 v51, 0x10000, v91
	v_cmp_eq_u32_sdwa s[26:27], v91, v3 src0_sel:WORD_0 src1_sel:DWORD
	s_nop 1
	v_cndmask_b32_e64 v51, v51, v91, s[26:27]
; %bb.1081:                             ;   in Loop: Header=BB26_1041 Depth=2
	s_or_b64 exec, exec, s[94:95]
	v_lshlrev_b32_e32 v48, 16, v48
	v_lshlrev_b32_e32 v82, 16, v88
	v_max_f32_e32 v82, v82, v82
	v_max_f32_e32 v48, v48, v48
	v_min_f32_e32 v88, v48, v82
	v_max_f32_e32 v48, v48, v82
	v_cndmask_b32_e32 v88, v48, v88, vcc
	v_and_b32_e32 v48, 0x7f800000, v88
	v_cmp_ne_u32_e64 s[26:27], s67, v48
                                        ; implicit-def: $vgpr48
	s_and_saveexec_b64 s[94:95], s[26:27]
	s_xor_b64 s[26:27], exec, s[94:95]
; %bb.1082:                             ;   in Loop: Header=BB26_1041 Depth=2
	v_bfe_u32 v48, v88, 16, 1
	v_add3_u32 v48, v88, v48, s68
                                        ; implicit-def: $vgpr88
; %bb.1083:                             ;   in Loop: Header=BB26_1041 Depth=2
	s_andn2_saveexec_b64 s[94:95], s[26:27]
; %bb.1084:                             ;   in Loop: Header=BB26_1041 Depth=2
	v_or_b32_e32 v48, 0x10000, v88
	v_cmp_eq_u32_sdwa s[26:27], v88, v3 src0_sel:WORD_0 src1_sel:DWORD
	s_nop 1
	v_cndmask_b32_e64 v48, v48, v88, s[26:27]
; %bb.1085:                             ;   in Loop: Header=BB26_1041 Depth=2
	s_or_b64 exec, exec, s[94:95]
	v_lshlrev_b32_e32 v37, 16, v37
	v_lshlrev_b32_e32 v49, 16, v49
	v_max_f32_e32 v49, v49, v49
	v_max_f32_e32 v37, v37, v37
	v_min_f32_e32 v82, v37, v49
	v_max_f32_e32 v37, v37, v49
	v_cndmask_b32_e32 v49, v37, v82, vcc
	v_and_b32_e32 v37, 0x7f800000, v49
	v_cmp_ne_u32_e64 s[26:27], s67, v37
                                        ; implicit-def: $vgpr37
	s_and_saveexec_b64 s[94:95], s[26:27]
	s_xor_b64 s[26:27], exec, s[94:95]
; %bb.1086:                             ;   in Loop: Header=BB26_1041 Depth=2
	v_bfe_u32 v37, v49, 16, 1
	v_add3_u32 v37, v49, v37, s68
                                        ; implicit-def: $vgpr49
; %bb.1087:                             ;   in Loop: Header=BB26_1041 Depth=2
	s_andn2_saveexec_b64 s[94:95], s[26:27]
; %bb.1088:                             ;   in Loop: Header=BB26_1041 Depth=2
	v_or_b32_e32 v37, 0x10000, v49
	v_cmp_eq_u32_sdwa s[26:27], v49, v3 src0_sel:WORD_0 src1_sel:DWORD
	s_nop 1
	v_cndmask_b32_e64 v37, v37, v49, s[26:27]
; %bb.1089:                             ;   in Loop: Header=BB26_1041 Depth=2
	s_or_b64 exec, exec, s[94:95]
	v_lshlrev_b32_e32 v34, 16, v34
	v_lshlrev_b32_e32 v38, 16, v38
	v_max_f32_e32 v38, v38, v38
	v_max_f32_e32 v34, v34, v34
	v_min_f32_e32 v49, v34, v38
	v_max_f32_e32 v34, v34, v38
	v_cndmask_b32_e32 v38, v34, v49, vcc
	v_and_b32_e32 v34, 0x7f800000, v38
	v_cmp_ne_u32_e64 s[26:27], s67, v34
                                        ; implicit-def: $vgpr34
	s_and_saveexec_b64 s[94:95], s[26:27]
	s_xor_b64 s[26:27], exec, s[94:95]
; %bb.1090:                             ;   in Loop: Header=BB26_1041 Depth=2
	v_bfe_u32 v34, v38, 16, 1
	v_add3_u32 v34, v38, v34, s68
                                        ; implicit-def: $vgpr38
; %bb.1091:                             ;   in Loop: Header=BB26_1041 Depth=2
	s_andn2_saveexec_b64 s[94:95], s[26:27]
; %bb.1092:                             ;   in Loop: Header=BB26_1041 Depth=2
	v_or_b32_e32 v34, 0x10000, v38
	v_cmp_eq_u32_sdwa s[26:27], v38, v3 src0_sel:WORD_0 src1_sel:DWORD
	s_nop 1
	v_cndmask_b32_e64 v34, v34, v38, s[26:27]
; %bb.1093:                             ;   in Loop: Header=BB26_1041 Depth=2
	s_or_b64 exec, exec, s[94:95]
	v_lshlrev_b32_e32 v27, 16, v27
	v_lshlrev_b32_e32 v35, 16, v35
	v_max_f32_e32 v35, v35, v35
	v_max_f32_e32 v27, v27, v27
	v_min_f32_e32 v38, v27, v35
	v_max_f32_e32 v27, v27, v35
	v_cndmask_b32_e32 v35, v27, v38, vcc
	v_and_b32_e32 v27, 0x7f800000, v35
	v_cmp_ne_u32_e64 s[26:27], s67, v27
                                        ; implicit-def: $vgpr27
	s_and_saveexec_b64 s[94:95], s[26:27]
	s_xor_b64 s[26:27], exec, s[94:95]
; %bb.1094:                             ;   in Loop: Header=BB26_1041 Depth=2
	v_bfe_u32 v27, v35, 16, 1
	v_add3_u32 v27, v35, v27, s68
                                        ; implicit-def: $vgpr35
; %bb.1095:                             ;   in Loop: Header=BB26_1041 Depth=2
	s_andn2_saveexec_b64 s[94:95], s[26:27]
; %bb.1096:                             ;   in Loop: Header=BB26_1041 Depth=2
	v_or_b32_e32 v27, 0x10000, v35
	v_cmp_eq_u32_sdwa s[26:27], v35, v3 src0_sel:WORD_0 src1_sel:DWORD
	s_nop 1
	v_cndmask_b32_e64 v27, v27, v35, s[26:27]
; %bb.1097:                             ;   in Loop: Header=BB26_1041 Depth=2
	s_or_b64 exec, exec, s[94:95]
	v_lshlrev_b32_e32 v24, 16, v24
	v_lshlrev_b32_e32 v32, 16, v32
	v_max_f32_e32 v32, v32, v32
	v_max_f32_e32 v24, v24, v24
	v_min_f32_e32 v35, v24, v32
	v_max_f32_e32 v24, v24, v32
	v_cndmask_b32_e32 v32, v24, v35, vcc
	v_and_b32_e32 v24, 0x7f800000, v32
	v_cmp_ne_u32_e64 s[26:27], s67, v24
                                        ; implicit-def: $vgpr24
	s_and_saveexec_b64 s[94:95], s[26:27]
	s_xor_b64 s[26:27], exec, s[94:95]
; %bb.1098:                             ;   in Loop: Header=BB26_1041 Depth=2
	v_bfe_u32 v24, v32, 16, 1
	v_add3_u32 v24, v32, v24, s68
                                        ; implicit-def: $vgpr32
; %bb.1099:                             ;   in Loop: Header=BB26_1041 Depth=2
	s_andn2_saveexec_b64 s[94:95], s[26:27]
; %bb.1100:                             ;   in Loop: Header=BB26_1041 Depth=2
	v_or_b32_e32 v24, 0x10000, v32
	v_cmp_eq_u32_sdwa s[26:27], v32, v3 src0_sel:WORD_0 src1_sel:DWORD
	s_nop 1
	v_cndmask_b32_e64 v24, v24, v32, s[26:27]
; %bb.1101:                             ;   in Loop: Header=BB26_1041 Depth=2
	s_or_b64 exec, exec, s[94:95]
	v_lshlrev_b32_e32 v22, 16, v22
	v_lshlrev_b32_e32 v25, 16, v25
	v_max_f32_e32 v25, v25, v25
	v_max_f32_e32 v22, v22, v22
	v_min_f32_e32 v32, v22, v25
	v_max_f32_e32 v22, v22, v25
	v_cndmask_b32_e32 v25, v22, v32, vcc
	v_and_b32_e32 v22, 0x7f800000, v25
	v_cmp_ne_u32_e64 s[26:27], s67, v22
                                        ; implicit-def: $vgpr22
	s_and_saveexec_b64 s[94:95], s[26:27]
	s_xor_b64 s[26:27], exec, s[94:95]
; %bb.1102:                             ;   in Loop: Header=BB26_1041 Depth=2
	v_bfe_u32 v22, v25, 16, 1
	v_add3_u32 v22, v25, v22, s68
                                        ; implicit-def: $vgpr25
; %bb.1103:                             ;   in Loop: Header=BB26_1041 Depth=2
	s_andn2_saveexec_b64 s[94:95], s[26:27]
	s_cbranch_execz .LBB26_1040
; %bb.1104:                             ;   in Loop: Header=BB26_1041 Depth=2
	v_or_b32_e32 v22, 0x10000, v25
	v_cmp_eq_u32_sdwa s[26:27], v25, v3 src0_sel:WORD_0 src1_sel:DWORD
	s_nop 1
	v_cndmask_b32_e64 v22, v22, v25, s[26:27]
	s_branch .LBB26_1040
.LBB26_1105:                            ;   in Loop: Header=BB26_47 Depth=1
	s_or_b64 exec, exec, s[40:41]
.LBB26_1106:                            ;   in Loop: Header=BB26_47 Depth=1
	s_or_b64 exec, exec, s[28:29]
	v_lshlrev_b32_e32 v8, 11, v21
	v_cmp_ne_u32_e32 vcc, v17, v8
	s_and_b64 exec, exec, vcc
	s_cbranch_execz .LBB26_1116
; %bb.1107:                             ;   in Loop: Header=BB26_47 Depth=1
	v_lshlrev_b32_e32 v9, 6, v19
	v_sub_u32_e32 v9, v18, v9
	v_lshlrev_b32_e32 v10, 6, v20
	v_sub_u32_e32 v9, v9, v10
	v_ashrrev_i32_e32 v10, 31, v9
	v_lshrrev_b32_e32 v10, 26, v10
	v_add_u32_e32 v10, v9, v10
	v_and_b32_e32 v11, 0x7fffffc0, v10
	v_sub_u32_e32 v9, v9, v11
	v_lshlrev_b32_e32 v10, 1, v10
	v_and_b32_e32 v10, 0xffffff80, v10
	v_lshlrev_b32_e32 v9, 1, v9
	v_add3_u32 v8, v10, v9, v8
	v_sub_u32_e32 v17, v17, v8
	v_cmp_lt_i32_e32 vcc, 1, v17
	s_and_b64 exec, exec, vcc
	s_cbranch_execz .LBB26_1116
; %bb.1108:                             ;   in Loop: Header=BB26_47 Depth=1
	s_trap 2
	ds_read_b64 v[18:19], v0
	v_add_u32_e32 v14, v8, v16
	s_and_b32 s56, s48, 1
	v_ashrrev_i32_e32 v15, 31, v14
	s_cmp_eq_u64 s[56:57], 0
	v_lshl_add_u64 v[8:9], v[14:15], 0, v[76:77]
	v_lshl_add_u64 v[10:11], v[14:15], 0, v[78:79]
	;; [unrolled: 1-line block ×3, first 2 shown]
	s_waitcnt lgkmcnt(0)
	v_lshl_add_u64 v[14:15], v[18:19], 0, v[14:15]
	s_mov_b64 s[94:95], 0
	s_cselect_b64 s[26:27], -1, 0
.LBB26_1109:                            ;   Parent Loop BB26_47 Depth=1
                                        ; =>  This Loop Header: Depth=2
                                        ;       Child Loop BB26_1114 Depth 3
	flat_load_ushort v16, v[14:15] nt
	flat_load_ushort v18, v[12:13] nt
	s_waitcnt vmcnt(0) lgkmcnt(0)
	v_lshlrev_b32_e32 v16, 16, v16
	v_lshlrev_b32_e32 v18, 16, v18
	v_max_f32_e32 v16, v16, v16
	v_max_f32_e32 v18, v18, v18
	v_min_f32_e32 v19, v18, v16
	v_max_f32_e32 v16, v18, v16
	v_cndmask_b32_e64 v16, v16, v19, s[26:27]
	v_and_b32_e32 v18, 0x7f800000, v16
	v_cmp_ne_u32_e32 vcc, s67, v18
                                        ; implicit-def: $vgpr18
	s_and_saveexec_b64 s[28:29], vcc
	s_xor_b64 s[28:29], exec, s[28:29]
; %bb.1110:                             ;   in Loop: Header=BB26_1109 Depth=2
	v_bfe_u32 v18, v16, 16, 1
	v_add3_u32 v18, v16, v18, s68
                                        ; implicit-def: $vgpr16
; %bb.1111:                             ;   in Loop: Header=BB26_1109 Depth=2
	s_andn2_saveexec_b64 s[28:29], s[28:29]
; %bb.1112:                             ;   in Loop: Header=BB26_1109 Depth=2
	v_or_b32_e32 v18, 0x10000, v16
	v_cmp_eq_u32_sdwa vcc, v16, v3 src0_sel:WORD_0 src1_sel:DWORD
	s_nop 1
	v_cndmask_b32_e32 v18, v18, v16, vcc
; %bb.1113:                             ;   in Loop: Header=BB26_1109 Depth=2
	s_or_b64 exec, exec, s[28:29]
	v_lshrrev_b32_e32 v16, 16, v18
	s_mov_b64 s[34:35], 0
	s_mov_b64 s[30:31], -1
.LBB26_1114:                            ;   Parent Loop BB26_47 Depth=1
                                        ;     Parent Loop BB26_1109 Depth=2
                                        ; =>    This Inner Loop Header: Depth=3
	s_cmp_eq_u32 s34, 1
	s_cselect_b64 vcc, -1, 0
	v_cndmask_b32_e32 v19, v9, v11, vcc
	s_cmp_eq_u32 s34, 0
	v_cndmask_b32_e32 v18, v8, v10, vcc
	flat_store_short v[18:19], v16 nt
	v_lshl_add_u64 v[18:19], v[18:19], 0, s[72:73]
	s_cselect_b64 s[28:29], -1, 0
	s_and_b64 s[40:41], exec, s[30:31]
	s_mov_b64 s[34:35], 1
	s_mov_b64 s[30:31], 0
	v_cndmask_b32_e32 v11, v11, v19, vcc
	v_cndmask_b32_e32 v10, v10, v18, vcc
	v_cndmask_b32_e64 v9, v9, v19, s[28:29]
	v_cndmask_b32_e64 v8, v8, v18, s[28:29]
	s_mov_b64 vcc, s[40:41]
	s_cbranch_vccnz .LBB26_1114
; %bb.1115:                             ;   in Loop: Header=BB26_1109 Depth=2
	v_sub_u32_e32 v17, v17, v112
	v_cmp_gt_i32_e32 vcc, 2, v17
	v_lshl_add_u64 v[12:13], v[12:13], 0, v[46:47]
	v_lshl_add_u64 v[14:15], v[14:15], 0, v[46:47]
	;; [unrolled: 1-line block ×3, first 2 shown]
	s_or_b64 s[94:95], vcc, s[94:95]
	v_lshl_add_u64 v[10:11], v[10:11], 0, v[42:43]
	s_andn2_b64 exec, exec, s[94:95]
	s_cbranch_execnz .LBB26_1109
.LBB26_1116:                            ;   in Loop: Header=BB26_47 Depth=1
	s_or_b64 exec, exec, s[42:43]
	s_branch .LBB26_852
.LBB26_1117:                            ;   in Loop: Header=BB26_47 Depth=1
	s_mov_b64 s[28:29], -1
	s_and_saveexec_b64 s[26:27], s[20:21]
	s_cbranch_execz .LBB26_1119
; %bb.1118:                             ;   in Loop: Header=BB26_47 Depth=1
	ds_read_b32 v8, v0 offset:720
	s_waitcnt lgkmcnt(0)
	v_and_b32_e32 v8, 15, v8
	v_cmp_eq_u32_e32 vcc, 0, v8
	s_orn2_b64 s[28:29], vcc, exec
.LBB26_1119:                            ;   in Loop: Header=BB26_47 Depth=1
	s_or_b64 exec, exec, s[26:27]
	s_and_saveexec_b64 s[26:27], s[16:17]
	s_cbranch_execz .LBB26_1121
; %bb.1120:                             ;   in Loop: Header=BB26_47 Depth=1
	ds_read_b32 v8, v0 offset:784
	s_waitcnt lgkmcnt(0)
	v_and_b32_e32 v8, 15, v8
	v_cmp_eq_u32_e32 vcc, 0, v8
	s_and_b64 s[40:41], s[28:29], vcc
	s_andn2_b64 s[28:29], s[28:29], exec
	s_and_b64 s[40:41], s[40:41], exec
	s_or_b64 s[28:29], s[28:29], s[40:41]
.LBB26_1121:                            ;   in Loop: Header=BB26_47 Depth=1
	s_or_b64 exec, exec, s[26:27]
	s_xor_b64 s[28:29], s[28:29], -1
	v_cndmask_b32_e64 v8, 0, 1, s[28:29]
	s_mov_b64 s[26:27], -1
	v_mov_b32_e32 v14, 0
	v_cmp_ne_u32_e32 vcc, 0, v8
	s_cbranch_vccz .LBB26_1123
; %bb.1122:                             ;   in Loop: Header=BB26_47 Depth=1
	v_mov_b32_e32 v15, v0
	s_and_saveexec_b64 s[28:29], s[26:27]
	s_cbranch_execnz .LBB26_1294
	s_branch .LBB26_1370
.LBB26_1123:                            ;   in Loop: Header=BB26_47 Depth=1
	v_ashrrev_i32_e32 v8, 31, v73
	v_lshrrev_b32_e32 v8, 20, v8
	v_add_u32_e32 v8, v73, v8
	v_ashrrev_i32_e32 v93, 12, v8
	v_sub_u32_e32 v92, v93, v106
	v_cmp_lt_i32_e32 vcc, 0, v92
	s_and_saveexec_b64 s[28:29], vcc
	s_cbranch_execz .LBB26_1255
; %bb.1124:                             ;   in Loop: Header=BB26_47 Depth=1
	s_trap 2
	ds_read_b64 v[8:9], v0
	s_and_b32 s56, s48, 1
	s_cmp_eq_u64 s[56:57], 0
	v_lshl_add_u64 v[78:79], v[74:75], 0, v[114:115]
	v_lshl_add_u64 v[88:89], v[76:77], 0, v[114:115]
	s_waitcnt lgkmcnt(0)
	v_lshl_add_u64 v[90:91], v[8:9], 0, v[114:115]
	s_mov_b64 s[40:41], 0
	s_cselect_b64 vcc, -1, 0
	s_branch .LBB26_1126
.LBB26_1125:                            ;   in Loop: Header=BB26_1126 Depth=2
	s_or_b64 exec, exec, s[42:43]
	v_lshrrev_b32_e32 v15, 16, v20
	v_and_or_b32 v17, v17, s69, v15
	v_lshrrev_b32_e32 v15, 16, v35
	v_and_or_b32 v16, v16, s69, v15
	;; [unrolled: 2-line block ×9, first 2 shown]
	v_lshrrev_b32_e32 v15, 16, v94
	v_lshrrev_b32_e32 v12, 16, v12
	v_and_or_b32 v32, v36, s69, v15
	v_lshrrev_b32_e32 v15, 16, v49
	v_and_or_b32 v9, v9, s69, v12
	v_lshrrev_b32_e32 v12, 16, v23
	v_and_or_b32 v34, v38, s69, v15
	v_lshrrev_b32_e32 v15, 16, v50
	v_and_or_b32 v8, v8, s69, v12
	v_lshrrev_b32_e32 v12, 16, v13
	v_sub_u32_e32 v92, v92, v84
	v_and_or_b32 v35, v39, s69, v15
	v_and_or_b32 v10, v10, s69, v12
	v_lshrrev_b32_e32 v12, 16, v14
	v_cmp_gt_i32_e64 s[26:27], 1, v92
	v_and_or_b32 v11, v11, s69, v12
	global_store_dwordx4 v[88:89], v[32:35], off
	global_store_dwordx4 v[88:89], v[24:27], off offset:1024
	global_store_dwordx4 v[88:89], v[16:19], off offset:2048
	;; [unrolled: 1-line block ×3, first 2 shown]
	v_lshl_add_u64 v[78:79], v[78:79], 0, v[116:117]
	v_lshl_add_u64 v[90:91], v[90:91], 0, v[116:117]
	s_or_b64 s[40:41], s[26:27], s[40:41]
	v_lshl_add_u64 v[88:89], v[88:89], 0, v[116:117]
	s_andn2_b64 exec, exec, s[40:41]
	s_cbranch_execz .LBB26_1254
.LBB26_1126:                            ;   Parent Loop BB26_47 Depth=1
                                        ; =>  This Inner Loop Header: Depth=2
	global_load_dwordx4 v[36:39], v[78:79], off nt
	global_load_dwordx4 v[48:51], v[90:91], off nt
	global_load_dwordx4 v[24:27], v[78:79], off offset:1024 nt
	global_load_dwordx4 v[16:19], v[78:79], off offset:2048 nt
	;; [unrolled: 1-line block ×6, first 2 shown]
	s_waitcnt vmcnt(0)
	v_lshlrev_b32_e32 v94, 16, v36
	v_lshlrev_b32_e32 v95, 16, v48
	v_max_f32_e32 v95, v95, v95
	v_max_f32_e32 v94, v94, v94
	v_min_f32_e32 v121, v94, v95
	v_max_f32_e32 v94, v94, v95
	v_cndmask_b32_e32 v95, v94, v121, vcc
	v_and_b32_e32 v94, 0x7f800000, v95
	v_cmp_ne_u32_e64 s[26:27], s67, v94
                                        ; implicit-def: $vgpr94
	s_and_saveexec_b64 s[42:43], s[26:27]
	s_xor_b64 s[26:27], exec, s[42:43]
; %bb.1127:                             ;   in Loop: Header=BB26_1126 Depth=2
	v_bfe_u32 v94, v95, 16, 1
	v_add3_u32 v94, v95, v94, s68
                                        ; implicit-def: $vgpr95
; %bb.1128:                             ;   in Loop: Header=BB26_1126 Depth=2
	s_andn2_saveexec_b64 s[42:43], s[26:27]
; %bb.1129:                             ;   in Loop: Header=BB26_1126 Depth=2
	v_or_b32_e32 v94, 0x10000, v95
	v_cmp_eq_u32_sdwa s[26:27], v95, v3 src0_sel:WORD_0 src1_sel:DWORD
	s_nop 1
	v_cndmask_b32_e64 v94, v94, v95, s[26:27]
; %bb.1130:                             ;   in Loop: Header=BB26_1126 Depth=2
	s_or_b64 exec, exec, s[42:43]
	v_and_b32_e32 v36, 0xffff0000, v36
	v_and_b32_e32 v48, 0xffff0000, v48
	v_max_f32_e32 v48, v48, v48
	v_max_f32_e32 v36, v36, v36
	v_min_f32_e32 v95, v36, v48
	v_max_f32_e32 v36, v36, v48
	v_cndmask_b32_e32 v48, v36, v95, vcc
	v_and_b32_e32 v36, 0x7f800000, v48
	v_cmp_ne_u32_e64 s[26:27], s67, v36
                                        ; implicit-def: $vgpr36
	s_and_saveexec_b64 s[42:43], s[26:27]
	s_xor_b64 s[26:27], exec, s[42:43]
; %bb.1131:                             ;   in Loop: Header=BB26_1126 Depth=2
	v_bfe_u32 v36, v48, 16, 1
	v_add3_u32 v36, v48, v36, s68
                                        ; implicit-def: $vgpr48
; %bb.1132:                             ;   in Loop: Header=BB26_1126 Depth=2
	s_andn2_saveexec_b64 s[42:43], s[26:27]
; %bb.1133:                             ;   in Loop: Header=BB26_1126 Depth=2
	v_or_b32_e32 v36, 0x10000, v48
	v_cmp_eq_u32_sdwa s[26:27], v48, v3 src0_sel:WORD_0 src1_sel:DWORD
	s_nop 1
	v_cndmask_b32_e64 v36, v36, v48, s[26:27]
; %bb.1134:                             ;   in Loop: Header=BB26_1126 Depth=2
	s_or_b64 exec, exec, s[42:43]
	v_lshlrev_b32_e32 v48, 16, v37
	v_lshlrev_b32_e32 v95, 16, v49
	v_max_f32_e32 v95, v95, v95
	v_max_f32_e32 v48, v48, v48
	v_min_f32_e32 v121, v48, v95
	v_max_f32_e32 v48, v48, v95
	v_cndmask_b32_e32 v95, v48, v121, vcc
	v_and_b32_e32 v48, 0x7f800000, v95
	v_cmp_ne_u32_e64 s[26:27], s67, v48
                                        ; implicit-def: $vgpr48
	s_and_saveexec_b64 s[42:43], s[26:27]
	s_xor_b64 s[26:27], exec, s[42:43]
; %bb.1135:                             ;   in Loop: Header=BB26_1126 Depth=2
	v_bfe_u32 v48, v95, 16, 1
	v_add3_u32 v48, v95, v48, s68
                                        ; implicit-def: $vgpr95
; %bb.1136:                             ;   in Loop: Header=BB26_1126 Depth=2
	s_andn2_saveexec_b64 s[42:43], s[26:27]
; %bb.1137:                             ;   in Loop: Header=BB26_1126 Depth=2
	v_or_b32_e32 v48, 0x10000, v95
	v_cmp_eq_u32_sdwa s[26:27], v95, v3 src0_sel:WORD_0 src1_sel:DWORD
	s_nop 1
	v_cndmask_b32_e64 v48, v48, v95, s[26:27]
; %bb.1138:                             ;   in Loop: Header=BB26_1126 Depth=2
	s_or_b64 exec, exec, s[42:43]
	v_and_b32_e32 v37, 0xffff0000, v37
	v_and_b32_e32 v49, 0xffff0000, v49
	v_max_f32_e32 v49, v49, v49
	v_max_f32_e32 v37, v37, v37
	v_min_f32_e32 v95, v37, v49
	v_max_f32_e32 v37, v37, v49
	v_cndmask_b32_e32 v49, v37, v95, vcc
	v_and_b32_e32 v37, 0x7f800000, v49
	v_cmp_ne_u32_e64 s[26:27], s67, v37
                                        ; implicit-def: $vgpr37
	s_and_saveexec_b64 s[42:43], s[26:27]
	s_xor_b64 s[26:27], exec, s[42:43]
; %bb.1139:                             ;   in Loop: Header=BB26_1126 Depth=2
	v_bfe_u32 v37, v49, 16, 1
	v_add3_u32 v37, v49, v37, s68
                                        ; implicit-def: $vgpr49
; %bb.1140:                             ;   in Loop: Header=BB26_1126 Depth=2
	s_andn2_saveexec_b64 s[42:43], s[26:27]
; %bb.1141:                             ;   in Loop: Header=BB26_1126 Depth=2
	v_or_b32_e32 v37, 0x10000, v49
	v_cmp_eq_u32_sdwa s[26:27], v49, v3 src0_sel:WORD_0 src1_sel:DWORD
	s_nop 1
	v_cndmask_b32_e64 v37, v37, v49, s[26:27]
; %bb.1142:                             ;   in Loop: Header=BB26_1126 Depth=2
	s_or_b64 exec, exec, s[42:43]
	v_lshlrev_b32_e32 v49, 16, v38
	v_lshlrev_b32_e32 v95, 16, v50
	v_max_f32_e32 v95, v95, v95
	v_max_f32_e32 v49, v49, v49
	v_min_f32_e32 v121, v49, v95
	v_max_f32_e32 v49, v49, v95
	v_cndmask_b32_e32 v95, v49, v121, vcc
	v_and_b32_e32 v49, 0x7f800000, v95
	v_cmp_ne_u32_e64 s[26:27], s67, v49
                                        ; implicit-def: $vgpr49
	s_and_saveexec_b64 s[42:43], s[26:27]
	s_xor_b64 s[26:27], exec, s[42:43]
; %bb.1143:                             ;   in Loop: Header=BB26_1126 Depth=2
	v_bfe_u32 v49, v95, 16, 1
	v_add3_u32 v49, v95, v49, s68
                                        ; implicit-def: $vgpr95
; %bb.1144:                             ;   in Loop: Header=BB26_1126 Depth=2
	s_andn2_saveexec_b64 s[42:43], s[26:27]
; %bb.1145:                             ;   in Loop: Header=BB26_1126 Depth=2
	v_or_b32_e32 v49, 0x10000, v95
	v_cmp_eq_u32_sdwa s[26:27], v95, v3 src0_sel:WORD_0 src1_sel:DWORD
	s_nop 1
	v_cndmask_b32_e64 v49, v49, v95, s[26:27]
; %bb.1146:                             ;   in Loop: Header=BB26_1126 Depth=2
	s_or_b64 exec, exec, s[42:43]
	v_and_b32_e32 v38, 0xffff0000, v38
	v_and_b32_e32 v50, 0xffff0000, v50
	v_max_f32_e32 v50, v50, v50
	v_max_f32_e32 v38, v38, v38
	v_min_f32_e32 v95, v38, v50
	v_max_f32_e32 v38, v38, v50
	v_cndmask_b32_e32 v50, v38, v95, vcc
	v_and_b32_e32 v38, 0x7f800000, v50
	v_cmp_ne_u32_e64 s[26:27], s67, v38
                                        ; implicit-def: $vgpr38
	s_and_saveexec_b64 s[42:43], s[26:27]
	s_xor_b64 s[26:27], exec, s[42:43]
; %bb.1147:                             ;   in Loop: Header=BB26_1126 Depth=2
	v_bfe_u32 v38, v50, 16, 1
	v_add3_u32 v38, v50, v38, s68
                                        ; implicit-def: $vgpr50
; %bb.1148:                             ;   in Loop: Header=BB26_1126 Depth=2
	s_andn2_saveexec_b64 s[42:43], s[26:27]
; %bb.1149:                             ;   in Loop: Header=BB26_1126 Depth=2
	v_or_b32_e32 v38, 0x10000, v50
	v_cmp_eq_u32_sdwa s[26:27], v50, v3 src0_sel:WORD_0 src1_sel:DWORD
	s_nop 1
	v_cndmask_b32_e64 v38, v38, v50, s[26:27]
; %bb.1150:                             ;   in Loop: Header=BB26_1126 Depth=2
	s_or_b64 exec, exec, s[42:43]
	v_lshlrev_b32_e32 v50, 16, v39
	v_lshlrev_b32_e32 v95, 16, v51
	v_max_f32_e32 v95, v95, v95
	v_max_f32_e32 v50, v50, v50
	v_min_f32_e32 v121, v50, v95
	v_max_f32_e32 v50, v50, v95
	v_cndmask_b32_e32 v95, v50, v121, vcc
	v_and_b32_e32 v50, 0x7f800000, v95
	v_cmp_ne_u32_e64 s[26:27], s67, v50
                                        ; implicit-def: $vgpr50
	s_and_saveexec_b64 s[42:43], s[26:27]
	s_xor_b64 s[26:27], exec, s[42:43]
; %bb.1151:                             ;   in Loop: Header=BB26_1126 Depth=2
	v_bfe_u32 v50, v95, 16, 1
	v_add3_u32 v50, v95, v50, s68
                                        ; implicit-def: $vgpr95
; %bb.1152:                             ;   in Loop: Header=BB26_1126 Depth=2
	s_andn2_saveexec_b64 s[42:43], s[26:27]
; %bb.1153:                             ;   in Loop: Header=BB26_1126 Depth=2
	v_or_b32_e32 v50, 0x10000, v95
	v_cmp_eq_u32_sdwa s[26:27], v95, v3 src0_sel:WORD_0 src1_sel:DWORD
	s_nop 1
	v_cndmask_b32_e64 v50, v50, v95, s[26:27]
; %bb.1154:                             ;   in Loop: Header=BB26_1126 Depth=2
	s_or_b64 exec, exec, s[42:43]
	v_and_b32_e32 v39, 0xffff0000, v39
	v_and_b32_e32 v51, 0xffff0000, v51
	v_max_f32_e32 v51, v51, v51
	v_max_f32_e32 v39, v39, v39
	v_min_f32_e32 v95, v39, v51
	v_max_f32_e32 v39, v39, v51
	v_cndmask_b32_e32 v51, v39, v95, vcc
	v_and_b32_e32 v39, 0x7f800000, v51
	v_cmp_ne_u32_e64 s[26:27], s67, v39
                                        ; implicit-def: $vgpr39
	s_and_saveexec_b64 s[42:43], s[26:27]
	s_xor_b64 s[26:27], exec, s[42:43]
; %bb.1155:                             ;   in Loop: Header=BB26_1126 Depth=2
	v_bfe_u32 v39, v51, 16, 1
	v_add3_u32 v39, v51, v39, s68
                                        ; implicit-def: $vgpr51
; %bb.1156:                             ;   in Loop: Header=BB26_1126 Depth=2
	s_andn2_saveexec_b64 s[42:43], s[26:27]
; %bb.1157:                             ;   in Loop: Header=BB26_1126 Depth=2
	v_or_b32_e32 v39, 0x10000, v51
	v_cmp_eq_u32_sdwa s[26:27], v51, v3 src0_sel:WORD_0 src1_sel:DWORD
	s_nop 1
	v_cndmask_b32_e64 v39, v39, v51, s[26:27]
; %bb.1158:                             ;   in Loop: Header=BB26_1126 Depth=2
	s_or_b64 exec, exec, s[42:43]
	v_lshlrev_b32_e32 v51, 16, v24
	v_lshlrev_b32_e32 v95, 16, v32
	v_max_f32_e32 v95, v95, v95
	v_max_f32_e32 v51, v51, v51
	v_min_f32_e32 v121, v51, v95
	v_max_f32_e32 v51, v51, v95
	v_cndmask_b32_e32 v95, v51, v121, vcc
	v_and_b32_e32 v51, 0x7f800000, v95
	v_cmp_ne_u32_e64 s[26:27], s67, v51
                                        ; implicit-def: $vgpr51
	s_and_saveexec_b64 s[42:43], s[26:27]
	s_xor_b64 s[26:27], exec, s[42:43]
; %bb.1159:                             ;   in Loop: Header=BB26_1126 Depth=2
	v_bfe_u32 v51, v95, 16, 1
	v_add3_u32 v51, v95, v51, s68
                                        ; implicit-def: $vgpr95
; %bb.1160:                             ;   in Loop: Header=BB26_1126 Depth=2
	s_andn2_saveexec_b64 s[42:43], s[26:27]
; %bb.1161:                             ;   in Loop: Header=BB26_1126 Depth=2
	v_or_b32_e32 v51, 0x10000, v95
	v_cmp_eq_u32_sdwa s[26:27], v95, v3 src0_sel:WORD_0 src1_sel:DWORD
	s_nop 1
	v_cndmask_b32_e64 v51, v51, v95, s[26:27]
; %bb.1162:                             ;   in Loop: Header=BB26_1126 Depth=2
	s_or_b64 exec, exec, s[42:43]
	v_and_b32_e32 v24, 0xffff0000, v24
	v_and_b32_e32 v32, 0xffff0000, v32
	v_max_f32_e32 v32, v32, v32
	v_max_f32_e32 v24, v24, v24
	v_min_f32_e32 v95, v24, v32
	v_max_f32_e32 v24, v24, v32
	v_cndmask_b32_e32 v32, v24, v95, vcc
	v_and_b32_e32 v24, 0x7f800000, v32
	v_cmp_ne_u32_e64 s[26:27], s67, v24
                                        ; implicit-def: $vgpr24
	s_and_saveexec_b64 s[42:43], s[26:27]
	s_xor_b64 s[26:27], exec, s[42:43]
; %bb.1163:                             ;   in Loop: Header=BB26_1126 Depth=2
	v_bfe_u32 v24, v32, 16, 1
	v_add3_u32 v24, v32, v24, s68
                                        ; implicit-def: $vgpr32
; %bb.1164:                             ;   in Loop: Header=BB26_1126 Depth=2
	s_andn2_saveexec_b64 s[42:43], s[26:27]
; %bb.1165:                             ;   in Loop: Header=BB26_1126 Depth=2
	v_or_b32_e32 v24, 0x10000, v32
	v_cmp_eq_u32_sdwa s[26:27], v32, v3 src0_sel:WORD_0 src1_sel:DWORD
	s_nop 1
	v_cndmask_b32_e64 v24, v24, v32, s[26:27]
; %bb.1166:                             ;   in Loop: Header=BB26_1126 Depth=2
	s_or_b64 exec, exec, s[42:43]
	v_lshlrev_b32_e32 v32, 16, v25
	v_lshlrev_b32_e32 v95, 16, v33
	v_max_f32_e32 v95, v95, v95
	v_max_f32_e32 v32, v32, v32
	v_min_f32_e32 v121, v32, v95
	v_max_f32_e32 v32, v32, v95
	v_cndmask_b32_e32 v95, v32, v121, vcc
	v_and_b32_e32 v32, 0x7f800000, v95
	v_cmp_ne_u32_e64 s[26:27], s67, v32
                                        ; implicit-def: $vgpr32
	s_and_saveexec_b64 s[42:43], s[26:27]
	s_xor_b64 s[26:27], exec, s[42:43]
; %bb.1167:                             ;   in Loop: Header=BB26_1126 Depth=2
	v_bfe_u32 v32, v95, 16, 1
	v_add3_u32 v32, v95, v32, s68
                                        ; implicit-def: $vgpr95
; %bb.1168:                             ;   in Loop: Header=BB26_1126 Depth=2
	s_andn2_saveexec_b64 s[42:43], s[26:27]
; %bb.1169:                             ;   in Loop: Header=BB26_1126 Depth=2
	v_or_b32_e32 v32, 0x10000, v95
	v_cmp_eq_u32_sdwa s[26:27], v95, v3 src0_sel:WORD_0 src1_sel:DWORD
	s_nop 1
	v_cndmask_b32_e64 v32, v32, v95, s[26:27]
; %bb.1170:                             ;   in Loop: Header=BB26_1126 Depth=2
	s_or_b64 exec, exec, s[42:43]
	v_and_b32_e32 v25, 0xffff0000, v25
	v_and_b32_e32 v33, 0xffff0000, v33
	v_max_f32_e32 v33, v33, v33
	v_max_f32_e32 v25, v25, v25
	v_min_f32_e32 v95, v25, v33
	v_max_f32_e32 v25, v25, v33
	v_cndmask_b32_e32 v33, v25, v95, vcc
	v_and_b32_e32 v25, 0x7f800000, v33
	v_cmp_ne_u32_e64 s[26:27], s67, v25
                                        ; implicit-def: $vgpr25
	s_and_saveexec_b64 s[42:43], s[26:27]
	s_xor_b64 s[26:27], exec, s[42:43]
; %bb.1171:                             ;   in Loop: Header=BB26_1126 Depth=2
	v_bfe_u32 v25, v33, 16, 1
	v_add3_u32 v25, v33, v25, s68
                                        ; implicit-def: $vgpr33
; %bb.1172:                             ;   in Loop: Header=BB26_1126 Depth=2
	s_andn2_saveexec_b64 s[42:43], s[26:27]
; %bb.1173:                             ;   in Loop: Header=BB26_1126 Depth=2
	v_or_b32_e32 v25, 0x10000, v33
	v_cmp_eq_u32_sdwa s[26:27], v33, v3 src0_sel:WORD_0 src1_sel:DWORD
	s_nop 1
	v_cndmask_b32_e64 v25, v25, v33, s[26:27]
; %bb.1174:                             ;   in Loop: Header=BB26_1126 Depth=2
	s_or_b64 exec, exec, s[42:43]
	v_lshlrev_b32_e32 v33, 16, v26
	v_lshlrev_b32_e32 v95, 16, v34
	v_max_f32_e32 v95, v95, v95
	v_max_f32_e32 v33, v33, v33
	v_min_f32_e32 v121, v33, v95
	v_max_f32_e32 v33, v33, v95
	v_cndmask_b32_e32 v95, v33, v121, vcc
	v_and_b32_e32 v33, 0x7f800000, v95
	v_cmp_ne_u32_e64 s[26:27], s67, v33
                                        ; implicit-def: $vgpr33
	s_and_saveexec_b64 s[42:43], s[26:27]
	s_xor_b64 s[26:27], exec, s[42:43]
; %bb.1175:                             ;   in Loop: Header=BB26_1126 Depth=2
	v_bfe_u32 v33, v95, 16, 1
	v_add3_u32 v33, v95, v33, s68
                                        ; implicit-def: $vgpr95
; %bb.1176:                             ;   in Loop: Header=BB26_1126 Depth=2
	s_andn2_saveexec_b64 s[42:43], s[26:27]
; %bb.1177:                             ;   in Loop: Header=BB26_1126 Depth=2
	v_or_b32_e32 v33, 0x10000, v95
	v_cmp_eq_u32_sdwa s[26:27], v95, v3 src0_sel:WORD_0 src1_sel:DWORD
	s_nop 1
	v_cndmask_b32_e64 v33, v33, v95, s[26:27]
; %bb.1178:                             ;   in Loop: Header=BB26_1126 Depth=2
	s_or_b64 exec, exec, s[42:43]
	v_and_b32_e32 v26, 0xffff0000, v26
	v_and_b32_e32 v34, 0xffff0000, v34
	v_max_f32_e32 v34, v34, v34
	v_max_f32_e32 v26, v26, v26
	v_min_f32_e32 v95, v26, v34
	v_max_f32_e32 v26, v26, v34
	v_cndmask_b32_e32 v34, v26, v95, vcc
	v_and_b32_e32 v26, 0x7f800000, v34
	v_cmp_ne_u32_e64 s[26:27], s67, v26
                                        ; implicit-def: $vgpr26
	s_and_saveexec_b64 s[42:43], s[26:27]
	s_xor_b64 s[26:27], exec, s[42:43]
; %bb.1179:                             ;   in Loop: Header=BB26_1126 Depth=2
	v_bfe_u32 v26, v34, 16, 1
	v_add3_u32 v26, v34, v26, s68
                                        ; implicit-def: $vgpr34
; %bb.1180:                             ;   in Loop: Header=BB26_1126 Depth=2
	s_andn2_saveexec_b64 s[42:43], s[26:27]
; %bb.1181:                             ;   in Loop: Header=BB26_1126 Depth=2
	v_or_b32_e32 v26, 0x10000, v34
	v_cmp_eq_u32_sdwa s[26:27], v34, v3 src0_sel:WORD_0 src1_sel:DWORD
	s_nop 1
	v_cndmask_b32_e64 v26, v26, v34, s[26:27]
; %bb.1182:                             ;   in Loop: Header=BB26_1126 Depth=2
	s_or_b64 exec, exec, s[42:43]
	v_lshlrev_b32_e32 v34, 16, v27
	v_lshlrev_b32_e32 v95, 16, v35
	v_max_f32_e32 v95, v95, v95
	v_max_f32_e32 v34, v34, v34
	v_min_f32_e32 v121, v34, v95
	v_max_f32_e32 v34, v34, v95
	v_cndmask_b32_e32 v95, v34, v121, vcc
	v_and_b32_e32 v34, 0x7f800000, v95
	v_cmp_ne_u32_e64 s[26:27], s67, v34
                                        ; implicit-def: $vgpr34
	s_and_saveexec_b64 s[42:43], s[26:27]
	s_xor_b64 s[26:27], exec, s[42:43]
; %bb.1183:                             ;   in Loop: Header=BB26_1126 Depth=2
	v_bfe_u32 v34, v95, 16, 1
	v_add3_u32 v34, v95, v34, s68
                                        ; implicit-def: $vgpr95
; %bb.1184:                             ;   in Loop: Header=BB26_1126 Depth=2
	s_andn2_saveexec_b64 s[42:43], s[26:27]
; %bb.1185:                             ;   in Loop: Header=BB26_1126 Depth=2
	v_or_b32_e32 v34, 0x10000, v95
	v_cmp_eq_u32_sdwa s[26:27], v95, v3 src0_sel:WORD_0 src1_sel:DWORD
	s_nop 1
	v_cndmask_b32_e64 v34, v34, v95, s[26:27]
; %bb.1186:                             ;   in Loop: Header=BB26_1126 Depth=2
	s_or_b64 exec, exec, s[42:43]
	v_and_b32_e32 v27, 0xffff0000, v27
	v_and_b32_e32 v35, 0xffff0000, v35
	v_max_f32_e32 v35, v35, v35
	v_max_f32_e32 v27, v27, v27
	v_min_f32_e32 v95, v27, v35
	v_max_f32_e32 v27, v27, v35
	v_cndmask_b32_e32 v35, v27, v95, vcc
	v_and_b32_e32 v27, 0x7f800000, v35
	v_cmp_ne_u32_e64 s[26:27], s67, v27
                                        ; implicit-def: $vgpr27
	s_and_saveexec_b64 s[42:43], s[26:27]
	s_xor_b64 s[26:27], exec, s[42:43]
; %bb.1187:                             ;   in Loop: Header=BB26_1126 Depth=2
	v_bfe_u32 v27, v35, 16, 1
	v_add3_u32 v27, v35, v27, s68
                                        ; implicit-def: $vgpr35
; %bb.1188:                             ;   in Loop: Header=BB26_1126 Depth=2
	s_andn2_saveexec_b64 s[42:43], s[26:27]
; %bb.1189:                             ;   in Loop: Header=BB26_1126 Depth=2
	v_or_b32_e32 v27, 0x10000, v35
	v_cmp_eq_u32_sdwa s[26:27], v35, v3 src0_sel:WORD_0 src1_sel:DWORD
	s_nop 1
	v_cndmask_b32_e64 v27, v27, v35, s[26:27]
; %bb.1190:                             ;   in Loop: Header=BB26_1126 Depth=2
	s_or_b64 exec, exec, s[42:43]
	v_lshlrev_b32_e32 v35, 16, v16
	v_lshlrev_b32_e32 v95, 16, v20
	v_max_f32_e32 v95, v95, v95
	v_max_f32_e32 v35, v35, v35
	v_min_f32_e32 v121, v35, v95
	v_max_f32_e32 v35, v35, v95
	v_cndmask_b32_e32 v95, v35, v121, vcc
	v_and_b32_e32 v35, 0x7f800000, v95
	v_cmp_ne_u32_e64 s[26:27], s67, v35
                                        ; implicit-def: $vgpr35
	s_and_saveexec_b64 s[42:43], s[26:27]
	s_xor_b64 s[26:27], exec, s[42:43]
; %bb.1191:                             ;   in Loop: Header=BB26_1126 Depth=2
	v_bfe_u32 v35, v95, 16, 1
	v_add3_u32 v35, v95, v35, s68
                                        ; implicit-def: $vgpr95
; %bb.1192:                             ;   in Loop: Header=BB26_1126 Depth=2
	s_andn2_saveexec_b64 s[42:43], s[26:27]
; %bb.1193:                             ;   in Loop: Header=BB26_1126 Depth=2
	v_or_b32_e32 v35, 0x10000, v95
	v_cmp_eq_u32_sdwa s[26:27], v95, v3 src0_sel:WORD_0 src1_sel:DWORD
	s_nop 1
	v_cndmask_b32_e64 v35, v35, v95, s[26:27]
; %bb.1194:                             ;   in Loop: Header=BB26_1126 Depth=2
	s_or_b64 exec, exec, s[42:43]
	v_and_b32_e32 v16, 0xffff0000, v16
	v_and_b32_e32 v20, 0xffff0000, v20
	v_max_f32_e32 v20, v20, v20
	v_max_f32_e32 v16, v16, v16
	v_min_f32_e32 v95, v16, v20
	v_max_f32_e32 v16, v16, v20
	v_cndmask_b32_e32 v20, v16, v95, vcc
	v_and_b32_e32 v16, 0x7f800000, v20
	v_cmp_ne_u32_e64 s[26:27], s67, v16
                                        ; implicit-def: $vgpr16
	s_and_saveexec_b64 s[42:43], s[26:27]
	s_xor_b64 s[26:27], exec, s[42:43]
; %bb.1195:                             ;   in Loop: Header=BB26_1126 Depth=2
	v_bfe_u32 v16, v20, 16, 1
	v_add3_u32 v16, v20, v16, s68
                                        ; implicit-def: $vgpr20
; %bb.1196:                             ;   in Loop: Header=BB26_1126 Depth=2
	s_andn2_saveexec_b64 s[42:43], s[26:27]
; %bb.1197:                             ;   in Loop: Header=BB26_1126 Depth=2
	v_or_b32_e32 v16, 0x10000, v20
	v_cmp_eq_u32_sdwa s[26:27], v20, v3 src0_sel:WORD_0 src1_sel:DWORD
	s_nop 1
	v_cndmask_b32_e64 v16, v16, v20, s[26:27]
; %bb.1198:                             ;   in Loop: Header=BB26_1126 Depth=2
	s_or_b64 exec, exec, s[42:43]
	v_lshlrev_b32_e32 v20, 16, v17
	v_lshlrev_b32_e32 v95, 16, v21
	v_max_f32_e32 v95, v95, v95
	v_max_f32_e32 v20, v20, v20
	v_min_f32_e32 v121, v20, v95
	v_max_f32_e32 v20, v20, v95
	v_cndmask_b32_e32 v95, v20, v121, vcc
	v_and_b32_e32 v20, 0x7f800000, v95
	v_cmp_ne_u32_e64 s[26:27], s67, v20
                                        ; implicit-def: $vgpr20
	s_and_saveexec_b64 s[42:43], s[26:27]
	s_xor_b64 s[26:27], exec, s[42:43]
; %bb.1199:                             ;   in Loop: Header=BB26_1126 Depth=2
	v_bfe_u32 v20, v95, 16, 1
	v_add3_u32 v20, v95, v20, s68
                                        ; implicit-def: $vgpr95
; %bb.1200:                             ;   in Loop: Header=BB26_1126 Depth=2
	s_andn2_saveexec_b64 s[42:43], s[26:27]
; %bb.1201:                             ;   in Loop: Header=BB26_1126 Depth=2
	v_or_b32_e32 v20, 0x10000, v95
	v_cmp_eq_u32_sdwa s[26:27], v95, v3 src0_sel:WORD_0 src1_sel:DWORD
	s_nop 1
	v_cndmask_b32_e64 v20, v20, v95, s[26:27]
; %bb.1202:                             ;   in Loop: Header=BB26_1126 Depth=2
	s_or_b64 exec, exec, s[42:43]
	v_and_b32_e32 v17, 0xffff0000, v17
	v_and_b32_e32 v21, 0xffff0000, v21
	v_max_f32_e32 v21, v21, v21
	v_max_f32_e32 v17, v17, v17
	v_min_f32_e32 v95, v17, v21
	v_max_f32_e32 v17, v17, v21
	v_cndmask_b32_e32 v21, v17, v95, vcc
	v_and_b32_e32 v17, 0x7f800000, v21
	v_cmp_ne_u32_e64 s[26:27], s67, v17
                                        ; implicit-def: $vgpr17
	s_and_saveexec_b64 s[42:43], s[26:27]
	s_xor_b64 s[26:27], exec, s[42:43]
; %bb.1203:                             ;   in Loop: Header=BB26_1126 Depth=2
	v_bfe_u32 v17, v21, 16, 1
	v_add3_u32 v17, v21, v17, s68
                                        ; implicit-def: $vgpr21
; %bb.1204:                             ;   in Loop: Header=BB26_1126 Depth=2
	s_andn2_saveexec_b64 s[42:43], s[26:27]
; %bb.1205:                             ;   in Loop: Header=BB26_1126 Depth=2
	v_or_b32_e32 v17, 0x10000, v21
	v_cmp_eq_u32_sdwa s[26:27], v21, v3 src0_sel:WORD_0 src1_sel:DWORD
	s_nop 1
	v_cndmask_b32_e64 v17, v17, v21, s[26:27]
; %bb.1206:                             ;   in Loop: Header=BB26_1126 Depth=2
	s_or_b64 exec, exec, s[42:43]
	v_lshlrev_b32_e32 v21, 16, v18
	v_lshlrev_b32_e32 v95, 16, v22
	v_max_f32_e32 v95, v95, v95
	v_max_f32_e32 v21, v21, v21
	v_min_f32_e32 v121, v21, v95
	v_max_f32_e32 v21, v21, v95
	v_cndmask_b32_e32 v95, v21, v121, vcc
	v_and_b32_e32 v21, 0x7f800000, v95
	v_cmp_ne_u32_e64 s[26:27], s67, v21
                                        ; implicit-def: $vgpr21
	s_and_saveexec_b64 s[42:43], s[26:27]
	s_xor_b64 s[26:27], exec, s[42:43]
; %bb.1207:                             ;   in Loop: Header=BB26_1126 Depth=2
	v_bfe_u32 v21, v95, 16, 1
	v_add3_u32 v21, v95, v21, s68
                                        ; implicit-def: $vgpr95
; %bb.1208:                             ;   in Loop: Header=BB26_1126 Depth=2
	s_andn2_saveexec_b64 s[42:43], s[26:27]
; %bb.1209:                             ;   in Loop: Header=BB26_1126 Depth=2
	v_or_b32_e32 v21, 0x10000, v95
	v_cmp_eq_u32_sdwa s[26:27], v95, v3 src0_sel:WORD_0 src1_sel:DWORD
	s_nop 1
	v_cndmask_b32_e64 v21, v21, v95, s[26:27]
; %bb.1210:                             ;   in Loop: Header=BB26_1126 Depth=2
	s_or_b64 exec, exec, s[42:43]
	v_and_b32_e32 v18, 0xffff0000, v18
	v_and_b32_e32 v22, 0xffff0000, v22
	v_max_f32_e32 v22, v22, v22
	v_max_f32_e32 v18, v18, v18
	v_min_f32_e32 v95, v18, v22
	v_max_f32_e32 v18, v18, v22
	v_cndmask_b32_e32 v22, v18, v95, vcc
	v_and_b32_e32 v18, 0x7f800000, v22
	v_cmp_ne_u32_e64 s[26:27], s67, v18
                                        ; implicit-def: $vgpr18
	s_and_saveexec_b64 s[42:43], s[26:27]
	s_xor_b64 s[26:27], exec, s[42:43]
; %bb.1211:                             ;   in Loop: Header=BB26_1126 Depth=2
	v_bfe_u32 v18, v22, 16, 1
	v_add3_u32 v18, v22, v18, s68
                                        ; implicit-def: $vgpr22
; %bb.1212:                             ;   in Loop: Header=BB26_1126 Depth=2
	s_andn2_saveexec_b64 s[42:43], s[26:27]
; %bb.1213:                             ;   in Loop: Header=BB26_1126 Depth=2
	v_or_b32_e32 v18, 0x10000, v22
	v_cmp_eq_u32_sdwa s[26:27], v22, v3 src0_sel:WORD_0 src1_sel:DWORD
	s_nop 1
	v_cndmask_b32_e64 v18, v18, v22, s[26:27]
; %bb.1214:                             ;   in Loop: Header=BB26_1126 Depth=2
	s_or_b64 exec, exec, s[42:43]
	v_lshlrev_b32_e32 v22, 16, v19
	v_lshlrev_b32_e32 v95, 16, v23
	v_max_f32_e32 v95, v95, v95
	v_max_f32_e32 v22, v22, v22
	v_min_f32_e32 v121, v22, v95
	v_max_f32_e32 v22, v22, v95
	v_cndmask_b32_e32 v95, v22, v121, vcc
	v_and_b32_e32 v22, 0x7f800000, v95
	v_cmp_ne_u32_e64 s[26:27], s67, v22
                                        ; implicit-def: $vgpr22
	s_and_saveexec_b64 s[42:43], s[26:27]
	s_xor_b64 s[26:27], exec, s[42:43]
; %bb.1215:                             ;   in Loop: Header=BB26_1126 Depth=2
	v_bfe_u32 v22, v95, 16, 1
	v_add3_u32 v22, v95, v22, s68
                                        ; implicit-def: $vgpr95
; %bb.1216:                             ;   in Loop: Header=BB26_1126 Depth=2
	s_andn2_saveexec_b64 s[42:43], s[26:27]
; %bb.1217:                             ;   in Loop: Header=BB26_1126 Depth=2
	v_or_b32_e32 v22, 0x10000, v95
	v_cmp_eq_u32_sdwa s[26:27], v95, v3 src0_sel:WORD_0 src1_sel:DWORD
	s_nop 1
	v_cndmask_b32_e64 v22, v22, v95, s[26:27]
; %bb.1218:                             ;   in Loop: Header=BB26_1126 Depth=2
	s_or_b64 exec, exec, s[42:43]
	v_and_b32_e32 v19, 0xffff0000, v19
	v_and_b32_e32 v23, 0xffff0000, v23
	v_max_f32_e32 v23, v23, v23
	v_max_f32_e32 v19, v19, v19
	v_min_f32_e32 v95, v19, v23
	v_max_f32_e32 v19, v19, v23
	v_cndmask_b32_e32 v23, v19, v95, vcc
	v_and_b32_e32 v19, 0x7f800000, v23
	v_cmp_ne_u32_e64 s[26:27], s67, v19
                                        ; implicit-def: $vgpr19
	s_and_saveexec_b64 s[42:43], s[26:27]
	s_xor_b64 s[26:27], exec, s[42:43]
; %bb.1219:                             ;   in Loop: Header=BB26_1126 Depth=2
	v_bfe_u32 v19, v23, 16, 1
	v_add3_u32 v19, v23, v19, s68
                                        ; implicit-def: $vgpr23
; %bb.1220:                             ;   in Loop: Header=BB26_1126 Depth=2
	s_andn2_saveexec_b64 s[42:43], s[26:27]
; %bb.1221:                             ;   in Loop: Header=BB26_1126 Depth=2
	v_or_b32_e32 v19, 0x10000, v23
	v_cmp_eq_u32_sdwa s[26:27], v23, v3 src0_sel:WORD_0 src1_sel:DWORD
	s_nop 1
	v_cndmask_b32_e64 v19, v19, v23, s[26:27]
; %bb.1222:                             ;   in Loop: Header=BB26_1126 Depth=2
	s_or_b64 exec, exec, s[42:43]
	v_lshlrev_b32_e32 v23, 16, v8
	v_lshlrev_b32_e32 v95, 16, v12
	v_max_f32_e32 v95, v95, v95
	v_max_f32_e32 v23, v23, v23
	v_min_f32_e32 v121, v23, v95
	v_max_f32_e32 v23, v23, v95
	v_cndmask_b32_e32 v95, v23, v121, vcc
	v_and_b32_e32 v23, 0x7f800000, v95
	v_cmp_ne_u32_e64 s[26:27], s67, v23
                                        ; implicit-def: $vgpr23
	s_and_saveexec_b64 s[42:43], s[26:27]
	s_xor_b64 s[26:27], exec, s[42:43]
; %bb.1223:                             ;   in Loop: Header=BB26_1126 Depth=2
	v_bfe_u32 v23, v95, 16, 1
	v_add3_u32 v23, v95, v23, s68
                                        ; implicit-def: $vgpr95
; %bb.1224:                             ;   in Loop: Header=BB26_1126 Depth=2
	s_andn2_saveexec_b64 s[42:43], s[26:27]
; %bb.1225:                             ;   in Loop: Header=BB26_1126 Depth=2
	v_or_b32_e32 v23, 0x10000, v95
	v_cmp_eq_u32_sdwa s[26:27], v95, v3 src0_sel:WORD_0 src1_sel:DWORD
	s_nop 1
	v_cndmask_b32_e64 v23, v23, v95, s[26:27]
; %bb.1226:                             ;   in Loop: Header=BB26_1126 Depth=2
	s_or_b64 exec, exec, s[42:43]
	v_and_b32_e32 v8, 0xffff0000, v8
	v_and_b32_e32 v12, 0xffff0000, v12
	v_max_f32_e32 v12, v12, v12
	v_max_f32_e32 v8, v8, v8
	v_min_f32_e32 v95, v8, v12
	v_max_f32_e32 v8, v8, v12
	v_cndmask_b32_e32 v12, v8, v95, vcc
	v_and_b32_e32 v8, 0x7f800000, v12
	v_cmp_ne_u32_e64 s[26:27], s67, v8
                                        ; implicit-def: $vgpr8
	s_and_saveexec_b64 s[42:43], s[26:27]
	s_xor_b64 s[26:27], exec, s[42:43]
; %bb.1227:                             ;   in Loop: Header=BB26_1126 Depth=2
	v_bfe_u32 v8, v12, 16, 1
	v_add3_u32 v8, v12, v8, s68
                                        ; implicit-def: $vgpr12
; %bb.1228:                             ;   in Loop: Header=BB26_1126 Depth=2
	s_andn2_saveexec_b64 s[42:43], s[26:27]
; %bb.1229:                             ;   in Loop: Header=BB26_1126 Depth=2
	v_or_b32_e32 v8, 0x10000, v12
	v_cmp_eq_u32_sdwa s[26:27], v12, v3 src0_sel:WORD_0 src1_sel:DWORD
	s_nop 1
	v_cndmask_b32_e64 v8, v8, v12, s[26:27]
; %bb.1230:                             ;   in Loop: Header=BB26_1126 Depth=2
	s_or_b64 exec, exec, s[42:43]
	v_lshlrev_b32_e32 v12, 16, v9
	v_lshlrev_b32_e32 v95, 16, v13
	v_max_f32_e32 v95, v95, v95
	v_max_f32_e32 v12, v12, v12
	v_min_f32_e32 v121, v12, v95
	v_max_f32_e32 v12, v12, v95
	v_cndmask_b32_e32 v95, v12, v121, vcc
	v_and_b32_e32 v12, 0x7f800000, v95
	v_cmp_ne_u32_e64 s[26:27], s67, v12
                                        ; implicit-def: $vgpr12
	s_and_saveexec_b64 s[42:43], s[26:27]
	s_xor_b64 s[26:27], exec, s[42:43]
; %bb.1231:                             ;   in Loop: Header=BB26_1126 Depth=2
	v_bfe_u32 v12, v95, 16, 1
	v_add3_u32 v12, v95, v12, s68
                                        ; implicit-def: $vgpr95
; %bb.1232:                             ;   in Loop: Header=BB26_1126 Depth=2
	s_andn2_saveexec_b64 s[42:43], s[26:27]
; %bb.1233:                             ;   in Loop: Header=BB26_1126 Depth=2
	v_or_b32_e32 v12, 0x10000, v95
	v_cmp_eq_u32_sdwa s[26:27], v95, v3 src0_sel:WORD_0 src1_sel:DWORD
	s_nop 1
	v_cndmask_b32_e64 v12, v12, v95, s[26:27]
; %bb.1234:                             ;   in Loop: Header=BB26_1126 Depth=2
	s_or_b64 exec, exec, s[42:43]
	v_and_b32_e32 v9, 0xffff0000, v9
	v_and_b32_e32 v13, 0xffff0000, v13
	v_max_f32_e32 v13, v13, v13
	v_max_f32_e32 v9, v9, v9
	v_min_f32_e32 v95, v9, v13
	v_max_f32_e32 v9, v9, v13
	v_cndmask_b32_e32 v13, v9, v95, vcc
	v_and_b32_e32 v9, 0x7f800000, v13
	v_cmp_ne_u32_e64 s[26:27], s67, v9
                                        ; implicit-def: $vgpr9
	s_and_saveexec_b64 s[42:43], s[26:27]
	s_xor_b64 s[26:27], exec, s[42:43]
; %bb.1235:                             ;   in Loop: Header=BB26_1126 Depth=2
	v_bfe_u32 v9, v13, 16, 1
	v_add3_u32 v9, v13, v9, s68
                                        ; implicit-def: $vgpr13
; %bb.1236:                             ;   in Loop: Header=BB26_1126 Depth=2
	s_andn2_saveexec_b64 s[42:43], s[26:27]
; %bb.1237:                             ;   in Loop: Header=BB26_1126 Depth=2
	v_or_b32_e32 v9, 0x10000, v13
	v_cmp_eq_u32_sdwa s[26:27], v13, v3 src0_sel:WORD_0 src1_sel:DWORD
	s_nop 1
	v_cndmask_b32_e64 v9, v9, v13, s[26:27]
; %bb.1238:                             ;   in Loop: Header=BB26_1126 Depth=2
	s_or_b64 exec, exec, s[42:43]
	v_lshlrev_b32_e32 v13, 16, v10
	v_lshlrev_b32_e32 v95, 16, v14
	v_max_f32_e32 v95, v95, v95
	v_max_f32_e32 v13, v13, v13
	v_min_f32_e32 v121, v13, v95
	v_max_f32_e32 v13, v13, v95
	v_cndmask_b32_e32 v95, v13, v121, vcc
	v_and_b32_e32 v13, 0x7f800000, v95
	v_cmp_ne_u32_e64 s[26:27], s67, v13
                                        ; implicit-def: $vgpr13
	s_and_saveexec_b64 s[42:43], s[26:27]
	s_xor_b64 s[26:27], exec, s[42:43]
; %bb.1239:                             ;   in Loop: Header=BB26_1126 Depth=2
	v_bfe_u32 v13, v95, 16, 1
	v_add3_u32 v13, v95, v13, s68
                                        ; implicit-def: $vgpr95
; %bb.1240:                             ;   in Loop: Header=BB26_1126 Depth=2
	s_andn2_saveexec_b64 s[42:43], s[26:27]
; %bb.1241:                             ;   in Loop: Header=BB26_1126 Depth=2
	v_or_b32_e32 v13, 0x10000, v95
	v_cmp_eq_u32_sdwa s[26:27], v95, v3 src0_sel:WORD_0 src1_sel:DWORD
	s_nop 1
	v_cndmask_b32_e64 v13, v13, v95, s[26:27]
; %bb.1242:                             ;   in Loop: Header=BB26_1126 Depth=2
	s_or_b64 exec, exec, s[42:43]
	v_and_b32_e32 v10, 0xffff0000, v10
	v_and_b32_e32 v14, 0xffff0000, v14
	v_max_f32_e32 v14, v14, v14
	v_max_f32_e32 v10, v10, v10
	v_min_f32_e32 v95, v10, v14
	v_max_f32_e32 v10, v10, v14
	v_cndmask_b32_e32 v14, v10, v95, vcc
	v_and_b32_e32 v10, 0x7f800000, v14
	v_cmp_ne_u32_e64 s[26:27], s67, v10
                                        ; implicit-def: $vgpr10
	s_and_saveexec_b64 s[42:43], s[26:27]
	s_xor_b64 s[26:27], exec, s[42:43]
; %bb.1243:                             ;   in Loop: Header=BB26_1126 Depth=2
	v_bfe_u32 v10, v14, 16, 1
	v_add3_u32 v10, v14, v10, s68
                                        ; implicit-def: $vgpr14
; %bb.1244:                             ;   in Loop: Header=BB26_1126 Depth=2
	s_andn2_saveexec_b64 s[42:43], s[26:27]
; %bb.1245:                             ;   in Loop: Header=BB26_1126 Depth=2
	v_or_b32_e32 v10, 0x10000, v14
	v_cmp_eq_u32_sdwa s[26:27], v14, v3 src0_sel:WORD_0 src1_sel:DWORD
	s_nop 1
	v_cndmask_b32_e64 v10, v10, v14, s[26:27]
; %bb.1246:                             ;   in Loop: Header=BB26_1126 Depth=2
	s_or_b64 exec, exec, s[42:43]
	v_lshlrev_b32_e32 v14, 16, v11
	v_lshlrev_b32_e32 v95, 16, v15
	v_max_f32_e32 v95, v95, v95
	v_max_f32_e32 v14, v14, v14
	v_min_f32_e32 v121, v14, v95
	v_max_f32_e32 v14, v14, v95
	v_cndmask_b32_e32 v95, v14, v121, vcc
	v_and_b32_e32 v14, 0x7f800000, v95
	v_cmp_ne_u32_e64 s[26:27], s67, v14
                                        ; implicit-def: $vgpr14
	s_and_saveexec_b64 s[42:43], s[26:27]
	s_xor_b64 s[26:27], exec, s[42:43]
; %bb.1247:                             ;   in Loop: Header=BB26_1126 Depth=2
	v_bfe_u32 v14, v95, 16, 1
	v_add3_u32 v14, v95, v14, s68
                                        ; implicit-def: $vgpr95
; %bb.1248:                             ;   in Loop: Header=BB26_1126 Depth=2
	s_andn2_saveexec_b64 s[42:43], s[26:27]
; %bb.1249:                             ;   in Loop: Header=BB26_1126 Depth=2
	v_or_b32_e32 v14, 0x10000, v95
	v_cmp_eq_u32_sdwa s[26:27], v95, v3 src0_sel:WORD_0 src1_sel:DWORD
	s_nop 1
	v_cndmask_b32_e64 v14, v14, v95, s[26:27]
; %bb.1250:                             ;   in Loop: Header=BB26_1126 Depth=2
	s_or_b64 exec, exec, s[42:43]
	v_and_b32_e32 v11, 0xffff0000, v11
	v_and_b32_e32 v15, 0xffff0000, v15
	v_max_f32_e32 v15, v15, v15
	v_max_f32_e32 v11, v11, v11
	v_min_f32_e32 v95, v11, v15
	v_max_f32_e32 v11, v11, v15
	v_cndmask_b32_e32 v15, v11, v95, vcc
	v_and_b32_e32 v11, 0x7f800000, v15
	v_cmp_ne_u32_e64 s[26:27], s67, v11
                                        ; implicit-def: $vgpr11
	s_and_saveexec_b64 s[42:43], s[26:27]
	s_xor_b64 s[26:27], exec, s[42:43]
; %bb.1251:                             ;   in Loop: Header=BB26_1126 Depth=2
	v_bfe_u32 v11, v15, 16, 1
	v_add3_u32 v11, v15, v11, s68
                                        ; implicit-def: $vgpr15
; %bb.1252:                             ;   in Loop: Header=BB26_1126 Depth=2
	s_andn2_saveexec_b64 s[42:43], s[26:27]
	s_cbranch_execz .LBB26_1125
; %bb.1253:                             ;   in Loop: Header=BB26_1126 Depth=2
	v_or_b32_e32 v11, 0x10000, v15
	v_cmp_eq_u32_sdwa s[26:27], v15, v3 src0_sel:WORD_0 src1_sel:DWORD
	s_nop 1
	v_cndmask_b32_e64 v11, v11, v15, s[26:27]
	s_branch .LBB26_1125
.LBB26_1254:                            ;   in Loop: Header=BB26_47 Depth=1
	s_or_b64 exec, exec, s[40:41]
.LBB26_1255:                            ;   in Loop: Header=BB26_47 Depth=1
	s_or_b64 exec, exec, s[28:29]
	v_lshlrev_b32_e32 v22, 12, v93
	v_cmp_ne_u32_e32 vcc, v73, v22
	s_mov_b64 s[26:27], 0
	v_mov_b32_e32 v14, 0
                                        ; implicit-def: $vgpr15
	s_and_saveexec_b64 s[40:41], vcc
	s_cbranch_execz .LBB26_1293
; %bb.1256:                             ;   in Loop: Header=BB26_47 Depth=1
	v_lshlrev_b32_e32 v8, 6, v92
	v_sub_u32_e32 v8, v105, v8
	v_ashrrev_i32_e32 v10, 31, v8
	v_lshrrev_b32_e32 v10, 26, v10
	v_add_u32_e32 v10, v8, v10
	v_sub_u32_e32 v9, v73, v22
	v_ashrrev_i32_e32 v11, 6, v10
	v_and_b32_e32 v10, 0xffffffc0, v10
	v_sub_u32_e32 v23, v8, v10
	v_ashrrev_i32_e32 v10, 31, v9
	v_lshrrev_b32_e32 v10, 22, v10
	v_add_u32_e32 v10, v9, v10
	v_and_b32_e32 v24, 0xfffffc00, v10
	v_lshlrev_b32_e32 v8, 4, v23
	v_sub_u32_e32 v25, v9, v24
	v_lshl_add_u32 v8, v11, 10, v8
	v_ashrrev_i32_e32 v12, 10, v10
	v_cmp_lt_i32_e32 vcc, 15, v25
	v_sub_u32_e32 v27, v9, v8
	s_nop 0
	v_addc_co_u32_e64 v9, s[26:27], 0, v12, vcc
	v_sub_u32_e32 v26, v9, v11
	v_cmp_lt_i32_e64 s[26:27], 15, v27
	s_and_saveexec_b64 s[42:43], s[26:27]
	s_cbranch_execz .LBB26_1292
; %bb.1257:                             ;   in Loop: Header=BB26_47 Depth=1
	s_trap 2
	ds_read_b64 v[10:11], v0
	v_add_u32_e32 v8, v8, v22
	s_and_b32 s56, s48, 1
	v_ashrrev_i32_e32 v9, 31, v8
	s_cmp_eq_u64 s[56:57], 0
	v_lshl_add_u64 v[16:17], v[8:9], 0, v[74:75]
	s_waitcnt lgkmcnt(0)
	v_lshl_add_u64 v[18:19], v[10:11], 0, v[8:9]
	v_lshl_add_u64 v[20:21], v[8:9], 0, v[76:77]
	s_mov_b64 s[94:95], 0
	s_cselect_b64 s[26:27], -1, 0
	s_branch .LBB26_1259
.LBB26_1258:                            ;   in Loop: Header=BB26_1259 Depth=2
	s_or_b64 exec, exec, s[30:31]
	v_lshrrev_b32_e32 v12, 16, v12
	v_and_or_b32 v9, v9, s69, v12
	v_lshrrev_b32_e32 v12, 16, v32
	v_and_or_b32 v8, v8, s69, v12
	;; [unrolled: 2-line block ×3, first 2 shown]
	v_lshrrev_b32_e32 v12, 16, v14
	v_sub_u32_e32 v27, v27, v100
	v_and_or_b32 v11, v11, s69, v12
	v_cmp_gt_i32_e64 s[28:29], 16, v27
	global_store_dwordx4 v[20:21], v[8:11], off
	v_lshl_add_u64 v[16:17], v[16:17], 0, v[100:101]
	v_lshl_add_u64 v[18:19], v[18:19], 0, v[100:101]
	;; [unrolled: 1-line block ×3, first 2 shown]
	s_or_b64 s[94:95], s[28:29], s[94:95]
	v_sub_u32_e32 v26, v26, v84
	s_andn2_b64 exec, exec, s[94:95]
	s_cbranch_execz .LBB26_1291
.LBB26_1259:                            ;   Parent Loop BB26_47 Depth=1
                                        ; =>  This Inner Loop Header: Depth=2
	global_load_dwordx4 v[8:11], v[18:19], off nt
	global_load_dwordx4 v[12:15], v[16:17], off nt
	s_waitcnt vmcnt(0)
	v_lshlrev_b32_e32 v32, 16, v8
	v_lshlrev_b32_e32 v33, 16, v12
	v_max_f32_e32 v32, v32, v32
	v_max_f32_e32 v33, v33, v33
	v_min_f32_e32 v34, v33, v32
	v_max_f32_e32 v32, v33, v32
	v_cndmask_b32_e64 v33, v32, v34, s[26:27]
	v_and_b32_e32 v32, 0x7f800000, v33
	v_cmp_ne_u32_e64 s[28:29], s67, v32
                                        ; implicit-def: $vgpr32
	s_and_saveexec_b64 s[30:31], s[28:29]
	s_xor_b64 s[28:29], exec, s[30:31]
; %bb.1260:                             ;   in Loop: Header=BB26_1259 Depth=2
	v_bfe_u32 v32, v33, 16, 1
	v_add3_u32 v32, v33, v32, s68
                                        ; implicit-def: $vgpr33
; %bb.1261:                             ;   in Loop: Header=BB26_1259 Depth=2
	s_andn2_saveexec_b64 s[30:31], s[28:29]
; %bb.1262:                             ;   in Loop: Header=BB26_1259 Depth=2
	v_or_b32_e32 v32, 0x10000, v33
	v_cmp_eq_u32_sdwa s[28:29], v33, v3 src0_sel:WORD_0 src1_sel:DWORD
	s_nop 1
	v_cndmask_b32_e64 v32, v32, v33, s[28:29]
; %bb.1263:                             ;   in Loop: Header=BB26_1259 Depth=2
	s_or_b64 exec, exec, s[30:31]
	v_and_b32_e32 v8, 0xffff0000, v8
	v_and_b32_e32 v12, 0xffff0000, v12
	v_max_f32_e32 v8, v8, v8
	v_max_f32_e32 v12, v12, v12
	v_min_f32_e32 v33, v12, v8
	v_max_f32_e32 v8, v12, v8
	v_cndmask_b32_e64 v12, v8, v33, s[26:27]
	v_and_b32_e32 v8, 0x7f800000, v12
	v_cmp_ne_u32_e64 s[28:29], s67, v8
                                        ; implicit-def: $vgpr8
	s_and_saveexec_b64 s[30:31], s[28:29]
	s_xor_b64 s[28:29], exec, s[30:31]
; %bb.1264:                             ;   in Loop: Header=BB26_1259 Depth=2
	v_bfe_u32 v8, v12, 16, 1
	v_add3_u32 v8, v12, v8, s68
                                        ; implicit-def: $vgpr12
; %bb.1265:                             ;   in Loop: Header=BB26_1259 Depth=2
	s_andn2_saveexec_b64 s[30:31], s[28:29]
; %bb.1266:                             ;   in Loop: Header=BB26_1259 Depth=2
	v_or_b32_e32 v8, 0x10000, v12
	v_cmp_eq_u32_sdwa s[28:29], v12, v3 src0_sel:WORD_0 src1_sel:DWORD
	s_nop 1
	v_cndmask_b32_e64 v8, v8, v12, s[28:29]
; %bb.1267:                             ;   in Loop: Header=BB26_1259 Depth=2
	s_or_b64 exec, exec, s[30:31]
	v_lshlrev_b32_e32 v12, 16, v9
	v_lshlrev_b32_e32 v33, 16, v13
	v_max_f32_e32 v12, v12, v12
	v_max_f32_e32 v33, v33, v33
	v_min_f32_e32 v34, v33, v12
	v_max_f32_e32 v12, v33, v12
	v_cndmask_b32_e64 v33, v12, v34, s[26:27]
	v_and_b32_e32 v12, 0x7f800000, v33
	v_cmp_ne_u32_e64 s[28:29], s67, v12
                                        ; implicit-def: $vgpr12
	s_and_saveexec_b64 s[30:31], s[28:29]
	s_xor_b64 s[28:29], exec, s[30:31]
; %bb.1268:                             ;   in Loop: Header=BB26_1259 Depth=2
	v_bfe_u32 v12, v33, 16, 1
	v_add3_u32 v12, v33, v12, s68
                                        ; implicit-def: $vgpr33
; %bb.1269:                             ;   in Loop: Header=BB26_1259 Depth=2
	s_andn2_saveexec_b64 s[30:31], s[28:29]
; %bb.1270:                             ;   in Loop: Header=BB26_1259 Depth=2
	v_or_b32_e32 v12, 0x10000, v33
	v_cmp_eq_u32_sdwa s[28:29], v33, v3 src0_sel:WORD_0 src1_sel:DWORD
	s_nop 1
	v_cndmask_b32_e64 v12, v12, v33, s[28:29]
; %bb.1271:                             ;   in Loop: Header=BB26_1259 Depth=2
	s_or_b64 exec, exec, s[30:31]
	v_and_b32_e32 v13, 0xffff0000, v13
	v_and_b32_e32 v9, 0xffff0000, v9
	v_max_f32_e32 v9, v9, v9
	v_max_f32_e32 v13, v13, v13
	v_min_f32_e32 v33, v13, v9
	v_max_f32_e32 v9, v13, v9
	v_cndmask_b32_e64 v13, v9, v33, s[26:27]
	v_and_b32_e32 v9, 0x7f800000, v13
	v_cmp_ne_u32_e64 s[28:29], s67, v9
                                        ; implicit-def: $vgpr9
	s_and_saveexec_b64 s[30:31], s[28:29]
	s_xor_b64 s[28:29], exec, s[30:31]
; %bb.1272:                             ;   in Loop: Header=BB26_1259 Depth=2
	v_bfe_u32 v9, v13, 16, 1
	v_add3_u32 v9, v13, v9, s68
                                        ; implicit-def: $vgpr13
; %bb.1273:                             ;   in Loop: Header=BB26_1259 Depth=2
	s_andn2_saveexec_b64 s[30:31], s[28:29]
; %bb.1274:                             ;   in Loop: Header=BB26_1259 Depth=2
	v_or_b32_e32 v9, 0x10000, v13
	v_cmp_eq_u32_sdwa s[28:29], v13, v3 src0_sel:WORD_0 src1_sel:DWORD
	s_nop 1
	v_cndmask_b32_e64 v9, v9, v13, s[28:29]
; %bb.1275:                             ;   in Loop: Header=BB26_1259 Depth=2
	s_or_b64 exec, exec, s[30:31]
	v_lshlrev_b32_e32 v13, 16, v10
	v_lshlrev_b32_e32 v33, 16, v14
	v_max_f32_e32 v13, v13, v13
	v_max_f32_e32 v33, v33, v33
	v_min_f32_e32 v34, v33, v13
	v_max_f32_e32 v13, v33, v13
	v_cndmask_b32_e64 v33, v13, v34, s[26:27]
	v_and_b32_e32 v13, 0x7f800000, v33
	v_cmp_ne_u32_e64 s[28:29], s67, v13
                                        ; implicit-def: $vgpr13
	s_and_saveexec_b64 s[30:31], s[28:29]
	s_xor_b64 s[28:29], exec, s[30:31]
; %bb.1276:                             ;   in Loop: Header=BB26_1259 Depth=2
	v_bfe_u32 v13, v33, 16, 1
	v_add3_u32 v13, v33, v13, s68
                                        ; implicit-def: $vgpr33
; %bb.1277:                             ;   in Loop: Header=BB26_1259 Depth=2
	s_andn2_saveexec_b64 s[30:31], s[28:29]
; %bb.1278:                             ;   in Loop: Header=BB26_1259 Depth=2
	v_or_b32_e32 v13, 0x10000, v33
	v_cmp_eq_u32_sdwa s[28:29], v33, v3 src0_sel:WORD_0 src1_sel:DWORD
	s_nop 1
	v_cndmask_b32_e64 v13, v13, v33, s[28:29]
; %bb.1279:                             ;   in Loop: Header=BB26_1259 Depth=2
	s_or_b64 exec, exec, s[30:31]
	v_and_b32_e32 v14, 0xffff0000, v14
	v_and_b32_e32 v10, 0xffff0000, v10
	v_max_f32_e32 v10, v10, v10
	v_max_f32_e32 v14, v14, v14
	v_min_f32_e32 v33, v14, v10
	v_max_f32_e32 v10, v14, v10
	v_cndmask_b32_e64 v14, v10, v33, s[26:27]
	v_and_b32_e32 v10, 0x7f800000, v14
	v_cmp_ne_u32_e64 s[28:29], s67, v10
                                        ; implicit-def: $vgpr10
	s_and_saveexec_b64 s[30:31], s[28:29]
	s_xor_b64 s[28:29], exec, s[30:31]
; %bb.1280:                             ;   in Loop: Header=BB26_1259 Depth=2
	v_bfe_u32 v10, v14, 16, 1
	v_add3_u32 v10, v14, v10, s68
                                        ; implicit-def: $vgpr14
; %bb.1281:                             ;   in Loop: Header=BB26_1259 Depth=2
	s_andn2_saveexec_b64 s[30:31], s[28:29]
; %bb.1282:                             ;   in Loop: Header=BB26_1259 Depth=2
	v_or_b32_e32 v10, 0x10000, v14
	v_cmp_eq_u32_sdwa s[28:29], v14, v3 src0_sel:WORD_0 src1_sel:DWORD
	s_nop 1
	v_cndmask_b32_e64 v10, v10, v14, s[28:29]
; %bb.1283:                             ;   in Loop: Header=BB26_1259 Depth=2
	s_or_b64 exec, exec, s[30:31]
	v_lshlrev_b32_e32 v14, 16, v11
	v_lshlrev_b32_e32 v33, 16, v15
	v_max_f32_e32 v14, v14, v14
	v_max_f32_e32 v33, v33, v33
	v_min_f32_e32 v34, v33, v14
	v_max_f32_e32 v14, v33, v14
	v_cndmask_b32_e64 v33, v14, v34, s[26:27]
	v_and_b32_e32 v14, 0x7f800000, v33
	v_cmp_ne_u32_e64 s[28:29], s67, v14
                                        ; implicit-def: $vgpr14
	s_and_saveexec_b64 s[30:31], s[28:29]
	s_xor_b64 s[28:29], exec, s[30:31]
; %bb.1284:                             ;   in Loop: Header=BB26_1259 Depth=2
	v_bfe_u32 v14, v33, 16, 1
	v_add3_u32 v14, v33, v14, s68
                                        ; implicit-def: $vgpr33
; %bb.1285:                             ;   in Loop: Header=BB26_1259 Depth=2
	s_andn2_saveexec_b64 s[30:31], s[28:29]
; %bb.1286:                             ;   in Loop: Header=BB26_1259 Depth=2
	v_or_b32_e32 v14, 0x10000, v33
	v_cmp_eq_u32_sdwa s[28:29], v33, v3 src0_sel:WORD_0 src1_sel:DWORD
	s_nop 1
	v_cndmask_b32_e64 v14, v14, v33, s[28:29]
; %bb.1287:                             ;   in Loop: Header=BB26_1259 Depth=2
	s_or_b64 exec, exec, s[30:31]
	v_and_b32_e32 v15, 0xffff0000, v15
	v_and_b32_e32 v11, 0xffff0000, v11
	v_max_f32_e32 v11, v11, v11
	v_max_f32_e32 v15, v15, v15
	v_min_f32_e32 v33, v15, v11
	v_max_f32_e32 v11, v15, v11
	v_cndmask_b32_e64 v15, v11, v33, s[26:27]
	v_and_b32_e32 v11, 0x7f800000, v15
	v_cmp_ne_u32_e64 s[28:29], s67, v11
                                        ; implicit-def: $vgpr11
	s_and_saveexec_b64 s[30:31], s[28:29]
	s_xor_b64 s[28:29], exec, s[30:31]
; %bb.1288:                             ;   in Loop: Header=BB26_1259 Depth=2
	v_bfe_u32 v11, v15, 16, 1
	v_add3_u32 v11, v15, v11, s68
                                        ; implicit-def: $vgpr15
; %bb.1289:                             ;   in Loop: Header=BB26_1259 Depth=2
	s_andn2_saveexec_b64 s[30:31], s[28:29]
	s_cbranch_execz .LBB26_1258
; %bb.1290:                             ;   in Loop: Header=BB26_1259 Depth=2
	v_or_b32_e32 v11, 0x10000, v15
	v_cmp_eq_u32_sdwa s[28:29], v15, v3 src0_sel:WORD_0 src1_sel:DWORD
	s_nop 1
	v_cndmask_b32_e64 v11, v11, v15, s[28:29]
	s_branch .LBB26_1258
.LBB26_1291:                            ;   in Loop: Header=BB26_47 Depth=1
	s_or_b64 exec, exec, s[94:95]
.LBB26_1292:                            ;   in Loop: Header=BB26_47 Depth=1
	s_or_b64 exec, exec, s[42:43]
	v_and_b32_e32 v8, 14, v73
	v_sub_u32_e32 v9, v25, v8
	v_cndmask_b32_e32 v9, 0, v9, vcc
	v_cndmask_b32_e32 v73, v25, v8, vcc
	v_cmp_lt_i32_e32 vcc, 0, v26
	v_add3_u32 v14, v24, v22, v9
	s_nop 0
	v_cndmask_b32_e32 v8, 0, v84, vcc
	v_sub_u32_e32 v8, v8, v26
	v_cmp_ne_u32_e32 vcc, 0, v73
	v_lshl_add_u32 v15, v8, 6, v23
	s_and_b64 s[26:27], vcc, exec
.LBB26_1293:                            ;   in Loop: Header=BB26_47 Depth=1
	s_or_b64 exec, exec, s[40:41]
	s_and_saveexec_b64 s[28:29], s[26:27]
	s_cbranch_execz .LBB26_1370
.LBB26_1294:                            ;   in Loop: Header=BB26_47 Depth=1
	v_ashrrev_i32_e32 v8, 31, v15
	v_ashrrev_i32_e32 v9, 31, v73
	v_lshrrev_b32_e32 v8, 26, v8
	v_lshrrev_b32_e32 v9, 21, v9
	v_add_u32_e32 v8, v15, v8
	v_add_u32_e32 v9, v73, v9
	v_ashrrev_i32_e32 v16, 6, v8
	v_ashrrev_i32_e32 v18, 11, v9
	v_sub_u32_e32 v17, v18, v16
	v_cmp_lt_i32_e32 vcc, 0, v17
	s_and_saveexec_b64 s[40:41], vcc
	s_cbranch_execz .LBB26_1362
; %bb.1295:                             ;   in Loop: Header=BB26_47 Depth=1
	v_and_b32_e32 v8, 0x7fffffc0, v8
	s_trap 2
	ds_read_b64 v[10:11], v0
	v_sub_u32_e32 v8, v15, v8
	v_lshlrev_b32_e32 v8, 1, v8
	v_lshlrev_b32_e32 v9, 11, v16
	v_add3_u32 v12, v8, v14, v9
	s_and_b32 s56, s48, 1
	v_ashrrev_i32_e32 v13, 31, v12
	s_cmp_eq_u64 s[56:57], 0
	v_lshl_add_u64 v[20:21], v[76:77], 0, s[88:89]
	v_lshl_add_u64 v[8:9], v[12:13], 0, v[74:75]
	s_waitcnt lgkmcnt(0)
	v_lshl_add_u64 v[10:11], v[10:11], 0, v[12:13]
	s_mov_b64 s[42:43], 0
	s_cselect_b64 s[26:27], -1, 0
	v_lshl_add_u64 v[12:13], v[20:21], 0, v[12:13]
	s_branch .LBB26_1297
.LBB26_1296:                            ;   in Loop: Header=BB26_1297 Depth=2
	s_or_b64 exec, exec, s[94:95]
	v_add_co_u32_e32 v88, vcc, 0xfffff880, v12
	v_sub_u32_e32 v17, v17, v84
	s_nop 0
	v_addc_co_u32_e32 v89, vcc, -1, v13, vcc
	flat_store_short_d16_hi v[88:89], v20 nt
	v_add_co_u32_e32 v88, vcc, 0xfffff900, v12
	v_lshl_add_u64 v[8:9], v[8:9], 0, v[102:103]
	s_nop 0
	v_addc_co_u32_e32 v89, vcc, -1, v13, vcc
	v_add_co_u32_e32 v22, vcc, 0xfffff980, v12
	flat_store_short_d16_hi v[88:89], v23 nt
	s_nop 0
	v_addc_co_u32_e32 v23, vcc, -1, v13, vcc
	flat_store_short_d16_hi v[22:23], v25 nt
	v_add_co_u32_e32 v22, vcc, 0xfffffa00, v12
	v_lshl_add_u64 v[10:11], v[10:11], 0, v[102:103]
	s_nop 0
	v_addc_co_u32_e32 v23, vcc, -1, v13, vcc
	flat_store_short_d16_hi v[22:23], v27 nt
	v_add_co_u32_e32 v22, vcc, 0xfffffa80, v12
	s_nop 1
	v_addc_co_u32_e32 v23, vcc, -1, v13, vcc
	flat_store_short_d16_hi v[22:23], v34 nt
	v_add_co_u32_e32 v22, vcc, 0xfffffb00, v12
	;; [unrolled: 4-line block ×11, first 2 shown]
	s_nop 1
	v_addc_co_u32_e32 v23, vcc, -1, v13, vcc
	v_cmp_gt_i32_e32 vcc, 1, v17
	flat_store_short_d16_hi v[22:23], v21 nt
	flat_store_short_d16_hi v[12:13], v19 nt
	s_or_b64 s[42:43], vcc, s[42:43]
	v_lshl_add_u64 v[12:13], v[12:13], 0, v[102:103]
	s_andn2_b64 exec, exec, s[42:43]
	s_cbranch_execz .LBB26_1361
.LBB26_1297:                            ;   Parent Loop BB26_47 Depth=1
                                        ; =>  This Inner Loop Header: Depth=2
	flat_load_ushort v78, v[8:9] offset:1024 nt
	flat_load_ushort v49, v[8:9] offset:1152 nt
	;; [unrolled: 1-line block ×15, first 2 shown]
	flat_load_ushort v20, v[8:9] nt
	flat_load_ushort v95, v[10:11] offset:128 nt
	flat_load_ushort v94, v[10:11] offset:256 nt
	;; [unrolled: 1-line block ×7, first 2 shown]
	flat_load_ushort v121, v[10:11] nt
	flat_load_ushort v88, v[10:11] offset:1024 nt
	flat_load_ushort v79, v[10:11] offset:1152 nt
	;; [unrolled: 1-line block ×8, first 2 shown]
	s_waitcnt vmcnt(0) lgkmcnt(0)
	v_lshlrev_b32_e32 v20, 16, v20
	v_max_f32_e32 v20, v20, v20
	v_lshlrev_b32_e32 v121, 16, v121
	v_max_f32_e32 v121, v121, v121
	v_min_f32_e32 v122, v20, v121
	v_max_f32_e32 v20, v20, v121
	v_cndmask_b32_e64 v121, v20, v122, s[26:27]
	v_and_b32_e32 v20, 0x7f800000, v121
	v_cmp_ne_u32_e32 vcc, s67, v20
                                        ; implicit-def: $vgpr20
	s_and_saveexec_b64 s[94:95], vcc
	s_xor_b64 s[94:95], exec, s[94:95]
; %bb.1298:                             ;   in Loop: Header=BB26_1297 Depth=2
	v_bfe_u32 v20, v121, 16, 1
	v_add3_u32 v20, v121, v20, s68
                                        ; implicit-def: $vgpr121
; %bb.1299:                             ;   in Loop: Header=BB26_1297 Depth=2
	s_andn2_saveexec_b64 s[94:95], s[94:95]
; %bb.1300:                             ;   in Loop: Header=BB26_1297 Depth=2
	v_or_b32_e32 v20, 0x10000, v121
	v_cmp_eq_u32_sdwa vcc, v121, v3 src0_sel:WORD_0 src1_sel:DWORD
	s_nop 1
	v_cndmask_b32_e32 v20, v20, v121, vcc
; %bb.1301:                             ;   in Loop: Header=BB26_1297 Depth=2
	s_or_b64 exec, exec, s[94:95]
	v_lshlrev_b32_e32 v23, 16, v23
	v_lshlrev_b32_e32 v95, 16, v95
	v_max_f32_e32 v95, v95, v95
	v_max_f32_e32 v23, v23, v23
	v_min_f32_e32 v121, v23, v95
	v_max_f32_e32 v23, v23, v95
	v_cndmask_b32_e64 v95, v23, v121, s[26:27]
	v_and_b32_e32 v23, 0x7f800000, v95
	v_cmp_ne_u32_e32 vcc, s67, v23
                                        ; implicit-def: $vgpr23
	s_and_saveexec_b64 s[94:95], vcc
	s_xor_b64 s[94:95], exec, s[94:95]
; %bb.1302:                             ;   in Loop: Header=BB26_1297 Depth=2
	v_bfe_u32 v23, v95, 16, 1
	v_add3_u32 v23, v95, v23, s68
                                        ; implicit-def: $vgpr95
; %bb.1303:                             ;   in Loop: Header=BB26_1297 Depth=2
	s_andn2_saveexec_b64 s[94:95], s[94:95]
; %bb.1304:                             ;   in Loop: Header=BB26_1297 Depth=2
	v_or_b32_e32 v23, 0x10000, v95
	v_cmp_eq_u32_sdwa vcc, v95, v3 src0_sel:WORD_0 src1_sel:DWORD
	s_nop 1
	v_cndmask_b32_e32 v23, v23, v95, vcc
; %bb.1305:                             ;   in Loop: Header=BB26_1297 Depth=2
	s_or_b64 exec, exec, s[94:95]
	v_lshlrev_b32_e32 v25, 16, v25
	v_lshlrev_b32_e32 v94, 16, v94
	v_max_f32_e32 v94, v94, v94
	v_max_f32_e32 v25, v25, v25
	v_min_f32_e32 v95, v25, v94
	v_max_f32_e32 v25, v25, v94
	v_cndmask_b32_e64 v94, v25, v95, s[26:27]
	v_and_b32_e32 v25, 0x7f800000, v94
	v_cmp_ne_u32_e32 vcc, s67, v25
                                        ; implicit-def: $vgpr25
	s_and_saveexec_b64 s[94:95], vcc
	s_xor_b64 s[94:95], exec, s[94:95]
; %bb.1306:                             ;   in Loop: Header=BB26_1297 Depth=2
	v_bfe_u32 v25, v94, 16, 1
	v_add3_u32 v25, v94, v25, s68
                                        ; implicit-def: $vgpr94
; %bb.1307:                             ;   in Loop: Header=BB26_1297 Depth=2
	s_andn2_saveexec_b64 s[94:95], s[94:95]
; %bb.1308:                             ;   in Loop: Header=BB26_1297 Depth=2
	v_or_b32_e32 v25, 0x10000, v94
	v_cmp_eq_u32_sdwa vcc, v94, v3 src0_sel:WORD_0 src1_sel:DWORD
	s_nop 1
	v_cndmask_b32_e32 v25, v25, v94, vcc
; %bb.1309:                             ;   in Loop: Header=BB26_1297 Depth=2
	s_or_b64 exec, exec, s[94:95]
	v_lshlrev_b32_e32 v27, 16, v27
	v_lshlrev_b32_e32 v93, 16, v93
	v_max_f32_e32 v93, v93, v93
	v_max_f32_e32 v27, v27, v27
	v_min_f32_e32 v94, v27, v93
	v_max_f32_e32 v27, v27, v93
	v_cndmask_b32_e64 v93, v27, v94, s[26:27]
	v_and_b32_e32 v27, 0x7f800000, v93
	v_cmp_ne_u32_e32 vcc, s67, v27
                                        ; implicit-def: $vgpr27
	s_and_saveexec_b64 s[94:95], vcc
	s_xor_b64 s[94:95], exec, s[94:95]
; %bb.1310:                             ;   in Loop: Header=BB26_1297 Depth=2
	v_bfe_u32 v27, v93, 16, 1
	v_add3_u32 v27, v93, v27, s68
                                        ; implicit-def: $vgpr93
; %bb.1311:                             ;   in Loop: Header=BB26_1297 Depth=2
	s_andn2_saveexec_b64 s[94:95], s[94:95]
; %bb.1312:                             ;   in Loop: Header=BB26_1297 Depth=2
	v_or_b32_e32 v27, 0x10000, v93
	v_cmp_eq_u32_sdwa vcc, v93, v3 src0_sel:WORD_0 src1_sel:DWORD
	s_nop 1
	v_cndmask_b32_e32 v27, v27, v93, vcc
; %bb.1313:                             ;   in Loop: Header=BB26_1297 Depth=2
	s_or_b64 exec, exec, s[94:95]
	v_lshlrev_b32_e32 v34, 16, v34
	v_lshlrev_b32_e32 v92, 16, v92
	v_max_f32_e32 v92, v92, v92
	v_max_f32_e32 v34, v34, v34
	v_min_f32_e32 v93, v34, v92
	v_max_f32_e32 v34, v34, v92
	v_cndmask_b32_e64 v92, v34, v93, s[26:27]
	v_and_b32_e32 v34, 0x7f800000, v92
	v_cmp_ne_u32_e32 vcc, s67, v34
                                        ; implicit-def: $vgpr34
	s_and_saveexec_b64 s[94:95], vcc
	s_xor_b64 s[94:95], exec, s[94:95]
; %bb.1314:                             ;   in Loop: Header=BB26_1297 Depth=2
	v_bfe_u32 v34, v92, 16, 1
	v_add3_u32 v34, v92, v34, s68
                                        ; implicit-def: $vgpr92
; %bb.1315:                             ;   in Loop: Header=BB26_1297 Depth=2
	s_andn2_saveexec_b64 s[94:95], s[94:95]
; %bb.1316:                             ;   in Loop: Header=BB26_1297 Depth=2
	v_or_b32_e32 v34, 0x10000, v92
	v_cmp_eq_u32_sdwa vcc, v92, v3 src0_sel:WORD_0 src1_sel:DWORD
	s_nop 1
	v_cndmask_b32_e32 v34, v34, v92, vcc
; %bb.1317:                             ;   in Loop: Header=BB26_1297 Depth=2
	s_or_b64 exec, exec, s[94:95]
	v_lshlrev_b32_e32 v37, 16, v37
	v_lshlrev_b32_e32 v91, 16, v91
	v_max_f32_e32 v91, v91, v91
	v_max_f32_e32 v37, v37, v37
	v_min_f32_e32 v92, v37, v91
	v_max_f32_e32 v37, v37, v91
	v_cndmask_b32_e64 v91, v37, v92, s[26:27]
	v_and_b32_e32 v37, 0x7f800000, v91
	v_cmp_ne_u32_e32 vcc, s67, v37
                                        ; implicit-def: $vgpr37
	s_and_saveexec_b64 s[94:95], vcc
	s_xor_b64 s[94:95], exec, s[94:95]
; %bb.1318:                             ;   in Loop: Header=BB26_1297 Depth=2
	v_bfe_u32 v37, v91, 16, 1
	v_add3_u32 v37, v91, v37, s68
                                        ; implicit-def: $vgpr91
; %bb.1319:                             ;   in Loop: Header=BB26_1297 Depth=2
	s_andn2_saveexec_b64 s[94:95], s[94:95]
; %bb.1320:                             ;   in Loop: Header=BB26_1297 Depth=2
	v_or_b32_e32 v37, 0x10000, v91
	v_cmp_eq_u32_sdwa vcc, v91, v3 src0_sel:WORD_0 src1_sel:DWORD
	s_nop 1
	v_cndmask_b32_e32 v37, v37, v91, vcc
; %bb.1321:                             ;   in Loop: Header=BB26_1297 Depth=2
	s_or_b64 exec, exec, s[94:95]
	v_lshlrev_b32_e32 v48, 16, v48
	v_lshlrev_b32_e32 v90, 16, v90
	v_max_f32_e32 v90, v90, v90
	v_max_f32_e32 v48, v48, v48
	v_min_f32_e32 v91, v48, v90
	v_max_f32_e32 v48, v48, v90
	v_cndmask_b32_e64 v90, v48, v91, s[26:27]
	v_and_b32_e32 v48, 0x7f800000, v90
	v_cmp_ne_u32_e32 vcc, s67, v48
                                        ; implicit-def: $vgpr48
	s_and_saveexec_b64 s[94:95], vcc
	s_xor_b64 s[94:95], exec, s[94:95]
; %bb.1322:                             ;   in Loop: Header=BB26_1297 Depth=2
	v_bfe_u32 v48, v90, 16, 1
	v_add3_u32 v48, v90, v48, s68
                                        ; implicit-def: $vgpr90
; %bb.1323:                             ;   in Loop: Header=BB26_1297 Depth=2
	s_andn2_saveexec_b64 s[94:95], s[94:95]
; %bb.1324:                             ;   in Loop: Header=BB26_1297 Depth=2
	v_or_b32_e32 v48, 0x10000, v90
	v_cmp_eq_u32_sdwa vcc, v90, v3 src0_sel:WORD_0 src1_sel:DWORD
	s_nop 1
	v_cndmask_b32_e32 v48, v48, v90, vcc
; %bb.1325:                             ;   in Loop: Header=BB26_1297 Depth=2
	s_or_b64 exec, exec, s[94:95]
	v_lshlrev_b32_e32 v51, 16, v51
	v_lshlrev_b32_e32 v89, 16, v89
	v_max_f32_e32 v89, v89, v89
	v_max_f32_e32 v51, v51, v51
	v_min_f32_e32 v90, v51, v89
	v_max_f32_e32 v51, v51, v89
	v_cndmask_b32_e64 v89, v51, v90, s[26:27]
	v_and_b32_e32 v51, 0x7f800000, v89
	v_cmp_ne_u32_e32 vcc, s67, v51
                                        ; implicit-def: $vgpr51
	s_and_saveexec_b64 s[94:95], vcc
	s_xor_b64 s[94:95], exec, s[94:95]
; %bb.1326:                             ;   in Loop: Header=BB26_1297 Depth=2
	v_bfe_u32 v51, v89, 16, 1
	v_add3_u32 v51, v89, v51, s68
                                        ; implicit-def: $vgpr89
; %bb.1327:                             ;   in Loop: Header=BB26_1297 Depth=2
	s_andn2_saveexec_b64 s[94:95], s[94:95]
; %bb.1328:                             ;   in Loop: Header=BB26_1297 Depth=2
	v_or_b32_e32 v51, 0x10000, v89
	v_cmp_eq_u32_sdwa vcc, v89, v3 src0_sel:WORD_0 src1_sel:DWORD
	s_nop 1
	v_cndmask_b32_e32 v51, v51, v89, vcc
; %bb.1329:                             ;   in Loop: Header=BB26_1297 Depth=2
	s_or_b64 exec, exec, s[94:95]
	v_lshlrev_b32_e32 v78, 16, v78
	v_lshlrev_b32_e32 v88, 16, v88
	v_max_f32_e32 v88, v88, v88
	v_max_f32_e32 v78, v78, v78
	v_min_f32_e32 v89, v78, v88
	v_max_f32_e32 v78, v78, v88
	v_cndmask_b32_e64 v88, v78, v89, s[26:27]
	v_and_b32_e32 v78, 0x7f800000, v88
	v_cmp_ne_u32_e32 vcc, s67, v78
                                        ; implicit-def: $vgpr78
	s_and_saveexec_b64 s[94:95], vcc
	s_xor_b64 s[94:95], exec, s[94:95]
; %bb.1330:                             ;   in Loop: Header=BB26_1297 Depth=2
	v_bfe_u32 v78, v88, 16, 1
	v_add3_u32 v78, v88, v78, s68
                                        ; implicit-def: $vgpr88
; %bb.1331:                             ;   in Loop: Header=BB26_1297 Depth=2
	s_andn2_saveexec_b64 s[94:95], s[94:95]
; %bb.1332:                             ;   in Loop: Header=BB26_1297 Depth=2
	v_or_b32_e32 v78, 0x10000, v88
	v_cmp_eq_u32_sdwa vcc, v88, v3 src0_sel:WORD_0 src1_sel:DWORD
	s_nop 1
	v_cndmask_b32_e32 v78, v78, v88, vcc
; %bb.1333:                             ;   in Loop: Header=BB26_1297 Depth=2
	s_or_b64 exec, exec, s[94:95]
	v_lshlrev_b32_e32 v49, 16, v49
	v_lshlrev_b32_e32 v79, 16, v79
	v_max_f32_e32 v79, v79, v79
	v_max_f32_e32 v49, v49, v49
	v_min_f32_e32 v88, v49, v79
	v_max_f32_e32 v49, v49, v79
	v_cndmask_b32_e64 v79, v49, v88, s[26:27]
	v_and_b32_e32 v49, 0x7f800000, v79
	v_cmp_ne_u32_e32 vcc, s67, v49
                                        ; implicit-def: $vgpr49
	s_and_saveexec_b64 s[94:95], vcc
	s_xor_b64 s[94:95], exec, s[94:95]
; %bb.1334:                             ;   in Loop: Header=BB26_1297 Depth=2
	v_bfe_u32 v49, v79, 16, 1
	v_add3_u32 v49, v79, v49, s68
                                        ; implicit-def: $vgpr79
; %bb.1335:                             ;   in Loop: Header=BB26_1297 Depth=2
	s_andn2_saveexec_b64 s[94:95], s[94:95]
; %bb.1336:                             ;   in Loop: Header=BB26_1297 Depth=2
	v_or_b32_e32 v49, 0x10000, v79
	v_cmp_eq_u32_sdwa vcc, v79, v3 src0_sel:WORD_0 src1_sel:DWORD
	s_nop 1
	v_cndmask_b32_e32 v49, v49, v79, vcc
; %bb.1337:                             ;   in Loop: Header=BB26_1297 Depth=2
	s_or_b64 exec, exec, s[94:95]
	v_lshlrev_b32_e32 v38, 16, v38
	v_lshlrev_b32_e32 v50, 16, v50
	v_max_f32_e32 v50, v50, v50
	v_max_f32_e32 v38, v38, v38
	v_min_f32_e32 v79, v38, v50
	v_max_f32_e32 v38, v38, v50
	v_cndmask_b32_e64 v50, v38, v79, s[26:27]
	v_and_b32_e32 v38, 0x7f800000, v50
	v_cmp_ne_u32_e32 vcc, s67, v38
                                        ; implicit-def: $vgpr38
	s_and_saveexec_b64 s[94:95], vcc
	s_xor_b64 s[94:95], exec, s[94:95]
; %bb.1338:                             ;   in Loop: Header=BB26_1297 Depth=2
	v_bfe_u32 v38, v50, 16, 1
	v_add3_u32 v38, v50, v38, s68
                                        ; implicit-def: $vgpr50
; %bb.1339:                             ;   in Loop: Header=BB26_1297 Depth=2
	s_andn2_saveexec_b64 s[94:95], s[94:95]
; %bb.1340:                             ;   in Loop: Header=BB26_1297 Depth=2
	v_or_b32_e32 v38, 0x10000, v50
	v_cmp_eq_u32_sdwa vcc, v50, v3 src0_sel:WORD_0 src1_sel:DWORD
	s_nop 1
	v_cndmask_b32_e32 v38, v38, v50, vcc
; %bb.1341:                             ;   in Loop: Header=BB26_1297 Depth=2
	s_or_b64 exec, exec, s[94:95]
	v_lshlrev_b32_e32 v35, 16, v35
	v_lshlrev_b32_e32 v39, 16, v39
	v_max_f32_e32 v39, v39, v39
	v_max_f32_e32 v35, v35, v35
	v_min_f32_e32 v50, v35, v39
	v_max_f32_e32 v35, v35, v39
	v_cndmask_b32_e64 v39, v35, v50, s[26:27]
	v_and_b32_e32 v35, 0x7f800000, v39
	v_cmp_ne_u32_e32 vcc, s67, v35
                                        ; implicit-def: $vgpr35
	s_and_saveexec_b64 s[94:95], vcc
	s_xor_b64 s[94:95], exec, s[94:95]
; %bb.1342:                             ;   in Loop: Header=BB26_1297 Depth=2
	v_bfe_u32 v35, v39, 16, 1
	v_add3_u32 v35, v39, v35, s68
                                        ; implicit-def: $vgpr39
; %bb.1343:                             ;   in Loop: Header=BB26_1297 Depth=2
	s_andn2_saveexec_b64 s[94:95], s[94:95]
; %bb.1344:                             ;   in Loop: Header=BB26_1297 Depth=2
	v_or_b32_e32 v35, 0x10000, v39
	v_cmp_eq_u32_sdwa vcc, v39, v3 src0_sel:WORD_0 src1_sel:DWORD
	s_nop 1
	v_cndmask_b32_e32 v35, v35, v39, vcc
; %bb.1345:                             ;   in Loop: Header=BB26_1297 Depth=2
	s_or_b64 exec, exec, s[94:95]
	v_lshlrev_b32_e32 v32, 16, v32
	v_lshlrev_b32_e32 v36, 16, v36
	v_max_f32_e32 v36, v36, v36
	v_max_f32_e32 v32, v32, v32
	v_min_f32_e32 v39, v32, v36
	v_max_f32_e32 v32, v32, v36
	v_cndmask_b32_e64 v36, v32, v39, s[26:27]
	v_and_b32_e32 v32, 0x7f800000, v36
	v_cmp_ne_u32_e32 vcc, s67, v32
                                        ; implicit-def: $vgpr32
	s_and_saveexec_b64 s[94:95], vcc
	s_xor_b64 s[94:95], exec, s[94:95]
; %bb.1346:                             ;   in Loop: Header=BB26_1297 Depth=2
	v_bfe_u32 v32, v36, 16, 1
	v_add3_u32 v32, v36, v32, s68
                                        ; implicit-def: $vgpr36
; %bb.1347:                             ;   in Loop: Header=BB26_1297 Depth=2
	s_andn2_saveexec_b64 s[94:95], s[94:95]
; %bb.1348:                             ;   in Loop: Header=BB26_1297 Depth=2
	v_or_b32_e32 v32, 0x10000, v36
	v_cmp_eq_u32_sdwa vcc, v36, v3 src0_sel:WORD_0 src1_sel:DWORD
	s_nop 1
	v_cndmask_b32_e32 v32, v32, v36, vcc
; %bb.1349:                             ;   in Loop: Header=BB26_1297 Depth=2
	s_or_b64 exec, exec, s[94:95]
	v_lshlrev_b32_e32 v24, 16, v24
	v_lshlrev_b32_e32 v33, 16, v33
	v_max_f32_e32 v33, v33, v33
	v_max_f32_e32 v24, v24, v24
	v_min_f32_e32 v36, v24, v33
	v_max_f32_e32 v24, v24, v33
	v_cndmask_b32_e64 v33, v24, v36, s[26:27]
	v_and_b32_e32 v24, 0x7f800000, v33
	v_cmp_ne_u32_e32 vcc, s67, v24
                                        ; implicit-def: $vgpr24
	s_and_saveexec_b64 s[94:95], vcc
	s_xor_b64 s[94:95], exec, s[94:95]
; %bb.1350:                             ;   in Loop: Header=BB26_1297 Depth=2
	v_bfe_u32 v24, v33, 16, 1
	v_add3_u32 v24, v33, v24, s68
                                        ; implicit-def: $vgpr33
; %bb.1351:                             ;   in Loop: Header=BB26_1297 Depth=2
	s_andn2_saveexec_b64 s[94:95], s[94:95]
; %bb.1352:                             ;   in Loop: Header=BB26_1297 Depth=2
	v_or_b32_e32 v24, 0x10000, v33
	v_cmp_eq_u32_sdwa vcc, v33, v3 src0_sel:WORD_0 src1_sel:DWORD
	s_nop 1
	v_cndmask_b32_e32 v24, v24, v33, vcc
; %bb.1353:                             ;   in Loop: Header=BB26_1297 Depth=2
	s_or_b64 exec, exec, s[94:95]
	v_lshlrev_b32_e32 v21, 16, v21
	v_lshlrev_b32_e32 v26, 16, v26
	v_max_f32_e32 v26, v26, v26
	v_max_f32_e32 v21, v21, v21
	v_min_f32_e32 v33, v21, v26
	v_max_f32_e32 v21, v21, v26
	v_cndmask_b32_e64 v26, v21, v33, s[26:27]
	v_and_b32_e32 v21, 0x7f800000, v26
	v_cmp_ne_u32_e32 vcc, s67, v21
                                        ; implicit-def: $vgpr21
	s_and_saveexec_b64 s[94:95], vcc
	s_xor_b64 s[94:95], exec, s[94:95]
; %bb.1354:                             ;   in Loop: Header=BB26_1297 Depth=2
	v_bfe_u32 v21, v26, 16, 1
	v_add3_u32 v21, v26, v21, s68
                                        ; implicit-def: $vgpr26
; %bb.1355:                             ;   in Loop: Header=BB26_1297 Depth=2
	s_andn2_saveexec_b64 s[94:95], s[94:95]
; %bb.1356:                             ;   in Loop: Header=BB26_1297 Depth=2
	v_or_b32_e32 v21, 0x10000, v26
	v_cmp_eq_u32_sdwa vcc, v26, v3 src0_sel:WORD_0 src1_sel:DWORD
	s_nop 1
	v_cndmask_b32_e32 v21, v21, v26, vcc
; %bb.1357:                             ;   in Loop: Header=BB26_1297 Depth=2
	s_or_b64 exec, exec, s[94:95]
	v_lshlrev_b32_e32 v19, 16, v19
	v_lshlrev_b32_e32 v22, 16, v22
	v_max_f32_e32 v22, v22, v22
	v_max_f32_e32 v19, v19, v19
	v_min_f32_e32 v26, v19, v22
	v_max_f32_e32 v19, v19, v22
	v_cndmask_b32_e64 v22, v19, v26, s[26:27]
	v_and_b32_e32 v19, 0x7f800000, v22
	v_cmp_ne_u32_e32 vcc, s67, v19
                                        ; implicit-def: $vgpr19
	s_and_saveexec_b64 s[94:95], vcc
	s_xor_b64 s[94:95], exec, s[94:95]
; %bb.1358:                             ;   in Loop: Header=BB26_1297 Depth=2
	v_bfe_u32 v19, v22, 16, 1
	v_add3_u32 v19, v22, v19, s68
                                        ; implicit-def: $vgpr22
; %bb.1359:                             ;   in Loop: Header=BB26_1297 Depth=2
	s_andn2_saveexec_b64 s[94:95], s[94:95]
	s_cbranch_execz .LBB26_1296
; %bb.1360:                             ;   in Loop: Header=BB26_1297 Depth=2
	v_or_b32_e32 v19, 0x10000, v22
	v_cmp_eq_u32_sdwa vcc, v22, v3 src0_sel:WORD_0 src1_sel:DWORD
	s_nop 1
	v_cndmask_b32_e32 v19, v19, v22, vcc
	s_branch .LBB26_1296
.LBB26_1361:                            ;   in Loop: Header=BB26_47 Depth=1
	s_or_b64 exec, exec, s[42:43]
.LBB26_1362:                            ;   in Loop: Header=BB26_47 Depth=1
	s_or_b64 exec, exec, s[40:41]
	v_lshlrev_b32_e32 v8, 11, v18
	v_cmp_ne_u32_e32 vcc, v73, v8
	s_and_b64 exec, exec, vcc
	s_cbranch_execz .LBB26_1370
; %bb.1363:                             ;   in Loop: Header=BB26_47 Depth=1
	v_lshlrev_b32_e32 v9, 6, v16
	v_sub_u32_e32 v9, v15, v9
	v_lshlrev_b32_e32 v10, 6, v17
	v_sub_u32_e32 v9, v9, v10
	v_ashrrev_i32_e32 v10, 31, v9
	v_lshrrev_b32_e32 v10, 26, v10
	v_add_u32_e32 v10, v9, v10
	v_and_b32_e32 v11, 0x7fffffc0, v10
	v_sub_u32_e32 v9, v9, v11
	v_lshlrev_b32_e32 v10, 1, v10
	v_and_b32_e32 v10, 0xffffff80, v10
	v_lshlrev_b32_e32 v9, 1, v9
	v_add3_u32 v8, v10, v9, v8
	v_sub_u32_e32 v15, v73, v8
	v_cmp_lt_i32_e32 vcc, 1, v15
	s_and_b64 exec, exec, vcc
	s_cbranch_execz .LBB26_1370
; %bb.1364:                             ;   in Loop: Header=BB26_47 Depth=1
	s_trap 2
	ds_read_b64 v[10:11], v0
	v_add_u32_e32 v12, v8, v14
	s_and_b32 s56, s48, 1
	v_ashrrev_i32_e32 v13, 31, v12
	s_cmp_eq_u64 s[56:57], 0
	v_lshl_add_u64 v[8:9], v[12:13], 0, v[74:75]
	s_waitcnt lgkmcnt(0)
	v_lshl_add_u64 v[10:11], v[10:11], 0, v[12:13]
	v_lshl_add_u64 v[12:13], v[12:13], 0, v[76:77]
	s_mov_b64 s[40:41], 0
	s_cselect_b64 vcc, -1, 0
	s_branch .LBB26_1366
.LBB26_1365:                            ;   in Loop: Header=BB26_1366 Depth=2
	s_or_b64 exec, exec, s[42:43]
	v_sub_u32_e32 v15, v15, v112
	v_cmp_gt_i32_e64 s[26:27], 2, v15
	flat_store_short_d16_hi v[12:13], v16 nt
	v_lshl_add_u64 v[8:9], v[8:9], 0, v[112:113]
	v_lshl_add_u64 v[10:11], v[10:11], 0, v[112:113]
	s_or_b64 s[40:41], s[26:27], s[40:41]
	v_lshl_add_u64 v[12:13], v[12:13], 0, v[112:113]
	s_andn2_b64 exec, exec, s[40:41]
	s_cbranch_execz .LBB26_1370
.LBB26_1366:                            ;   Parent Loop BB26_47 Depth=1
                                        ; =>  This Inner Loop Header: Depth=2
	flat_load_ushort v14, v[10:11] nt
	flat_load_ushort v16, v[8:9] nt
	s_waitcnt vmcnt(0) lgkmcnt(0)
	v_lshlrev_b32_e32 v14, 16, v14
	v_lshlrev_b32_e32 v16, 16, v16
	v_max_f32_e32 v14, v14, v14
	v_max_f32_e32 v16, v16, v16
	v_min_f32_e32 v17, v16, v14
	v_max_f32_e32 v14, v16, v14
	v_cndmask_b32_e32 v14, v14, v17, vcc
	v_and_b32_e32 v16, 0x7f800000, v14
	v_cmp_ne_u32_e64 s[26:27], s67, v16
                                        ; implicit-def: $vgpr16
	s_and_saveexec_b64 s[42:43], s[26:27]
	s_xor_b64 s[26:27], exec, s[42:43]
; %bb.1367:                             ;   in Loop: Header=BB26_1366 Depth=2
	v_bfe_u32 v16, v14, 16, 1
	v_add3_u32 v16, v14, v16, s68
                                        ; implicit-def: $vgpr14
; %bb.1368:                             ;   in Loop: Header=BB26_1366 Depth=2
	s_andn2_saveexec_b64 s[42:43], s[26:27]
	s_cbranch_execz .LBB26_1365
; %bb.1369:                             ;   in Loop: Header=BB26_1366 Depth=2
	v_or_b32_e32 v16, 0x10000, v14
	v_cmp_eq_u32_sdwa s[26:27], v14, v3 src0_sel:WORD_0 src1_sel:DWORD
	s_nop 1
	v_cndmask_b32_e64 v16, v16, v14, s[26:27]
	s_branch .LBB26_1365
.LBB26_1370:                            ;   in Loop: Header=BB26_47 Depth=1
	s_or_b64 exec, exec, s[28:29]
	v_cmp_lt_i32_e64 s[26:27], 0, v2
	s_and_saveexec_b64 s[28:29], s[6:7]
	s_cbranch_execz .LBB26_847
.LBB26_1371:                            ;   in Loop: Header=BB26_47 Depth=1
	s_and_saveexec_b64 s[40:41], s[58:59]
	s_xor_b64 s[40:41], exec, s[40:41]
	s_cbranch_execz .LBB26_1386
; %bb.1372:                             ;   in Loop: Header=BB26_47 Depth=1
	s_and_saveexec_b64 s[42:43], s[14:15]
	s_cbranch_execz .LBB26_1385
; %bb.1373:                             ;   in Loop: Header=BB26_47 Depth=1
	s_mov_b64 s[30:31], exec
	v_mbcnt_lo_u32_b32 v2, s30, 0
	v_mbcnt_hi_u32_b32 v2, s31, v2
	v_cmp_eq_u32_e32 vcc, 0, v2
	s_waitcnt lgkmcnt(0)
	s_and_saveexec_b64 s[94:95], vcc
	s_cbranch_execz .LBB26_1375
; %bb.1374:                             ;   in Loop: Header=BB26_47 Depth=1
	s_bcnt1_i32_b64 s56, s[30:31]
	v_mov_b32_e32 v2, s56
	ds_add_u64 v0, v[2:3]
	s_trap 2
.LBB26_1375:                            ;   in Loop: Header=BB26_47 Depth=1
	s_or_b64 exec, exec, s[94:95]
	s_trap 2
	ds_read_b64 v[8:9], v0
	s_waitcnt lgkmcnt(0)
	v_lshl_add_u64 v[70:71], v[70:71], 0, v[84:85]
	v_cmp_lt_u64_e32 vcc, v[8:9], v[70:71]
	s_and_saveexec_b64 s[94:95], vcc
	s_cbranch_execz .LBB26_1384
; %bb.1376:                             ;   in Loop: Header=BB26_47 Depth=1
	s_mov_b32 s56, 0
	s_mov_b64 s[30:31], 0
                                        ; implicit-def: $sgpr34_sgpr35
                                        ; implicit-def: $sgpr36_sgpr37
	s_branch .LBB26_1378
.LBB26_1377:                            ;   in Loop: Header=BB26_1378 Depth=2
	s_or_b64 exec, exec, s[48:49]
	s_and_b64 vcc, exec, vcc
	s_or_b64 s[30:31], vcc, s[30:31]
	s_andn2_b64 vcc, s[34:35], exec
	s_and_b64 s[34:35], s[36:37], exec
	s_or_b64 s[34:35], vcc, s[34:35]
	s_andn2_b64 exec, exec, s[30:31]
	s_cbranch_execz .LBB26_1382
.LBB26_1378:                            ;   Parent Loop BB26_47 Depth=1
                                        ; =>  This Inner Loop Header: Depth=2
	s_add_i32 s56, s56, 1
	s_cmpk_lg_i32 s56, 0x2710
	s_cselect_b64 s[38:39], -1, 0
	s_and_b64 vcc, exec, s[38:39]
	s_cbranch_vccz .LBB26_1380
; %bb.1379:                             ;   in Loop: Header=BB26_1378 Depth=2
	s_mov_b64 vcc, -1
	s_or_b64 s[36:37], s[36:37], exec
	s_and_saveexec_b64 s[48:49], s[38:39]
	s_cbranch_execz .LBB26_1377
	s_branch .LBB26_1381
.LBB26_1380:                            ;   in Loop: Header=BB26_1378 Depth=2
	s_trap 2
	ds_read_b64 v[8:9], v0
	s_andn2_b64 s[38:39], s[38:39], exec
	s_mov_b32 s56, 0
	s_waitcnt vmcnt(0) lgkmcnt(0)
	flat_load_dword v2, v[8:9] sc0 sc1
	s_waitcnt vmcnt(0) lgkmcnt(0)
	buffer_inv sc0 sc1
	v_cmp_eq_u32_e32 vcc, 0, v2
	s_and_b64 vcc, vcc, exec
	s_or_b64 s[38:39], s[38:39], vcc
	s_mov_b64 vcc, -1
	s_or_b64 s[36:37], s[36:37], exec
	s_and_saveexec_b64 s[48:49], s[38:39]
	s_cbranch_execz .LBB26_1377
.LBB26_1381:                            ;   in Loop: Header=BB26_1378 Depth=2
	s_sleep 1
	s_trap 2
	ds_read_b64 v[8:9], v0
	s_waitcnt lgkmcnt(0)
	s_andn2_b64 s[36:37], s[36:37], exec
	v_cmp_ge_u64_e32 vcc, v[8:9], v[70:71]
	s_orn2_b64 vcc, vcc, exec
	s_branch .LBB26_1377
.LBB26_1382:                            ;   in Loop: Header=BB26_47 Depth=1
	s_or_b64 exec, exec, s[30:31]
	s_and_saveexec_b64 vcc, s[34:35]
	s_xor_b64 vcc, exec, vcc
	s_cbranch_execz .LBB26_1384
; %bb.1383:                             ;   in Loop: Header=BB26_47 Depth=1
	ds_write_b32 v0, v107
	s_trap 2
.LBB26_1384:                            ;   in Loop: Header=BB26_47 Depth=1
	s_or_b64 exec, exec, s[94:95]
	;;#ASMSTART
	s_wakeup
	;;#ASMEND
.LBB26_1385:                            ;   in Loop: Header=BB26_47 Depth=1
	s_or_b64 exec, exec, s[42:43]
.LBB26_1386:                            ;   in Loop: Header=BB26_47 Depth=1
	s_andn2_saveexec_b64 s[40:41], s[40:41]
	s_cbranch_execz .LBB26_1388
; %bb.1387:                             ;   in Loop: Header=BB26_47 Depth=1
	s_waitcnt lgkmcnt(0)
	s_barrier
.LBB26_1388:                            ;   in Loop: Header=BB26_47 Depth=1
	s_or_b64 exec, exec, s[40:41]
	s_or_b64 exec, exec, s[28:29]
                                        ; implicit-def: $vgpr2
	s_and_saveexec_b64 s[28:29], s[22:23]
	s_xor_b64 s[28:29], exec, s[28:29]
	s_cbranch_execnz .LBB26_848
.LBB26_1389:                            ;   in Loop: Header=BB26_47 Depth=1
	s_andn2_saveexec_b64 s[26:27], s[28:29]
	s_cbranch_execz .LBB26_1408
.LBB26_1390:                            ;   in Loop: Header=BB26_47 Depth=1
	s_and_saveexec_b64 s[28:29], s[58:59]
	s_xor_b64 s[28:29], exec, s[28:29]
	s_cbranch_execz .LBB26_1405
; %bb.1391:                             ;   in Loop: Header=BB26_47 Depth=1
	s_and_saveexec_b64 s[40:41], s[14:15]
	s_cbranch_execz .LBB26_1404
; %bb.1392:                             ;   in Loop: Header=BB26_47 Depth=1
	s_mov_b64 s[94:95], exec
	v_mbcnt_lo_u32_b32 v2, s94, 0
	v_mbcnt_hi_u32_b32 v2, s95, v2
	v_cmp_eq_u32_e32 vcc, 0, v2
	;;#ASMSTART
	s_waitcnt lgkmcnt(0) vmcnt(0)
	;;#ASMEND
	s_and_saveexec_b64 s[42:43], vcc
	s_cbranch_execz .LBB26_1394
; %bb.1393:                             ;   in Loop: Header=BB26_47 Depth=1
	s_bcnt1_i32_b64 s56, s[94:95]
	v_mov_b32_e32 v2, s56
	s_waitcnt lgkmcnt(0)
	ds_add_u64 v0, v[2:3]
	s_trap 2
.LBB26_1394:                            ;   in Loop: Header=BB26_47 Depth=1
	s_or_b64 exec, exec, s[42:43]
	s_trap 2
	ds_read_b64 v[8:9], v0
	s_waitcnt lgkmcnt(0)
	v_lshl_add_u64 v[70:71], v[70:71], 0, v[84:85]
	v_cmp_lt_u64_e32 vcc, v[8:9], v[70:71]
	s_and_saveexec_b64 s[42:43], vcc
	s_cbranch_execz .LBB26_1403
; %bb.1395:                             ;   in Loop: Header=BB26_47 Depth=1
	s_mov_b32 s56, 0
	s_mov_b64 s[94:95], 0
                                        ; implicit-def: $sgpr30_sgpr31
                                        ; implicit-def: $sgpr34_sgpr35
	s_branch .LBB26_1397
.LBB26_1396:                            ;   in Loop: Header=BB26_1397 Depth=2
	s_or_b64 exec, exec, s[38:39]
	s_and_b64 vcc, exec, vcc
	s_or_b64 s[94:95], vcc, s[94:95]
	s_andn2_b64 vcc, s[30:31], exec
	s_and_b64 s[30:31], s[34:35], exec
	s_or_b64 s[30:31], vcc, s[30:31]
	s_andn2_b64 exec, exec, s[94:95]
	s_cbranch_execz .LBB26_1401
.LBB26_1397:                            ;   Parent Loop BB26_47 Depth=1
                                        ; =>  This Inner Loop Header: Depth=2
	s_add_i32 s56, s56, 1
	s_cmpk_lg_i32 s56, 0x2710
	s_cselect_b64 s[36:37], -1, 0
	s_and_b64 vcc, exec, s[36:37]
	s_cbranch_vccz .LBB26_1399
; %bb.1398:                             ;   in Loop: Header=BB26_1397 Depth=2
	s_mov_b64 vcc, -1
	s_or_b64 s[34:35], s[34:35], exec
	s_and_saveexec_b64 s[38:39], s[36:37]
	s_cbranch_execz .LBB26_1396
	s_branch .LBB26_1400
.LBB26_1399:                            ;   in Loop: Header=BB26_1397 Depth=2
	s_trap 2
	ds_read_b64 v[8:9], v0
	s_andn2_b64 s[36:37], s[36:37], exec
	s_mov_b32 s56, 0
	s_waitcnt vmcnt(0) lgkmcnt(0)
	flat_load_dword v2, v[8:9] sc0 sc1
	s_waitcnt vmcnt(0) lgkmcnt(0)
	buffer_inv sc0 sc1
	v_cmp_eq_u32_e32 vcc, 0, v2
	s_and_b64 vcc, vcc, exec
	s_or_b64 s[36:37], s[36:37], vcc
	s_mov_b64 vcc, -1
	s_or_b64 s[34:35], s[34:35], exec
	s_and_saveexec_b64 s[38:39], s[36:37]
	s_cbranch_execz .LBB26_1396
.LBB26_1400:                            ;   in Loop: Header=BB26_1397 Depth=2
	s_sleep 1
	s_trap 2
	ds_read_b64 v[8:9], v0
	s_waitcnt lgkmcnt(0)
	s_andn2_b64 s[34:35], s[34:35], exec
	v_cmp_ge_u64_e32 vcc, v[8:9], v[70:71]
	s_orn2_b64 vcc, vcc, exec
	s_branch .LBB26_1396
.LBB26_1401:                            ;   in Loop: Header=BB26_47 Depth=1
	s_or_b64 exec, exec, s[94:95]
	s_and_saveexec_b64 s[94:95], s[30:31]
	s_xor_b64 s[94:95], exec, s[94:95]
	s_cbranch_execz .LBB26_1403
; %bb.1402:                             ;   in Loop: Header=BB26_47 Depth=1
	ds_write_b32 v0, v107
	s_trap 2
.LBB26_1403:                            ;   in Loop: Header=BB26_47 Depth=1
	s_or_b64 exec, exec, s[42:43]
	;;#ASMSTART
	s_wakeup
	;;#ASMEND
.LBB26_1404:                            ;   in Loop: Header=BB26_47 Depth=1
	s_or_b64 exec, exec, s[40:41]
.LBB26_1405:                            ;   in Loop: Header=BB26_47 Depth=1
	s_andn2_saveexec_b64 s[28:29], s[28:29]
	s_cbranch_execz .LBB26_1407
; %bb.1406:                             ;   in Loop: Header=BB26_47 Depth=1
	;;#ASMSTART
	s_waitcnt lgkmcnt(0) vmcnt(0)
	;;#ASMEND
	s_barrier
.LBB26_1407:                            ;   in Loop: Header=BB26_47 Depth=1
	s_or_b64 exec, exec, s[28:29]
	v_and_b32_e32 v2, 16, v104
.LBB26_1408:                            ;   in Loop: Header=BB26_47 Depth=1
	s_or_b64 exec, exec, s[26:27]
	v_cmp_ne_u32_e32 vcc, 0, v2
	s_xor_b64 s[26:27], s[10:11], -1
	s_and_b64 s[28:29], vcc, s[26:27]
	s_and_saveexec_b64 s[26:27], s[28:29]
	s_cbranch_execz .LBB26_1410
; %bb.1409:                             ;   in Loop: Header=BB26_47 Depth=1
	flat_store_dword v[68:69], v107 sc0 sc1
.LBB26_1410:                            ;   in Loop: Header=BB26_47 Depth=1
	s_or_b64 exec, exec, s[26:27]
	v_and_b32_e32 v2, 48, v104
	v_cmp_ne_u32_e32 vcc, 0, v2
	s_and_saveexec_b64 s[26:27], vcc
	s_cbranch_execz .LBB26_1412
; %bb.1411:                             ;   in Loop: Header=BB26_47 Depth=1
	v_lshl_add_u64 v[58:59], v[58:59], 0, 4
	flat_store_dwordx2 v[64:65], v[58:59] sc0 sc1
.LBB26_1412:                            ;   in Loop: Header=BB26_47 Depth=1
	s_or_b64 exec, exec, s[26:27]
	v_mov_b32_e32 v2, v72
	s_or_b64 exec, exec, s[92:93]
	s_and_saveexec_b64 s[28:29], s[90:91]
	s_cbranch_execnz .LBB26_715
.LBB26_1413:                            ;   in Loop: Header=BB26_47 Depth=1
	s_or_b64 exec, exec, s[28:29]
	s_and_b64 vcc, exec, s[24:25]
	s_cbranch_vccnz .LBB26_1666
.LBB26_1414:                            ;   in Loop: Header=BB26_47 Depth=1
	s_mov_b32 s56, 1
.LBB26_1415:                            ;   Parent Loop BB26_47 Depth=1
                                        ; =>  This Loop Header: Depth=2
                                        ;       Child Loop BB26_1428 Depth 3
                                        ;       Child Loop BB26_1468 Depth 3
	;; [unrolled: 1-line block ×9, first 2 shown]
                                        ;         Child Loop BB26_1568 Depth 4
                                        ;       Child Loop BB26_1575 Depth 3
                                        ;       Child Loop BB26_1580 Depth 3
                                        ;         Child Loop BB26_1581 Depth 4
                                        ;       Child Loop BB26_1617 Depth 3
                                        ;       Child Loop BB26_1648 Depth 3
	;; [unrolled: 1-line block ×5, first 2 shown]
	s_sub_i32 s24, s70, s56
	s_cmp_ge_i32 s24, s54
	s_cselect_b32 s25, s54, 0
	s_sub_i32 s24, s24, s25
	s_ashr_i32 s25, s24, 31
	v_mul_lo_u32 v2, v56, s25
	v_mul_lo_u32 v10, v57, s24
	v_mad_u64_u32 v[8:9], s[24:25], v56, s24, 0
	v_add3_u32 v9, v9, v2, v10
	v_sub_co_u32_e32 v10, vcc, v60, v8
	s_nop 1
	v_subb_co_u32_e32 v11, vcc, v61, v9, vcc
	v_cmp_lt_i64_e32 vcc, v[56:57], v[10:11]
	s_nop 1
	v_cndmask_b32_e32 v2, v10, v56, vcc
	v_max_i32_e32 v26, 0, v2
	v_add_u32_e32 v10, 15, v26
	v_ashrrev_i32_e32 v11, 31, v10
	v_lshrrev_b32_e32 v11, 28, v11
	v_add_u32_e32 v10, v10, v11
	v_cmp_gt_i32_e32 vcc, 1, v2
	v_and_b32_e32 v10, -16, v10
	s_or_b64 s[40:41], s[2:3], vcc
	v_max_i32_e32 v12, s81, v10
	s_xor_b64 s[24:25], s[40:41], -1
	v_mov_b32_e32 v2, 0
	s_and_saveexec_b64 s[42:43], s[24:25]
	s_cbranch_execz .LBB26_1421
; %bb.1416:                             ;   in Loop: Header=BB26_1415 Depth=2
	s_and_saveexec_b64 s[24:25], s[0:1]
	s_cbranch_execz .LBB26_1418
; %bb.1417:                             ;   in Loop: Header=BB26_1415 Depth=2
	s_trap 2
	ds_read_b128 v[14:17], v0
	v_lshl_add_u64 v[8:9], v[8:9], 0, v[62:63]
	v_lshlrev_b64 v[8:9], 1, v[8:9]
	s_waitcnt lgkmcnt(0)
	v_lshl_add_u64 v[10:11], v[14:15], 0, v[8:9]
	v_lshl_add_u64 v[8:9], v[16:17], 0, v[8:9]
	v_cmp_ne_u64_e32 vcc, 0, v[16:17]
	ds_write_b64 v0, v[10:11]
	s_nop 0
	v_cndmask_b32_e32 v9, 0, v9, vcc
	v_cndmask_b32_e32 v8, 0, v8, vcc
	ds_write_b64 v0, v[8:9]
.LBB26_1418:                            ;   in Loop: Header=BB26_1415 Depth=2
	s_or_b64 exec, exec, s[24:25]
	v_and_b32_e32 v2, 12, v104
	v_min_i32_e32 v12, v12, v26
	v_cmp_ne_u32_e32 vcc, 0, v2
	s_and_saveexec_b64 s[26:27], vcc
	s_cbranch_execz .LBB26_1460
; %bb.1419:                             ;   in Loop: Header=BB26_1415 Depth=2
	v_and_b32_e32 v2, 8, v104
	s_waitcnt vmcnt(0) lgkmcnt(0)
	v_lshl_add_u64 v[10:11], v[80:81], 0, v[2:3]
	v_lshl_add_u64 v[8:9], v[58:59], 0, 4
	v_cmp_lt_u64_e32 vcc, v[10:11], v[8:9]
	s_and_saveexec_b64 s[28:29], vcc
	s_cbranch_execz .LBB26_1447
; %bb.1420:                             ;   in Loop: Header=BB26_1415 Depth=2
	v_and_b32_e32 v10, 64, v104
	s_mov_b32 s52, 0
	v_cmp_eq_u32_e32 vcc, 0, v10
	s_mov_b64 s[90:91], 0
                                        ; implicit-def: $sgpr92_sgpr93
                                        ; implicit-def: $sgpr94_sgpr95
                                        ; implicit-def: $sgpr30_sgpr31
	s_branch .LBB26_1428
.LBB26_1421:                            ;   in Loop: Header=BB26_1415 Depth=2
	s_or_b64 exec, exec, s[42:43]
	s_and_saveexec_b64 s[26:27], s[40:41]
	s_cbranch_execz .LBB26_1664
.LBB26_1422:                            ;   in Loop: Header=BB26_1415 Depth=2
	v_sub_u32_e32 v2, v26, v2
	v_min_i32_e32 v8, v12, v2
	v_and_b32_e32 v2, 12, v104
	v_cmp_ne_u32_e32 vcc, 0, v2
	s_and_saveexec_b64 s[28:29], vcc
	s_cbranch_execz .LBB26_1439
; %bb.1423:                             ;   in Loop: Header=BB26_1415 Depth=2
	v_and_b32_e32 v2, 8, v104
	s_waitcnt vmcnt(0) lgkmcnt(0)
	v_lshl_add_u64 v[12:13], v[80:81], 0, v[2:3]
	v_lshl_add_u64 v[10:11], v[58:59], 0, 4
	v_cmp_lt_u64_e32 vcc, v[12:13], v[10:11]
	s_and_saveexec_b64 s[40:41], vcc
	s_cbranch_execz .LBB26_1475
; %bb.1424:                             ;   in Loop: Header=BB26_1415 Depth=2
	v_and_b32_e32 v9, 64, v104
	s_mov_b32 s50, 0
	v_cmp_eq_u32_e32 vcc, 0, v9
	s_mov_b64 s[42:43], 0
                                        ; implicit-def: $sgpr90_sgpr91
                                        ; implicit-def: $sgpr92_sgpr93
                                        ; implicit-def: $sgpr94_sgpr95
	s_branch .LBB26_1435
.LBB26_1425:                            ;   in Loop: Header=BB26_1428 Depth=3
	s_waitcnt vmcnt(0) lgkmcnt(0)
	v_lshl_add_u64 v[14:15], v[80:81], 0, v[2:3]
	v_cmp_ge_u64_e64 s[24:25], v[14:15], v[8:9]
	s_or_b64 s[38:39], s[38:39], exec
	s_orn2_b64 s[36:37], s[24:25], exec
.LBB26_1426:                            ;   in Loop: Header=BB26_1428 Depth=3
	s_or_b64 exec, exec, s[50:51]
	s_andn2_b64 s[24:25], s[30:31], exec
	s_and_b64 s[30:31], s[38:39], exec
	s_or_b64 s[30:31], s[24:25], s[30:31]
	s_andn2_b64 s[24:25], s[94:95], exec
	s_and_b64 s[94:95], s[36:37], exec
	s_or_b64 s[94:95], s[24:25], s[94:95]
.LBB26_1427:                            ;   in Loop: Header=BB26_1428 Depth=3
	s_or_b64 exec, exec, s[34:35]
	s_and_b64 s[24:25], exec, s[94:95]
	s_or_b64 s[90:91], s[24:25], s[90:91]
	s_andn2_b64 s[24:25], s[92:93], exec
	s_and_b64 s[92:93], s[30:31], exec
	s_or_b64 s[92:93], s[24:25], s[92:93]
	s_andn2_b64 exec, exec, s[90:91]
	s_cbranch_execz .LBB26_1444
.LBB26_1428:                            ;   Parent Loop BB26_47 Depth=1
                                        ;     Parent Loop BB26_1415 Depth=2
                                        ; =>    This Inner Loop Header: Depth=3
	s_sleep 1
	s_waitcnt vmcnt(0) lgkmcnt(0)
	flat_load_dwordx2 v[80:81], v[64:65] sc0 sc1
	s_or_b64 s[30:31], s[30:31], exec
	s_or_b64 s[94:95], s[94:95], exec
                                        ; implicit-def: $vgpr10
	s_and_saveexec_b64 s[34:35], vcc
	s_cbranch_execz .LBB26_1427
; %bb.1429:                             ;   in Loop: Header=BB26_1428 Depth=3
	s_cmpk_lt_i32 s52, 0x270f
	s_cselect_b64 s[48:49], -1, 0
	s_cmpk_gt_i32 s52, 0x270e
	s_mov_b64 s[36:37], -1
	s_cbranch_scc0 .LBB26_1431
; %bb.1430:                             ;   in Loop: Header=BB26_1428 Depth=3
	s_trap 2
	ds_read_b64 v[10:11], v0
	s_andn2_b64 s[48:49], s[48:49], exec
	s_mov_b32 s52, 0
	s_mov_b64 s[38:39], 0
	s_waitcnt vmcnt(0) lgkmcnt(0)
	flat_load_dword v10, v[10:11] sc0 sc1
	s_waitcnt vmcnt(0) lgkmcnt(0)
	buffer_inv sc0 sc1
	v_cmp_eq_u32_e64 s[24:25], 0, v10
	s_and_b64 s[24:25], s[24:25], exec
	s_or_b64 s[48:49], s[48:49], s[24:25]
	s_and_saveexec_b64 s[50:51], s[48:49]
	s_cbranch_execz .LBB26_1426
	s_branch .LBB26_1425
.LBB26_1431:                            ;   in Loop: Header=BB26_1428 Depth=3
	s_add_i32 s52, s52, 1
	s_mov_b64 s[38:39], -1
                                        ; implicit-def: $vgpr10
	s_and_saveexec_b64 s[50:51], s[48:49]
	s_cbranch_execz .LBB26_1426
	s_branch .LBB26_1425
.LBB26_1432:                            ;   in Loop: Header=BB26_1435 Depth=3
	s_waitcnt vmcnt(0) lgkmcnt(0)
	v_lshl_add_u64 v[12:13], v[80:81], 0, v[2:3]
	v_cmp_ge_u64_e64 s[24:25], v[12:13], v[10:11]
	s_or_b64 s[36:37], s[36:37], exec
	s_orn2_b64 s[34:35], s[24:25], exec
.LBB26_1433:                            ;   in Loop: Header=BB26_1435 Depth=3
	s_or_b64 exec, exec, s[48:49]
	s_andn2_b64 s[24:25], s[94:95], exec
	s_and_b64 s[94:95], s[36:37], exec
	s_or_b64 s[94:95], s[24:25], s[94:95]
	s_andn2_b64 s[24:25], s[92:93], exec
	s_and_b64 s[92:93], s[34:35], exec
	s_or_b64 s[92:93], s[24:25], s[92:93]
.LBB26_1434:                            ;   in Loop: Header=BB26_1435 Depth=3
	s_or_b64 exec, exec, s[30:31]
	s_and_b64 s[24:25], exec, s[92:93]
	s_or_b64 s[42:43], s[24:25], s[42:43]
	s_andn2_b64 s[24:25], s[90:91], exec
	s_and_b64 s[90:91], s[94:95], exec
	s_or_b64 s[90:91], s[24:25], s[90:91]
	s_andn2_b64 exec, exec, s[42:43]
	s_cbranch_execz .LBB26_1472
.LBB26_1435:                            ;   Parent Loop BB26_47 Depth=1
                                        ;     Parent Loop BB26_1415 Depth=2
                                        ; =>    This Inner Loop Header: Depth=3
	s_sleep 1
	s_waitcnt vmcnt(0) lgkmcnt(0)
	flat_load_dwordx2 v[80:81], v[64:65] sc0 sc1
	s_or_b64 s[94:95], s[94:95], exec
	s_or_b64 s[92:93], s[92:93], exec
                                        ; implicit-def: $vgpr9
	s_and_saveexec_b64 s[30:31], vcc
	s_cbranch_execz .LBB26_1434
; %bb.1436:                             ;   in Loop: Header=BB26_1435 Depth=3
	s_cmpk_lt_i32 s50, 0x270f
	s_cselect_b64 s[38:39], -1, 0
	s_cmpk_gt_i32 s50, 0x270e
	s_mov_b64 s[34:35], -1
	s_cbranch_scc0 .LBB26_1438
; %bb.1437:                             ;   in Loop: Header=BB26_1435 Depth=3
	s_trap 2
	ds_read_b64 v[12:13], v0
	s_andn2_b64 s[38:39], s[38:39], exec
	s_mov_b32 s50, 0
	s_mov_b64 s[36:37], 0
	s_waitcnt vmcnt(0) lgkmcnt(0)
	flat_load_dword v9, v[12:13] sc0 sc1
	s_waitcnt vmcnt(0) lgkmcnt(0)
	buffer_inv sc0 sc1
	v_cmp_eq_u32_e64 s[24:25], 0, v9
	s_and_b64 s[24:25], s[24:25], exec
	s_or_b64 s[38:39], s[38:39], s[24:25]
	s_and_saveexec_b64 s[48:49], s[38:39]
	s_cbranch_execz .LBB26_1433
	s_branch .LBB26_1432
.LBB26_1438:                            ;   in Loop: Header=BB26_1435 Depth=3
	s_add_i32 s50, s50, 1
	s_mov_b64 s[36:37], -1
                                        ; implicit-def: $vgpr9
	s_and_saveexec_b64 s[48:49], s[38:39]
	s_cbranch_execz .LBB26_1433
	s_branch .LBB26_1432
.LBB26_1439:                            ;   in Loop: Header=BB26_1415 Depth=2
	s_or_b64 exec, exec, s[28:29]
	s_and_saveexec_b64 s[24:25], s[6:7]
	s_cbranch_execnz .LBB26_1488
.LBB26_1440:                            ;   in Loop: Header=BB26_1415 Depth=2
	s_or_b64 exec, exec, s[24:25]
                                        ; implicit-def: $vgpr2
	s_and_saveexec_b64 s[24:25], s[22:23]
	s_xor_b64 s[24:25], exec, s[24:25]
	s_cbranch_execz .LBB26_1525
.LBB26_1441:                            ;   in Loop: Header=BB26_1415 Depth=2
	s_trap 2
	ds_read_b32 v9, v0
	v_cmp_lt_i32_e32 vcc, 0, v8
	v_and_b32_e32 v8, 16, v104
	v_and_b32_e32 v2, 16, v104
	s_waitcnt lgkmcnt(0)
	v_readfirstlane_b32 s28, v9
	s_cmp_eq_u32 s28, 0
	s_cselect_b64 s[28:29], -1, 0
	s_and_b64 s[28:29], vcc, s[28:29]
	v_cmp_ne_u32_e32 vcc, 0, v8
	s_and_b64 s[40:41], vcc, s[28:29]
	s_and_saveexec_b64 s[28:29], s[40:41]
	s_cbranch_execz .LBB26_1443
; %bb.1442:                             ;   in Loop: Header=BB26_1415 Depth=2
	v_mov_b32_e32 v2, 1
	buffer_wbl2 sc1
	s_waitcnt vmcnt(0)
	buffer_inv sc1
.LBB26_1443:                            ;   in Loop: Header=BB26_1415 Depth=2
	s_or_b64 exec, exec, s[28:29]
	s_andn2_saveexec_b64 s[24:25], s[24:25]
	s_cbranch_execz .LBB26_1628
	s_branch .LBB26_1526
.LBB26_1444:                            ;   in Loop: Header=BB26_1415 Depth=2
	s_or_b64 exec, exec, s[90:91]
	s_xor_b64 s[24:25], s[92:93], -1
	s_and_saveexec_b64 s[90:91], s[24:25]
	s_xor_b64 s[24:25], exec, s[90:91]
	s_cbranch_execz .LBB26_1446
; %bb.1445:                             ;   in Loop: Header=BB26_1415 Depth=2
	v_or_b32_e32 v104, 64, v104
	s_waitcnt lgkmcnt(0)
	ds_write_b32 v0, v10
	s_trap 2
.LBB26_1446:                            ;   in Loop: Header=BB26_1415 Depth=2
	s_or_b64 exec, exec, s[24:25]
.LBB26_1447:                            ;   in Loop: Header=BB26_1415 Depth=2
	s_or_b64 exec, exec, s[28:29]
	v_and_b32_e32 v10, 0x108, v104
	v_cmp_ne_u32_e32 vcc, s66, v10
	;;#ASMSTART
	s_wakeup
	;;#ASMEND
                                        ; implicit-def: $vgpr10_vgpr11
	s_and_saveexec_b64 s[24:25], vcc
	s_xor_b64 s[24:25], exec, s[24:25]
; %bb.1448:                             ;   in Loop: Header=BB26_1415 Depth=2
	v_and_b32_e32 v10, 7, v58
	v_mov_b32_e32 v11, v3
                                        ; implicit-def: $vgpr58_vgpr59
; %bb.1449:                             ;   in Loop: Header=BB26_1415 Depth=2
	s_andn2_saveexec_b64 s[24:25], s[24:25]
	s_cbranch_execz .LBB26_1451
; %bb.1450:                             ;   in Loop: Header=BB26_1415 Depth=2
	v_and_b32_e32 v10, 7, v58
	v_ashrrev_i32_e32 v13, 31, v12
	v_mov_b32_e32 v11, v3
	v_mad_u64_u32 v[14:15], s[28:29], v10, 24, v[6:7]
	v_lshlrev_b64 v[16:17], 1, v[12:13]
	flat_store_dwordx2 v[14:15], v[16:17] offset:8
.LBB26_1451:                            ;   in Loop: Header=BB26_1415 Depth=2
	s_or_b64 exec, exec, s[24:25]
	v_and_b32_e32 v13, 0x100, v104
	v_cmp_ne_u32_e32 vcc, 0, v13
	s_mov_b64 s[24:25], -1
                                        ; implicit-def: $vgpr14_vgpr15
	s_and_saveexec_b64 s[28:29], vcc
	s_cbranch_execz .LBB26_1455
; %bb.1452:                             ;   in Loop: Header=BB26_1415 Depth=2
	v_mad_u64_u32 v[16:17], s[24:25], v10, 24, v[6:7]
	v_mov_b32_e32 v14, v17
	v_mad_u64_u32 v[14:15], s[24:25], v11, 24, v[14:15]
	v_mov_b32_e32 v17, v14
	flat_load_dword v13, v[16:17]
                                        ; implicit-def: $vgpr14_vgpr15
	s_waitcnt vmcnt(0) lgkmcnt(0)
	v_cmp_ne_u32_e32 vcc, 1, v13
	v_cmp_eq_u32_e64 s[24:25], 1, v13
	s_and_saveexec_b64 s[90:91], s[24:25]
	s_cbranch_execz .LBB26_1454
; %bb.1453:                             ;   in Loop: Header=BB26_1415 Depth=2
	flat_load_dword v14, v[16:17] offset:4 sc0 sc1
	s_waitcnt vmcnt(0) lgkmcnt(0)
	v_ashrrev_i32_e32 v15, 31, v14
	v_lshrrev_b64 v[14:15], 1, v[14:15]
.LBB26_1454:                            ;   in Loop: Header=BB26_1415 Depth=2
	s_or_b64 exec, exec, s[90:91]
	s_orn2_b64 s[24:25], vcc, exec
.LBB26_1455:                            ;   in Loop: Header=BB26_1415 Depth=2
	s_or_b64 exec, exec, s[28:29]
	s_and_saveexec_b64 s[28:29], s[24:25]
; %bb.1456:                             ;   in Loop: Header=BB26_1415 Depth=2
	v_mul_lo_u32 v11, v11, v30
	v_mul_lo_u32 v13, v10, v83
	v_mad_u64_u32 v[14:15], s[24:25], v10, v30, 0
	v_add3_u32 v15, v15, v13, v11
; %bb.1457:                             ;   in Loop: Header=BB26_1415 Depth=2
	s_or_b64 exec, exec, s[28:29]
	v_cmp_eq_u32_e32 vcc, 0, v2
	v_lshl_add_u64 v[10:11], v[14:15], 1, v[66:67]
	s_nop 0
	v_cndmask_b32_e32 v2, v110, v111, vcc
	v_add_u32_e32 v2, v0, v2
	ds_write_b64 v2, v[10:11] offset:584
	v_and_b32_e32 v2, 0x2000, v104
	v_cmp_ne_u32_e32 vcc, 0, v2
	s_and_saveexec_b64 s[24:25], vcc
	s_cbranch_execz .LBB26_1459
; %bb.1458:                             ;   in Loop: Header=BB26_1415 Depth=2
	ds_read_b64 v[10:11], v0 offset:872
	s_waitcnt lgkmcnt(0)
	v_lshl_add_u64 v[10:11], v[10:11], 0, 1
	ds_write_b64 v0, v[10:11] offset:872
.LBB26_1459:                            ;   in Loop: Header=BB26_1415 Depth=2
	s_or_b64 exec, exec, s[24:25]
	v_mov_b64_e32 v[58:59], v[8:9]
.LBB26_1460:                            ;   in Loop: Header=BB26_1415 Depth=2
	s_or_b64 exec, exec, s[26:27]
	s_and_saveexec_b64 s[24:25], s[6:7]
	s_cbranch_execz .LBB26_1506
; %bb.1461:                             ;   in Loop: Header=BB26_1415 Depth=2
	s_and_saveexec_b64 s[26:27], s[58:59]
	s_xor_b64 s[26:27], exec, s[26:27]
	s_cbranch_execz .LBB26_1503
; %bb.1462:                             ;   in Loop: Header=BB26_1415 Depth=2
	s_and_saveexec_b64 s[28:29], s[14:15]
	s_cbranch_execz .LBB26_1502
; %bb.1463:                             ;   in Loop: Header=BB26_1415 Depth=2
	s_mov_b64 s[92:93], exec
	v_mbcnt_lo_u32_b32 v2, s92, 0
	v_mbcnt_hi_u32_b32 v2, s93, v2
	v_cmp_eq_u32_e32 vcc, 0, v2
	s_waitcnt lgkmcnt(0)
	s_and_saveexec_b64 s[90:91], vcc
	s_cbranch_execz .LBB26_1465
; %bb.1464:                             ;   in Loop: Header=BB26_1415 Depth=2
	s_bcnt1_i32_b64 s92, s[92:93]
	v_mov_b32_e32 v2, s92
	ds_add_u64 v0, v[2:3]
	s_trap 2
.LBB26_1465:                            ;   in Loop: Header=BB26_1415 Depth=2
	s_or_b64 exec, exec, s[90:91]
	s_trap 2
	ds_read_b64 v[8:9], v0
	s_waitcnt lgkmcnt(0)
	v_lshl_add_u64 v[70:71], v[70:71], 0, v[84:85]
	v_cmp_lt_u64_e32 vcc, v[8:9], v[70:71]
	s_and_saveexec_b64 s[90:91], vcc
	s_cbranch_execz .LBB26_1501
; %bb.1466:                             ;   in Loop: Header=BB26_1415 Depth=2
	s_mov_b32 s38, 0
	s_mov_b64 s[92:93], 0
                                        ; implicit-def: $sgpr94_sgpr95
                                        ; implicit-def: $sgpr30_sgpr31
	s_branch .LBB26_1468
.LBB26_1467:                            ;   in Loop: Header=BB26_1468 Depth=3
	s_or_b64 exec, exec, s[36:37]
	s_and_b64 vcc, exec, vcc
	s_or_b64 s[92:93], vcc, s[92:93]
	s_andn2_b64 s[94:95], s[94:95], exec
	s_and_b64 vcc, s[30:31], exec
	s_or_b64 s[94:95], s[94:95], vcc
	s_andn2_b64 exec, exec, s[92:93]
	s_cbranch_execz .LBB26_1499
.LBB26_1468:                            ;   Parent Loop BB26_47 Depth=1
                                        ;     Parent Loop BB26_1415 Depth=2
                                        ; =>    This Inner Loop Header: Depth=3
	s_add_i32 s38, s38, 1
	s_cmpk_lg_i32 s38, 0x2710
	s_cselect_b64 s[34:35], -1, 0
	s_and_b64 vcc, exec, s[34:35]
	s_cbranch_vccz .LBB26_1470
; %bb.1469:                             ;   in Loop: Header=BB26_1468 Depth=3
	s_mov_b64 vcc, -1
	s_or_b64 s[30:31], s[30:31], exec
	s_and_saveexec_b64 s[36:37], s[34:35]
	s_cbranch_execz .LBB26_1467
	s_branch .LBB26_1471
.LBB26_1470:                            ;   in Loop: Header=BB26_1468 Depth=3
	s_trap 2
	ds_read_b64 v[8:9], v0
	s_andn2_b64 s[34:35], s[34:35], exec
	s_mov_b32 s38, 0
	s_waitcnt vmcnt(0) lgkmcnt(0)
	flat_load_dword v2, v[8:9] sc0 sc1
	s_waitcnt vmcnt(0) lgkmcnt(0)
	buffer_inv sc0 sc1
	v_cmp_eq_u32_e32 vcc, 0, v2
	s_and_b64 vcc, vcc, exec
	s_or_b64 s[34:35], s[34:35], vcc
	s_mov_b64 vcc, -1
	s_or_b64 s[30:31], s[30:31], exec
	s_and_saveexec_b64 s[36:37], s[34:35]
	s_cbranch_execz .LBB26_1467
.LBB26_1471:                            ;   in Loop: Header=BB26_1468 Depth=3
	s_sleep 1
	s_trap 2
	ds_read_b64 v[8:9], v0
	s_waitcnt lgkmcnt(0)
	s_andn2_b64 s[30:31], s[30:31], exec
	v_cmp_ge_u64_e32 vcc, v[8:9], v[70:71]
	s_orn2_b64 vcc, vcc, exec
	s_branch .LBB26_1467
.LBB26_1472:                            ;   in Loop: Header=BB26_1415 Depth=2
	s_or_b64 exec, exec, s[42:43]
	s_xor_b64 s[24:25], s[90:91], -1
	s_and_saveexec_b64 s[42:43], s[24:25]
	s_xor_b64 s[24:25], exec, s[42:43]
	s_cbranch_execz .LBB26_1474
; %bb.1473:                             ;   in Loop: Header=BB26_1415 Depth=2
	v_or_b32_e32 v104, 64, v104
	s_waitcnt lgkmcnt(0)
	ds_write_b32 v0, v9
	s_trap 2
.LBB26_1474:                            ;   in Loop: Header=BB26_1415 Depth=2
	s_or_b64 exec, exec, s[24:25]
.LBB26_1475:                            ;   in Loop: Header=BB26_1415 Depth=2
	s_or_b64 exec, exec, s[40:41]
	v_and_b32_e32 v9, 0x108, v104
	v_cmp_ne_u32_e32 vcc, s66, v9
	;;#ASMSTART
	s_wakeup
	;;#ASMEND
                                        ; implicit-def: $vgpr12_vgpr13
	s_and_saveexec_b64 s[24:25], vcc
	s_xor_b64 s[24:25], exec, s[24:25]
; %bb.1476:                             ;   in Loop: Header=BB26_1415 Depth=2
	v_and_b32_e32 v12, 7, v58
	v_mov_b32_e32 v13, v3
                                        ; implicit-def: $vgpr58_vgpr59
; %bb.1477:                             ;   in Loop: Header=BB26_1415 Depth=2
	s_andn2_saveexec_b64 s[24:25], s[24:25]
	s_cbranch_execz .LBB26_1479
; %bb.1478:                             ;   in Loop: Header=BB26_1415 Depth=2
	v_and_b32_e32 v12, 7, v58
	v_ashrrev_i32_e32 v9, 31, v8
	v_mov_b32_e32 v13, v3
	v_mad_u64_u32 v[14:15], s[40:41], v12, 24, v[6:7]
	v_lshlrev_b64 v[16:17], 1, v[8:9]
	flat_store_dwordx2 v[14:15], v[16:17] offset:8
.LBB26_1479:                            ;   in Loop: Header=BB26_1415 Depth=2
	s_or_b64 exec, exec, s[24:25]
	v_and_b32_e32 v9, 0x100, v104
	v_cmp_ne_u32_e32 vcc, 0, v9
	s_mov_b64 s[24:25], -1
                                        ; implicit-def: $vgpr14_vgpr15
	s_and_saveexec_b64 s[40:41], vcc
	s_cbranch_execz .LBB26_1483
; %bb.1480:                             ;   in Loop: Header=BB26_1415 Depth=2
	v_mad_u64_u32 v[16:17], s[24:25], v12, 24, v[6:7]
	v_mov_b32_e32 v14, v17
	v_mad_u64_u32 v[14:15], s[24:25], v13, 24, v[14:15]
	v_mov_b32_e32 v17, v14
	flat_load_dword v9, v[16:17]
                                        ; implicit-def: $vgpr14_vgpr15
	s_waitcnt vmcnt(0) lgkmcnt(0)
	v_cmp_ne_u32_e32 vcc, 1, v9
	v_cmp_eq_u32_e64 s[24:25], 1, v9
	s_and_saveexec_b64 s[42:43], s[24:25]
	s_cbranch_execz .LBB26_1482
; %bb.1481:                             ;   in Loop: Header=BB26_1415 Depth=2
	flat_load_dword v14, v[16:17] offset:4 sc0 sc1
	s_waitcnt vmcnt(0) lgkmcnt(0)
	v_ashrrev_i32_e32 v15, 31, v14
	v_lshrrev_b64 v[14:15], 1, v[14:15]
.LBB26_1482:                            ;   in Loop: Header=BB26_1415 Depth=2
	s_or_b64 exec, exec, s[42:43]
	s_orn2_b64 s[24:25], vcc, exec
.LBB26_1483:                            ;   in Loop: Header=BB26_1415 Depth=2
	s_or_b64 exec, exec, s[40:41]
	s_and_saveexec_b64 s[40:41], s[24:25]
; %bb.1484:                             ;   in Loop: Header=BB26_1415 Depth=2
	v_mul_lo_u32 v9, v13, v30
	v_mul_lo_u32 v13, v12, v83
	v_mad_u64_u32 v[14:15], s[24:25], v12, v30, 0
	v_add3_u32 v15, v15, v13, v9
; %bb.1485:                             ;   in Loop: Header=BB26_1415 Depth=2
	s_or_b64 exec, exec, s[40:41]
	v_cmp_eq_u32_e32 vcc, 0, v2
	v_lshl_add_u64 v[12:13], v[14:15], 1, v[66:67]
	s_nop 0
	v_cndmask_b32_e32 v2, v110, v111, vcc
	v_add_u32_e32 v2, v0, v2
	ds_write_b64 v2, v[12:13] offset:584
	v_and_b32_e32 v2, 0x2000, v104
	v_cmp_ne_u32_e32 vcc, 0, v2
	s_and_saveexec_b64 s[24:25], vcc
	s_cbranch_execz .LBB26_1487
; %bb.1486:                             ;   in Loop: Header=BB26_1415 Depth=2
	ds_read_b64 v[12:13], v0 offset:872
	s_waitcnt lgkmcnt(0)
	v_lshl_add_u64 v[12:13], v[12:13], 0, 1
	ds_write_b64 v0, v[12:13] offset:872
.LBB26_1487:                            ;   in Loop: Header=BB26_1415 Depth=2
	s_or_b64 exec, exec, s[24:25]
	v_mov_b64_e32 v[58:59], v[10:11]
	s_or_b64 exec, exec, s[28:29]
	s_and_saveexec_b64 s[24:25], s[6:7]
	s_cbranch_execz .LBB26_1440
.LBB26_1488:                            ;   in Loop: Header=BB26_1415 Depth=2
	s_and_saveexec_b64 s[28:29], s[58:59]
	s_xor_b64 s[28:29], exec, s[28:29]
	s_cbranch_execz .LBB26_1522
; %bb.1489:                             ;   in Loop: Header=BB26_1415 Depth=2
	s_and_saveexec_b64 s[40:41], s[14:15]
	s_cbranch_execz .LBB26_1521
; %bb.1490:                             ;   in Loop: Header=BB26_1415 Depth=2
	s_mov_b64 s[90:91], exec
	v_mbcnt_lo_u32_b32 v2, s90, 0
	v_mbcnt_hi_u32_b32 v2, s91, v2
	v_cmp_eq_u32_e32 vcc, 0, v2
	s_waitcnt lgkmcnt(0)
	s_and_saveexec_b64 s[42:43], vcc
	s_cbranch_execz .LBB26_1492
; %bb.1491:                             ;   in Loop: Header=BB26_1415 Depth=2
	s_bcnt1_i32_b64 s90, s[90:91]
	v_mov_b32_e32 v2, s90
	ds_add_u64 v0, v[2:3]
	s_trap 2
.LBB26_1492:                            ;   in Loop: Header=BB26_1415 Depth=2
	s_or_b64 exec, exec, s[42:43]
	s_trap 2
	ds_read_b64 v[10:11], v0
	s_waitcnt lgkmcnt(0)
	v_lshl_add_u64 v[70:71], v[70:71], 0, v[84:85]
	v_cmp_lt_u64_e32 vcc, v[10:11], v[70:71]
	s_and_saveexec_b64 s[42:43], vcc
	s_cbranch_execz .LBB26_1520
; %bb.1493:                             ;   in Loop: Header=BB26_1415 Depth=2
	s_mov_b32 s36, 0
	s_mov_b64 s[90:91], 0
                                        ; implicit-def: $sgpr92_sgpr93
                                        ; implicit-def: $sgpr94_sgpr95
	s_branch .LBB26_1495
.LBB26_1494:                            ;   in Loop: Header=BB26_1495 Depth=3
	s_or_b64 exec, exec, s[34:35]
	s_and_b64 vcc, exec, vcc
	s_or_b64 s[90:91], vcc, s[90:91]
	s_andn2_b64 s[92:93], s[92:93], exec
	s_and_b64 vcc, s[94:95], exec
	s_or_b64 s[92:93], s[92:93], vcc
	s_andn2_b64 exec, exec, s[90:91]
	s_cbranch_execz .LBB26_1518
.LBB26_1495:                            ;   Parent Loop BB26_47 Depth=1
                                        ;     Parent Loop BB26_1415 Depth=2
                                        ; =>    This Inner Loop Header: Depth=3
	s_add_i32 s36, s36, 1
	s_cmpk_lg_i32 s36, 0x2710
	s_cselect_b64 s[30:31], -1, 0
	s_and_b64 vcc, exec, s[30:31]
	s_cbranch_vccz .LBB26_1497
; %bb.1496:                             ;   in Loop: Header=BB26_1495 Depth=3
	s_mov_b64 vcc, -1
	s_or_b64 s[94:95], s[94:95], exec
	s_and_saveexec_b64 s[34:35], s[30:31]
	s_cbranch_execz .LBB26_1494
	s_branch .LBB26_1498
.LBB26_1497:                            ;   in Loop: Header=BB26_1495 Depth=3
	s_trap 2
	ds_read_b64 v[10:11], v0
	s_andn2_b64 s[30:31], s[30:31], exec
	s_mov_b32 s36, 0
	s_waitcnt vmcnt(0) lgkmcnt(0)
	flat_load_dword v2, v[10:11] sc0 sc1
	s_waitcnt vmcnt(0) lgkmcnt(0)
	buffer_inv sc0 sc1
	v_cmp_eq_u32_e32 vcc, 0, v2
	s_and_b64 vcc, vcc, exec
	s_or_b64 s[30:31], s[30:31], vcc
	s_mov_b64 vcc, -1
	s_or_b64 s[94:95], s[94:95], exec
	s_and_saveexec_b64 s[34:35], s[30:31]
	s_cbranch_execz .LBB26_1494
.LBB26_1498:                            ;   in Loop: Header=BB26_1495 Depth=3
	s_sleep 1
	s_trap 2
	ds_read_b64 v[10:11], v0
	s_waitcnt lgkmcnt(0)
	s_andn2_b64 s[94:95], s[94:95], exec
	v_cmp_ge_u64_e32 vcc, v[10:11], v[70:71]
	s_orn2_b64 vcc, vcc, exec
	s_branch .LBB26_1494
.LBB26_1499:                            ;   in Loop: Header=BB26_1415 Depth=2
	s_or_b64 exec, exec, s[92:93]
	s_and_saveexec_b64 s[92:93], s[94:95]
	s_xor_b64 s[92:93], exec, s[92:93]
	s_cbranch_execz .LBB26_1501
; %bb.1500:                             ;   in Loop: Header=BB26_1415 Depth=2
	ds_write_b32 v0, v107
	s_trap 2
.LBB26_1501:                            ;   in Loop: Header=BB26_1415 Depth=2
	s_or_b64 exec, exec, s[90:91]
	;;#ASMSTART
	s_wakeup
	;;#ASMEND
.LBB26_1502:                            ;   in Loop: Header=BB26_1415 Depth=2
	s_or_b64 exec, exec, s[28:29]
.LBB26_1503:                            ;   in Loop: Header=BB26_1415 Depth=2
	s_andn2_saveexec_b64 s[26:27], s[26:27]
	s_cbranch_execz .LBB26_1505
; %bb.1504:                             ;   in Loop: Header=BB26_1415 Depth=2
	s_waitcnt lgkmcnt(0)
	s_barrier
.LBB26_1505:                            ;   in Loop: Header=BB26_1415 Depth=2
	s_or_b64 exec, exec, s[26:27]
.LBB26_1506:                            ;   in Loop: Header=BB26_1415 Depth=2
	s_or_b64 exec, exec, s[24:25]
	s_trap 2
	ds_read_b32 v8, v0
	v_and_b32_e32 v2, 0x4000, v104
	v_cmp_ne_u32_e32 vcc, 0, v2
	s_xor_b64 s[24:25], s[4:5], -1
	s_and_b64 s[26:27], s[24:25], vcc
	s_and_saveexec_b64 s[24:25], s[26:27]
	s_cbranch_execz .LBB26_1544
; %bb.1507:                             ;   in Loop: Header=BB26_1415 Depth=2
	s_and_saveexec_b64 s[26:27], s[58:59]
	s_xor_b64 s[26:27], exec, s[26:27]
	s_cbranch_execz .LBB26_1541
; %bb.1508:                             ;   in Loop: Header=BB26_1415 Depth=2
	s_and_saveexec_b64 s[28:29], s[14:15]
	s_cbranch_execz .LBB26_1540
; %bb.1509:                             ;   in Loop: Header=BB26_1415 Depth=2
	s_mov_b64 s[92:93], exec
	v_mbcnt_lo_u32_b32 v2, s92, 0
	v_mbcnt_hi_u32_b32 v2, s93, v2
	v_cmp_eq_u32_e32 vcc, 0, v2
	s_waitcnt lgkmcnt(0)
	s_and_saveexec_b64 s[90:91], vcc
	s_cbranch_execz .LBB26_1511
; %bb.1510:                             ;   in Loop: Header=BB26_1415 Depth=2
	s_bcnt1_i32_b64 s92, s[92:93]
	v_mov_b32_e32 v2, s92
	ds_add_u64 v0, v[2:3]
	s_trap 2
.LBB26_1511:                            ;   in Loop: Header=BB26_1415 Depth=2
	s_or_b64 exec, exec, s[90:91]
	s_trap 2
	ds_read_b64 v[10:11], v0
	s_waitcnt lgkmcnt(0)
	v_lshl_add_u64 v[70:71], v[70:71], 0, v[84:85]
	v_cmp_lt_u64_e32 vcc, v[10:11], v[70:71]
	s_and_saveexec_b64 s[90:91], vcc
	s_cbranch_execz .LBB26_1539
; %bb.1512:                             ;   in Loop: Header=BB26_1415 Depth=2
	s_mov_b32 s38, 0
	s_mov_b64 s[92:93], 0
                                        ; implicit-def: $sgpr94_sgpr95
                                        ; implicit-def: $sgpr30_sgpr31
	s_branch .LBB26_1514
.LBB26_1513:                            ;   in Loop: Header=BB26_1514 Depth=3
	s_or_b64 exec, exec, s[36:37]
	s_and_b64 vcc, exec, vcc
	s_or_b64 s[92:93], vcc, s[92:93]
	s_andn2_b64 s[94:95], s[94:95], exec
	s_and_b64 vcc, s[30:31], exec
	s_or_b64 s[94:95], s[94:95], vcc
	s_andn2_b64 exec, exec, s[92:93]
	s_cbranch_execz .LBB26_1537
.LBB26_1514:                            ;   Parent Loop BB26_47 Depth=1
                                        ;     Parent Loop BB26_1415 Depth=2
                                        ; =>    This Inner Loop Header: Depth=3
	s_add_i32 s38, s38, 1
	s_cmpk_lg_i32 s38, 0x2710
	s_cselect_b64 s[34:35], -1, 0
	s_and_b64 vcc, exec, s[34:35]
	s_cbranch_vccz .LBB26_1516
; %bb.1515:                             ;   in Loop: Header=BB26_1514 Depth=3
	s_mov_b64 vcc, -1
	s_or_b64 s[30:31], s[30:31], exec
	s_and_saveexec_b64 s[36:37], s[34:35]
	s_cbranch_execz .LBB26_1513
	s_branch .LBB26_1517
.LBB26_1516:                            ;   in Loop: Header=BB26_1514 Depth=3
	s_trap 2
	ds_read_b64 v[10:11], v0
	s_andn2_b64 s[34:35], s[34:35], exec
	s_mov_b32 s38, 0
	s_waitcnt vmcnt(0) lgkmcnt(0)
	flat_load_dword v2, v[10:11] sc0 sc1
	s_waitcnt vmcnt(0) lgkmcnt(0)
	buffer_inv sc0 sc1
	v_cmp_eq_u32_e32 vcc, 0, v2
	s_and_b64 vcc, vcc, exec
	s_or_b64 s[34:35], s[34:35], vcc
	s_mov_b64 vcc, -1
	s_or_b64 s[30:31], s[30:31], exec
	s_and_saveexec_b64 s[36:37], s[34:35]
	s_cbranch_execz .LBB26_1513
.LBB26_1517:                            ;   in Loop: Header=BB26_1514 Depth=3
	s_sleep 1
	s_trap 2
	ds_read_b64 v[10:11], v0
	s_waitcnt lgkmcnt(0)
	s_andn2_b64 s[30:31], s[30:31], exec
	v_cmp_ge_u64_e32 vcc, v[10:11], v[70:71]
	s_orn2_b64 vcc, vcc, exec
	s_branch .LBB26_1513
.LBB26_1518:                            ;   in Loop: Header=BB26_1415 Depth=2
	s_or_b64 exec, exec, s[90:91]
	s_and_saveexec_b64 s[90:91], s[92:93]
	s_xor_b64 s[90:91], exec, s[90:91]
	s_cbranch_execz .LBB26_1520
; %bb.1519:                             ;   in Loop: Header=BB26_1415 Depth=2
	ds_write_b32 v0, v107
	s_trap 2
.LBB26_1520:                            ;   in Loop: Header=BB26_1415 Depth=2
	s_or_b64 exec, exec, s[42:43]
	;;#ASMSTART
	s_wakeup
	;;#ASMEND
.LBB26_1521:                            ;   in Loop: Header=BB26_1415 Depth=2
	s_or_b64 exec, exec, s[40:41]
.LBB26_1522:                            ;   in Loop: Header=BB26_1415 Depth=2
	s_andn2_saveexec_b64 s[28:29], s[28:29]
	s_cbranch_execz .LBB26_1524
; %bb.1523:                             ;   in Loop: Header=BB26_1415 Depth=2
	s_waitcnt lgkmcnt(0)
	s_barrier
.LBB26_1524:                            ;   in Loop: Header=BB26_1415 Depth=2
	s_or_b64 exec, exec, s[28:29]
	s_or_b64 exec, exec, s[24:25]
                                        ; implicit-def: $vgpr2
	s_and_saveexec_b64 s[24:25], s[22:23]
	s_xor_b64 s[24:25], exec, s[24:25]
	s_cbranch_execnz .LBB26_1441
.LBB26_1525:                            ;   in Loop: Header=BB26_1415 Depth=2
	s_andn2_saveexec_b64 s[24:25], s[24:25]
	s_cbranch_execz .LBB26_1628
.LBB26_1526:                            ;   in Loop: Header=BB26_1415 Depth=2
	s_and_saveexec_b64 s[28:29], s[58:59]
	s_xor_b64 s[28:29], exec, s[28:29]
	s_cbranch_execz .LBB26_1625
; %bb.1527:                             ;   in Loop: Header=BB26_1415 Depth=2
	s_and_saveexec_b64 s[40:41], s[14:15]
	s_cbranch_execz .LBB26_1624
; %bb.1528:                             ;   in Loop: Header=BB26_1415 Depth=2
	s_mov_b64 s[90:91], exec
	v_mbcnt_lo_u32_b32 v2, s90, 0
	v_mbcnt_hi_u32_b32 v2, s91, v2
	v_cmp_eq_u32_e32 vcc, 0, v2
	;;#ASMSTART
	s_waitcnt lgkmcnt(0) vmcnt(0)
	;;#ASMEND
	s_and_saveexec_b64 s[42:43], vcc
	s_cbranch_execz .LBB26_1530
; %bb.1529:                             ;   in Loop: Header=BB26_1415 Depth=2
	s_bcnt1_i32_b64 s90, s[90:91]
	v_mov_b32_e32 v2, s90
	s_waitcnt lgkmcnt(0)
	ds_add_u64 v0, v[2:3]
	s_trap 2
.LBB26_1530:                            ;   in Loop: Header=BB26_1415 Depth=2
	s_or_b64 exec, exec, s[42:43]
	s_trap 2
	ds_read_b64 v[8:9], v0
	s_waitcnt lgkmcnt(0)
	v_lshl_add_u64 v[70:71], v[70:71], 0, v[84:85]
	v_cmp_lt_u64_e32 vcc, v[8:9], v[70:71]
	s_and_saveexec_b64 s[42:43], vcc
	s_cbranch_execz .LBB26_1623
; %bb.1531:                             ;   in Loop: Header=BB26_1415 Depth=2
	s_mov_b32 s36, 0
	s_mov_b64 s[90:91], 0
                                        ; implicit-def: $sgpr92_sgpr93
                                        ; implicit-def: $sgpr94_sgpr95
	s_branch .LBB26_1533
.LBB26_1532:                            ;   in Loop: Header=BB26_1533 Depth=3
	s_or_b64 exec, exec, s[34:35]
	s_and_b64 vcc, exec, vcc
	s_or_b64 s[90:91], vcc, s[90:91]
	s_andn2_b64 s[92:93], s[92:93], exec
	s_and_b64 vcc, s[94:95], exec
	s_or_b64 s[92:93], s[92:93], vcc
	s_andn2_b64 exec, exec, s[90:91]
	s_cbranch_execz .LBB26_1621
.LBB26_1533:                            ;   Parent Loop BB26_47 Depth=1
                                        ;     Parent Loop BB26_1415 Depth=2
                                        ; =>    This Inner Loop Header: Depth=3
	s_add_i32 s36, s36, 1
	s_cmpk_lg_i32 s36, 0x2710
	s_cselect_b64 s[30:31], -1, 0
	s_and_b64 vcc, exec, s[30:31]
	s_cbranch_vccz .LBB26_1535
; %bb.1534:                             ;   in Loop: Header=BB26_1533 Depth=3
	s_mov_b64 vcc, -1
	s_or_b64 s[94:95], s[94:95], exec
	s_and_saveexec_b64 s[34:35], s[30:31]
	s_cbranch_execz .LBB26_1532
	s_branch .LBB26_1536
.LBB26_1535:                            ;   in Loop: Header=BB26_1533 Depth=3
	s_trap 2
	ds_read_b64 v[8:9], v0
	s_andn2_b64 s[30:31], s[30:31], exec
	s_mov_b32 s36, 0
	s_waitcnt vmcnt(0) lgkmcnt(0)
	flat_load_dword v2, v[8:9] sc0 sc1
	s_waitcnt vmcnt(0) lgkmcnt(0)
	buffer_inv sc0 sc1
	v_cmp_eq_u32_e32 vcc, 0, v2
	s_and_b64 vcc, vcc, exec
	s_or_b64 s[30:31], s[30:31], vcc
	s_mov_b64 vcc, -1
	s_or_b64 s[94:95], s[94:95], exec
	s_and_saveexec_b64 s[34:35], s[30:31]
	s_cbranch_execz .LBB26_1532
.LBB26_1536:                            ;   in Loop: Header=BB26_1533 Depth=3
	s_sleep 1
	s_trap 2
	ds_read_b64 v[8:9], v0
	s_waitcnt lgkmcnt(0)
	s_andn2_b64 s[94:95], s[94:95], exec
	v_cmp_ge_u64_e32 vcc, v[8:9], v[70:71]
	s_orn2_b64 vcc, vcc, exec
	s_branch .LBB26_1532
.LBB26_1537:                            ;   in Loop: Header=BB26_1415 Depth=2
	s_or_b64 exec, exec, s[92:93]
	s_and_saveexec_b64 s[92:93], s[94:95]
	s_xor_b64 s[92:93], exec, s[92:93]
	s_cbranch_execz .LBB26_1539
; %bb.1538:                             ;   in Loop: Header=BB26_1415 Depth=2
	ds_write_b32 v0, v107
	s_trap 2
.LBB26_1539:                            ;   in Loop: Header=BB26_1415 Depth=2
	s_or_b64 exec, exec, s[90:91]
	;;#ASMSTART
	s_wakeup
	;;#ASMEND
.LBB26_1540:                            ;   in Loop: Header=BB26_1415 Depth=2
	s_or_b64 exec, exec, s[28:29]
.LBB26_1541:                            ;   in Loop: Header=BB26_1415 Depth=2
	s_andn2_saveexec_b64 s[26:27], s[26:27]
	s_cbranch_execz .LBB26_1543
; %bb.1542:                             ;   in Loop: Header=BB26_1415 Depth=2
	s_waitcnt lgkmcnt(0)
	s_barrier
.LBB26_1543:                            ;   in Loop: Header=BB26_1415 Depth=2
	s_or_b64 exec, exec, s[26:27]
.LBB26_1544:                            ;   in Loop: Header=BB26_1415 Depth=2
	s_or_b64 exec, exec, s[24:25]
	s_trap 2
	ds_read_b64 v[14:15], v0
	s_waitcnt lgkmcnt(0)
	v_cmp_eq_u64_e32 vcc, 0, v[14:15]
	s_cbranch_vccnz .LBB26_1553
; %bb.1545:                             ;   in Loop: Header=BB26_1415 Depth=2
	s_trap 2
	ds_read_b64 v[16:17], v0
	s_waitcnt lgkmcnt(0)
	v_cmp_eq_u64_e32 vcc, 0, v[16:17]
	s_cbranch_vccnz .LBB26_1553
; %bb.1546:                             ;   in Loop: Header=BB26_1415 Depth=2
	s_trap 2
	ds_read_b64 v[18:19], v0
	v_cmp_eq_u32_e32 vcc, 0, v8
	s_nop 1
	v_cndmask_b32_e32 v2, 0, v12, vcc
	s_waitcnt lgkmcnt(0)
	v_cmp_ne_u64_e32 vcc, 0, v[18:19]
	v_lshlrev_b32_e32 v13, 1, v2
	s_cbranch_vccz .LBB26_1558
; %bb.1547:                             ;   in Loop: Header=BB26_1415 Depth=2
	s_mov_b64 s[26:27], -1
	s_and_saveexec_b64 s[24:25], s[18:19]
	s_cbranch_execz .LBB26_1549
; %bb.1548:                             ;   in Loop: Header=BB26_1415 Depth=2
	ds_read_b32 v8, v0 offset:720
	s_waitcnt lgkmcnt(0)
	v_and_b32_e32 v8, 15, v8
	v_cmp_eq_u32_e32 vcc, 0, v8
	s_orn2_b64 s[26:27], vcc, exec
.LBB26_1549:                            ;   in Loop: Header=BB26_1415 Depth=2
	s_or_b64 exec, exec, s[24:25]
	s_and_saveexec_b64 s[24:25], s[20:21]
	s_cbranch_execz .LBB26_1551
; %bb.1550:                             ;   in Loop: Header=BB26_1415 Depth=2
	ds_read_b32 v8, v0 offset:784
	s_waitcnt lgkmcnt(0)
	v_and_b32_e32 v8, 15, v8
	v_cmp_eq_u32_e32 vcc, 0, v8
	s_and_b64 s[28:29], s[26:27], vcc
	s_andn2_b64 s[26:27], s[26:27], exec
	s_and_b64 s[28:29], s[28:29], exec
	s_or_b64 s[26:27], s[26:27], s[28:29]
.LBB26_1551:                            ;   in Loop: Header=BB26_1415 Depth=2
	s_or_b64 exec, exec, s[24:25]
	s_xor_b64 s[26:27], s[26:27], -1
	v_cndmask_b32_e64 v8, 0, 1, s[26:27]
	s_mov_b64 s[24:25], -1
	v_mov_b32_e32 v22, 0
	v_cmp_ne_u32_e32 vcc, 0, v8
	v_mov_b32_e32 v23, v13
	v_mov_b32_e32 v24, v0
	s_cbranch_vccz .LBB26_1560
; %bb.1552:                             ;   in Loop: Header=BB26_1415 Depth=2
	s_and_saveexec_b64 s[28:29], s[24:25]
	s_cbranch_execnz .LBB26_1573
	s_branch .LBB26_1583
.LBB26_1553:                            ;   in Loop: Header=BB26_1415 Depth=2
	s_mov_b64 s[24:25], 0
	s_and_saveexec_b64 s[26:27], s[6:7]
	s_cbranch_execnz .LBB26_1610
.LBB26_1554:                            ;   in Loop: Header=BB26_1415 Depth=2
	s_or_b64 exec, exec, s[26:27]
                                        ; implicit-def: $vgpr2
	s_and_saveexec_b64 s[26:27], s[22:23]
	s_xor_b64 s[26:27], exec, s[26:27]
	s_cbranch_execz .LBB26_1640
.LBB26_1555:                            ;   in Loop: Header=BB26_1415 Depth=2
	v_and_b32_e32 v8, 16, v104
	v_cmp_ne_u32_e32 vcc, 0, v8
	v_and_b32_e32 v2, 16, v104
	s_and_b64 s[28:29], vcc, s[24:25]
	s_and_saveexec_b64 s[24:25], s[28:29]
	s_cbranch_execz .LBB26_1557
; %bb.1556:                             ;   in Loop: Header=BB26_1415 Depth=2
	v_mov_b32_e32 v2, 1
	buffer_wbl2 sc1
	s_waitcnt vmcnt(0) lgkmcnt(0)
	buffer_inv sc1
.LBB26_1557:                            ;   in Loop: Header=BB26_1415 Depth=2
	s_or_b64 exec, exec, s[24:25]
	s_andn2_saveexec_b64 s[24:25], s[26:27]
	s_cbranch_execz .LBB26_1659
	s_branch .LBB26_1641
.LBB26_1558:                            ;   in Loop: Header=BB26_1415 Depth=2
	s_cbranch_execnz .LBB26_1584
.LBB26_1559:                            ;   in Loop: Header=BB26_1415 Depth=2
	v_cmp_lt_i32_e64 s[24:25], 0, v2
	s_and_saveexec_b64 s[26:27], s[6:7]
	s_cbranch_execnz .LBB26_1610
	s_branch .LBB26_1554
.LBB26_1560:                            ;   in Loop: Header=BB26_1415 Depth=2
	v_ashrrev_i32_e32 v8, 31, v13
	v_lshrrev_b32_e32 v8, 20, v8
	v_add_u32_e32 v8, v13, v8
	v_ashrrev_i32_e32 v22, 12, v8
	v_sub_u32_e32 v25, v22, v106
	v_cmp_lt_i32_e32 vcc, 0, v25
	s_and_saveexec_b64 s[24:25], vcc
	s_cbranch_execz .LBB26_1564
; %bb.1561:                             ;   in Loop: Header=BB26_1415 Depth=2
	v_lshl_add_u64 v[8:9], v[14:15], 0, v[114:115]
	v_lshl_add_u64 v[10:11], v[16:17], 0, v[114:115]
	;; [unrolled: 1-line block ×3, first 2 shown]
	s_mov_b64 s[26:27], 0
.LBB26_1562:                            ;   Parent Loop BB26_47 Depth=1
                                        ;     Parent Loop BB26_1415 Depth=2
                                        ; =>    This Inner Loop Header: Depth=3
	global_load_dwordx4 v[32:35], v[8:9], off nt
	global_load_dwordx4 v[36:39], v[8:9], off offset:1024 nt
	global_load_dwordx4 v[48:51], v[8:9], off offset:2048 nt
	;; [unrolled: 1-line block ×3, first 2 shown]
	v_sub_u32_e32 v25, v25, v84
	v_cmp_gt_i32_e32 vcc, 1, v25
	v_lshl_add_u64 v[8:9], v[8:9], 0, v[116:117]
	s_or_b64 s[26:27], vcc, s[26:27]
	s_waitcnt vmcnt(0)
	global_store_dwordx4 v[10:11], v[32:35], off
	global_store_dwordx4 v[10:11], v[36:39], off offset:1024
	global_store_dwordx4 v[10:11], v[48:51], off offset:2048
	;; [unrolled: 1-line block ×3, first 2 shown]
	global_store_dwordx4 v[20:21], v[32:35], off
	global_store_dwordx4 v[20:21], v[36:39], off offset:1024
	global_store_dwordx4 v[20:21], v[48:51], off offset:2048
	global_store_dwordx4 v[20:21], v[72:75], off offset:3072
	v_lshl_add_u64 v[10:11], v[10:11], 0, v[116:117]
	v_lshl_add_u64 v[20:21], v[20:21], 0, v[116:117]
	s_andn2_b64 exec, exec, s[26:27]
	s_cbranch_execnz .LBB26_1562
; %bb.1563:                             ;   in Loop: Header=BB26_1415 Depth=2
	s_or_b64 exec, exec, s[26:27]
.LBB26_1564:                            ;   in Loop: Header=BB26_1415 Depth=2
	s_or_b64 exec, exec, s[24:25]
	v_lshlrev_b32_e32 v27, 12, v22
	v_cmp_ne_u32_e32 vcc, v13, v27
	s_mov_b64 s[24:25], 0
	v_mov_b32_e32 v22, 0
                                        ; implicit-def: $vgpr23
                                        ; implicit-def: $vgpr24
	s_and_saveexec_b64 s[90:91], vcc
	s_cbranch_execz .LBB26_1572
; %bb.1565:                             ;   in Loop: Header=BB26_1415 Depth=2
	v_lshlrev_b32_e32 v8, 6, v25
	v_sub_u32_e32 v8, v105, v8
	v_ashrrev_i32_e32 v10, 31, v8
	v_lshrrev_b32_e32 v10, 26, v10
	v_add_u32_e32 v10, v8, v10
	v_sub_u32_e32 v9, v13, v27
	v_ashrrev_i32_e32 v11, 6, v10
	v_and_b32_e32 v10, 0xffffffc0, v10
	v_sub_u32_e32 v32, v8, v10
	v_ashrrev_i32_e32 v10, 31, v9
	v_lshrrev_b32_e32 v10, 22, v10
	v_add_u32_e32 v10, v9, v10
	v_and_b32_e32 v33, 0xfffffc00, v10
	v_lshlrev_b32_e32 v8, 4, v32
	v_sub_u32_e32 v34, v9, v33
	v_lshl_add_u32 v8, v11, 10, v8
	v_ashrrev_i32_e32 v20, 10, v10
	v_cmp_lt_i32_e64 s[24:25], 15, v34
	v_sub_u32_e32 v36, v9, v8
	s_nop 0
	v_addc_co_u32_e64 v9, vcc, 0, v20, s[24:25]
	v_sub_u32_e32 v35, v9, v11
	v_cmp_lt_i32_e32 vcc, 15, v36
	s_and_saveexec_b64 s[92:93], vcc
	s_cbranch_execz .LBB26_1571
; %bb.1566:                             ;   in Loop: Header=BB26_1415 Depth=2
	v_add_u32_e32 v8, v8, v27
	v_ashrrev_i32_e32 v9, 31, v8
	v_lshl_add_u64 v[20:21], v[8:9], 0, v[14:15]
	v_lshl_add_u64 v[22:23], v[8:9], 0, v[16:17]
	;; [unrolled: 1-line block ×3, first 2 shown]
	s_mov_b64 s[94:95], 0
.LBB26_1567:                            ;   Parent Loop BB26_47 Depth=1
                                        ;     Parent Loop BB26_1415 Depth=2
                                        ; =>    This Loop Header: Depth=3
                                        ;         Child Loop BB26_1568 Depth 4
	global_load_dwordx4 v[8:11], v[20:21], off nt
	s_mov_b64 s[30:31], -1
	s_mov_b64 s[34:35], 0
	s_waitcnt vmcnt(0)
.LBB26_1568:                            ;   Parent Loop BB26_47 Depth=1
                                        ;     Parent Loop BB26_1415 Depth=2
                                        ;       Parent Loop BB26_1567 Depth=3
                                        ; =>      This Inner Loop Header: Depth=4
	s_cmp_eq_u32 s34, 1
	s_cselect_b64 vcc, -1, 0
	v_cndmask_b32_e32 v39, v23, v25, vcc
	s_cmp_eq_u32 s34, 0
	v_cndmask_b32_e32 v38, v22, v24, vcc
	global_store_dwordx4 v[38:39], v[8:11], off
	v_lshl_add_u64 v[38:39], v[38:39], 0, s[62:63]
	s_cselect_b64 s[26:27], -1, 0
	s_and_b64 s[28:29], exec, s[30:31]
	s_mov_b64 s[34:35], 1
	s_mov_b64 s[30:31], 0
	v_cndmask_b32_e32 v25, v25, v39, vcc
	v_cndmask_b32_e32 v24, v24, v38, vcc
	v_cndmask_b32_e64 v23, v23, v39, s[26:27]
	v_cndmask_b32_e64 v22, v22, v38, s[26:27]
	s_mov_b64 vcc, s[28:29]
	s_cbranch_vccnz .LBB26_1568
; %bb.1569:                             ;   in Loop: Header=BB26_1567 Depth=3
	v_sub_u32_e32 v36, v36, v100
	v_cmp_gt_i32_e32 vcc, 16, v36
	v_lshl_add_u64 v[22:23], v[22:23], 0, v[40:41]
	v_lshl_add_u64 v[24:25], v[24:25], 0, v[40:41]
	;; [unrolled: 1-line block ×3, first 2 shown]
	s_or_b64 s[94:95], vcc, s[94:95]
	v_sub_u32_e32 v35, v35, v84
	s_andn2_b64 exec, exec, s[94:95]
	s_cbranch_execnz .LBB26_1567
; %bb.1570:                             ;   in Loop: Header=BB26_1415 Depth=2
	s_or_b64 exec, exec, s[94:95]
.LBB26_1571:                            ;   in Loop: Header=BB26_1415 Depth=2
	s_or_b64 exec, exec, s[92:93]
	v_and_b32_e32 v8, 14, v13
	v_cmp_lt_i32_e32 vcc, 0, v35
	v_sub_u32_e32 v9, v34, v8
	v_cndmask_b32_e64 v23, v34, v8, s[24:25]
	v_cndmask_b32_e32 v8, 0, v84, vcc
	v_cndmask_b32_e64 v9, 0, v9, s[24:25]
	v_sub_u32_e32 v8, v8, v35
	v_cmp_ne_u32_e32 vcc, 0, v23
	v_add3_u32 v22, v33, v27, v9
	v_lshl_add_u32 v24, v8, 6, v32
	s_and_b64 s[24:25], vcc, exec
.LBB26_1572:                            ;   in Loop: Header=BB26_1415 Depth=2
	s_or_b64 exec, exec, s[90:91]
	s_and_saveexec_b64 s[28:29], s[24:25]
	s_cbranch_execz .LBB26_1583
.LBB26_1573:                            ;   in Loop: Header=BB26_1415 Depth=2
	v_ashrrev_i32_e32 v8, 31, v24
	v_ashrrev_i32_e32 v9, 31, v23
	v_lshrrev_b32_e32 v8, 26, v8
	v_lshrrev_b32_e32 v9, 21, v9
	v_add_u32_e32 v8, v24, v8
	v_add_u32_e32 v9, v23, v9
	v_ashrrev_i32_e32 v25, 6, v8
	v_ashrrev_i32_e32 v32, 11, v9
	v_sub_u32_e32 v27, v32, v25
	v_cmp_lt_i32_e32 vcc, 0, v27
	s_and_saveexec_b64 s[24:25], vcc
	s_cbranch_execz .LBB26_1577
; %bb.1574:                             ;   in Loop: Header=BB26_1415 Depth=2
	v_and_b32_e32 v8, 0x7fffffc0, v8
	v_sub_u32_e32 v8, v24, v8
	v_lshlrev_b32_e32 v8, 1, v8
	v_lshlrev_b32_e32 v9, 11, v25
	v_add3_u32 v20, v8, v22, v9
	v_ashrrev_i32_e32 v21, 31, v20
	v_lshl_add_u64 v[34:35], v[14:15], 0, s[88:89]
	v_lshl_add_u64 v[8:9], v[20:21], 0, v[16:17]
	;; [unrolled: 1-line block ×4, first 2 shown]
	s_mov_b64 s[26:27], 0
.LBB26_1575:                            ;   Parent Loop BB26_47 Depth=1
                                        ;     Parent Loop BB26_1415 Depth=2
                                        ; =>    This Inner Loop Header: Depth=3
	v_add_co_u32_e32 v34, vcc, 0xfffff880, v20
	flat_load_ushort v33, v[20:21] nt
	s_nop 0
	v_addc_co_u32_e32 v35, vcc, -1, v21, vcc
	v_add_co_u32_e32 v36, vcc, 0xfffff900, v20
	flat_load_ushort v38, v[34:35] nt
	s_nop 0
	v_addc_co_u32_e32 v37, vcc, -1, v21, vcc
	;; [unrolled: 4-line block ×15, first 2 shown]
	flat_load_ushort v34, v[34:35] nt
	v_sub_u32_e32 v27, v27, v84
	v_cmp_gt_i32_e32 vcc, 1, v27
	s_or_b64 s[26:27], vcc, s[26:27]
	v_lshl_add_u64 v[20:21], v[20:21], 0, v[102:103]
	s_waitcnt vmcnt(0) lgkmcnt(0)
	flat_store_short v[8:9], v33 offset:1920 nt
	flat_store_short v[8:9], v38 nt
	flat_store_short v[8:9], v39 offset:128 nt
	flat_store_short v[8:9], v48 offset:256 nt
	;; [unrolled: 1-line block ×14, first 2 shown]
	flat_store_short v[10:11], v38 nt
	flat_store_short v[10:11], v39 offset:128 nt
	flat_store_short v[10:11], v48 offset:256 nt
	;; [unrolled: 1-line block ×15, first 2 shown]
	v_lshl_add_u64 v[8:9], v[8:9], 0, v[102:103]
	v_lshl_add_u64 v[10:11], v[10:11], 0, v[102:103]
	s_andn2_b64 exec, exec, s[26:27]
	s_cbranch_execnz .LBB26_1575
; %bb.1576:                             ;   in Loop: Header=BB26_1415 Depth=2
	s_or_b64 exec, exec, s[26:27]
.LBB26_1577:                            ;   in Loop: Header=BB26_1415 Depth=2
	s_or_b64 exec, exec, s[24:25]
	v_lshlrev_b32_e32 v8, 11, v32
	v_cmp_ne_u32_e32 vcc, v23, v8
	s_and_b64 exec, exec, vcc
	s_cbranch_execz .LBB26_1583
; %bb.1578:                             ;   in Loop: Header=BB26_1415 Depth=2
	v_lshlrev_b32_e32 v9, 6, v25
	v_sub_u32_e32 v9, v24, v9
	v_lshlrev_b32_e32 v10, 6, v27
	v_sub_u32_e32 v9, v9, v10
	v_ashrrev_i32_e32 v10, 31, v9
	v_lshrrev_b32_e32 v10, 26, v10
	v_add_u32_e32 v10, v9, v10
	v_and_b32_e32 v11, 0x7fffffc0, v10
	v_sub_u32_e32 v9, v9, v11
	v_lshlrev_b32_e32 v10, 1, v10
	v_and_b32_e32 v10, 0xffffff80, v10
	v_lshlrev_b32_e32 v9, 1, v9
	v_add3_u32 v8, v10, v9, v8
	v_sub_u32_e32 v20, v23, v8
	v_cmp_lt_i32_e32 vcc, 1, v20
	s_and_b64 exec, exec, vcc
	s_cbranch_execz .LBB26_1583
; %bb.1579:                             ;   in Loop: Header=BB26_1415 Depth=2
	v_add_u32_e32 v22, v8, v22
	v_ashrrev_i32_e32 v23, 31, v22
	v_lshl_add_u64 v[8:9], v[22:23], 0, v[14:15]
	v_lshl_add_u64 v[10:11], v[22:23], 0, v[16:17]
	;; [unrolled: 1-line block ×3, first 2 shown]
	s_mov_b64 s[90:91], 0
.LBB26_1580:                            ;   Parent Loop BB26_47 Depth=1
                                        ;     Parent Loop BB26_1415 Depth=2
                                        ; =>    This Loop Header: Depth=3
                                        ;         Child Loop BB26_1581 Depth 4
	flat_load_ushort v21, v[8:9] nt
	s_mov_b64 s[92:93], -1
	s_mov_b64 s[94:95], 0
	s_waitcnt vmcnt(0)
.LBB26_1581:                            ;   Parent Loop BB26_47 Depth=1
                                        ;     Parent Loop BB26_1415 Depth=2
                                        ;       Parent Loop BB26_1580 Depth=3
                                        ; =>      This Inner Loop Header: Depth=4
	s_cmp_eq_u32 s94, 1
	s_cselect_b64 vcc, -1, 0
	v_cndmask_b32_e32 v23, v11, v19, vcc
	s_cmp_eq_u32 s94, 0
	v_cndmask_b32_e32 v22, v10, v18, vcc
	s_waitcnt lgkmcnt(0)
	flat_store_short v[22:23], v21 nt
	v_lshl_add_u64 v[22:23], v[22:23], 0, s[72:73]
	s_cselect_b64 s[24:25], -1, 0
	s_and_b64 s[26:27], exec, s[92:93]
	s_mov_b64 s[94:95], 1
	s_mov_b64 s[92:93], 0
	v_cndmask_b32_e32 v19, v19, v23, vcc
	v_cndmask_b32_e32 v18, v18, v22, vcc
	v_cndmask_b32_e64 v11, v11, v23, s[24:25]
	v_cndmask_b32_e64 v10, v10, v22, s[24:25]
	s_mov_b64 vcc, s[26:27]
	s_cbranch_vccnz .LBB26_1581
; %bb.1582:                             ;   in Loop: Header=BB26_1580 Depth=3
	v_sub_u32_e32 v20, v20, v112
	v_cmp_gt_i32_e32 vcc, 2, v20
	v_lshl_add_u64 v[10:11], v[10:11], 0, v[42:43]
	v_lshl_add_u64 v[18:19], v[18:19], 0, v[42:43]
	s_or_b64 s[90:91], vcc, s[90:91]
	v_lshl_add_u64 v[8:9], v[46:47], 0, v[8:9]
	s_andn2_b64 exec, exec, s[90:91]
	s_cbranch_execnz .LBB26_1580
.LBB26_1583:                            ;   in Loop: Header=BB26_1415 Depth=2
	s_or_b64 exec, exec, s[28:29]
	s_branch .LBB26_1559
.LBB26_1584:                            ;   in Loop: Header=BB26_1415 Depth=2
	s_mov_b64 s[24:25], -1
	s_and_saveexec_b64 s[26:27], s[18:19]
	s_cbranch_execz .LBB26_1586
; %bb.1585:                             ;   in Loop: Header=BB26_1415 Depth=2
	ds_read_b32 v8, v0 offset:720
	s_waitcnt lgkmcnt(0)
	v_and_b32_e32 v8, 15, v8
	v_cmp_eq_u32_e32 vcc, 0, v8
	s_orn2_b64 s[24:25], vcc, exec
.LBB26_1586:                            ;   in Loop: Header=BB26_1415 Depth=2
	s_or_b64 exec, exec, s[26:27]
	s_and_saveexec_b64 s[26:27], s[16:17]
	s_cbranch_execz .LBB26_1588
; %bb.1587:                             ;   in Loop: Header=BB26_1415 Depth=2
	ds_read_b32 v8, v0 offset:784
	s_waitcnt lgkmcnt(0)
	v_and_b32_e32 v8, 15, v8
	v_cmp_eq_u32_e32 vcc, 0, v8
	s_and_b64 s[28:29], s[24:25], vcc
	s_andn2_b64 s[24:25], s[24:25], exec
	s_and_b64 s[28:29], s[28:29], exec
	s_or_b64 s[24:25], s[24:25], s[28:29]
.LBB26_1588:                            ;   in Loop: Header=BB26_1415 Depth=2
	s_or_b64 exec, exec, s[26:27]
	s_xor_b64 s[24:25], s[24:25], -1
	v_cndmask_b32_e64 v8, 0, 1, s[24:25]
	s_mov_b64 s[28:29], -1
	v_mov_b32_e32 v20, 0
	v_cmp_ne_u32_e32 vcc, 0, v8
	s_cbranch_vccz .LBB26_1590
; %bb.1589:                             ;   in Loop: Header=BB26_1415 Depth=2
	v_mov_b32_e32 v21, v0
	s_and_saveexec_b64 s[24:25], s[28:29]
	s_cbranch_execnz .LBB26_1601
	s_branch .LBB26_1609
.LBB26_1590:                            ;   in Loop: Header=BB26_1415 Depth=2
	v_ashrrev_i32_e32 v8, 31, v13
	v_lshrrev_b32_e32 v8, 19, v8
	v_add_u32_e32 v8, v13, v8
	v_ashrrev_i32_e32 v19, 13, v8
	v_sub_u32_e32 v18, v19, v106
	v_cmp_lt_i32_e32 vcc, 0, v18
	s_and_saveexec_b64 s[26:27], vcc
	s_cbranch_execz .LBB26_1594
; %bb.1591:                             ;   in Loop: Header=BB26_1415 Depth=2
	s_mov_b64 s[28:29], 0
	v_mov_b64_e32 v[8:9], v[16:17]
	v_mov_b64_e32 v[10:11], v[14:15]
.LBB26_1592:                            ;   Parent Loop BB26_47 Depth=1
                                        ;     Parent Loop BB26_1415 Depth=2
                                        ; =>    This Inner Loop Header: Depth=3
	v_lshl_add_u64 v[24:25], v[118:119], 0, v[10:11]
	global_load_dwordx4 v[20:23], v[24:25], off nt
	global_load_dwordx4 v[32:35], v[24:25], off offset:1024 nt
	global_load_dwordx4 v[36:39], v[24:25], off offset:2048 nt
	;; [unrolled: 1-line block ×3, first 2 shown]
	v_add_co_u32_e32 v24, vcc, 0x1000, v24
	v_sub_u32_e32 v18, v18, v84
	s_nop 0
	v_addc_co_u32_e32 v25, vcc, 0, v25, vcc
	global_load_dwordx4 v[72:75], v[24:25], off nt
	global_load_dwordx4 v[76:79], v[24:25], off offset:1024 nt
	global_load_dwordx4 v[88:91], v[24:25], off offset:2048 nt
	;; [unrolled: 1-line block ×3, first 2 shown]
	v_lshl_add_u64 v[24:25], v[118:119], 0, v[8:9]
	v_cmp_gt_i32_e64 s[24:25], 1, v18
	v_lshl_add_u64 v[10:11], v[10:11], 0, v[98:99]
	v_lshl_add_u64 v[8:9], v[8:9], 0, v[98:99]
	v_add_co_u32_e32 v120, vcc, 0x1000, v24
	s_or_b64 s[28:29], s[24:25], s[28:29]
	s_nop 0
	v_addc_co_u32_e32 v121, vcc, 0, v25, vcc
	s_waitcnt vmcnt(0)
	global_store_dwordx4 v[24:25], v[20:23], off
	global_store_dwordx4 v[24:25], v[32:35], off offset:1024
	global_store_dwordx4 v[24:25], v[36:39], off offset:2048
	;; [unrolled: 1-line block ×3, first 2 shown]
	global_store_dwordx4 v[120:121], v[72:75], off
	global_store_dwordx4 v[120:121], v[76:79], off offset:1024
	global_store_dwordx4 v[120:121], v[88:91], off offset:2048
	;; [unrolled: 1-line block ×3, first 2 shown]
	s_andn2_b64 exec, exec, s[28:29]
	s_cbranch_execnz .LBB26_1592
; %bb.1593:                             ;   in Loop: Header=BB26_1415 Depth=2
	s_or_b64 exec, exec, s[28:29]
.LBB26_1594:                            ;   in Loop: Header=BB26_1415 Depth=2
	s_or_b64 exec, exec, s[26:27]
	v_lshlrev_b32_e32 v10, 13, v19
	v_cmp_ne_u32_e32 vcc, v13, v10
	s_mov_b64 s[28:29], 0
	v_mov_b32_e32 v20, 0
                                        ; implicit-def: $vgpr21
	s_and_saveexec_b64 s[26:27], vcc
	s_cbranch_execz .LBB26_1600
; %bb.1595:                             ;   in Loop: Header=BB26_1415 Depth=2
	v_lshlrev_b32_e32 v8, 6, v18
	v_sub_u32_e32 v8, v105, v8
	v_sub_u32_e32 v9, v13, v10
	v_ashrrev_i32_e32 v11, 31, v8
	v_lshrrev_b32_e32 v11, 26, v11
	v_ashrrev_i32_e32 v18, 31, v9
	v_add_u32_e32 v11, v8, v11
	v_lshrrev_b32_e32 v18, 22, v18
	v_ashrrev_i32_e32 v21, 6, v11
	v_and_b32_e32 v11, 0xffffffc0, v11
	v_add_u32_e32 v18, v9, v18
	v_sub_u32_e32 v11, v8, v11
	v_ashrrev_i32_e32 v22, 10, v18
	v_and_b32_e32 v18, 0xfffffc00, v18
	v_lshlrev_b32_e32 v8, 4, v11
	v_sub_u32_e32 v19, v9, v18
	v_lshl_add_u32 v8, v21, 10, v8
	v_cmp_lt_i32_e32 vcc, 15, v19
	v_sub_u32_e32 v20, v9, v8
	s_nop 0
	v_addc_co_u32_e64 v9, s[24:25], 0, v22, vcc
	v_sub_u32_e32 v21, v9, v21
	v_cmp_lt_i32_e64 s[24:25], 15, v20
	s_and_saveexec_b64 s[28:29], s[24:25]
	s_cbranch_execz .LBB26_1599
; %bb.1596:                             ;   in Loop: Header=BB26_1415 Depth=2
	v_add_u32_e32 v8, v8, v10
	v_ashrrev_i32_e32 v9, 31, v8
	s_mov_b64 s[90:91], 0
.LBB26_1597:                            ;   Parent Loop BB26_47 Depth=1
                                        ;     Parent Loop BB26_1415 Depth=2
                                        ; =>    This Inner Loop Header: Depth=3
	v_lshl_add_u64 v[22:23], v[14:15], 0, v[8:9]
	global_load_dwordx4 v[22:25], v[22:23], off nt
	v_sub_u32_e32 v20, v20, v100
	v_cmp_gt_i32_e64 s[24:25], 16, v20
	v_lshl_add_u64 v[32:33], v[16:17], 0, v[8:9]
	v_sub_u32_e32 v21, v21, v84
	v_lshl_add_u64 v[8:9], v[8:9], 0, v[100:101]
	s_or_b64 s[90:91], s[24:25], s[90:91]
	s_waitcnt vmcnt(0)
	global_store_dwordx4 v[32:33], v[22:25], off
	s_andn2_b64 exec, exec, s[90:91]
	s_cbranch_execnz .LBB26_1597
; %bb.1598:                             ;   in Loop: Header=BB26_1415 Depth=2
	s_or_b64 exec, exec, s[90:91]
.LBB26_1599:                            ;   in Loop: Header=BB26_1415 Depth=2
	s_or_b64 exec, exec, s[28:29]
	v_and_b32_e32 v8, 14, v13
	v_sub_u32_e32 v9, v19, v8
	v_cndmask_b32_e32 v9, 0, v9, vcc
	v_cndmask_b32_e32 v13, v19, v8, vcc
	v_cmp_lt_i32_e32 vcc, 0, v21
	v_add3_u32 v20, v18, v10, v9
	s_nop 0
	v_cndmask_b32_e32 v8, 0, v84, vcc
	v_sub_u32_e32 v8, v8, v21
	v_cmp_ne_u32_e32 vcc, 0, v13
	v_lshl_add_u32 v21, v8, 6, v11
	s_and_b64 s[28:29], vcc, exec
.LBB26_1600:                            ;   in Loop: Header=BB26_1415 Depth=2
	s_or_b64 exec, exec, s[26:27]
	s_and_saveexec_b64 s[24:25], s[28:29]
	s_cbranch_execz .LBB26_1609
.LBB26_1601:                            ;   in Loop: Header=BB26_1415 Depth=2
	v_ashrrev_i32_e32 v8, 31, v21
	v_ashrrev_i32_e32 v9, 31, v13
	v_lshrrev_b32_e32 v8, 26, v8
	v_lshrrev_b32_e32 v9, 21, v9
	v_add_u32_e32 v8, v21, v8
	v_add_u32_e32 v9, v13, v9
	v_ashrrev_i32_e32 v22, 6, v8
	v_ashrrev_i32_e32 v24, 11, v9
	v_sub_u32_e32 v23, v24, v22
	v_cmp_lt_i32_e32 vcc, 0, v23
	s_and_saveexec_b64 s[26:27], vcc
	s_cbranch_execz .LBB26_1605
; %bb.1602:                             ;   in Loop: Header=BB26_1415 Depth=2
	v_and_b32_e32 v8, 0x7fffffc0, v8
	v_sub_u32_e32 v8, v21, v8
	v_lshlrev_b32_e32 v8, 1, v8
	v_lshlrev_b32_e32 v9, 11, v22
	v_add3_u32 v8, v8, v20, v9
	v_ashrrev_i32_e32 v9, 31, v8
	s_mov_b64 s[28:29], 0
	v_mov_b64_e32 v[10:11], v[16:17]
	v_mov_b64_e32 v[18:19], v[14:15]
.LBB26_1603:                            ;   Parent Loop BB26_47 Depth=1
                                        ;     Parent Loop BB26_1415 Depth=2
                                        ; =>    This Inner Loop Header: Depth=3
	v_lshl_add_u64 v[32:33], v[8:9], 0, v[18:19]
	flat_load_ushort v25, v[32:33] nt
	flat_load_ushort v27, v[32:33] offset:128 nt
	flat_load_ushort v34, v[32:33] offset:256 nt
	flat_load_ushort v35, v[32:33] offset:384 nt
	flat_load_ushort v36, v[32:33] offset:512 nt
	flat_load_ushort v37, v[32:33] offset:640 nt
	flat_load_ushort v38, v[32:33] offset:768 nt
	flat_load_ushort v39, v[32:33] offset:896 nt
	flat_load_ushort v48, v[32:33] offset:1024 nt
	flat_load_ushort v49, v[32:33] offset:1152 nt
	flat_load_ushort v50, v[32:33] offset:1280 nt
	flat_load_ushort v51, v[32:33] offset:1408 nt
	flat_load_ushort v82, v[32:33] offset:1536 nt
	flat_load_ushort v72, v[32:33] offset:1664 nt
	flat_load_ushort v73, v[32:33] offset:1792 nt
	flat_load_ushort v74, v[32:33] offset:1920 nt
	v_sub_u32_e32 v23, v23, v84
	v_cmp_gt_i32_e32 vcc, 1, v23
	v_lshl_add_u64 v[32:33], v[8:9], 0, v[10:11]
	v_lshl_add_u64 v[18:19], v[18:19], 0, v[102:103]
	;; [unrolled: 1-line block ×3, first 2 shown]
	s_or_b64 s[28:29], vcc, s[28:29]
	s_waitcnt vmcnt(0) lgkmcnt(0)
	flat_store_short v[32:33], v25 nt
	flat_store_short v[32:33], v27 offset:128 nt
	flat_store_short v[32:33], v34 offset:256 nt
	flat_store_short v[32:33], v35 offset:384 nt
	flat_store_short v[32:33], v36 offset:512 nt
	flat_store_short v[32:33], v37 offset:640 nt
	flat_store_short v[32:33], v38 offset:768 nt
	flat_store_short v[32:33], v39 offset:896 nt
	flat_store_short v[32:33], v48 offset:1024 nt
	flat_store_short v[32:33], v49 offset:1152 nt
	flat_store_short v[32:33], v50 offset:1280 nt
	flat_store_short v[32:33], v51 offset:1408 nt
	flat_store_short v[32:33], v82 offset:1536 nt
	flat_store_short v[32:33], v72 offset:1664 nt
	flat_store_short v[32:33], v73 offset:1792 nt
	flat_store_short v[32:33], v74 offset:1920 nt
	s_andn2_b64 exec, exec, s[28:29]
	s_cbranch_execnz .LBB26_1603
; %bb.1604:                             ;   in Loop: Header=BB26_1415 Depth=2
	s_or_b64 exec, exec, s[28:29]
.LBB26_1605:                            ;   in Loop: Header=BB26_1415 Depth=2
	s_or_b64 exec, exec, s[26:27]
	v_lshlrev_b32_e32 v8, 11, v24
	v_cmp_ne_u32_e32 vcc, v13, v8
	s_and_b64 exec, exec, vcc
	s_cbranch_execz .LBB26_1609
; %bb.1606:                             ;   in Loop: Header=BB26_1415 Depth=2
	v_lshlrev_b32_e32 v9, 6, v22
	v_sub_u32_e32 v9, v21, v9
	v_lshlrev_b32_e32 v10, 6, v23
	v_sub_u32_e32 v9, v9, v10
	v_ashrrev_i32_e32 v10, 31, v9
	v_lshrrev_b32_e32 v10, 26, v10
	v_add_u32_e32 v10, v9, v10
	v_and_b32_e32 v11, 0x7fffffc0, v10
	v_sub_u32_e32 v9, v9, v11
	v_lshlrev_b32_e32 v10, 1, v10
	v_and_b32_e32 v10, 0xffffff80, v10
	v_lshlrev_b32_e32 v9, 1, v9
	v_add3_u32 v8, v10, v9, v8
	v_sub_u32_e32 v10, v13, v8
	v_cmp_lt_i32_e32 vcc, 1, v10
	s_and_b64 exec, exec, vcc
	s_cbranch_execz .LBB26_1609
; %bb.1607:                             ;   in Loop: Header=BB26_1415 Depth=2
	v_add_u32_e32 v8, v8, v20
	v_ashrrev_i32_e32 v9, 31, v8
	s_mov_b64 s[26:27], 0
.LBB26_1608:                            ;   Parent Loop BB26_47 Depth=1
                                        ;     Parent Loop BB26_1415 Depth=2
                                        ; =>    This Inner Loop Header: Depth=3
	v_lshl_add_u64 v[18:19], v[14:15], 0, v[8:9]
	flat_load_ushort v11, v[18:19] nt
	v_sub_u32_e32 v10, v10, v112
	v_cmp_gt_i32_e32 vcc, 2, v10
	v_lshl_add_u64 v[18:19], v[16:17], 0, v[8:9]
	v_lshl_add_u64 v[8:9], v[8:9], 0, v[112:113]
	s_or_b64 s[26:27], vcc, s[26:27]
	s_waitcnt vmcnt(0) lgkmcnt(0)
	flat_store_short v[18:19], v11 nt
	s_andn2_b64 exec, exec, s[26:27]
	s_cbranch_execnz .LBB26_1608
.LBB26_1609:                            ;   in Loop: Header=BB26_1415 Depth=2
	s_or_b64 exec, exec, s[24:25]
	v_cmp_lt_i32_e64 s[24:25], 0, v2
	s_and_saveexec_b64 s[26:27], s[6:7]
	s_cbranch_execz .LBB26_1554
.LBB26_1610:                            ;   in Loop: Header=BB26_1415 Depth=2
	s_and_saveexec_b64 s[28:29], s[58:59]
	s_xor_b64 s[28:29], exec, s[28:29]
	s_cbranch_execz .LBB26_1637
; %bb.1611:                             ;   in Loop: Header=BB26_1415 Depth=2
	s_and_saveexec_b64 s[90:91], s[14:15]
	s_cbranch_execz .LBB26_1636
; %bb.1612:                             ;   in Loop: Header=BB26_1415 Depth=2
	s_mov_b64 s[94:95], exec
	v_mbcnt_lo_u32_b32 v2, s94, 0
	v_mbcnt_hi_u32_b32 v2, s95, v2
	v_cmp_eq_u32_e32 vcc, 0, v2
	s_waitcnt lgkmcnt(0)
	s_and_saveexec_b64 s[92:93], vcc
	s_cbranch_execz .LBB26_1614
; %bb.1613:                             ;   in Loop: Header=BB26_1415 Depth=2
	s_bcnt1_i32_b64 s94, s[94:95]
	v_mov_b32_e32 v2, s94
	ds_add_u64 v0, v[2:3]
	s_trap 2
.LBB26_1614:                            ;   in Loop: Header=BB26_1415 Depth=2
	s_or_b64 exec, exec, s[92:93]
	s_trap 2
	ds_read_b64 v[8:9], v0
	s_waitcnt lgkmcnt(0)
	v_lshl_add_u64 v[70:71], v[70:71], 0, v[84:85]
	v_cmp_lt_u64_e32 vcc, v[8:9], v[70:71]
	s_and_saveexec_b64 s[92:93], vcc
	s_cbranch_execz .LBB26_1635
; %bb.1615:                             ;   in Loop: Header=BB26_1415 Depth=2
	s_mov_b32 s48, 0
	s_mov_b64 s[94:95], 0
                                        ; implicit-def: $sgpr30_sgpr31
                                        ; implicit-def: $sgpr34_sgpr35
	s_branch .LBB26_1617
.LBB26_1616:                            ;   in Loop: Header=BB26_1617 Depth=3
	s_or_b64 exec, exec, s[38:39]
	s_and_b64 vcc, exec, vcc
	s_or_b64 s[94:95], vcc, s[94:95]
	s_andn2_b64 vcc, s[30:31], exec
	s_and_b64 s[30:31], s[34:35], exec
	s_or_b64 s[30:31], vcc, s[30:31]
	s_andn2_b64 exec, exec, s[94:95]
	s_cbranch_execz .LBB26_1633
.LBB26_1617:                            ;   Parent Loop BB26_47 Depth=1
                                        ;     Parent Loop BB26_1415 Depth=2
                                        ; =>    This Inner Loop Header: Depth=3
	s_add_i32 s48, s48, 1
	s_cmpk_lg_i32 s48, 0x2710
	s_cselect_b64 s[36:37], -1, 0
	s_and_b64 vcc, exec, s[36:37]
	s_cbranch_vccz .LBB26_1619
; %bb.1618:                             ;   in Loop: Header=BB26_1617 Depth=3
	s_mov_b64 vcc, -1
	s_or_b64 s[34:35], s[34:35], exec
	s_and_saveexec_b64 s[38:39], s[36:37]
	s_cbranch_execz .LBB26_1616
	s_branch .LBB26_1620
.LBB26_1619:                            ;   in Loop: Header=BB26_1617 Depth=3
	s_trap 2
	ds_read_b64 v[8:9], v0
	s_andn2_b64 s[36:37], s[36:37], exec
	s_mov_b32 s48, 0
	s_waitcnt vmcnt(0) lgkmcnt(0)
	flat_load_dword v2, v[8:9] sc0 sc1
	s_waitcnt vmcnt(0) lgkmcnt(0)
	buffer_inv sc0 sc1
	v_cmp_eq_u32_e32 vcc, 0, v2
	s_and_b64 vcc, vcc, exec
	s_or_b64 s[36:37], s[36:37], vcc
	s_mov_b64 vcc, -1
	s_or_b64 s[34:35], s[34:35], exec
	s_and_saveexec_b64 s[38:39], s[36:37]
	s_cbranch_execz .LBB26_1616
.LBB26_1620:                            ;   in Loop: Header=BB26_1617 Depth=3
	s_sleep 1
	s_trap 2
	ds_read_b64 v[8:9], v0
	s_waitcnt lgkmcnt(0)
	s_andn2_b64 s[34:35], s[34:35], exec
	v_cmp_ge_u64_e32 vcc, v[8:9], v[70:71]
	s_orn2_b64 vcc, vcc, exec
	s_branch .LBB26_1616
.LBB26_1621:                            ;   in Loop: Header=BB26_1415 Depth=2
	s_or_b64 exec, exec, s[90:91]
	s_and_saveexec_b64 s[90:91], s[92:93]
	s_xor_b64 s[90:91], exec, s[90:91]
	s_cbranch_execz .LBB26_1623
; %bb.1622:                             ;   in Loop: Header=BB26_1415 Depth=2
	ds_write_b32 v0, v107
	s_trap 2
.LBB26_1623:                            ;   in Loop: Header=BB26_1415 Depth=2
	s_or_b64 exec, exec, s[42:43]
	;;#ASMSTART
	s_wakeup
	;;#ASMEND
.LBB26_1624:                            ;   in Loop: Header=BB26_1415 Depth=2
	s_or_b64 exec, exec, s[40:41]
.LBB26_1625:                            ;   in Loop: Header=BB26_1415 Depth=2
	s_andn2_saveexec_b64 s[28:29], s[28:29]
	s_cbranch_execz .LBB26_1627
; %bb.1626:                             ;   in Loop: Header=BB26_1415 Depth=2
	;;#ASMSTART
	s_waitcnt lgkmcnt(0) vmcnt(0)
	;;#ASMEND
	s_barrier
.LBB26_1627:                            ;   in Loop: Header=BB26_1415 Depth=2
	s_or_b64 exec, exec, s[28:29]
	v_and_b32_e32 v2, 16, v104
.LBB26_1628:                            ;   in Loop: Header=BB26_1415 Depth=2
	s_or_b64 exec, exec, s[24:25]
	v_cmp_ne_u32_e32 vcc, 0, v2
	s_xor_b64 s[24:25], s[10:11], -1
	s_and_b64 s[28:29], vcc, s[24:25]
	s_and_saveexec_b64 s[24:25], s[28:29]
	s_cbranch_execz .LBB26_1630
; %bb.1629:                             ;   in Loop: Header=BB26_1415 Depth=2
	flat_store_dword v[68:69], v107 sc0 sc1
.LBB26_1630:                            ;   in Loop: Header=BB26_1415 Depth=2
	s_or_b64 exec, exec, s[24:25]
	v_and_b32_e32 v2, 48, v104
	v_cmp_ne_u32_e32 vcc, 0, v2
	s_and_saveexec_b64 s[24:25], vcc
	s_cbranch_execz .LBB26_1632
; %bb.1631:                             ;   in Loop: Header=BB26_1415 Depth=2
	v_lshl_add_u64 v[58:59], v[58:59], 0, 4
	flat_store_dwordx2 v[64:65], v[58:59] sc0 sc1
.LBB26_1632:                            ;   in Loop: Header=BB26_1415 Depth=2
	s_or_b64 exec, exec, s[24:25]
	s_or_b64 exec, exec, s[26:27]
	s_add_i32 s24, s56, 1
	s_cmp_eq_u32 s56, s82
	s_cbranch_scc0 .LBB26_1665
	s_branch .LBB26_1666
.LBB26_1633:                            ;   in Loop: Header=BB26_1415 Depth=2
	s_or_b64 exec, exec, s[94:95]
	s_and_saveexec_b64 s[94:95], s[30:31]
	s_xor_b64 s[94:95], exec, s[94:95]
	s_cbranch_execz .LBB26_1635
; %bb.1634:                             ;   in Loop: Header=BB26_1415 Depth=2
	ds_write_b32 v0, v107
	s_trap 2
.LBB26_1635:                            ;   in Loop: Header=BB26_1415 Depth=2
	s_or_b64 exec, exec, s[92:93]
	;;#ASMSTART
	s_wakeup
	;;#ASMEND
.LBB26_1636:                            ;   in Loop: Header=BB26_1415 Depth=2
	s_or_b64 exec, exec, s[90:91]
.LBB26_1637:                            ;   in Loop: Header=BB26_1415 Depth=2
	s_andn2_saveexec_b64 s[28:29], s[28:29]
	s_cbranch_execz .LBB26_1639
; %bb.1638:                             ;   in Loop: Header=BB26_1415 Depth=2
	s_waitcnt lgkmcnt(0)
	s_barrier
.LBB26_1639:                            ;   in Loop: Header=BB26_1415 Depth=2
	s_or_b64 exec, exec, s[28:29]
	s_or_b64 exec, exec, s[26:27]
                                        ; implicit-def: $vgpr2
	s_and_saveexec_b64 s[26:27], s[22:23]
	s_xor_b64 s[26:27], exec, s[26:27]
	s_cbranch_execnz .LBB26_1555
.LBB26_1640:                            ;   in Loop: Header=BB26_1415 Depth=2
	s_andn2_saveexec_b64 s[24:25], s[26:27]
	s_cbranch_execz .LBB26_1659
.LBB26_1641:                            ;   in Loop: Header=BB26_1415 Depth=2
	s_and_saveexec_b64 s[26:27], s[58:59]
	s_xor_b64 s[26:27], exec, s[26:27]
	s_cbranch_execz .LBB26_1656
; %bb.1642:                             ;   in Loop: Header=BB26_1415 Depth=2
	s_and_saveexec_b64 s[28:29], s[14:15]
	s_cbranch_execz .LBB26_1655
; %bb.1643:                             ;   in Loop: Header=BB26_1415 Depth=2
	s_mov_b64 s[92:93], exec
	v_mbcnt_lo_u32_b32 v2, s92, 0
	v_mbcnt_hi_u32_b32 v2, s93, v2
	v_cmp_eq_u32_e32 vcc, 0, v2
	;;#ASMSTART
	s_waitcnt lgkmcnt(0) vmcnt(0)
	;;#ASMEND
	s_and_saveexec_b64 s[90:91], vcc
	s_cbranch_execz .LBB26_1645
; %bb.1644:                             ;   in Loop: Header=BB26_1415 Depth=2
	s_bcnt1_i32_b64 s92, s[92:93]
	v_mov_b32_e32 v2, s92
	s_waitcnt lgkmcnt(0)
	ds_add_u64 v0, v[2:3]
	s_trap 2
.LBB26_1645:                            ;   in Loop: Header=BB26_1415 Depth=2
	s_or_b64 exec, exec, s[90:91]
	s_trap 2
	ds_read_b64 v[8:9], v0
	s_waitcnt lgkmcnt(0)
	v_lshl_add_u64 v[70:71], v[70:71], 0, v[84:85]
	v_cmp_lt_u64_e32 vcc, v[8:9], v[70:71]
	s_and_saveexec_b64 s[90:91], vcc
	s_cbranch_execz .LBB26_1654
; %bb.1646:                             ;   in Loop: Header=BB26_1415 Depth=2
	s_mov_b32 s38, 0
	s_mov_b64 s[92:93], 0
                                        ; implicit-def: $sgpr94_sgpr95
                                        ; implicit-def: $sgpr30_sgpr31
	s_branch .LBB26_1648
.LBB26_1647:                            ;   in Loop: Header=BB26_1648 Depth=3
	s_or_b64 exec, exec, s[36:37]
	s_and_b64 vcc, exec, vcc
	s_or_b64 s[92:93], vcc, s[92:93]
	s_andn2_b64 s[94:95], s[94:95], exec
	s_and_b64 vcc, s[30:31], exec
	s_or_b64 s[94:95], s[94:95], vcc
	s_andn2_b64 exec, exec, s[92:93]
	s_cbranch_execz .LBB26_1652
.LBB26_1648:                            ;   Parent Loop BB26_47 Depth=1
                                        ;     Parent Loop BB26_1415 Depth=2
                                        ; =>    This Inner Loop Header: Depth=3
	s_add_i32 s38, s38, 1
	s_cmpk_lg_i32 s38, 0x2710
	s_cselect_b64 s[34:35], -1, 0
	s_and_b64 vcc, exec, s[34:35]
	s_cbranch_vccz .LBB26_1650
; %bb.1649:                             ;   in Loop: Header=BB26_1648 Depth=3
	s_mov_b64 vcc, -1
	s_or_b64 s[30:31], s[30:31], exec
	s_and_saveexec_b64 s[36:37], s[34:35]
	s_cbranch_execz .LBB26_1647
	s_branch .LBB26_1651
.LBB26_1650:                            ;   in Loop: Header=BB26_1648 Depth=3
	s_trap 2
	ds_read_b64 v[8:9], v0
	s_andn2_b64 s[34:35], s[34:35], exec
	s_mov_b32 s38, 0
	s_waitcnt vmcnt(0) lgkmcnt(0)
	flat_load_dword v2, v[8:9] sc0 sc1
	s_waitcnt vmcnt(0) lgkmcnt(0)
	buffer_inv sc0 sc1
	v_cmp_eq_u32_e32 vcc, 0, v2
	s_and_b64 vcc, vcc, exec
	s_or_b64 s[34:35], s[34:35], vcc
	s_mov_b64 vcc, -1
	s_or_b64 s[30:31], s[30:31], exec
	s_and_saveexec_b64 s[36:37], s[34:35]
	s_cbranch_execz .LBB26_1647
.LBB26_1651:                            ;   in Loop: Header=BB26_1648 Depth=3
	s_sleep 1
	s_trap 2
	ds_read_b64 v[8:9], v0
	s_waitcnt lgkmcnt(0)
	s_andn2_b64 s[30:31], s[30:31], exec
	v_cmp_ge_u64_e32 vcc, v[8:9], v[70:71]
	s_orn2_b64 vcc, vcc, exec
	s_branch .LBB26_1647
.LBB26_1652:                            ;   in Loop: Header=BB26_1415 Depth=2
	s_or_b64 exec, exec, s[92:93]
	s_and_saveexec_b64 s[92:93], s[94:95]
	s_xor_b64 s[92:93], exec, s[92:93]
	s_cbranch_execz .LBB26_1654
; %bb.1653:                             ;   in Loop: Header=BB26_1415 Depth=2
	ds_write_b32 v0, v107
	s_trap 2
.LBB26_1654:                            ;   in Loop: Header=BB26_1415 Depth=2
	s_or_b64 exec, exec, s[90:91]
	;;#ASMSTART
	s_wakeup
	;;#ASMEND
.LBB26_1655:                            ;   in Loop: Header=BB26_1415 Depth=2
	s_or_b64 exec, exec, s[28:29]
.LBB26_1656:                            ;   in Loop: Header=BB26_1415 Depth=2
	s_andn2_saveexec_b64 s[26:27], s[26:27]
	s_cbranch_execz .LBB26_1658
; %bb.1657:                             ;   in Loop: Header=BB26_1415 Depth=2
	;;#ASMSTART
	s_waitcnt lgkmcnt(0) vmcnt(0)
	;;#ASMEND
	s_barrier
.LBB26_1658:                            ;   in Loop: Header=BB26_1415 Depth=2
	s_or_b64 exec, exec, s[26:27]
	v_and_b32_e32 v2, 16, v104
.LBB26_1659:                            ;   in Loop: Header=BB26_1415 Depth=2
	s_or_b64 exec, exec, s[24:25]
	v_cmp_ne_u32_e32 vcc, 0, v2
	s_xor_b64 s[24:25], s[10:11], -1
	s_and_b64 s[26:27], vcc, s[24:25]
	s_and_saveexec_b64 s[24:25], s[26:27]
	s_cbranch_execz .LBB26_1661
; %bb.1660:                             ;   in Loop: Header=BB26_1415 Depth=2
	flat_store_dword v[68:69], v107 sc0 sc1
.LBB26_1661:                            ;   in Loop: Header=BB26_1415 Depth=2
	s_or_b64 exec, exec, s[24:25]
	v_and_b32_e32 v2, 48, v104
	v_cmp_ne_u32_e32 vcc, 0, v2
	s_and_saveexec_b64 s[24:25], vcc
	s_cbranch_execz .LBB26_1663
; %bb.1662:                             ;   in Loop: Header=BB26_1415 Depth=2
	v_lshl_add_u64 v[58:59], v[58:59], 0, 4
	flat_store_dwordx2 v[64:65], v[58:59] sc0 sc1
.LBB26_1663:                            ;   in Loop: Header=BB26_1415 Depth=2
	s_or_b64 exec, exec, s[24:25]
	v_mov_b32_e32 v2, v12
	s_or_b64 exec, exec, s[42:43]
	s_and_saveexec_b64 s[26:27], s[40:41]
	s_cbranch_execnz .LBB26_1422
.LBB26_1664:                            ;   in Loop: Header=BB26_1415 Depth=2
	s_or_b64 exec, exec, s[26:27]
	s_add_i32 s24, s56, 1
	s_cmp_eq_u32 s56, s82
	s_cbranch_scc1 .LBB26_1666
.LBB26_1665:                            ;   in Loop: Header=BB26_1415 Depth=2
	s_mov_b32 s56, s24
	s_branch .LBB26_1415
.LBB26_1666:                            ;   in Loop: Header=BB26_47 Depth=1
	v_mul_lo_u32 v2, v57, s83
	v_mul_lo_u32 v10, v56, s84
	v_mad_u64_u32 v[8:9], s[24:25], v56, s83, 0
	v_add3_u32 v9, v9, v10, v2
	v_sub_co_u32_e32 v10, vcc, v60, v8
	v_mov_b32_e32 v14, 0
	s_nop 0
	v_subb_co_u32_e32 v11, vcc, v61, v9, vcc
	v_cmp_lt_i64_e32 vcc, v[56:57], v[10:11]
	s_nop 1
	v_cndmask_b32_e32 v2, v10, v56, vcc
	v_max_i32_e32 v18, 0, v2
	v_add_u32_e32 v10, 15, v18
	v_ashrrev_i32_e32 v11, 31, v10
	v_lshrrev_b32_e32 v11, 28, v11
	v_add_u32_e32 v10, v10, v11
	v_cmp_gt_i32_e32 vcc, 1, v2
	v_and_b32_e32 v10, -16, v10
	s_or_b64 s[26:27], s[2:3], vcc
	v_max_i32_e32 v19, s81, v10
	s_xor_b64 s[24:25], s[26:27], -1
	s_and_saveexec_b64 s[28:29], s[24:25]
	s_cbranch_execz .LBB26_1802
; %bb.1667:                             ;   in Loop: Header=BB26_47 Depth=1
	s_and_saveexec_b64 s[24:25], s[0:1]
	s_cbranch_execz .LBB26_1669
; %bb.1668:                             ;   in Loop: Header=BB26_47 Depth=1
	s_trap 2
	ds_read_b128 v[10:13], v0
	v_lshl_add_u64 v[8:9], v[8:9], 0, v[62:63]
	v_lshlrev_b64 v[8:9], 1, v[8:9]
	s_waitcnt lgkmcnt(0)
	v_lshl_add_u64 v[10:11], v[10:11], 0, v[8:9]
	v_lshl_add_u64 v[8:9], v[12:13], 0, v[8:9]
	v_cmp_ne_u64_e32 vcc, 0, v[12:13]
	ds_write_b64 v0, v[10:11]
	s_nop 0
	v_cndmask_b32_e32 v9, 0, v9, vcc
	v_cndmask_b32_e32 v8, 0, v8, vcc
	ds_write_b64 v0, v[8:9]
.LBB26_1669:                            ;   in Loop: Header=BB26_47 Depth=1
	s_or_b64 exec, exec, s[24:25]
	v_and_b32_e32 v2, 4, v104
	v_cmp_ne_u32_e32 vcc, 0, v2
	s_and_saveexec_b64 s[40:41], vcc
	s_cbranch_execz .LBB26_1691
; %bb.1670:                             ;   in Loop: Header=BB26_47 Depth=1
	v_lshl_add_u64 v[8:9], v[58:59], 0, 4
	s_waitcnt vmcnt(0) lgkmcnt(0)
	v_cmp_lt_u64_e32 vcc, v[80:81], v[8:9]
	s_and_saveexec_b64 s[42:43], vcc
	s_cbranch_execz .LBB26_1682
; %bb.1671:                             ;   in Loop: Header=BB26_47 Depth=1
	v_and_b32_e32 v2, 64, v104
	s_mov_b32 s56, 0
	v_cmp_eq_u32_e32 vcc, 0, v2
	s_mov_b64 s[90:91], 0
                                        ; implicit-def: $sgpr92_sgpr93
                                        ; implicit-def: $sgpr94_sgpr95
                                        ; implicit-def: $sgpr30_sgpr31
	s_branch .LBB26_1675
.LBB26_1672:                            ;   in Loop: Header=BB26_1675 Depth=2
	s_waitcnt vmcnt(0) lgkmcnt(0)
	v_cmp_ge_u64_e64 s[24:25], v[80:81], v[8:9]
	s_or_b64 s[38:39], s[38:39], exec
	s_orn2_b64 s[36:37], s[24:25], exec
.LBB26_1673:                            ;   in Loop: Header=BB26_1675 Depth=2
	s_or_b64 exec, exec, s[50:51]
	s_andn2_b64 s[24:25], s[30:31], exec
	s_and_b64 s[30:31], s[38:39], exec
	s_or_b64 s[30:31], s[24:25], s[30:31]
	s_andn2_b64 s[24:25], s[94:95], exec
	s_and_b64 s[94:95], s[36:37], exec
	s_or_b64 s[94:95], s[24:25], s[94:95]
.LBB26_1674:                            ;   in Loop: Header=BB26_1675 Depth=2
	s_or_b64 exec, exec, s[34:35]
	s_and_b64 s[24:25], exec, s[94:95]
	s_or_b64 s[90:91], s[24:25], s[90:91]
	s_andn2_b64 s[24:25], s[92:93], exec
	s_and_b64 s[92:93], s[30:31], exec
	s_or_b64 s[92:93], s[24:25], s[92:93]
	s_andn2_b64 exec, exec, s[90:91]
	s_cbranch_execz .LBB26_1679
.LBB26_1675:                            ;   Parent Loop BB26_47 Depth=1
                                        ; =>  This Inner Loop Header: Depth=2
	s_sleep 1
	s_waitcnt vmcnt(0) lgkmcnt(0)
	flat_load_dwordx2 v[80:81], v[64:65] sc0 sc1
	s_or_b64 s[30:31], s[30:31], exec
	s_or_b64 s[94:95], s[94:95], exec
                                        ; implicit-def: $vgpr2
	s_and_saveexec_b64 s[34:35], vcc
	s_cbranch_execz .LBB26_1674
; %bb.1676:                             ;   in Loop: Header=BB26_1675 Depth=2
	s_cmpk_lt_i32 s56, 0x270f
	s_cselect_b64 s[48:49], -1, 0
	s_cmpk_gt_i32 s56, 0x270e
	s_mov_b64 s[36:37], -1
	s_cbranch_scc0 .LBB26_1678
; %bb.1677:                             ;   in Loop: Header=BB26_1675 Depth=2
	s_trap 2
	ds_read_b64 v[10:11], v0
	s_andn2_b64 s[48:49], s[48:49], exec
	s_mov_b32 s56, 0
	s_mov_b64 s[38:39], 0
	s_waitcnt vmcnt(0) lgkmcnt(0)
	flat_load_dword v2, v[10:11] sc0 sc1
	s_waitcnt vmcnt(0) lgkmcnt(0)
	buffer_inv sc0 sc1
	v_cmp_eq_u32_e64 s[24:25], 0, v2
	s_and_b64 s[24:25], s[24:25], exec
	s_or_b64 s[48:49], s[48:49], s[24:25]
	s_and_saveexec_b64 s[50:51], s[48:49]
	s_cbranch_execz .LBB26_1673
	s_branch .LBB26_1672
.LBB26_1678:                            ;   in Loop: Header=BB26_1675 Depth=2
	s_add_i32 s56, s56, 1
	s_mov_b64 s[38:39], -1
                                        ; implicit-def: $vgpr2
	s_and_saveexec_b64 s[50:51], s[48:49]
	s_cbranch_execz .LBB26_1673
	s_branch .LBB26_1672
.LBB26_1679:                            ;   in Loop: Header=BB26_47 Depth=1
	s_or_b64 exec, exec, s[90:91]
	s_xor_b64 s[24:25], s[92:93], -1
	s_and_saveexec_b64 s[90:91], s[24:25]
	s_xor_b64 s[24:25], exec, s[90:91]
	s_cbranch_execz .LBB26_1681
; %bb.1680:                             ;   in Loop: Header=BB26_47 Depth=1
	v_or_b32_e32 v104, 64, v104
	s_waitcnt lgkmcnt(0)
	ds_write_b32 v0, v2
	s_trap 2
.LBB26_1681:                            ;   in Loop: Header=BB26_47 Depth=1
	s_or_b64 exec, exec, s[24:25]
.LBB26_1682:                            ;   in Loop: Header=BB26_47 Depth=1
	s_or_b64 exec, exec, s[42:43]
	v_and_b32_e32 v2, 0x100, v104
	v_cmp_ne_u32_e32 vcc, 0, v2
	v_and_b32_e32 v2, 7, v58
	s_mov_b64 s[24:25], -1
	;;#ASMSTART
	s_wakeup
	;;#ASMEND
                                        ; implicit-def: $vgpr10_vgpr11
	s_and_saveexec_b64 s[42:43], vcc
	s_cbranch_execz .LBB26_1686
; %bb.1683:                             ;   in Loop: Header=BB26_47 Depth=1
	v_mad_u64_u32 v[12:13], s[24:25], v2, 24, v[6:7]
	flat_load_dword v10, v[12:13]
	s_waitcnt vmcnt(0) lgkmcnt(0)
	v_cmp_ne_u32_e32 vcc, 1, v10
	v_cmp_eq_u32_e64 s[24:25], 1, v10
                                        ; implicit-def: $vgpr10_vgpr11
	s_and_saveexec_b64 s[90:91], s[24:25]
	s_cbranch_execz .LBB26_1685
; %bb.1684:                             ;   in Loop: Header=BB26_47 Depth=1
	flat_load_dword v10, v[12:13] offset:4 sc0 sc1
	s_waitcnt vmcnt(0) lgkmcnt(0)
	v_ashrrev_i32_e32 v11, 31, v10
	v_lshrrev_b64 v[10:11], 1, v[10:11]
.LBB26_1685:                            ;   in Loop: Header=BB26_47 Depth=1
	s_or_b64 exec, exec, s[90:91]
	s_orn2_b64 s[24:25], vcc, exec
.LBB26_1686:                            ;   in Loop: Header=BB26_47 Depth=1
	s_or_b64 exec, exec, s[42:43]
	s_and_saveexec_b64 s[42:43], s[24:25]
; %bb.1687:                             ;   in Loop: Header=BB26_47 Depth=1
	v_mad_i64_i32 v[10:11], s[24:25], v2, v30, 0
; %bb.1688:                             ;   in Loop: Header=BB26_47 Depth=1
	s_or_b64 exec, exec, s[42:43]
	v_and_b32_e32 v2, 0x2000, v104
	v_lshl_add_u64 v[10:11], v[10:11], 1, v[66:67]
	v_cmp_ne_u32_e32 vcc, 0, v2
	ds_write_b64 v0, v[10:11] offset:720
	s_and_saveexec_b64 s[24:25], vcc
	s_cbranch_execz .LBB26_1690
; %bb.1689:                             ;   in Loop: Header=BB26_47 Depth=1
	ds_read_b64 v[10:11], v0 offset:872
	s_waitcnt lgkmcnt(0)
	v_lshl_add_u64 v[10:11], v[10:11], 0, 1
	ds_write_b64 v0, v[10:11] offset:872
.LBB26_1690:                            ;   in Loop: Header=BB26_47 Depth=1
	s_or_b64 exec, exec, s[24:25]
	v_mov_b64_e32 v[58:59], v[8:9]
.LBB26_1691:                            ;   in Loop: Header=BB26_47 Depth=1
	s_or_b64 exec, exec, s[40:41]
	s_and_saveexec_b64 s[24:25], s[6:7]
	s_cbranch_execz .LBB26_1710
; %bb.1692:                             ;   in Loop: Header=BB26_47 Depth=1
	s_and_saveexec_b64 s[40:41], s[58:59]
	s_xor_b64 s[40:41], exec, s[40:41]
	s_cbranch_execz .LBB26_1707
; %bb.1693:                             ;   in Loop: Header=BB26_47 Depth=1
	s_and_saveexec_b64 s[42:43], s[14:15]
	s_cbranch_execz .LBB26_1706
; %bb.1694:                             ;   in Loop: Header=BB26_47 Depth=1
	s_mov_b64 s[92:93], exec
	v_mbcnt_lo_u32_b32 v2, s92, 0
	v_mbcnt_hi_u32_b32 v2, s93, v2
	v_cmp_eq_u32_e32 vcc, 0, v2
	s_waitcnt lgkmcnt(0)
	s_and_saveexec_b64 s[90:91], vcc
	s_cbranch_execz .LBB26_1696
; %bb.1695:                             ;   in Loop: Header=BB26_47 Depth=1
	s_bcnt1_i32_b64 s56, s[92:93]
	v_mov_b32_e32 v2, s56
	ds_add_u64 v0, v[2:3]
	s_trap 2
.LBB26_1696:                            ;   in Loop: Header=BB26_47 Depth=1
	s_or_b64 exec, exec, s[90:91]
	s_trap 2
	ds_read_b64 v[8:9], v0
	s_waitcnt lgkmcnt(0)
	v_lshl_add_u64 v[70:71], v[70:71], 0, v[84:85]
	v_cmp_lt_u64_e32 vcc, v[8:9], v[70:71]
	s_and_saveexec_b64 s[90:91], vcc
	s_cbranch_execz .LBB26_1705
; %bb.1697:                             ;   in Loop: Header=BB26_47 Depth=1
	s_mov_b32 s56, 0
	s_mov_b64 s[92:93], 0
                                        ; implicit-def: $sgpr94_sgpr95
                                        ; implicit-def: $sgpr30_sgpr31
	s_branch .LBB26_1699
.LBB26_1698:                            ;   in Loop: Header=BB26_1699 Depth=2
	s_or_b64 exec, exec, s[36:37]
	s_and_b64 vcc, exec, vcc
	s_or_b64 s[92:93], vcc, s[92:93]
	s_andn2_b64 s[94:95], s[94:95], exec
	s_and_b64 vcc, s[30:31], exec
	s_or_b64 s[94:95], s[94:95], vcc
	s_andn2_b64 exec, exec, s[92:93]
	s_cbranch_execz .LBB26_1703
.LBB26_1699:                            ;   Parent Loop BB26_47 Depth=1
                                        ; =>  This Inner Loop Header: Depth=2
	s_add_i32 s56, s56, 1
	s_cmpk_lg_i32 s56, 0x2710
	s_cselect_b64 s[34:35], -1, 0
	s_and_b64 vcc, exec, s[34:35]
	s_cbranch_vccz .LBB26_1701
; %bb.1700:                             ;   in Loop: Header=BB26_1699 Depth=2
	s_mov_b64 vcc, -1
	s_or_b64 s[30:31], s[30:31], exec
	s_and_saveexec_b64 s[36:37], s[34:35]
	s_cbranch_execz .LBB26_1698
	s_branch .LBB26_1702
.LBB26_1701:                            ;   in Loop: Header=BB26_1699 Depth=2
	s_trap 2
	ds_read_b64 v[8:9], v0
	s_andn2_b64 s[34:35], s[34:35], exec
	s_mov_b32 s56, 0
	s_waitcnt vmcnt(0) lgkmcnt(0)
	flat_load_dword v2, v[8:9] sc0 sc1
	s_waitcnt vmcnt(0) lgkmcnt(0)
	buffer_inv sc0 sc1
	v_cmp_eq_u32_e32 vcc, 0, v2
	s_and_b64 vcc, vcc, exec
	s_or_b64 s[34:35], s[34:35], vcc
	s_mov_b64 vcc, -1
	s_or_b64 s[30:31], s[30:31], exec
	s_and_saveexec_b64 s[36:37], s[34:35]
	s_cbranch_execz .LBB26_1698
.LBB26_1702:                            ;   in Loop: Header=BB26_1699 Depth=2
	s_sleep 1
	s_trap 2
	ds_read_b64 v[8:9], v0
	s_waitcnt lgkmcnt(0)
	s_andn2_b64 s[30:31], s[30:31], exec
	v_cmp_ge_u64_e32 vcc, v[8:9], v[70:71]
	s_orn2_b64 vcc, vcc, exec
	s_branch .LBB26_1698
.LBB26_1703:                            ;   in Loop: Header=BB26_47 Depth=1
	s_or_b64 exec, exec, s[92:93]
	s_and_saveexec_b64 s[92:93], s[94:95]
	s_xor_b64 s[92:93], exec, s[92:93]
	s_cbranch_execz .LBB26_1705
; %bb.1704:                             ;   in Loop: Header=BB26_47 Depth=1
	ds_write_b32 v0, v107
	s_trap 2
.LBB26_1705:                            ;   in Loop: Header=BB26_47 Depth=1
	s_or_b64 exec, exec, s[90:91]
	;;#ASMSTART
	s_wakeup
	;;#ASMEND
.LBB26_1706:                            ;   in Loop: Header=BB26_47 Depth=1
	s_or_b64 exec, exec, s[42:43]
.LBB26_1707:                            ;   in Loop: Header=BB26_47 Depth=1
	s_andn2_saveexec_b64 s[40:41], s[40:41]
	s_cbranch_execz .LBB26_1709
; %bb.1708:                             ;   in Loop: Header=BB26_47 Depth=1
	s_waitcnt lgkmcnt(0)
	s_barrier
.LBB26_1709:                            ;   in Loop: Header=BB26_47 Depth=1
	s_or_b64 exec, exec, s[40:41]
.LBB26_1710:                            ;   in Loop: Header=BB26_47 Depth=1
	s_or_b64 exec, exec, s[24:25]
	s_trap 2
	ds_read_b32 v12, v0
	v_and_b32_e32 v2, 0x4000, v104
	v_cmp_ne_u32_e32 vcc, 0, v2
	s_xor_b64 s[24:25], s[4:5], -1
	s_and_b64 s[40:41], s[24:25], vcc
	s_and_saveexec_b64 s[24:25], s[40:41]
	s_cbranch_execz .LBB26_1729
; %bb.1711:                             ;   in Loop: Header=BB26_47 Depth=1
	s_and_saveexec_b64 s[40:41], s[58:59]
	s_xor_b64 s[40:41], exec, s[40:41]
	s_cbranch_execz .LBB26_1726
; %bb.1712:                             ;   in Loop: Header=BB26_47 Depth=1
	s_and_saveexec_b64 s[42:43], s[14:15]
	s_cbranch_execz .LBB26_1725
; %bb.1713:                             ;   in Loop: Header=BB26_47 Depth=1
	s_mov_b64 s[92:93], exec
	v_mbcnt_lo_u32_b32 v2, s92, 0
	v_mbcnt_hi_u32_b32 v2, s93, v2
	v_cmp_eq_u32_e32 vcc, 0, v2
	s_waitcnt lgkmcnt(0)
	s_and_saveexec_b64 s[90:91], vcc
	s_cbranch_execz .LBB26_1715
; %bb.1714:                             ;   in Loop: Header=BB26_47 Depth=1
	s_bcnt1_i32_b64 s56, s[92:93]
	v_mov_b32_e32 v2, s56
	ds_add_u64 v0, v[2:3]
	s_trap 2
.LBB26_1715:                            ;   in Loop: Header=BB26_47 Depth=1
	s_or_b64 exec, exec, s[90:91]
	s_trap 2
	ds_read_b64 v[8:9], v0
	s_waitcnt lgkmcnt(0)
	v_lshl_add_u64 v[70:71], v[70:71], 0, v[84:85]
	v_cmp_lt_u64_e32 vcc, v[8:9], v[70:71]
	s_and_saveexec_b64 s[90:91], vcc
	s_cbranch_execz .LBB26_1724
; %bb.1716:                             ;   in Loop: Header=BB26_47 Depth=1
	s_mov_b32 s56, 0
	s_mov_b64 s[92:93], 0
                                        ; implicit-def: $sgpr94_sgpr95
                                        ; implicit-def: $sgpr30_sgpr31
	s_branch .LBB26_1718
.LBB26_1717:                            ;   in Loop: Header=BB26_1718 Depth=2
	s_or_b64 exec, exec, s[36:37]
	s_and_b64 vcc, exec, vcc
	s_or_b64 s[92:93], vcc, s[92:93]
	s_andn2_b64 s[94:95], s[94:95], exec
	s_and_b64 vcc, s[30:31], exec
	s_or_b64 s[94:95], s[94:95], vcc
	s_andn2_b64 exec, exec, s[92:93]
	s_cbranch_execz .LBB26_1722
.LBB26_1718:                            ;   Parent Loop BB26_47 Depth=1
                                        ; =>  This Inner Loop Header: Depth=2
	s_add_i32 s56, s56, 1
	s_cmpk_lg_i32 s56, 0x2710
	s_cselect_b64 s[34:35], -1, 0
	s_and_b64 vcc, exec, s[34:35]
	s_cbranch_vccz .LBB26_1720
; %bb.1719:                             ;   in Loop: Header=BB26_1718 Depth=2
	s_mov_b64 vcc, -1
	s_or_b64 s[30:31], s[30:31], exec
	s_and_saveexec_b64 s[36:37], s[34:35]
	s_cbranch_execz .LBB26_1717
	s_branch .LBB26_1721
.LBB26_1720:                            ;   in Loop: Header=BB26_1718 Depth=2
	s_trap 2
	ds_read_b64 v[8:9], v0
	s_andn2_b64 s[34:35], s[34:35], exec
	s_mov_b32 s56, 0
	s_waitcnt vmcnt(0) lgkmcnt(0)
	flat_load_dword v2, v[8:9] sc0 sc1
	s_waitcnt vmcnt(0) lgkmcnt(0)
	buffer_inv sc0 sc1
	v_cmp_eq_u32_e32 vcc, 0, v2
	s_and_b64 vcc, vcc, exec
	s_or_b64 s[34:35], s[34:35], vcc
	s_mov_b64 vcc, -1
	s_or_b64 s[30:31], s[30:31], exec
	s_and_saveexec_b64 s[36:37], s[34:35]
	s_cbranch_execz .LBB26_1717
.LBB26_1721:                            ;   in Loop: Header=BB26_1718 Depth=2
	s_sleep 1
	s_trap 2
	ds_read_b64 v[8:9], v0
	s_waitcnt lgkmcnt(0)
	s_andn2_b64 s[30:31], s[30:31], exec
	v_cmp_ge_u64_e32 vcc, v[8:9], v[70:71]
	s_orn2_b64 vcc, vcc, exec
	s_branch .LBB26_1717
.LBB26_1722:                            ;   in Loop: Header=BB26_47 Depth=1
	s_or_b64 exec, exec, s[92:93]
	s_and_saveexec_b64 s[92:93], s[94:95]
	s_xor_b64 s[92:93], exec, s[92:93]
	s_cbranch_execz .LBB26_1724
; %bb.1723:                             ;   in Loop: Header=BB26_47 Depth=1
	ds_write_b32 v0, v107
	s_trap 2
.LBB26_1724:                            ;   in Loop: Header=BB26_47 Depth=1
	s_or_b64 exec, exec, s[90:91]
	;;#ASMSTART
	s_wakeup
	;;#ASMEND
.LBB26_1725:                            ;   in Loop: Header=BB26_47 Depth=1
	s_or_b64 exec, exec, s[42:43]
.LBB26_1726:                            ;   in Loop: Header=BB26_47 Depth=1
	s_andn2_saveexec_b64 s[40:41], s[40:41]
	s_cbranch_execz .LBB26_1728
; %bb.1727:                             ;   in Loop: Header=BB26_47 Depth=1
	s_waitcnt lgkmcnt(0)
	s_barrier
.LBB26_1728:                            ;   in Loop: Header=BB26_47 Depth=1
	s_or_b64 exec, exec, s[40:41]
.LBB26_1729:                            ;   in Loop: Header=BB26_47 Depth=1
	s_or_b64 exec, exec, s[24:25]
	s_trap 2
	ds_read_b64 v[8:9], v0
	v_min_i32_e32 v19, v19, v18
	s_waitcnt lgkmcnt(0)
	v_cmp_eq_u64_e32 vcc, 0, v[8:9]
	s_cbranch_vccnz .LBB26_1737
; %bb.1730:                             ;   in Loop: Header=BB26_47 Depth=1
	s_trap 2
	ds_read_b64 v[10:11], v0
	s_waitcnt lgkmcnt(0)
	v_cmp_eq_u64_e32 vcc, 0, v[10:11]
	s_cbranch_vccnz .LBB26_1737
; %bb.1731:                             ;   in Loop: Header=BB26_47 Depth=1
	s_mov_b64 s[24:25], -1
	s_and_saveexec_b64 s[40:41], s[18:19]
	s_cbranch_execz .LBB26_1733
; %bb.1732:                             ;   in Loop: Header=BB26_47 Depth=1
	ds_read_b32 v2, v0 offset:720
	s_waitcnt lgkmcnt(0)
	v_and_b32_e32 v2, 15, v2
	v_cmp_eq_u32_e32 vcc, 0, v2
	s_orn2_b64 s[24:25], vcc, exec
.LBB26_1733:                            ;   in Loop: Header=BB26_47 Depth=1
	s_or_b64 exec, exec, s[40:41]
	s_and_saveexec_b64 s[40:41], s[16:17]
	s_cbranch_execz .LBB26_1735
; %bb.1734:                             ;   in Loop: Header=BB26_47 Depth=1
	ds_read_b32 v2, v0 offset:784
	s_waitcnt lgkmcnt(0)
	v_and_b32_e32 v2, 15, v2
	v_cmp_eq_u32_e32 vcc, 0, v2
	s_and_b64 s[42:43], s[24:25], vcc
	s_andn2_b64 s[24:25], s[24:25], exec
	s_and_b64 s[42:43], s[42:43], exec
	s_or_b64 s[24:25], s[24:25], s[42:43]
.LBB26_1735:                            ;   in Loop: Header=BB26_47 Depth=1
	s_or_b64 exec, exec, s[40:41]
	v_cmp_eq_u32_e32 vcc, 0, v12
	s_xor_b64 s[24:25], s[24:25], -1
	v_cndmask_b32_e64 v12, 0, 1, s[24:25]
	v_cndmask_b32_e32 v2, 0, v19, vcc
	v_lshlrev_b32_e32 v20, 1, v2
	s_mov_b64 s[42:43], -1
	v_cmp_ne_u32_e32 vcc, 0, v12
	v_mov_b32_e32 v21, 0
	s_cbranch_vccz .LBB26_1742
; %bb.1736:                             ;   in Loop: Header=BB26_47 Depth=1
	v_mov_b32_e32 v22, v0
	s_and_saveexec_b64 s[24:25], s[42:43]
	s_cbranch_execnz .LBB26_1753
	s_branch .LBB26_1761
.LBB26_1737:                            ;   in Loop: Header=BB26_47 Depth=1
	s_mov_b64 s[24:25], 0
	s_and_saveexec_b64 s[40:41], s[6:7]
	s_cbranch_execnz .LBB26_1762
.LBB26_1738:                            ;   in Loop: Header=BB26_47 Depth=1
	s_or_b64 exec, exec, s[40:41]
	s_and_saveexec_b64 s[40:41], s[22:23]
	s_xor_b64 s[40:41], exec, s[40:41]
	s_cbranch_execz .LBB26_1780
.LBB26_1739:                            ;   in Loop: Header=BB26_47 Depth=1
	v_and_b32_e32 v2, 16, v104
	v_cmp_ne_u32_e32 vcc, 0, v2
	s_and_b64 s[42:43], vcc, s[24:25]
	s_and_saveexec_b64 s[24:25], s[42:43]
	s_cbranch_execz .LBB26_1741
; %bb.1740:                             ;   in Loop: Header=BB26_47 Depth=1
	buffer_wbl2 sc1
	s_waitcnt vmcnt(0) lgkmcnt(0)
	buffer_inv sc1
.LBB26_1741:                            ;   in Loop: Header=BB26_47 Depth=1
	s_or_b64 exec, exec, s[24:25]
	s_andn2_saveexec_b64 s[24:25], s[40:41]
	s_cbranch_execz .LBB26_1799
	s_branch .LBB26_1781
.LBB26_1742:                            ;   in Loop: Header=BB26_47 Depth=1
	v_ashrrev_i32_e32 v12, 31, v20
	v_lshrrev_b32_e32 v12, 19, v12
	v_add_u32_e32 v12, v20, v12
	v_ashrrev_i32_e32 v17, 13, v12
	v_sub_u32_e32 v16, v17, v106
	v_cmp_lt_i32_e32 vcc, 0, v16
	s_and_saveexec_b64 s[40:41], vcc
	s_cbranch_execz .LBB26_1746
; %bb.1743:                             ;   in Loop: Header=BB26_47 Depth=1
	s_mov_b64 s[42:43], 0
	v_mov_b64_e32 v[12:13], v[10:11]
	v_mov_b64_e32 v[14:15], v[8:9]
.LBB26_1744:                            ;   Parent Loop BB26_47 Depth=1
                                        ; =>  This Inner Loop Header: Depth=2
	v_lshl_add_u64 v[26:27], v[118:119], 0, v[14:15]
	global_load_dwordx4 v[22:25], v[26:27], off nt
	global_load_dwordx4 v[32:35], v[26:27], off offset:1024 nt
	global_load_dwordx4 v[36:39], v[26:27], off offset:2048 nt
	;; [unrolled: 1-line block ×3, first 2 shown]
	v_add_co_u32_e32 v26, vcc, 0x1000, v26
	v_sub_u32_e32 v16, v16, v84
	s_nop 0
	v_addc_co_u32_e32 v27, vcc, 0, v27, vcc
	global_load_dwordx4 v[60:63], v[26:27], off nt
	global_load_dwordx4 v[72:75], v[26:27], off offset:1024 nt
	global_load_dwordx4 v[76:79], v[26:27], off offset:2048 nt
	;; [unrolled: 1-line block ×3, first 2 shown]
	v_lshl_add_u64 v[26:27], v[118:119], 0, v[12:13]
	v_cmp_gt_i32_e64 s[24:25], 1, v16
	v_lshl_add_u64 v[14:15], v[14:15], 0, v[98:99]
	v_lshl_add_u64 v[12:13], v[12:13], 0, v[98:99]
	v_add_co_u32_e32 v92, vcc, 0x1000, v26
	s_or_b64 s[42:43], s[24:25], s[42:43]
	s_nop 0
	v_addc_co_u32_e32 v93, vcc, 0, v27, vcc
	s_waitcnt vmcnt(0)
	global_store_dwordx4 v[26:27], v[22:25], off
	global_store_dwordx4 v[26:27], v[32:35], off offset:1024
	global_store_dwordx4 v[26:27], v[36:39], off offset:2048
	global_store_dwordx4 v[26:27], v[48:51], off offset:3072
	global_store_dwordx4 v[92:93], v[60:63], off
	global_store_dwordx4 v[92:93], v[72:75], off offset:1024
	global_store_dwordx4 v[92:93], v[76:79], off offset:2048
	;; [unrolled: 1-line block ×3, first 2 shown]
	s_andn2_b64 exec, exec, s[42:43]
	s_cbranch_execnz .LBB26_1744
; %bb.1745:                             ;   in Loop: Header=BB26_47 Depth=1
	s_or_b64 exec, exec, s[42:43]
.LBB26_1746:                            ;   in Loop: Header=BB26_47 Depth=1
	s_or_b64 exec, exec, s[40:41]
	v_lshlrev_b32_e32 v14, 13, v17
	v_cmp_ne_u32_e32 vcc, v20, v14
	s_mov_b64 s[42:43], 0
	v_mov_b32_e32 v21, 0
                                        ; implicit-def: $vgpr22
	s_and_saveexec_b64 s[40:41], vcc
	s_cbranch_execz .LBB26_1752
; %bb.1747:                             ;   in Loop: Header=BB26_47 Depth=1
	v_lshlrev_b32_e32 v12, 6, v16
	v_sub_u32_e32 v12, v105, v12
	v_sub_u32_e32 v13, v20, v14
	v_ashrrev_i32_e32 v15, 31, v12
	v_lshrrev_b32_e32 v15, 26, v15
	v_ashrrev_i32_e32 v16, 31, v13
	v_add_u32_e32 v15, v12, v15
	v_lshrrev_b32_e32 v16, 22, v16
	v_ashrrev_i32_e32 v22, 6, v15
	v_and_b32_e32 v15, 0xffffffc0, v15
	v_add_u32_e32 v16, v13, v16
	v_sub_u32_e32 v15, v12, v15
	v_ashrrev_i32_e32 v23, 10, v16
	v_and_b32_e32 v16, 0xfffffc00, v16
	v_lshlrev_b32_e32 v12, 4, v15
	v_sub_u32_e32 v17, v13, v16
	v_lshl_add_u32 v12, v22, 10, v12
	v_cmp_lt_i32_e32 vcc, 15, v17
	v_sub_u32_e32 v21, v13, v12
	s_nop 0
	v_addc_co_u32_e64 v13, s[24:25], 0, v23, vcc
	v_sub_u32_e32 v22, v13, v22
	v_cmp_lt_i32_e64 s[24:25], 15, v21
	s_and_saveexec_b64 s[42:43], s[24:25]
	s_cbranch_execz .LBB26_1751
; %bb.1748:                             ;   in Loop: Header=BB26_47 Depth=1
	v_add_u32_e32 v12, v12, v14
	v_ashrrev_i32_e32 v13, 31, v12
	s_mov_b64 s[90:91], 0
.LBB26_1749:                            ;   Parent Loop BB26_47 Depth=1
                                        ; =>  This Inner Loop Header: Depth=2
	v_lshl_add_u64 v[24:25], v[8:9], 0, v[12:13]
	global_load_dwordx4 v[24:27], v[24:25], off nt
	v_sub_u32_e32 v21, v21, v100
	v_cmp_gt_i32_e64 s[24:25], 16, v21
	v_lshl_add_u64 v[32:33], v[10:11], 0, v[12:13]
	v_sub_u32_e32 v22, v22, v84
	v_lshl_add_u64 v[12:13], v[12:13], 0, v[100:101]
	s_or_b64 s[90:91], s[24:25], s[90:91]
	s_waitcnt vmcnt(0)
	global_store_dwordx4 v[32:33], v[24:27], off
	s_andn2_b64 exec, exec, s[90:91]
	s_cbranch_execnz .LBB26_1749
; %bb.1750:                             ;   in Loop: Header=BB26_47 Depth=1
	s_or_b64 exec, exec, s[90:91]
.LBB26_1751:                            ;   in Loop: Header=BB26_47 Depth=1
	s_or_b64 exec, exec, s[42:43]
	v_and_b32_e32 v12, 14, v20
	v_sub_u32_e32 v13, v17, v12
	v_cndmask_b32_e32 v13, 0, v13, vcc
	v_cndmask_b32_e32 v20, v17, v12, vcc
	v_cmp_lt_i32_e32 vcc, 0, v22
	v_add3_u32 v21, v16, v14, v13
	s_nop 0
	v_cndmask_b32_e32 v12, 0, v84, vcc
	v_sub_u32_e32 v12, v12, v22
	v_cmp_ne_u32_e32 vcc, 0, v20
	v_lshl_add_u32 v22, v12, 6, v15
	s_and_b64 s[42:43], vcc, exec
.LBB26_1752:                            ;   in Loop: Header=BB26_47 Depth=1
	s_or_b64 exec, exec, s[40:41]
	s_and_saveexec_b64 s[24:25], s[42:43]
	s_cbranch_execz .LBB26_1761
.LBB26_1753:                            ;   in Loop: Header=BB26_47 Depth=1
	v_ashrrev_i32_e32 v12, 31, v22
	v_ashrrev_i32_e32 v13, 31, v20
	v_lshrrev_b32_e32 v12, 26, v12
	v_lshrrev_b32_e32 v13, 21, v13
	v_add_u32_e32 v12, v22, v12
	v_add_u32_e32 v13, v20, v13
	v_ashrrev_i32_e32 v23, 6, v12
	v_ashrrev_i32_e32 v25, 11, v13
	v_sub_u32_e32 v24, v25, v23
	v_cmp_lt_i32_e32 vcc, 0, v24
	s_and_saveexec_b64 s[40:41], vcc
	s_cbranch_execz .LBB26_1757
; %bb.1754:                             ;   in Loop: Header=BB26_47 Depth=1
	v_and_b32_e32 v12, 0x7fffffc0, v12
	v_sub_u32_e32 v12, v22, v12
	v_lshlrev_b32_e32 v12, 1, v12
	v_lshlrev_b32_e32 v13, 11, v23
	v_add3_u32 v12, v12, v21, v13
	v_ashrrev_i32_e32 v13, 31, v12
	s_mov_b64 s[42:43], 0
	v_mov_b64_e32 v[14:15], v[10:11]
	v_mov_b64_e32 v[16:17], v[8:9]
.LBB26_1755:                            ;   Parent Loop BB26_47 Depth=1
                                        ; =>  This Inner Loop Header: Depth=2
	v_lshl_add_u64 v[26:27], v[12:13], 0, v[16:17]
	flat_load_ushort v32, v[26:27] nt
	flat_load_ushort v33, v[26:27] offset:128 nt
	flat_load_ushort v34, v[26:27] offset:256 nt
	;; [unrolled: 1-line block ×15, first 2 shown]
	v_sub_u32_e32 v24, v24, v84
	v_cmp_gt_i32_e32 vcc, 1, v24
	v_lshl_add_u64 v[26:27], v[12:13], 0, v[14:15]
	v_lshl_add_u64 v[16:17], v[16:17], 0, v[102:103]
	;; [unrolled: 1-line block ×3, first 2 shown]
	s_or_b64 s[42:43], vcc, s[42:43]
	s_waitcnt vmcnt(0) lgkmcnt(0)
	flat_store_short v[26:27], v32 nt
	flat_store_short v[26:27], v33 offset:128 nt
	flat_store_short v[26:27], v34 offset:256 nt
	;; [unrolled: 1-line block ×15, first 2 shown]
	s_andn2_b64 exec, exec, s[42:43]
	s_cbranch_execnz .LBB26_1755
; %bb.1756:                             ;   in Loop: Header=BB26_47 Depth=1
	s_or_b64 exec, exec, s[42:43]
.LBB26_1757:                            ;   in Loop: Header=BB26_47 Depth=1
	s_or_b64 exec, exec, s[40:41]
	v_lshlrev_b32_e32 v12, 11, v25
	v_cmp_ne_u32_e32 vcc, v20, v12
	s_and_b64 exec, exec, vcc
	s_cbranch_execz .LBB26_1761
; %bb.1758:                             ;   in Loop: Header=BB26_47 Depth=1
	v_lshlrev_b32_e32 v13, 6, v23
	v_sub_u32_e32 v13, v22, v13
	v_lshlrev_b32_e32 v14, 6, v24
	v_sub_u32_e32 v13, v13, v14
	v_ashrrev_i32_e32 v14, 31, v13
	v_lshrrev_b32_e32 v14, 26, v14
	v_add_u32_e32 v14, v13, v14
	v_and_b32_e32 v15, 0x7fffffc0, v14
	v_sub_u32_e32 v13, v13, v15
	v_lshlrev_b32_e32 v14, 1, v14
	v_and_b32_e32 v14, 0xffffff80, v14
	v_lshlrev_b32_e32 v13, 1, v13
	v_add3_u32 v12, v14, v13, v12
	v_sub_u32_e32 v14, v20, v12
	v_cmp_lt_i32_e32 vcc, 1, v14
	s_and_b64 exec, exec, vcc
	s_cbranch_execz .LBB26_1761
; %bb.1759:                             ;   in Loop: Header=BB26_47 Depth=1
	v_add_u32_e32 v12, v12, v21
	v_ashrrev_i32_e32 v13, 31, v12
	s_mov_b64 s[40:41], 0
.LBB26_1760:                            ;   Parent Loop BB26_47 Depth=1
                                        ; =>  This Inner Loop Header: Depth=2
	v_lshl_add_u64 v[16:17], v[8:9], 0, v[12:13]
	flat_load_ushort v15, v[16:17] nt
	v_sub_u32_e32 v14, v14, v112
	v_cmp_gt_i32_e32 vcc, 2, v14
	v_lshl_add_u64 v[16:17], v[10:11], 0, v[12:13]
	v_lshl_add_u64 v[12:13], v[12:13], 0, v[112:113]
	s_or_b64 s[40:41], vcc, s[40:41]
	s_waitcnt vmcnt(0) lgkmcnt(0)
	flat_store_short v[16:17], v15 nt
	s_andn2_b64 exec, exec, s[40:41]
	s_cbranch_execnz .LBB26_1760
.LBB26_1761:                            ;   in Loop: Header=BB26_47 Depth=1
	s_or_b64 exec, exec, s[24:25]
	v_cmp_lt_i32_e64 s[24:25], 0, v2
	s_and_saveexec_b64 s[40:41], s[6:7]
	s_cbranch_execz .LBB26_1738
.LBB26_1762:                            ;   in Loop: Header=BB26_47 Depth=1
	s_and_saveexec_b64 s[42:43], s[58:59]
	s_xor_b64 s[42:43], exec, s[42:43]
	s_cbranch_execz .LBB26_1777
; %bb.1763:                             ;   in Loop: Header=BB26_47 Depth=1
	s_and_saveexec_b64 s[90:91], s[14:15]
	s_cbranch_execz .LBB26_1776
; %bb.1764:                             ;   in Loop: Header=BB26_47 Depth=1
	s_mov_b64 s[94:95], exec
	v_mbcnt_lo_u32_b32 v2, s94, 0
	v_mbcnt_hi_u32_b32 v2, s95, v2
	v_cmp_eq_u32_e32 vcc, 0, v2
	s_waitcnt lgkmcnt(0)
	s_and_saveexec_b64 s[92:93], vcc
	s_cbranch_execz .LBB26_1766
; %bb.1765:                             ;   in Loop: Header=BB26_47 Depth=1
	s_bcnt1_i32_b64 s56, s[94:95]
	v_mov_b32_e32 v2, s56
	ds_add_u64 v0, v[2:3]
	s_trap 2
.LBB26_1766:                            ;   in Loop: Header=BB26_47 Depth=1
	s_or_b64 exec, exec, s[92:93]
	s_trap 2
	ds_read_b64 v[8:9], v0
	s_waitcnt lgkmcnt(0)
	v_lshl_add_u64 v[70:71], v[70:71], 0, v[84:85]
	v_cmp_lt_u64_e32 vcc, v[8:9], v[70:71]
	s_and_saveexec_b64 s[92:93], vcc
	s_cbranch_execz .LBB26_1775
; %bb.1767:                             ;   in Loop: Header=BB26_47 Depth=1
	s_mov_b32 s56, 0
	s_mov_b64 s[94:95], 0
                                        ; implicit-def: $sgpr30_sgpr31
                                        ; implicit-def: $sgpr34_sgpr35
	s_branch .LBB26_1769
.LBB26_1768:                            ;   in Loop: Header=BB26_1769 Depth=2
	s_or_b64 exec, exec, s[38:39]
	s_and_b64 vcc, exec, vcc
	s_or_b64 s[94:95], vcc, s[94:95]
	s_andn2_b64 vcc, s[30:31], exec
	s_and_b64 s[30:31], s[34:35], exec
	s_or_b64 s[30:31], vcc, s[30:31]
	s_andn2_b64 exec, exec, s[94:95]
	s_cbranch_execz .LBB26_1773
.LBB26_1769:                            ;   Parent Loop BB26_47 Depth=1
                                        ; =>  This Inner Loop Header: Depth=2
	s_add_i32 s56, s56, 1
	s_cmpk_lg_i32 s56, 0x2710
	s_cselect_b64 s[36:37], -1, 0
	s_and_b64 vcc, exec, s[36:37]
	s_cbranch_vccz .LBB26_1771
; %bb.1770:                             ;   in Loop: Header=BB26_1769 Depth=2
	s_mov_b64 vcc, -1
	s_or_b64 s[34:35], s[34:35], exec
	s_and_saveexec_b64 s[38:39], s[36:37]
	s_cbranch_execz .LBB26_1768
	s_branch .LBB26_1772
.LBB26_1771:                            ;   in Loop: Header=BB26_1769 Depth=2
	s_trap 2
	ds_read_b64 v[8:9], v0
	s_andn2_b64 s[36:37], s[36:37], exec
	s_mov_b32 s56, 0
	s_waitcnt vmcnt(0) lgkmcnt(0)
	flat_load_dword v2, v[8:9] sc0 sc1
	s_waitcnt vmcnt(0) lgkmcnt(0)
	buffer_inv sc0 sc1
	v_cmp_eq_u32_e32 vcc, 0, v2
	s_and_b64 vcc, vcc, exec
	s_or_b64 s[36:37], s[36:37], vcc
	s_mov_b64 vcc, -1
	s_or_b64 s[34:35], s[34:35], exec
	s_and_saveexec_b64 s[38:39], s[36:37]
	s_cbranch_execz .LBB26_1768
.LBB26_1772:                            ;   in Loop: Header=BB26_1769 Depth=2
	s_sleep 1
	s_trap 2
	ds_read_b64 v[8:9], v0
	s_waitcnt lgkmcnt(0)
	s_andn2_b64 s[34:35], s[34:35], exec
	v_cmp_ge_u64_e32 vcc, v[8:9], v[70:71]
	s_orn2_b64 vcc, vcc, exec
	s_branch .LBB26_1768
.LBB26_1773:                            ;   in Loop: Header=BB26_47 Depth=1
	s_or_b64 exec, exec, s[94:95]
	s_and_saveexec_b64 s[94:95], s[30:31]
	s_xor_b64 s[94:95], exec, s[94:95]
	s_cbranch_execz .LBB26_1775
; %bb.1774:                             ;   in Loop: Header=BB26_47 Depth=1
	ds_write_b32 v0, v107
	s_trap 2
.LBB26_1775:                            ;   in Loop: Header=BB26_47 Depth=1
	s_or_b64 exec, exec, s[92:93]
	;;#ASMSTART
	s_wakeup
	;;#ASMEND
.LBB26_1776:                            ;   in Loop: Header=BB26_47 Depth=1
	s_or_b64 exec, exec, s[90:91]
.LBB26_1777:                            ;   in Loop: Header=BB26_47 Depth=1
	s_andn2_saveexec_b64 s[42:43], s[42:43]
	s_cbranch_execz .LBB26_1779
; %bb.1778:                             ;   in Loop: Header=BB26_47 Depth=1
	s_waitcnt lgkmcnt(0)
	s_barrier
.LBB26_1779:                            ;   in Loop: Header=BB26_47 Depth=1
	s_or_b64 exec, exec, s[42:43]
	s_or_b64 exec, exec, s[40:41]
	s_and_saveexec_b64 s[40:41], s[22:23]
	s_xor_b64 s[40:41], exec, s[40:41]
	s_cbranch_execnz .LBB26_1739
.LBB26_1780:                            ;   in Loop: Header=BB26_47 Depth=1
	s_andn2_saveexec_b64 s[24:25], s[40:41]
	s_cbranch_execz .LBB26_1799
.LBB26_1781:                            ;   in Loop: Header=BB26_47 Depth=1
	s_and_saveexec_b64 s[40:41], s[58:59]
	s_xor_b64 s[40:41], exec, s[40:41]
	s_cbranch_execz .LBB26_1796
; %bb.1782:                             ;   in Loop: Header=BB26_47 Depth=1
	s_and_saveexec_b64 s[42:43], s[14:15]
	s_cbranch_execz .LBB26_1795
; %bb.1783:                             ;   in Loop: Header=BB26_47 Depth=1
	s_mov_b64 s[92:93], exec
	v_mbcnt_lo_u32_b32 v2, s92, 0
	v_mbcnt_hi_u32_b32 v2, s93, v2
	v_cmp_eq_u32_e32 vcc, 0, v2
	;;#ASMSTART
	s_waitcnt lgkmcnt(0) vmcnt(0)
	;;#ASMEND
	s_and_saveexec_b64 s[90:91], vcc
	s_cbranch_execz .LBB26_1785
; %bb.1784:                             ;   in Loop: Header=BB26_47 Depth=1
	s_bcnt1_i32_b64 s56, s[92:93]
	v_mov_b32_e32 v2, s56
	s_waitcnt lgkmcnt(0)
	ds_add_u64 v0, v[2:3]
	s_trap 2
.LBB26_1785:                            ;   in Loop: Header=BB26_47 Depth=1
	s_or_b64 exec, exec, s[90:91]
	s_trap 2
	ds_read_b64 v[8:9], v0
	s_waitcnt lgkmcnt(0)
	v_lshl_add_u64 v[70:71], v[70:71], 0, v[84:85]
	v_cmp_lt_u64_e32 vcc, v[8:9], v[70:71]
	s_and_saveexec_b64 s[90:91], vcc
	s_cbranch_execz .LBB26_1794
; %bb.1786:                             ;   in Loop: Header=BB26_47 Depth=1
	s_mov_b32 s56, 0
	s_mov_b64 s[92:93], 0
                                        ; implicit-def: $sgpr94_sgpr95
                                        ; implicit-def: $sgpr30_sgpr31
	s_branch .LBB26_1788
.LBB26_1787:                            ;   in Loop: Header=BB26_1788 Depth=2
	s_or_b64 exec, exec, s[36:37]
	s_and_b64 vcc, exec, vcc
	s_or_b64 s[92:93], vcc, s[92:93]
	s_andn2_b64 s[94:95], s[94:95], exec
	s_and_b64 vcc, s[30:31], exec
	s_or_b64 s[94:95], s[94:95], vcc
	s_andn2_b64 exec, exec, s[92:93]
	s_cbranch_execz .LBB26_1792
.LBB26_1788:                            ;   Parent Loop BB26_47 Depth=1
                                        ; =>  This Inner Loop Header: Depth=2
	s_add_i32 s56, s56, 1
	s_cmpk_lg_i32 s56, 0x2710
	s_cselect_b64 s[34:35], -1, 0
	s_and_b64 vcc, exec, s[34:35]
	s_cbranch_vccz .LBB26_1790
; %bb.1789:                             ;   in Loop: Header=BB26_1788 Depth=2
	s_mov_b64 vcc, -1
	s_or_b64 s[30:31], s[30:31], exec
	s_and_saveexec_b64 s[36:37], s[34:35]
	s_cbranch_execz .LBB26_1787
	s_branch .LBB26_1791
.LBB26_1790:                            ;   in Loop: Header=BB26_1788 Depth=2
	s_trap 2
	ds_read_b64 v[8:9], v0
	s_andn2_b64 s[34:35], s[34:35], exec
	s_mov_b32 s56, 0
	s_waitcnt vmcnt(0) lgkmcnt(0)
	flat_load_dword v2, v[8:9] sc0 sc1
	s_waitcnt vmcnt(0) lgkmcnt(0)
	buffer_inv sc0 sc1
	v_cmp_eq_u32_e32 vcc, 0, v2
	s_and_b64 vcc, vcc, exec
	s_or_b64 s[34:35], s[34:35], vcc
	s_mov_b64 vcc, -1
	s_or_b64 s[30:31], s[30:31], exec
	s_and_saveexec_b64 s[36:37], s[34:35]
	s_cbranch_execz .LBB26_1787
.LBB26_1791:                            ;   in Loop: Header=BB26_1788 Depth=2
	s_sleep 1
	s_trap 2
	ds_read_b64 v[8:9], v0
	s_waitcnt lgkmcnt(0)
	s_andn2_b64 s[30:31], s[30:31], exec
	v_cmp_ge_u64_e32 vcc, v[8:9], v[70:71]
	s_orn2_b64 vcc, vcc, exec
	s_branch .LBB26_1787
.LBB26_1792:                            ;   in Loop: Header=BB26_47 Depth=1
	s_or_b64 exec, exec, s[92:93]
	s_and_saveexec_b64 s[92:93], s[94:95]
	s_xor_b64 s[92:93], exec, s[92:93]
	s_cbranch_execz .LBB26_1794
; %bb.1793:                             ;   in Loop: Header=BB26_47 Depth=1
	ds_write_b32 v0, v107
	s_trap 2
.LBB26_1794:                            ;   in Loop: Header=BB26_47 Depth=1
	s_or_b64 exec, exec, s[90:91]
	;;#ASMSTART
	s_wakeup
	;;#ASMEND
.LBB26_1795:                            ;   in Loop: Header=BB26_47 Depth=1
	s_or_b64 exec, exec, s[42:43]
.LBB26_1796:                            ;   in Loop: Header=BB26_47 Depth=1
	s_andn2_saveexec_b64 s[40:41], s[40:41]
	s_cbranch_execz .LBB26_1798
; %bb.1797:                             ;   in Loop: Header=BB26_47 Depth=1
	;;#ASMSTART
	s_waitcnt lgkmcnt(0) vmcnt(0)
	;;#ASMEND
	s_barrier
.LBB26_1798:                            ;   in Loop: Header=BB26_47 Depth=1
	s_or_b64 exec, exec, s[40:41]
.LBB26_1799:                            ;   in Loop: Header=BB26_47 Depth=1
	s_or_b64 exec, exec, s[24:25]
	v_and_b32_e32 v2, 32, v104
	v_cmp_ne_u32_e32 vcc, 0, v2
	s_and_saveexec_b64 s[24:25], vcc
	s_cbranch_execz .LBB26_1801
; %bb.1800:                             ;   in Loop: Header=BB26_47 Depth=1
	v_lshl_add_u64 v[58:59], v[58:59], 0, 4
	flat_store_dwordx2 v[64:65], v[58:59] sc0 sc1
.LBB26_1801:                            ;   in Loop: Header=BB26_47 Depth=1
	s_or_b64 exec, exec, s[24:25]
	v_mov_b32_e32 v14, v19
.LBB26_1802:                            ;   in Loop: Header=BB26_47 Depth=1
	s_or_b64 exec, exec, s[28:29]
	s_and_saveexec_b64 s[28:29], s[26:27]
	s_cbranch_execz .LBB26_46
; %bb.1803:                             ;   in Loop: Header=BB26_47 Depth=1
	v_and_b32_e32 v2, 4, v104
	v_cmp_ne_u32_e32 vcc, 0, v2
	s_and_saveexec_b64 s[26:27], vcc
	s_cbranch_execz .LBB26_1813
; %bb.1804:                             ;   in Loop: Header=BB26_47 Depth=1
	v_lshl_add_u64 v[8:9], v[58:59], 0, 4
	s_waitcnt vmcnt(0) lgkmcnt(0)
	v_cmp_lt_u64_e32 vcc, v[80:81], v[8:9]
	s_and_saveexec_b64 s[40:41], vcc
	s_cbranch_execz .LBB26_1828
; %bb.1805:                             ;   in Loop: Header=BB26_47 Depth=1
	v_and_b32_e32 v2, 64, v104
	s_mov_b32 s56, 0
	v_cmp_eq_u32_e32 vcc, 0, v2
	s_mov_b64 s[42:43], 0
                                        ; implicit-def: $sgpr90_sgpr91
                                        ; implicit-def: $sgpr92_sgpr93
                                        ; implicit-def: $sgpr94_sgpr95
	s_branch .LBB26_1809
.LBB26_1806:                            ;   in Loop: Header=BB26_1809 Depth=2
	s_waitcnt vmcnt(0) lgkmcnt(0)
	v_cmp_ge_u64_e64 s[24:25], v[80:81], v[8:9]
	s_or_b64 s[36:37], s[36:37], exec
	s_orn2_b64 s[34:35], s[24:25], exec
.LBB26_1807:                            ;   in Loop: Header=BB26_1809 Depth=2
	s_or_b64 exec, exec, s[48:49]
	s_andn2_b64 s[24:25], s[94:95], exec
	s_and_b64 s[94:95], s[36:37], exec
	s_or_b64 s[94:95], s[24:25], s[94:95]
	s_andn2_b64 s[24:25], s[92:93], exec
	s_and_b64 s[92:93], s[34:35], exec
	s_or_b64 s[92:93], s[24:25], s[92:93]
.LBB26_1808:                            ;   in Loop: Header=BB26_1809 Depth=2
	s_or_b64 exec, exec, s[30:31]
	s_and_b64 s[24:25], exec, s[92:93]
	s_or_b64 s[42:43], s[24:25], s[42:43]
	s_andn2_b64 s[24:25], s[90:91], exec
	s_and_b64 s[90:91], s[94:95], exec
	s_or_b64 s[90:91], s[24:25], s[90:91]
	s_andn2_b64 exec, exec, s[42:43]
	s_cbranch_execz .LBB26_1825
.LBB26_1809:                            ;   Parent Loop BB26_47 Depth=1
                                        ; =>  This Inner Loop Header: Depth=2
	s_sleep 1
	s_waitcnt vmcnt(0) lgkmcnt(0)
	flat_load_dwordx2 v[80:81], v[64:65] sc0 sc1
	s_or_b64 s[94:95], s[94:95], exec
	s_or_b64 s[92:93], s[92:93], exec
                                        ; implicit-def: $vgpr2
	s_and_saveexec_b64 s[30:31], vcc
	s_cbranch_execz .LBB26_1808
; %bb.1810:                             ;   in Loop: Header=BB26_1809 Depth=2
	s_cmpk_lt_i32 s56, 0x270f
	s_cselect_b64 s[38:39], -1, 0
	s_cmpk_gt_i32 s56, 0x270e
	s_mov_b64 s[34:35], -1
	s_cbranch_scc0 .LBB26_1812
; %bb.1811:                             ;   in Loop: Header=BB26_1809 Depth=2
	s_trap 2
	ds_read_b64 v[10:11], v0
	s_andn2_b64 s[38:39], s[38:39], exec
	s_mov_b32 s56, 0
	s_mov_b64 s[36:37], 0
	s_waitcnt vmcnt(0) lgkmcnt(0)
	flat_load_dword v2, v[10:11] sc0 sc1
	s_waitcnt vmcnt(0) lgkmcnt(0)
	buffer_inv sc0 sc1
	v_cmp_eq_u32_e64 s[24:25], 0, v2
	s_and_b64 s[24:25], s[24:25], exec
	s_or_b64 s[38:39], s[38:39], s[24:25]
	s_and_saveexec_b64 s[48:49], s[38:39]
	s_cbranch_execz .LBB26_1807
	s_branch .LBB26_1806
.LBB26_1812:                            ;   in Loop: Header=BB26_1809 Depth=2
	s_add_i32 s56, s56, 1
	s_mov_b64 s[36:37], -1
                                        ; implicit-def: $vgpr2
	s_and_saveexec_b64 s[48:49], s[38:39]
	s_cbranch_execz .LBB26_1807
	s_branch .LBB26_1806
.LBB26_1813:                            ;   in Loop: Header=BB26_47 Depth=1
	s_or_b64 exec, exec, s[26:27]
	s_and_saveexec_b64 s[24:25], s[6:7]
	s_cbranch_execz .LBB26_1837
.LBB26_1814:                            ;   in Loop: Header=BB26_47 Depth=1
	s_and_saveexec_b64 s[26:27], s[58:59]
	s_xor_b64 s[26:27], exec, s[26:27]
	s_cbranch_execz .LBB26_1845
; %bb.1815:                             ;   in Loop: Header=BB26_47 Depth=1
	s_and_saveexec_b64 s[40:41], s[14:15]
	s_cbranch_execz .LBB26_1844
; %bb.1816:                             ;   in Loop: Header=BB26_47 Depth=1
	s_mov_b64 s[90:91], exec
	v_mbcnt_lo_u32_b32 v2, s90, 0
	v_mbcnt_hi_u32_b32 v2, s91, v2
	v_cmp_eq_u32_e32 vcc, 0, v2
	s_waitcnt lgkmcnt(0)
	s_and_saveexec_b64 s[42:43], vcc
	s_cbranch_execz .LBB26_1818
; %bb.1817:                             ;   in Loop: Header=BB26_47 Depth=1
	s_bcnt1_i32_b64 s56, s[90:91]
	v_mov_b32_e32 v2, s56
	ds_add_u64 v0, v[2:3]
	s_trap 2
.LBB26_1818:                            ;   in Loop: Header=BB26_47 Depth=1
	s_or_b64 exec, exec, s[42:43]
	s_trap 2
	ds_read_b64 v[8:9], v0
	s_waitcnt lgkmcnt(0)
	v_lshl_add_u64 v[70:71], v[70:71], 0, v[84:85]
	v_cmp_lt_u64_e32 vcc, v[8:9], v[70:71]
	s_and_saveexec_b64 s[42:43], vcc
	s_cbranch_execz .LBB26_1843
; %bb.1819:                             ;   in Loop: Header=BB26_47 Depth=1
	s_mov_b32 s56, 0
	s_mov_b64 s[90:91], 0
                                        ; implicit-def: $sgpr92_sgpr93
                                        ; implicit-def: $sgpr94_sgpr95
	s_branch .LBB26_1821
.LBB26_1820:                            ;   in Loop: Header=BB26_1821 Depth=2
	s_or_b64 exec, exec, s[34:35]
	s_and_b64 vcc, exec, vcc
	s_or_b64 s[90:91], vcc, s[90:91]
	s_andn2_b64 s[92:93], s[92:93], exec
	s_and_b64 vcc, s[94:95], exec
	s_or_b64 s[92:93], s[92:93], vcc
	s_andn2_b64 exec, exec, s[90:91]
	s_cbranch_execz .LBB26_1841
.LBB26_1821:                            ;   Parent Loop BB26_47 Depth=1
                                        ; =>  This Inner Loop Header: Depth=2
	s_add_i32 s56, s56, 1
	s_cmpk_lg_i32 s56, 0x2710
	s_cselect_b64 s[30:31], -1, 0
	s_and_b64 vcc, exec, s[30:31]
	s_cbranch_vccz .LBB26_1823
; %bb.1822:                             ;   in Loop: Header=BB26_1821 Depth=2
	s_mov_b64 vcc, -1
	s_or_b64 s[94:95], s[94:95], exec
	s_and_saveexec_b64 s[34:35], s[30:31]
	s_cbranch_execz .LBB26_1820
	s_branch .LBB26_1824
.LBB26_1823:                            ;   in Loop: Header=BB26_1821 Depth=2
	s_trap 2
	ds_read_b64 v[8:9], v0
	s_andn2_b64 s[30:31], s[30:31], exec
	s_mov_b32 s56, 0
	s_waitcnt vmcnt(0) lgkmcnt(0)
	flat_load_dword v2, v[8:9] sc0 sc1
	s_waitcnt vmcnt(0) lgkmcnt(0)
	buffer_inv sc0 sc1
	v_cmp_eq_u32_e32 vcc, 0, v2
	s_and_b64 vcc, vcc, exec
	s_or_b64 s[30:31], s[30:31], vcc
	s_mov_b64 vcc, -1
	s_or_b64 s[94:95], s[94:95], exec
	s_and_saveexec_b64 s[34:35], s[30:31]
	s_cbranch_execz .LBB26_1820
.LBB26_1824:                            ;   in Loop: Header=BB26_1821 Depth=2
	s_sleep 1
	s_trap 2
	ds_read_b64 v[8:9], v0
	s_waitcnt lgkmcnt(0)
	s_andn2_b64 s[94:95], s[94:95], exec
	v_cmp_ge_u64_e32 vcc, v[8:9], v[70:71]
	s_orn2_b64 vcc, vcc, exec
	s_branch .LBB26_1820
.LBB26_1825:                            ;   in Loop: Header=BB26_47 Depth=1
	s_or_b64 exec, exec, s[42:43]
	s_xor_b64 s[24:25], s[90:91], -1
	s_and_saveexec_b64 s[42:43], s[24:25]
	s_xor_b64 s[24:25], exec, s[42:43]
	s_cbranch_execz .LBB26_1827
; %bb.1826:                             ;   in Loop: Header=BB26_47 Depth=1
	v_or_b32_e32 v104, 64, v104
	s_waitcnt lgkmcnt(0)
	ds_write_b32 v0, v2
	s_trap 2
.LBB26_1827:                            ;   in Loop: Header=BB26_47 Depth=1
	s_or_b64 exec, exec, s[24:25]
.LBB26_1828:                            ;   in Loop: Header=BB26_47 Depth=1
	s_or_b64 exec, exec, s[40:41]
	v_and_b32_e32 v2, 0x100, v104
	v_cmp_ne_u32_e32 vcc, 0, v2
	v_and_b32_e32 v2, 7, v58
	s_mov_b64 s[24:25], -1
	;;#ASMSTART
	s_wakeup
	;;#ASMEND
                                        ; implicit-def: $vgpr10_vgpr11
	s_and_saveexec_b64 s[40:41], vcc
	s_cbranch_execz .LBB26_1832
; %bb.1829:                             ;   in Loop: Header=BB26_47 Depth=1
	v_mad_u64_u32 v[12:13], s[24:25], v2, 24, v[6:7]
	flat_load_dword v10, v[12:13]
	s_waitcnt vmcnt(0) lgkmcnt(0)
	v_cmp_ne_u32_e32 vcc, 1, v10
	v_cmp_eq_u32_e64 s[24:25], 1, v10
                                        ; implicit-def: $vgpr10_vgpr11
	s_and_saveexec_b64 s[42:43], s[24:25]
	s_cbranch_execz .LBB26_1831
; %bb.1830:                             ;   in Loop: Header=BB26_47 Depth=1
	flat_load_dword v10, v[12:13] offset:4 sc0 sc1
	s_waitcnt vmcnt(0) lgkmcnt(0)
	v_ashrrev_i32_e32 v11, 31, v10
	v_lshrrev_b64 v[10:11], 1, v[10:11]
.LBB26_1831:                            ;   in Loop: Header=BB26_47 Depth=1
	s_or_b64 exec, exec, s[42:43]
	s_orn2_b64 s[24:25], vcc, exec
.LBB26_1832:                            ;   in Loop: Header=BB26_47 Depth=1
	s_or_b64 exec, exec, s[40:41]
	s_and_saveexec_b64 s[40:41], s[24:25]
; %bb.1833:                             ;   in Loop: Header=BB26_47 Depth=1
	v_mad_i64_i32 v[10:11], s[24:25], v2, v30, 0
; %bb.1834:                             ;   in Loop: Header=BB26_47 Depth=1
	s_or_b64 exec, exec, s[40:41]
	v_and_b32_e32 v2, 0x2000, v104
	v_lshl_add_u64 v[10:11], v[10:11], 1, v[66:67]
	v_cmp_ne_u32_e32 vcc, 0, v2
	ds_write_b64 v0, v[10:11] offset:720
	s_and_saveexec_b64 s[24:25], vcc
	s_cbranch_execz .LBB26_1836
; %bb.1835:                             ;   in Loop: Header=BB26_47 Depth=1
	ds_read_b64 v[10:11], v0 offset:872
	s_waitcnt lgkmcnt(0)
	v_lshl_add_u64 v[10:11], v[10:11], 0, 1
	ds_write_b64 v0, v[10:11] offset:872
.LBB26_1836:                            ;   in Loop: Header=BB26_47 Depth=1
	s_or_b64 exec, exec, s[24:25]
	v_mov_b64_e32 v[58:59], v[8:9]
	s_or_b64 exec, exec, s[26:27]
	s_and_saveexec_b64 s[24:25], s[6:7]
	s_cbranch_execnz .LBB26_1814
.LBB26_1837:                            ;   in Loop: Header=BB26_47 Depth=1
	s_or_b64 exec, exec, s[24:25]
	s_and_saveexec_b64 s[24:25], s[22:23]
	s_xor_b64 s[24:25], exec, s[24:25]
	s_cbranch_execz .LBB26_1848
.LBB26_1838:                            ;   in Loop: Header=BB26_47 Depth=1
	s_trap 2
	ds_read_b32 v2, v0
	v_sub_u32_e32 v8, v18, v14
	v_min_i32_e32 v8, v19, v8
	v_cmp_lt_i32_e32 vcc, 0, v8
	s_waitcnt lgkmcnt(0)
	v_readfirstlane_b32 s26, v2
	s_cmp_eq_u32 s26, 0
	s_cselect_b64 s[26:27], -1, 0
	v_and_b32_e32 v2, 16, v104
	s_and_b64 s[26:27], vcc, s[26:27]
	v_cmp_ne_u32_e32 vcc, 0, v2
	s_and_b64 s[40:41], vcc, s[26:27]
	s_and_saveexec_b64 s[26:27], s[40:41]
	s_cbranch_execz .LBB26_1840
; %bb.1839:                             ;   in Loop: Header=BB26_47 Depth=1
	buffer_wbl2 sc1
	s_waitcnt vmcnt(0)
	buffer_inv sc1
.LBB26_1840:                            ;   in Loop: Header=BB26_47 Depth=1
	s_or_b64 exec, exec, s[26:27]
	s_andn2_saveexec_b64 s[24:25], s[24:25]
	s_cbranch_execz .LBB26_1867
	s_branch .LBB26_1849
.LBB26_1841:                            ;   in Loop: Header=BB26_47 Depth=1
	s_or_b64 exec, exec, s[90:91]
	s_and_saveexec_b64 s[90:91], s[92:93]
	s_xor_b64 s[90:91], exec, s[90:91]
	s_cbranch_execz .LBB26_1843
; %bb.1842:                             ;   in Loop: Header=BB26_47 Depth=1
	ds_write_b32 v0, v107
	s_trap 2
.LBB26_1843:                            ;   in Loop: Header=BB26_47 Depth=1
	s_or_b64 exec, exec, s[42:43]
	;;#ASMSTART
	s_wakeup
	;;#ASMEND
.LBB26_1844:                            ;   in Loop: Header=BB26_47 Depth=1
	s_or_b64 exec, exec, s[40:41]
.LBB26_1845:                            ;   in Loop: Header=BB26_47 Depth=1
	s_andn2_saveexec_b64 s[26:27], s[26:27]
	s_cbranch_execz .LBB26_1847
; %bb.1846:                             ;   in Loop: Header=BB26_47 Depth=1
	s_waitcnt lgkmcnt(0)
	s_barrier
.LBB26_1847:                            ;   in Loop: Header=BB26_47 Depth=1
	s_or_b64 exec, exec, s[26:27]
	s_or_b64 exec, exec, s[24:25]
	s_and_saveexec_b64 s[24:25], s[22:23]
	s_xor_b64 s[24:25], exec, s[24:25]
	s_cbranch_execnz .LBB26_1838
.LBB26_1848:                            ;   in Loop: Header=BB26_47 Depth=1
	s_andn2_saveexec_b64 s[24:25], s[24:25]
	s_cbranch_execz .LBB26_1867
.LBB26_1849:                            ;   in Loop: Header=BB26_47 Depth=1
	s_and_saveexec_b64 s[26:27], s[58:59]
	s_xor_b64 s[26:27], exec, s[26:27]
	s_cbranch_execz .LBB26_1864
; %bb.1850:                             ;   in Loop: Header=BB26_47 Depth=1
	s_and_saveexec_b64 s[40:41], s[14:15]
	s_cbranch_execz .LBB26_1863
; %bb.1851:                             ;   in Loop: Header=BB26_47 Depth=1
	s_mov_b64 s[90:91], exec
	v_mbcnt_lo_u32_b32 v2, s90, 0
	v_mbcnt_hi_u32_b32 v2, s91, v2
	v_cmp_eq_u32_e32 vcc, 0, v2
	;;#ASMSTART
	s_waitcnt lgkmcnt(0) vmcnt(0)
	;;#ASMEND
	s_and_saveexec_b64 s[42:43], vcc
	s_cbranch_execz .LBB26_1853
; %bb.1852:                             ;   in Loop: Header=BB26_47 Depth=1
	s_bcnt1_i32_b64 s56, s[90:91]
	v_mov_b32_e32 v2, s56
	s_waitcnt lgkmcnt(0)
	ds_add_u64 v0, v[2:3]
	s_trap 2
.LBB26_1853:                            ;   in Loop: Header=BB26_47 Depth=1
	s_or_b64 exec, exec, s[42:43]
	s_trap 2
	ds_read_b64 v[8:9], v0
	s_waitcnt lgkmcnt(0)
	v_lshl_add_u64 v[70:71], v[70:71], 0, v[84:85]
	v_cmp_lt_u64_e32 vcc, v[8:9], v[70:71]
	s_and_saveexec_b64 s[42:43], vcc
	s_cbranch_execz .LBB26_1862
; %bb.1854:                             ;   in Loop: Header=BB26_47 Depth=1
	s_mov_b32 s56, 0
	s_mov_b64 s[90:91], 0
                                        ; implicit-def: $sgpr92_sgpr93
                                        ; implicit-def: $sgpr94_sgpr95
	s_branch .LBB26_1856
.LBB26_1855:                            ;   in Loop: Header=BB26_1856 Depth=2
	s_or_b64 exec, exec, s[34:35]
	s_and_b64 vcc, exec, vcc
	s_or_b64 s[90:91], vcc, s[90:91]
	s_andn2_b64 s[92:93], s[92:93], exec
	s_and_b64 vcc, s[94:95], exec
	s_or_b64 s[92:93], s[92:93], vcc
	s_andn2_b64 exec, exec, s[90:91]
	s_cbranch_execz .LBB26_1860
.LBB26_1856:                            ;   Parent Loop BB26_47 Depth=1
                                        ; =>  This Inner Loop Header: Depth=2
	s_add_i32 s56, s56, 1
	s_cmpk_lg_i32 s56, 0x2710
	s_cselect_b64 s[30:31], -1, 0
	s_and_b64 vcc, exec, s[30:31]
	s_cbranch_vccz .LBB26_1858
; %bb.1857:                             ;   in Loop: Header=BB26_1856 Depth=2
	s_mov_b64 vcc, -1
	s_or_b64 s[94:95], s[94:95], exec
	s_and_saveexec_b64 s[34:35], s[30:31]
	s_cbranch_execz .LBB26_1855
	s_branch .LBB26_1859
.LBB26_1858:                            ;   in Loop: Header=BB26_1856 Depth=2
	s_trap 2
	ds_read_b64 v[8:9], v0
	s_andn2_b64 s[30:31], s[30:31], exec
	s_mov_b32 s56, 0
	s_waitcnt vmcnt(0) lgkmcnt(0)
	flat_load_dword v2, v[8:9] sc0 sc1
	s_waitcnt vmcnt(0) lgkmcnt(0)
	buffer_inv sc0 sc1
	v_cmp_eq_u32_e32 vcc, 0, v2
	s_and_b64 vcc, vcc, exec
	s_or_b64 s[30:31], s[30:31], vcc
	s_mov_b64 vcc, -1
	s_or_b64 s[94:95], s[94:95], exec
	s_and_saveexec_b64 s[34:35], s[30:31]
	s_cbranch_execz .LBB26_1855
.LBB26_1859:                            ;   in Loop: Header=BB26_1856 Depth=2
	s_sleep 1
	s_trap 2
	ds_read_b64 v[8:9], v0
	s_waitcnt lgkmcnt(0)
	s_andn2_b64 s[94:95], s[94:95], exec
	v_cmp_ge_u64_e32 vcc, v[8:9], v[70:71]
	s_orn2_b64 vcc, vcc, exec
	s_branch .LBB26_1855
.LBB26_1860:                            ;   in Loop: Header=BB26_47 Depth=1
	s_or_b64 exec, exec, s[90:91]
	s_and_saveexec_b64 s[90:91], s[92:93]
	s_xor_b64 s[90:91], exec, s[90:91]
	s_cbranch_execz .LBB26_1862
; %bb.1861:                             ;   in Loop: Header=BB26_47 Depth=1
	ds_write_b32 v0, v107
	s_trap 2
.LBB26_1862:                            ;   in Loop: Header=BB26_47 Depth=1
	s_or_b64 exec, exec, s[42:43]
	;;#ASMSTART
	s_wakeup
	;;#ASMEND
.LBB26_1863:                            ;   in Loop: Header=BB26_47 Depth=1
	s_or_b64 exec, exec, s[40:41]
.LBB26_1864:                            ;   in Loop: Header=BB26_47 Depth=1
	s_andn2_saveexec_b64 s[26:27], s[26:27]
	s_cbranch_execz .LBB26_1866
; %bb.1865:                             ;   in Loop: Header=BB26_47 Depth=1
	;;#ASMSTART
	s_waitcnt lgkmcnt(0) vmcnt(0)
	;;#ASMEND
	s_barrier
.LBB26_1866:                            ;   in Loop: Header=BB26_47 Depth=1
	s_or_b64 exec, exec, s[26:27]
.LBB26_1867:                            ;   in Loop: Header=BB26_47 Depth=1
	s_or_b64 exec, exec, s[24:25]
	v_and_b32_e32 v2, 32, v104
	v_cmp_ne_u32_e32 vcc, 0, v2
	s_and_saveexec_b64 s[24:25], vcc
	s_cbranch_execz .LBB26_45
; %bb.1868:                             ;   in Loop: Header=BB26_47 Depth=1
	v_lshl_add_u64 v[58:59], v[58:59], 0, 4
	flat_store_dwordx2 v[64:65], v[58:59] sc0 sc1
	s_branch .LBB26_45
.LBB26_1869:
	s_or_b64 exec, exec, s[60:61]
	scratch_load_dwordx2 v[22:23], off, s33 offset:188 ; 8-byte Folded Reload
.LBB26_1870:
	s_or_b64 exec, exec, s[46:47]
	v_and_b32_e32 v0, 0x800, v104
	v_cmp_eq_u32_e32 vcc, 0, v0
	s_and_saveexec_b64 s[2:3], vcc
	s_cbranch_execz .LBB26_1903
; %bb.1871:
	v_and_b32_e32 v0, 48, v104
	v_cmp_ne_u32_e32 vcc, 0, v0
	s_and_saveexec_b64 s[0:1], vcc
	s_cbranch_execz .LBB26_1873
; %bb.1872:
	s_waitcnt vmcnt(0)
	flat_store_dwordx2 v[22:23], v[58:59] offset:104
.LBB26_1873:
	s_or_b64 exec, exec, s[0:1]
	s_movk_i32 s0, 0x88
	v_and_b32_e32 v0, 0x88, v104
	v_cmp_eq_u32_e32 vcc, s0, v0
	s_and_saveexec_b64 s[4:5], vcc
	s_cbranch_execz .LBB26_1883
; %bb.1874:
	v_bitop3_b32 v0, v58, 4, 7 bitop3:0x6c
	v_mad_u64_u32 v[2:3], s[0:1], v0, 24, v[6:7]
	flat_load_dwordx2 v[4:5], v[2:3] offset:8 sc0 sc1
	s_waitcnt vmcnt(0)
	v_and_b32_e32 v0, 64, v104
	v_cmp_eq_u32_e64 s[0:1], 0, v0
	s_mov_b32 s18, 0
	s_waitcnt lgkmcnt(0)
	v_cmp_ne_u64_e32 vcc, -1, v[4:5]
	s_and_b64 s[0:1], vcc, s[0:1]
	s_and_b64 exec, exec, s[0:1]
	s_cbranch_execz .LBB26_1883
; %bb.1875:
	s_mov_b64 s[0:1], 0
                                        ; implicit-def: $sgpr6_sgpr7
                                        ; implicit-def: $sgpr10_sgpr11
	s_branch .LBB26_1878
.LBB26_1876:                            ;   in Loop: Header=BB26_1878 Depth=1
	flat_load_dwordx2 v[4:5], v[2:3] offset:8 sc0 sc1
	s_waitcnt vmcnt(0)
	s_andn2_b64 s[10:11], s[10:11], exec
	s_waitcnt lgkmcnt(0)
	v_cmp_eq_u64_e32 vcc, -1, v[4:5]
	s_orn2_b64 s[14:15], vcc, exec
.LBB26_1877:                            ;   in Loop: Header=BB26_1878 Depth=1
	s_or_b64 exec, exec, s[16:17]
	s_and_b64 s[12:13], exec, s[14:15]
	s_or_b64 s[0:1], s[12:13], s[0:1]
	s_andn2_b64 s[6:7], s[6:7], exec
	s_and_b64 s[12:13], s[10:11], exec
	s_or_b64 s[6:7], s[6:7], s[12:13]
	s_andn2_b64 exec, exec, s[0:1]
	s_cbranch_execz .LBB26_1881
.LBB26_1878:                            ; =>This Inner Loop Header: Depth=1
	s_cmpk_lt_i32 s18, 0x270f
	s_cselect_b64 s[12:13], -1, 0
	s_and_b64 vcc, exec, s[12:13]
	s_cbranch_vccnz .LBB26_1880
; %bb.1879:                             ;   in Loop: Header=BB26_1878 Depth=1
	s_trap 2
	ds_read_b64 v[4:5], v0
	s_andn2_b64 s[12:13], s[12:13], exec
	s_mov_b32 s18, 0
	s_waitcnt lgkmcnt(0)
	flat_load_dword v0, v[4:5] sc0 sc1
	s_waitcnt vmcnt(0) lgkmcnt(0)
	buffer_inv sc0 sc1
	v_cmp_eq_u32_e32 vcc, 0, v0
	s_and_b64 s[14:15], vcc, exec
	s_or_b64 s[12:13], s[12:13], s[14:15]
	s_mov_b64 s[14:15], -1
	s_or_b64 s[10:11], s[10:11], exec
	s_and_saveexec_b64 s[16:17], s[12:13]
	s_cbranch_execz .LBB26_1877
	s_branch .LBB26_1876
.LBB26_1880:                            ;   in Loop: Header=BB26_1878 Depth=1
	s_add_i32 s18, s18, 1
                                        ; implicit-def: $vgpr0
	s_mov_b64 s[14:15], -1
	s_or_b64 s[10:11], s[10:11], exec
	s_and_saveexec_b64 s[16:17], s[12:13]
	s_cbranch_execz .LBB26_1877
	s_branch .LBB26_1876
.LBB26_1881:
	s_or_b64 exec, exec, s[0:1]
	s_and_saveexec_b64 s[0:1], s[6:7]
	s_xor_b64 s[0:1], exec, s[0:1]
	s_cbranch_execz .LBB26_1883
; %bb.1882:
	ds_write_b32 v0, v0
	s_trap 2
.LBB26_1883:
	s_or_b64 exec, exec, s[4:5]
	v_and_b32_e32 v0, 0x2000, v104
	v_cmp_ne_u32_e32 vcc, 0, v0
	s_and_saveexec_b64 s[0:1], vcc
	s_cbranch_execz .LBB26_1885
; %bb.1884:
	scratch_load_dwordx2 v[4:5], off, s33 offset:196 ; 8-byte Folded Reload
	ds_read_b64 v[2:3], v0 offset:872
	s_waitcnt vmcnt(0) lgkmcnt(0)
	flat_store_dwordx2 v[4:5], v[2:3] offset:16
.LBB26_1885:
	s_or_b64 exec, exec, s[0:1]
	v_cmp_ne_u32_e32 vcc, 64, v1
	s_and_b64 exec, exec, vcc
	s_cbranch_execz .LBB26_1903
; %bb.1886:
	v_cmp_ne_u32_sdwa s[0:1], v1, v54 src0_sel:DWORD src1_sel:WORD_0
	s_and_saveexec_b64 s[4:5], s[0:1]
	s_xor_b64 s[0:1], exec, s[4:5]
	s_cbranch_execz .LBB26_1901
; %bb.1887:
	v_and_b32_e32 v0, 63, v31
	v_cmp_eq_u32_e32 vcc, 0, v0
	s_and_saveexec_b64 s[4:5], vcc
	s_cbranch_execz .LBB26_1900
; %bb.1888:
	s_mov_b64 s[10:11], exec
	v_mbcnt_lo_u32_b32 v0, s10, 0
	v_mbcnt_hi_u32_b32 v0, s11, v0
	v_cmp_eq_u32_e32 vcc, 0, v0
	s_waitcnt lgkmcnt(0)
	s_and_saveexec_b64 s[6:7], vcc
	s_cbranch_execz .LBB26_1890
; %bb.1889:
	s_bcnt1_i32_b64 s10, s[10:11]
	v_mov_b32_e32 v2, s10
	v_mov_b32_e32 v3, 0
	ds_add_u64 v0, v[2:3]
	s_trap 2
.LBB26_1890:
	s_or_b64 exec, exec, s[6:7]
	s_trap 2
	ds_read_b64 v[2:3], v0
	s_waitcnt lgkmcnt(0)
	v_lshrrev_b32_e32 v0, 6, v1
	v_mov_b32_e32 v1, 0
	v_lshl_add_u64 v[0:1], v[70:71], 0, v[0:1]
	v_cmp_lt_u64_e32 vcc, v[2:3], v[0:1]
	s_and_saveexec_b64 s[6:7], vcc
	s_cbranch_execz .LBB26_1899
; %bb.1891:
	s_mov_b32 s22, 0
	s_mov_b64 s[10:11], 0
                                        ; implicit-def: $sgpr12_sgpr13
                                        ; implicit-def: $sgpr14_sgpr15
	s_branch .LBB26_1893
.LBB26_1892:                            ;   in Loop: Header=BB26_1893 Depth=1
	s_or_b64 exec, exec, s[18:19]
	s_and_b64 s[16:17], exec, s[20:21]
	s_or_b64 s[10:11], s[16:17], s[10:11]
	s_andn2_b64 s[12:13], s[12:13], exec
	s_and_b64 s[16:17], s[14:15], exec
	s_or_b64 s[12:13], s[12:13], s[16:17]
	s_andn2_b64 exec, exec, s[10:11]
	s_cbranch_execz .LBB26_1897
.LBB26_1893:                            ; =>This Inner Loop Header: Depth=1
	s_add_i32 s22, s22, 1
	s_cmpk_lg_i32 s22, 0x2710
	s_cselect_b64 s[16:17], -1, 0
	s_and_b64 vcc, exec, s[16:17]
	s_cbranch_vccz .LBB26_1895
; %bb.1894:                             ;   in Loop: Header=BB26_1893 Depth=1
	s_mov_b64 s[20:21], -1
	s_or_b64 s[14:15], s[14:15], exec
	s_and_saveexec_b64 s[18:19], s[16:17]
	s_cbranch_execz .LBB26_1892
	s_branch .LBB26_1896
.LBB26_1895:                            ;   in Loop: Header=BB26_1893 Depth=1
	s_trap 2
	ds_read_b64 v[2:3], v0
	s_andn2_b64 s[16:17], s[16:17], exec
	s_mov_b32 s22, 0
	s_waitcnt vmcnt(0) lgkmcnt(0)
	flat_load_dword v2, v[2:3] sc0 sc1
	s_waitcnt vmcnt(0) lgkmcnt(0)
	buffer_inv sc0 sc1
	v_cmp_eq_u32_e32 vcc, 0, v2
	s_and_b64 s[18:19], vcc, exec
	s_or_b64 s[16:17], s[16:17], s[18:19]
	s_mov_b64 s[20:21], -1
	s_or_b64 s[14:15], s[14:15], exec
	s_and_saveexec_b64 s[18:19], s[16:17]
	s_cbranch_execz .LBB26_1892
.LBB26_1896:                            ;   in Loop: Header=BB26_1893 Depth=1
	s_sleep 1
	s_trap 2
	ds_read_b64 v[2:3], v0
	s_waitcnt lgkmcnt(0)
	s_andn2_b64 s[14:15], s[14:15], exec
	v_cmp_ge_u64_e32 vcc, v[2:3], v[0:1]
	s_orn2_b64 s[20:21], vcc, exec
	s_branch .LBB26_1892
.LBB26_1897:
	s_or_b64 exec, exec, s[10:11]
	s_and_saveexec_b64 s[10:11], s[12:13]
	s_xor_b64 s[10:11], exec, s[10:11]
	s_cbranch_execz .LBB26_1899
; %bb.1898:
	v_mov_b32_e32 v0, 1
	ds_write_b32 v0, v0
	s_trap 2
.LBB26_1899:
	s_or_b64 exec, exec, s[6:7]
	;;#ASMSTART
	s_wakeup
	;;#ASMEND
.LBB26_1900:
	s_or_b64 exec, exec, s[4:5]
.LBB26_1901:
	s_andn2_saveexec_b64 s[0:1], s[0:1]
	s_cbranch_execz .LBB26_1903
; %bb.1902:
	s_waitcnt lgkmcnt(0)
	s_barrier
.LBB26_1903:
	s_or_b64 exec, exec, s[2:3]
.LBB26_1904:
	s_andn2_saveexec_b64 s[22:23], s[44:45]
	s_cbranch_execz .LBB26_1906
; %bb.1905:
	s_getpc_b64 s[0:1]
	s_add_u32 s0, s0, __PRETTY_FUNCTION__._ZN10PrimitivesI12hip_bfloat1610FuncMinMaxIS0_E12FanSymmetricILi1EELi0E11ProtoSimpleILi1ELi4ELi0ELi4ELi0ELi0EELi0ELb0ELi0ELi0ELi0EEC2EiiPKiS9_PKvPvmhhhP15ncclDevWorkCollP14ncclDevWorkP2pii@rel32@lo+4
	s_addc_u32 s1, s1, __PRETTY_FUNCTION__._ZN10PrimitivesI12hip_bfloat1610FuncMinMaxIS0_E12FanSymmetricILi1EELi0E11ProtoSimpleILi1ELi4ELi0ELi4ELi0ELi0EELi0ELb0ELi0ELi0ELi0EEC2EiiPKiS9_PKvPvmhhhP15ncclDevWorkCollP14ncclDevWorkP2pii@rel32@hi+12
	s_getpc_b64 s[2:3]
	s_add_u32 s2, s2, __assert_fail@rel32@lo+4
	s_addc_u32 s3, s3, __assert_fail@rel32@hi+12
	v_mov_b32_e32 v0, s0
	v_mov_b32_e32 v1, s1
	s_swappc_b64 s[30:31], s[2:3]
	; divergent unreachable
.LBB26_1906:
	s_or_b64 exec, exec, s[22:23]
	scratch_load_dword v126, off, s33       ; 4-byte Folded Reload
	scratch_load_dword v125, off, s33 offset:4 ; 4-byte Folded Reload
	scratch_load_dword v124, off, s33 offset:8 ; 4-byte Folded Reload
	;; [unrolled: 1-line block ×46, first 2 shown]
	v_readlane_b32 s30, v55, 28
	v_readlane_b32 s31, v55, 29
	;; [unrolled: 1-line block ×30, first 2 shown]
	s_mov_b32 s32, s33
	v_readlane_b32 s0, v55, 30
	s_xor_saveexec_b64 s[2:3], -1
	scratch_load_dword v55, off, s33 offset:204 ; 4-byte Folded Reload
	s_mov_b64 exec, s[2:3]
	s_mov_b32 s33, s0
	s_waitcnt vmcnt(0) lgkmcnt(0)
	s_setpc_b64 s[30:31]
.Lfunc_end26:
	.size	_ZN12_GLOBAL__N_17runRingI12hip_bfloat1610FuncMinMaxIS1_E11ProtoSimpleILi1ELi4ELi0ELi4ELi0ELi0EELi0ELi0ELi4ELi0EEEviiP15ncclDevWorkColl, .Lfunc_end26-_ZN12_GLOBAL__N_17runRingI12hip_bfloat1610FuncMinMaxIS1_E11ProtoSimpleILi1ELi4ELi0ELi4ELi0ELi0EELi0ELi0ELi4ELi0EEEviiP15ncclDevWorkColl
                                        ; -- End function
	.set .L_ZN12_GLOBAL__N_17runRingI12hip_bfloat1610FuncMinMaxIS1_E11ProtoSimpleILi1ELi4ELi0ELi4ELi0ELi0EELi0ELi0ELi4ELi0EEEviiP15ncclDevWorkColl.num_vgpr, max(127, .L__assert_fail.num_vgpr)
	.set .L_ZN12_GLOBAL__N_17runRingI12hip_bfloat1610FuncMinMaxIS1_E11ProtoSimpleILi1ELi4ELi0ELi4ELi0ELi0EELi0ELi0ELi4ELi0EEEviiP15ncclDevWorkColl.num_agpr, max(0, .L__assert_fail.num_agpr)
	.set .L_ZN12_GLOBAL__N_17runRingI12hip_bfloat1610FuncMinMaxIS1_E11ProtoSimpleILi1ELi4ELi0ELi4ELi0ELi0EELi0ELi0ELi4ELi0EEEviiP15ncclDevWorkColl.numbered_sgpr, max(96, .L__assert_fail.numbered_sgpr)
	.set .L_ZN12_GLOBAL__N_17runRingI12hip_bfloat1610FuncMinMaxIS1_E11ProtoSimpleILi1ELi4ELi0ELi4ELi0ELi0EELi0ELi0ELi4ELi0EEEviiP15ncclDevWorkColl.num_named_barrier, max(0, .L__assert_fail.num_named_barrier)
	.set .L_ZN12_GLOBAL__N_17runRingI12hip_bfloat1610FuncMinMaxIS1_E11ProtoSimpleILi1ELi4ELi0ELi4ELi0ELi0EELi0ELi0ELi4ELi0EEEviiP15ncclDevWorkColl.private_seg_size, 224+max(.L__assert_fail.private_seg_size)
	.set .L_ZN12_GLOBAL__N_17runRingI12hip_bfloat1610FuncMinMaxIS1_E11ProtoSimpleILi1ELi4ELi0ELi4ELi0ELi0EELi0ELi0ELi4ELi0EEEviiP15ncclDevWorkColl.uses_vcc, or(1, .L__assert_fail.uses_vcc)
	.set .L_ZN12_GLOBAL__N_17runRingI12hip_bfloat1610FuncMinMaxIS1_E11ProtoSimpleILi1ELi4ELi0ELi4ELi0ELi0EELi0ELi0ELi4ELi0EEEviiP15ncclDevWorkColl.uses_flat_scratch, or(0, .L__assert_fail.uses_flat_scratch)
	.set .L_ZN12_GLOBAL__N_17runRingI12hip_bfloat1610FuncMinMaxIS1_E11ProtoSimpleILi1ELi4ELi0ELi4ELi0ELi0EELi0ELi0ELi4ELi0EEEviiP15ncclDevWorkColl.has_dyn_sized_stack, or(0, .L__assert_fail.has_dyn_sized_stack)
	.set .L_ZN12_GLOBAL__N_17runRingI12hip_bfloat1610FuncMinMaxIS1_E11ProtoSimpleILi1ELi4ELi0ELi4ELi0ELi0EELi0ELi0ELi4ELi0EEEviiP15ncclDevWorkColl.has_recursion, or(1, .L__assert_fail.has_recursion)
	.set .L_ZN12_GLOBAL__N_17runRingI12hip_bfloat1610FuncMinMaxIS1_E11ProtoSimpleILi1ELi4ELi0ELi4ELi0ELi0EELi0ELi0ELi4ELi0EEEviiP15ncclDevWorkColl.has_indirect_call, or(0, .L__assert_fail.has_indirect_call)
	.section	.AMDGPU.csdata,"",@progbits
; Function info:
; codeLenInByte = 57624
; TotalNumSgprs: 102
; NumVgprs: 127
; NumAgprs: 0
; TotalNumVgprs: 127
; ScratchSize: 288
; MemoryBound: 1
	.text
	.p2align	2                               ; -- Begin function _ZN12_GLOBAL__N_17runRingI12hip_bfloat1610FuncMinMaxIS1_E11ProtoSimpleILi2ELi2ELi0ELi4ELi0ELi0EELi0ELi0ELi4ELi0EEEviiP15ncclDevWorkColl
	.type	_ZN12_GLOBAL__N_17runRingI12hip_bfloat1610FuncMinMaxIS1_E11ProtoSimpleILi2ELi2ELi0ELi4ELi0ELi0EELi0ELi0ELi4ELi0EEEviiP15ncclDevWorkColl,@function
_ZN12_GLOBAL__N_17runRingI12hip_bfloat1610FuncMinMaxIS1_E11ProtoSimpleILi2ELi2ELi0ELi4ELi0ELi0EELi0ELi0ELi4ELi0EEEviiP15ncclDevWorkColl: ; @_ZN12_GLOBAL__N_17runRingI12hip_bfloat1610FuncMinMaxIS1_E11ProtoSimpleILi2ELi2ELi0ELi4ELi0ELi0EELi0ELi0ELi4ELi0EEEviiP15ncclDevWorkColl
; %bb.0:
	s_waitcnt vmcnt(0) expcnt(0) lgkmcnt(0)
	s_mov_b32 s0, s33
	s_mov_b32 s33, s32
	s_or_saveexec_b64 s[2:3], -1
	scratch_store_dword off, v127, s33 offset:216 ; 4-byte Folded Spill
	s_mov_b64 exec, s[2:3]
	v_writelane_b32 v127, s0, 33
	s_addk_i32 s32, 0xe0
	scratch_store_dword off, v40, s33 offset:184 ; 4-byte Folded Spill
	scratch_store_dword off, v41, s33 offset:180 ; 4-byte Folded Spill
	;; [unrolled: 1-line block ×46, first 2 shown]
	scratch_store_dword off, v126, s33      ; 4-byte Folded Spill
	v_writelane_b32 v127, s34, 0
	v_writelane_b32 v127, s35, 1
	;; [unrolled: 1-line block ×32, first 2 shown]
	s_nop 1
	v_writelane_b32 v127, s31, 32
	s_trap 2
	flat_load_dword v9, v[2:3]
	ds_read_b32 v6, v0
                                        ; implicit-def: $vgpr4_vgpr5
                                        ; implicit-def: $vgpr14_vgpr15
                                        ; kill: killed $vgpr4_vgpr5
                                        ; implicit-def: $vgpr4_vgpr5
	s_waitcnt lgkmcnt(0)
	v_readfirstlane_b32 s64, v6
	s_waitcnt vmcnt(0)
	v_cmp_ne_u32_sdwa s[0:1], v6, v9 src0_sel:DWORD src1_sel:BYTE_0
	s_and_saveexec_b64 s[2:3], s[0:1]
	s_xor_b64 s[0:1], exec, s[2:3]
	s_cbranch_execz .LBB27_6
; %bb.1:
	v_not_b32_sdwa v8, v9 dst_sel:DWORD dst_unused:UNUSED_PAD src0_sel:BYTE_0
	v_cmp_ne_u32_sdwa s[2:3], v6, v9 src0_sel:DWORD src1_sel:BYTE_1
                                        ; implicit-def: $vgpr4_vgpr5
                                        ; implicit-def: $vgpr14_vgpr15
                                        ; kill: killed $vgpr4_vgpr5
                                        ; implicit-def: $vgpr4_vgpr5
	s_and_saveexec_b64 s[4:5], s[2:3]
	s_xor_b64 s[2:3], exec, s[4:5]
	s_cbranch_execz .LBB27_3
; %bb.2:
	flat_load_dwordx4 v[10:13], v[2:3] offset:72
	flat_load_dwordx2 v[4:5], v[2:3] offset:96
	v_add_u32_e32 v6, v6, v8
	v_ashrrev_i32_e32 v7, 31, v6
	s_waitcnt vmcnt(0) lgkmcnt(0)
	v_mul_lo_u32 v7, v12, v7
	v_mad_u64_u32 v[8:9], s[4:5], v12, v6, v[10:11]
	v_mul_lo_u32 v6, v13, v6
	v_add3_u32 v9, v6, v9, v7
	v_lshrrev_b64 v[14:15], 13, v[4:5]
	scratch_store_dwordx2 off, v[8:9], s33 offset:188 ; 8-byte Folded Spill
	v_mov_b64_e32 v[4:5], v[12:13]
                                        ; implicit-def: $vgpr9
                                        ; implicit-def: $vgpr8
.LBB27_3:
	s_andn2_saveexec_b64 s[2:3], s[2:3]
	s_cbranch_execz .LBB27_5
; %bb.4:
	flat_load_dwordx4 v[10:13], v[2:3] offset:72
	flat_load_dwordx4 v[4:7], v[2:3] offset:88
	s_waitcnt vmcnt(0) lgkmcnt(0)
	v_add_u32_sdwa v6, v9, v8 dst_sel:DWORD dst_unused:UNUSED_PAD src0_sel:BYTE_1 src1_sel:DWORD
	v_ashrrev_i32_e32 v8, 31, v6
	v_mul_lo_u32 v8, v12, v8
	v_mad_u64_u32 v[10:11], s[4:5], v12, v6, v[10:11]
	v_mul_lo_u32 v6, v13, v6
	v_add3_u32 v11, v6, v11, v8
	v_lshrrev_b32_e32 v14, 2, v7
	scratch_store_dwordx2 off, v[10:11], s33 offset:188 ; 8-byte Folded Spill
.LBB27_5:
	s_or_b64 exec, exec, s[2:3]
.LBB27_6:
	s_andn2_saveexec_b64 s[0:1], s[0:1]
	s_cbranch_execz .LBB27_8
; %bb.7:
	flat_load_dwordx2 v[6:7], v[2:3] offset:96
	flat_load_dwordx2 v[4:5], v[2:3] offset:72
	s_waitcnt vmcnt(0) lgkmcnt(0)
	v_lshlrev_b64 v[14:15], 8, v[6:7]
	v_mov_b64_e32 v[6:7], 0
	scratch_store_dwordx2 off, v[6:7], s33 offset:188 ; 8-byte Folded Spill
.LBB27_8:
	s_or_b64 exec, exec, s[0:1]
	s_trap 2
	ds_read_b64 v[6:7], v0
	s_waitcnt lgkmcnt(0)
	v_cmp_ne_u32_e32 vcc, -1, v6
	s_nop 1
	v_cndmask_b32_e64 v15, 0, 1, vcc
	v_cmp_ne_u32_e32 vcc, -1, v7
	s_nop 1
	v_addc_co_u32_e64 v8, s[0:1], 0, v15, vcc
	v_lshlrev_b32_e32 v6, 1, v8
	v_cmp_le_u32_e64 s[0:1], v6, v1
	s_and_saveexec_b64 s[2:3], s[0:1]
	s_xor_b64 s[42:43], exec, s[2:3]
	s_cbranch_execz .LBB27_1924
; %bb.9:
	flat_load_dwordx4 v[10:13], v[2:3] offset:16
	flat_load_dwordx2 v[16:17], v[2:3] offset:104
	flat_load_ushort v7, v[2:3] offset:8
	flat_load_dword v6, v[2:3] offset:4
	s_trap 2
	s_load_dword s0, s[8:9], 0x0
	v_mov_b32_e32 v9, 0
	v_mov_b32_e32 v108, 4
	s_waitcnt lgkmcnt(0)
	s_cmp_lt_u32 s12, s0
	s_cselect_b32 s0, 12, 18
	s_add_u32 s0, s8, s0
	s_addc_u32 s1, s9, 0
	global_load_ushort v21, v9, s[0:1]
	ds_read_b32 v9, v0
	v_cmp_ge_u32_e64 s[0:1], v0, v15
	s_waitcnt lgkmcnt(0)
	v_readfirstlane_b32 s20, v9
	s_and_saveexec_b64 s[2:3], s[0:1]
	s_cbranch_execz .LBB27_19
; %bb.10:
	v_cmp_ge_u32_e64 s[0:1], v0, v8
                                        ; implicit-def: $vgpr108
	s_and_saveexec_b64 s[4:5], s[0:1]
	s_xor_b64 s[0:1], exec, s[4:5]
	s_cbranch_execz .LBB27_16
; %bb.11:
	v_cndmask_b32_e64 v9, 0, 1, vcc
	v_sub_u32_e32 v9, v1, v9
	v_cmp_ge_u32_e32 vcc, v0, v9
	s_and_saveexec_b64 s[4:5], vcc
	s_xor_b64 s[4:5], exec, s[4:5]
; %bb.12:
                                        ; implicit-def: $vgpr8
; %bb.13:
	s_or_saveexec_b64 s[4:5], s[4:5]
	v_mov_b32_e32 v108, 16
	s_xor_b64 exec, exec, s[4:5]
; %bb.14:
	v_sub_u32_e32 v8, v1, v8
	v_cmp_lt_i32_e32 vcc, v0, v8
	s_nop 1
	v_cndmask_b32_e64 v108, 32, 0, vcc
; %bb.15:
	s_or_b64 exec, exec, s[4:5]
.LBB27_16:
	s_andn2_saveexec_b64 s[0:1], s[0:1]
; %bb.17:
	v_mov_b32_e32 v108, 8
; %bb.18:
	s_or_b64 exec, exec, s[0:1]
.LBB27_19:
	s_or_b64 exec, exec, s[2:3]
	v_and_b32_e32 v8, 36, v108
	v_cmp_ne_u32_e32 vcc, 0, v8
	v_mov_b32_e32 v8, -1
	s_and_saveexec_b64 s[0:1], vcc
	s_cbranch_execz .LBB27_21
; %bb.20:
	s_trap 2
	ds_read_b32 v8, v0
.LBB27_21:
	s_or_b64 exec, exec, s[0:1]
	v_and_b32_e32 v9, 24, v108
	v_cmp_ne_u32_e64 s[0:1], 0, v9
	s_and_saveexec_b64 s[2:3], s[0:1]
	s_cbranch_execz .LBB27_23
; %bb.22:
	s_trap 2
	s_waitcnt lgkmcnt(0)
	ds_read_b32 v8, v0
.LBB27_23:
	s_or_b64 exec, exec, s[2:3]
	s_waitcnt vmcnt(0)
	v_lshrrev_b64 v[6:7], 31, v[6:7]
	v_and_b32_e32 v20, 3, v6
                                        ; implicit-def: $vgpr6_vgpr7
	v_mov_b64_e32 v[22:23], 0
                                        ; kill: killed $vgpr6_vgpr7
	v_mov_b64_e32 v[6:7], 0
                                        ; implicit-def: $vgpr30
                                        ; implicit-def: $vgpr58_vgpr59
                                        ; implicit-def: $vgpr66_vgpr67
                                        ; implicit-def: $vgpr80_vgpr81
                                        ; implicit-def: $vgpr64_vgpr65
	s_and_saveexec_b64 s[0:1], vcc
	s_cbranch_execz .LBB27_33
; %bb.24:
	s_trap 2
	ds_read_b64 v[6:7], v0
	s_waitcnt lgkmcnt(1)
	v_ashrrev_i32_e32 v9, 31, v8
	s_movk_i32 s2, 0xa8
	s_waitcnt lgkmcnt(0)
	v_lshl_add_u64 v[6:7], v[8:9], 3, v[6:7]
	flat_load_dwordx2 v[6:7], v[6:7]
	v_and_b32_e32 v9, 0xffff, v20
	s_waitcnt vmcnt(0) lgkmcnt(0)
	v_mad_u64_u32 v[18:19], s[2:3], v9, s2, v[6:7]
	flat_load_dword v6, v[18:19] offset:640
	s_waitcnt vmcnt(0) lgkmcnt(0)
	v_cmp_eq_u32_e32 vcc, 1, v6
                                        ; implicit-def: $vgpr6_vgpr7
                                        ; kill: killed $vgpr6_vgpr7
	s_and_saveexec_b64 s[2:3], vcc
	s_cbranch_execz .LBB27_26
; %bb.25:
	flat_load_dwordx2 v[22:23], v[18:19] offset:648
	v_or_b32_e32 v108, 0x2000, v108
	s_waitcnt vmcnt(0) lgkmcnt(0)
	flat_load_dwordx2 v[6:7], v[22:23]
	s_trap 2
	scratch_store_dwordx2 off, v[22:23], s33 offset:208 ; 8-byte Folded Spill
	s_waitcnt vmcnt(0) lgkmcnt(0)
	ds_write_b64 v0, v[6:7]
	flat_load_dwordx2 v[6:7], v[22:23] offset:8
	s_waitcnt vmcnt(0) lgkmcnt(0)
	ds_write_b64 v0, v[6:7]
	flat_load_dwordx2 v[6:7], v[22:23] offset:16
	s_waitcnt vmcnt(0) lgkmcnt(0)
	ds_write_b64 v0, v[6:7]
.LBB27_26:
	s_or_b64 exec, exec, s[2:3]
	flat_load_dwordx2 v[6:7], v[18:19] offset:608
	v_and_b32_e32 v9, 32, v108
	v_cmp_ne_u32_e32 vcc, 0, v9
                                        ; implicit-def: $vgpr64_vgpr65
	s_waitcnt vmcnt(0) lgkmcnt(0)
	v_lshl_add_u64 v[58:59], v[6:7], 0, 3
	v_and_b32_e32 v58, -4, v58
	s_and_saveexec_b64 s[2:3], vcc
	s_cbranch_execz .LBB27_28
; %bb.27:
	flat_load_dwordx2 v[64:65], v[18:19] offset:560
	s_waitcnt vmcnt(0) lgkmcnt(0)
	flat_store_dwordx2 v[64:65], v[58:59] sc0 sc1
.LBB27_28:
	s_or_b64 exec, exec, s[2:3]
	s_mov_b64 s[2:3], 0x1f8
	v_and_b32_e32 v6, 4, v108
	v_lshl_add_u64 v[22:23], v[18:19], 0, s[2:3]
	v_cmp_ne_u32_e32 vcc, 0, v6
	v_mov_b64_e32 v[6:7], 0
                                        ; implicit-def: $vgpr30
                                        ; implicit-def: $vgpr66_vgpr67
                                        ; implicit-def: $vgpr80_vgpr81
	s_and_saveexec_b64 s[2:3], vcc
	s_cbranch_execz .LBB27_32
; %bb.29:
	v_and_b32_e32 v6, 0x800, v108
	v_cmp_eq_u32_e32 vcc, 0, v6
	s_and_saveexec_b64 s[4:5], vcc
	s_cbranch_execz .LBB27_31
; %bb.30:
	s_trap 2
	ds_write_b64 v0, v[22:23]
.LBB27_31:
	s_or_b64 exec, exec, s[4:5]
	flat_load_dwordx2 v[64:65], v[18:19] offset:552
	s_waitcnt vmcnt(0) lgkmcnt(0)
	flat_load_dwordx2 v[80:81], v[64:65] sc0 sc1
	flat_load_dword v9, v[18:19] offset:576
	flat_load_dwordx2 v[6:7], v[18:19] offset:600
	flat_load_dwordx2 v[66:67], v[18:19] offset:520
	v_or_b32_e32 v18, 0x100, v108
	s_waitcnt vmcnt(0) lgkmcnt(0)
	v_ashrrev_i32_e32 v30, 1, v9
	v_cmp_eq_u64_e32 vcc, 0, v[6:7]
	s_nop 1
	v_cndmask_b32_e32 v108, v18, v108, vcc
.LBB27_32:
	s_or_b64 exec, exec, s[2:3]
.LBB27_33:
	s_or_b64 exec, exec, s[0:1]
	v_and_b32_e32 v9, 24, v108
	v_cmp_ne_u32_e32 vcc, 0, v9
                                        ; implicit-def: $vgpr68_vgpr69
	s_and_saveexec_b64 s[0:1], vcc
	s_cbranch_execz .LBB27_41
; %bb.34:
	s_trap 2
	ds_read_b64 v[6:7], v0
	s_waitcnt lgkmcnt(0)
	v_ashrrev_i32_e32 v9, 31, v8
	s_movk_i32 s2, 0xa8
	v_or_b32_e32 v18, 0x100, v108
                                        ; implicit-def: $vgpr68_vgpr69
	v_lshl_add_u64 v[6:7], v[8:9], 3, v[6:7]
	flat_load_dwordx2 v[6:7], v[6:7]
	v_and_b32_e32 v8, 0xffff, v20
	s_waitcnt vmcnt(0) lgkmcnt(0)
	v_mad_u64_u32 v[22:23], s[2:3], v8, s2, v[6:7]
	flat_load_dwordx4 v[6:9], v[22:23] offset:96
	s_waitcnt vmcnt(0) lgkmcnt(0)
	v_cmp_eq_u64_e32 vcc, 0, v[6:7]
	s_nop 1
	v_cndmask_b32_e32 v108, v18, v108, vcc
	v_and_b32_e32 v18, 16, v108
	v_cmp_ne_u32_e32 vcc, 0, v18
	s_and_saveexec_b64 s[2:3], vcc
	s_cbranch_execz .LBB27_36
; %bb.35:
	flat_load_dwordx2 v[64:65], v[22:23] offset:48
	flat_load_dwordx2 v[68:69], v[22:23] offset:120
	;; [unrolled: 1-line block ×3, first 2 shown]
.LBB27_36:
	s_or_b64 exec, exec, s[2:3]
	v_lshl_add_u64 v[58:59], v[8:9], 0, 3
	v_and_b32_e32 v8, 8, v108
	v_and_b32_e32 v58, -4, v58
	v_cmp_ne_u32_e32 vcc, 0, v8
	s_and_saveexec_b64 s[2:3], vcc
	s_cbranch_execz .LBB27_40
; %bb.37:
	v_and_b32_e32 v8, 0x800, v108
	v_cmp_eq_u32_e32 vcc, 0, v8
	s_and_saveexec_b64 s[4:5], vcc
	s_cbranch_execz .LBB27_39
; %bb.38:
	s_trap 2
	ds_write_b64 v0, v[22:23]
.LBB27_39:
	s_or_b64 exec, exec, s[4:5]
	s_waitcnt vmcnt(0) lgkmcnt(0)
	flat_load_dwordx2 v[64:65], v[22:23] offset:56
	s_waitcnt vmcnt(0) lgkmcnt(0)
	flat_load_dwordx2 v[80:81], v[64:65] sc0 sc1
	flat_load_dword v8, v[22:23] offset:72
	flat_load_dwordx2 v[66:67], v[22:23] offset:16
	s_waitcnt vmcnt(0) lgkmcnt(0)
	v_ashrrev_i32_e32 v30, 1, v8
.LBB27_40:
	s_or_b64 exec, exec, s[2:3]
.LBB27_41:
	s_or_b64 exec, exec, s[0:1]
	v_cmp_eq_u32_e64 s[0:1], 0, v0
	s_and_saveexec_b64 s[2:3], s[0:1]
	s_cbranch_execz .LBB27_43
; %bb.42:
	s_waitcnt lgkmcnt(0)
	flat_load_dwordx2 v[8:9], v[2:3] offset:32
	ds_write2_b64 v0, v[12:13], v[10:11] offset1:1
	s_trap 2
	s_waitcnt vmcnt(0) lgkmcnt(0)
	ds_write_b64 v0, v[8:9]
	ds_write_b64 v0, v[16:17]
.LBB27_43:
	s_or_b64 exec, exec, s[2:3]
	v_mov_b64_e32 v[70:71], 0
	v_cmp_lt_i64_e32 vcc, 0, v[4:5]
	s_and_saveexec_b64 s[44:45], vcc
	s_cbranch_execz .LBB27_1890
; %bb.44:
	s_waitcnt lgkmcnt(0)
	flat_load_dword v8, v[2:3] offset:4
	s_ashr_i32 s14, s20, 31
	s_lshr_b32 s21, s14, 29
	s_add_i32 s20, s20, s21
	s_ashr_i32 s65, s64, 31
	s_ashr_i32 s21, s20, 4
	s_add_u32 s72, s64, -1
	s_addc_u32 s73, s65, -1
	s_add_i32 s71, s64, s64
	s_not_b32 s22, s64
	s_cmp_gt_i32 s64, 0
	s_cselect_b32 s22, s22, -1
	s_ashr_i32 s20, s20, 31
	s_lshr_b32 s20, s20, 28
	s_add_i32 s80, s22, s71
	s_add_i32 s21, s21, s20
	s_ashr_i32 s81, s80, 31
	s_ashr_i32 s82, s21, 4
	s_cmp_gt_i32 s64, 2
	v_lshrrev_b32_e32 v84, 6, v1
	v_lshlrev_b32_e32 v10, 1, v1
	s_cselect_b64 s[74:75], -1, 0
	s_add_i32 s22, s64, 1
	v_and_b32_e32 v2, 0x1fffff00, v14
	v_lshlrev_b32_e32 v100, 10, v84
	v_and_b32_e32 v112, 0x7f80, v10
	v_and_b32_e32 v9, 63, v31
	v_and_b32_e32 v109, 63, v0
	v_mad_i64_i32 v[96:97], s[12:13], v2, s64, 0
	v_add_u32_e32 v40, 0xfffffc00, v100
	v_add_u32_e32 v42, 0xffffff80, v112
	v_mov_b32_e32 v3, 0
	v_cmp_ge_u32_e32 vcc, v0, v1
	v_lshrrev_b32_e32 v110, 6, v0
	s_mov_b64 s[60:61], 0x400
	s_mov_b64 s[62:63], 0x80
	v_cmp_eq_u32_e64 s[12:13], 0, v9
	v_lshlrev_b32_e32 v9, 4, v109
	v_ashrrev_i32_e32 v41, 31, v40
	v_ashrrev_i32_e32 v43, 31, v42
	s_mov_b32 s47, 0
	v_ashrrev_i32_e32 v83, 31, v30
	v_cmp_eq_u32_e64 s[2:3], 64, v1
	v_cmp_ne_u32_e64 s[4:5], 64, v1
	v_cmp_ne_u32_sdwa s[56:57], v1, v21 src0_sel:DWORD src1_sel:WORD_0
	s_mov_b64 s[58:59], 0
	s_waitcnt vmcnt(0)
	v_cmp_eq_u64_e64 s[6:7], 0, v[68:69]
	v_cmp_ne_u64_e64 s[10:11], 0, v[68:69]
	s_movk_i32 s66, 0xfc00
	s_movk_i32 s67, 0xff80
	v_mov_b64_e32 v[86:87], 0
	v_mov_b64_e32 v[70:71], 0
	v_mov_b32_e32 v111, 1
	s_movk_i32 s68, 0x108
	s_mov_b32 s69, 0x7f800000
	s_movk_i32 s70, 0x7fff
	v_mov_b32_e32 v85, v3
	v_cmp_eq_u32_e64 s[14:15], 0, v109
	v_cmp_lt_u32_e64 s[16:17], v109, v15
	v_lshlrev_b32_e32 v98, 13, v84
	v_mov_b32_e32 v99, v3
	v_mov_b32_e32 v101, v3
	v_lshlrev_b32_e32 v102, 11, v84
	v_mov_b32_e32 v103, v3
	v_mov_b32_e32 v113, v3
	v_cmp_le_u32_e64 s[18:19], v109, v15
	v_mov_b32_e32 v115, v3
	v_lshlrev_b32_e32 v116, 12, v84
	v_mov_b32_e32 v117, v3
	v_mov_b32_e32 v119, v3
	v_lshl_or_b32 v114, v110, 12, v9
	v_lshl_or_b32 v118, v110, 13, v9
	v_lshl_add_u64 v[44:45], v[40:41], 0, s[60:61]
	v_lshl_add_u64 v[46:47], v[42:43], 0, s[62:63]
	s_mov_b32 s86, 0xffff0000
	s_mov_b64 s[88:89], 0x780
	v_mov_b32_e32 v54, v3
	v_mov_b32_e32 v55, v3
	;; [unrolled: 1-line block ×3, first 2 shown]
	s_waitcnt lgkmcnt(0)
	v_and_b32_e32 v8, 1, v8
	v_cmp_eq_u32_e64 s[20:21], 1, v8
	s_xor_b64 s[76:77], s[20:21], -1
	s_cmp_ge_i32 s22, s64
	s_cselect_b32 s23, s64, 0
	s_sub_i32 s84, s22, s23
	s_add_i32 s83, s64, -2
	s_xor_b64 s[78:79], vcc, -1
	s_ashr_i32 s85, s84, 31
	v_mov_b32_e32 v121, 0x90
	v_mov_b32_e32 v122, 0xd0
	;; [unrolled: 1-line block ×3, first 2 shown]
	v_mov_b64_e32 v[56:57], v[2:3]
	scratch_store_dwordx2 off, v[22:23], s33 offset:200 ; 8-byte Folded Spill
	s_trap 2
	scratch_store_dword off, v21, s33 offset:196 ; 4-byte Folded Spill
	s_branch .LBB27_47
.LBB27_45:                              ;   in Loop: Header=BB27_47 Depth=1
	s_or_b64 exec, exec, s[26:27]
.LBB27_46:                              ;   in Loop: Header=BB27_47 Depth=1
	s_or_b64 exec, exec, s[24:25]
	v_lshl_add_u64 v[86:87], v[86:87], 0, v[96:97]
	v_cmp_ge_i64_e32 vcc, v[86:87], v[4:5]
	s_or_b64 s[58:59], vcc, s[58:59]
	s_andn2_b64 exec, exec, s[58:59]
	s_cbranch_execz .LBB27_1889
.LBB27_47:                              ; =>This Loop Header: Depth=1
                                        ;     Child Loop BB27_57 Depth 2
                                        ;       Child Loop BB27_65 Depth 3
                                        ;       Child Loop BB27_89 Depth 3
	;; [unrolled: 1-line block ×9, first 2 shown]
                                        ;     Child Loop BB27_197 Depth 2
                                        ;       Child Loop BB27_203 Depth 3
                                        ;       Child Loop BB27_227 Depth 3
	;; [unrolled: 1-line block ×3, first 2 shown]
                                        ;     Child Loop BB27_269 Depth 2
                                        ;       Child Loop BB27_272 Depth 3
                                        ;         Child Loop BB27_280 Depth 4
                                        ;         Child Loop BB27_308 Depth 4
	;; [unrolled: 1-line block ×9, first 2 shown]
                                        ;       Child Loop BB27_644 Depth 3
                                        ;         Child Loop BB27_650 Depth 4
                                        ;         Child Loop BB27_678 Depth 4
	;; [unrolled: 1-line block ×3, first 2 shown]
                                        ;     Child Loop BB27_719 Depth 2
                                        ;       Child Loop BB27_727 Depth 3
                                        ;       Child Loop BB27_755 Depth 3
                                        ;       Child Loop BB27_774 Depth 3
                                        ;       Child Loop BB27_1062 Depth 3
                                        ;       Child Loop BB27_1195 Depth 3
                                        ;       Child Loop BB27_1233 Depth 3
                                        ;       Child Loop BB27_1302 Depth 3
                                        ;       Child Loop BB27_804 Depth 3
                                        ;       Child Loop BB27_936 Depth 3
                                        ;         Child Loop BB27_969 Depth 4
                                        ;       Child Loop BB27_977 Depth 3
                                        ;       Child Loop BB27_1045 Depth 3
                                        ;         Child Loop BB27_1050 Depth 4
                                        ;       Child Loop BB27_1314 Depth 3
                                        ;       Child Loop BB27_1333 Depth 3
                                        ;     Child Loop BB27_1351 Depth 2
                                        ;       Child Loop BB27_1357 Depth 3
                                        ;       Child Loop BB27_1385 Depth 3
	;; [unrolled: 1-line block ×3, first 2 shown]
                                        ;     Child Loop BB27_1427 Depth 2
                                        ;       Child Loop BB27_1430 Depth 3
                                        ;         Child Loop BB27_1438 Depth 4
                                        ;         Child Loop BB27_1466 Depth 4
	;; [unrolled: 1-line block ×9, first 2 shown]
                                        ;           Child Loop BB27_1520 Depth 5
                                        ;         Child Loop BB27_1527 Depth 4
                                        ;         Child Loop BB27_1532 Depth 4
                                        ;           Child Loop BB27_1533 Depth 5
                                        ;         Child Loop BB27_1569 Depth 4
                                        ;         Child Loop BB27_1588 Depth 4
                                        ;       Child Loop BB27_1606 Depth 3
                                        ;         Child Loop BB27_1612 Depth 4
                                        ;         Child Loop BB27_1640 Depth 4
	;; [unrolled: 1-line block ×3, first 2 shown]
                                        ;     Child Loop BB27_1685 Depth 2
                                        ;       Child Loop BB27_1693 Depth 3
                                        ;       Child Loop BB27_1717 Depth 3
	;; [unrolled: 1-line block ×9, first 2 shown]
                                        ;     Child Loop BB27_1823 Depth 2
                                        ;       Child Loop BB27_1829 Depth 3
                                        ;       Child Loop BB27_1853 Depth 3
	;; [unrolled: 1-line block ×3, first 2 shown]
	v_sub_co_u32_e32 v60, vcc, v4, v86
	s_nop 1
	v_subb_co_u32_e32 v61, vcc, v5, v87, vcc
	v_cmp_lt_i64_e32 vcc, v[60:61], v[96:97]
	s_and_saveexec_b64 s[24:25], vcc
	s_cbranch_execz .LBB27_53
; %bb.48:                               ;   in Loop: Header=BB27_47 Depth=1
	v_lshl_add_u64 v[8:9], s[72:73], 0, v[60:61]
	v_or_b32_e32 v11, s65, v9
	v_mov_b32_e32 v10, v3
	v_cmp_ne_u64_e32 vcc, 0, v[10:11]
                                        ; implicit-def: $vgpr10_vgpr11
	s_and_saveexec_b64 s[22:23], vcc
	s_xor_b64 s[26:27], exec, s[22:23]
	s_cbranch_execz .LBB27_50
; %bb.49:                               ;   in Loop: Header=BB27_47 Depth=1
	s_ashr_i32 s28, s65, 31
	s_add_u32 s22, s64, s28
	s_mov_b32 s29, s28
	s_addc_u32 s23, s65, s28
	s_xor_b64 s[40:41], s[22:23], s[28:29]
	v_cvt_f32_u32_e32 v2, s40
	v_cvt_f32_u32_e32 v10, s41
	s_sub_u32 s29, 0, s40
	s_subb_u32 s46, 0, s41
	v_fmac_f32_e32 v2, 0x4f800000, v10
	v_rcp_f32_e32 v2, v2
	s_nop 0
	v_mul_f32_e32 v2, 0x5f7ffffc, v2
	v_mul_f32_e32 v10, 0x2f800000, v2
	v_trunc_f32_e32 v10, v10
	v_fmac_f32_e32 v2, 0xcf800000, v10
	v_cvt_u32_f32_e32 v10, v10
	v_cvt_u32_f32_e32 v2, v2
	v_readfirstlane_b32 s90, v10
	v_readfirstlane_b32 s22, v2
	s_mul_i32 s23, s29, s90
	s_mul_hi_u32 s92, s29, s22
	s_mul_i32 s91, s46, s22
	s_add_i32 s23, s92, s23
	s_add_i32 s23, s23, s91
	s_mul_i32 s93, s29, s22
	s_mul_i32 s92, s22, s23
	s_mul_hi_u32 s94, s22, s93
	s_mul_hi_u32 s91, s22, s23
	s_add_u32 s92, s94, s92
	s_addc_u32 s91, 0, s91
	s_mul_hi_u32 s95, s90, s93
	s_mul_i32 s93, s90, s93
	s_add_u32 s92, s92, s93
	s_mul_hi_u32 s94, s90, s23
	s_addc_u32 s91, s91, s95
	s_addc_u32 s92, s94, 0
	s_mul_i32 s23, s90, s23
	s_add_u32 s23, s91, s23
	s_addc_u32 s91, 0, s92
	s_add_u32 s92, s22, s23
	s_cselect_b64 s[22:23], -1, 0
	s_cmp_lg_u64 s[22:23], 0
	s_addc_u32 s90, s90, s91
	s_mul_i32 s22, s29, s90
	s_mul_hi_u32 s23, s29, s92
	s_add_i32 s22, s23, s22
	s_mul_i32 s46, s46, s92
	s_add_i32 s22, s22, s46
	s_mul_i32 s29, s29, s92
	s_mul_hi_u32 s46, s90, s29
	s_mul_i32 s91, s90, s29
	s_mul_i32 s94, s92, s22
	s_mul_hi_u32 s29, s92, s29
	s_mul_hi_u32 s93, s92, s22
	s_add_u32 s29, s29, s94
	s_addc_u32 s93, 0, s93
	s_add_u32 s29, s29, s91
	s_mul_hi_u32 s23, s90, s22
	s_addc_u32 s29, s93, s46
	s_addc_u32 s23, s23, 0
	s_mul_i32 s22, s90, s22
	s_add_u32 s22, s29, s22
	s_addc_u32 s29, 0, s23
	s_add_u32 s46, s92, s22
	v_ashrrev_i32_e32 v10, 31, v9
	s_cselect_b64 s[22:23], -1, 0
	v_mov_b32_e32 v11, v10
	s_cmp_lg_u64 s[22:23], 0
	v_lshl_add_u64 v[8:9], v[8:9], 0, v[10:11]
	s_addc_u32 s29, s90, s29
	v_xor_b32_e32 v16, v8, v10
	v_xor_b32_e32 v11, v9, v10
	v_mad_u64_u32 v[8:9], s[22:23], v16, s29, 0
	v_mul_hi_u32 v2, v16, s46
	v_lshl_add_u64 v[8:9], v[2:3], 0, v[8:9]
	v_mad_u64_u32 v[14:15], s[22:23], v11, s46, 0
	v_add_co_u32_e32 v2, vcc, v8, v14
	v_mad_u64_u32 v[12:13], s[22:23], v11, s29, 0
	s_nop 0
	v_addc_co_u32_e32 v2, vcc, v9, v15, vcc
	s_nop 1
	v_addc_co_u32_e32 v13, vcc, 0, v13, vcc
	v_lshl_add_u64 v[8:9], v[2:3], 0, v[12:13]
	v_mul_lo_u32 v2, s41, v8
	v_mul_lo_u32 v14, s40, v9
	v_mad_u64_u32 v[12:13], s[22:23], s40, v8, 0
	v_add3_u32 v2, v13, v14, v2
	v_sub_u32_e32 v13, v11, v2
	v_mov_b32_e32 v14, s41
	v_sub_co_u32_e32 v16, vcc, v16, v12
	s_nop 1
	v_subb_co_u32_e64 v12, s[22:23], v13, v14, vcc
	v_subrev_co_u32_e64 v13, s[22:23], s40, v16
	v_subb_co_u32_e32 v2, vcc, v11, v2, vcc
	s_nop 0
	v_subbrev_co_u32_e64 v12, s[22:23], 0, v12, s[22:23]
	v_cmp_le_u32_e64 s[22:23], s41, v12
	v_cmp_le_u32_e32 vcc, s41, v2
	s_nop 0
	v_cndmask_b32_e64 v14, 0, -1, s[22:23]
	v_cmp_le_u32_e64 s[22:23], s40, v13
	v_cndmask_b32_e64 v11, 0, -1, vcc
	v_cmp_le_u32_e32 vcc, s40, v16
	v_cndmask_b32_e64 v13, 0, -1, s[22:23]
	v_cmp_eq_u32_e64 s[22:23], s41, v12
	s_nop 1
	v_cndmask_b32_e64 v17, v14, v13, s[22:23]
	v_lshl_add_u64 v[12:13], v[8:9], 0, 2
	v_lshl_add_u64 v[14:15], v[8:9], 0, 1
	v_cmp_ne_u32_e64 s[22:23], 0, v17
	s_nop 1
	v_cndmask_b32_e64 v13, v15, v13, s[22:23]
	v_cndmask_b32_e64 v15, 0, -1, vcc
	v_cmp_eq_u32_e32 vcc, s41, v2
	s_nop 1
	v_cndmask_b32_e32 v2, v11, v15, vcc
	v_cmp_ne_u32_e32 vcc, 0, v2
	s_nop 1
	v_cndmask_b32_e32 v2, v9, v13, vcc
	v_cndmask_b32_e64 v9, v14, v12, s[22:23]
	v_cndmask_b32_e32 v8, v8, v9, vcc
	v_xor_b32_e32 v9, s28, v10
	v_xor_b32_e32 v8, v8, v9
	;; [unrolled: 1-line block ×3, first 2 shown]
	v_sub_co_u32_e32 v10, vcc, v8, v9
	s_nop 1
	v_subb_co_u32_e32 v11, vcc, v2, v9, vcc
                                        ; implicit-def: $vgpr8_vgpr9
.LBB27_50:                              ;   in Loop: Header=BB27_47 Depth=1
	s_andn2_saveexec_b64 s[22:23], s[26:27]
	s_cbranch_execz .LBB27_52
; %bb.51:                               ;   in Loop: Header=BB27_47 Depth=1
	v_cvt_f32_u32_e32 v2, s64
	s_sub_i32 s26, 0, s64
	v_rcp_iflag_f32_e32 v2, v2
	s_nop 0
	v_mul_f32_e32 v2, 0x4f7ffffe, v2
	v_cvt_u32_f32_e32 v2, v2
	v_mul_lo_u32 v9, s26, v2
	v_mul_hi_u32 v9, v2, v9
	v_add_u32_e32 v2, v2, v9
	v_mul_hi_u32 v2, v8, v2
	v_mul_lo_u32 v9, v2, s64
	v_sub_u32_e32 v8, v8, v9
	v_add_u32_e32 v10, 1, v2
	v_subrev_u32_e32 v9, s64, v8
	v_cmp_le_u32_e32 vcc, s64, v8
	s_nop 1
	v_cndmask_b32_e32 v8, v8, v9, vcc
	v_cndmask_b32_e32 v2, v2, v10, vcc
	v_add_u32_e32 v9, 1, v2
	v_cmp_le_u32_e32 vcc, s64, v8
	s_nop 1
	v_cndmask_b32_e32 v2, v2, v9, vcc
	v_mov_b64_e32 v[10:11], v[2:3]
.LBB27_52:                              ;   in Loop: Header=BB27_47 Depth=1
	s_or_b64 exec, exec, s[22:23]
	v_lshl_add_u64 v[56:57], v[10:11], 0, 7
	v_and_b32_e32 v56, -8, v56
.LBB27_53:                              ;   in Loop: Header=BB27_47 Depth=1
	s_or_b64 exec, exec, s[24:25]
	v_mul_lo_u32 v2, v57, s80
	v_mul_lo_u32 v8, v56, s81
	v_mad_u64_u32 v[12:13], s[22:23], v56, s80, 0
	v_add3_u32 v13, v13, v8, v2
	scratch_load_dwordx2 v[8:9], off, s33 offset:188 ; 8-byte Folded Reload
	v_mov_b32_e32 v2, 0
	s_waitcnt vmcnt(0)
	v_lshl_add_u64 v[62:63], v[86:87], 0, v[8:9]
	v_sub_co_u32_e32 v8, vcc, v60, v12
	s_nop 1
	v_subb_co_u32_e32 v9, vcc, v61, v13, vcc
	v_cmp_lt_i64_e32 vcc, v[56:57], v[8:9]
	s_nop 1
	v_cndmask_b32_e32 v9, v8, v56, vcc
	v_max_i32_e32 v24, 0, v9
	v_add_u32_e32 v8, 31, v24
	v_ashrrev_i32_e32 v10, 31, v8
	v_lshrrev_b32_e32 v10, 27, v10
	v_add_u32_e32 v8, v8, v10
	v_ashrrev_i32_e32 v8, 5, v8
	v_lshlrev_b32_e32 v8, 4, v8
	v_cmp_lt_i32_e32 vcc, 0, v9
	v_max_i32_e32 v8, s82, v8
	s_and_b64 s[22:23], s[78:79], vcc
	v_mov_b32_e32 v10, 0
	s_and_saveexec_b64 s[24:25], s[22:23]
	s_cbranch_execz .LBB27_193
; %bb.54:                               ;   in Loop: Header=BB27_47 Depth=1
	s_mov_b32 s46, 1
	s_mov_b64 s[28:29], -1
	v_mov_b32_e32 v10, 0
	s_mov_b64 s[26:27], 0
	s_branch .LBB27_57
.LBB27_55:                              ;   in Loop: Header=BB27_57 Depth=2
	s_or_b64 exec, exec, s[40:41]
	v_lshl_add_u64 v[58:59], v[58:59], 0, 2
	flat_store_dwordx2 v[64:65], v[58:59] sc0 sc1
.LBB27_56:                              ;   in Loop: Header=BB27_57 Depth=2
	s_or_b64 exec, exec, s[22:23]
	v_add_u32_e32 v10, v8, v10
	v_cmp_ge_i32_e32 vcc, v10, v24
	s_xor_b64 s[22:23], s[28:29], -1
	s_or_b64 s[22:23], s[22:23], vcc
	s_and_b64 s[22:23], exec, s[22:23]
	s_or_b64 s[26:27], s[22:23], s[26:27]
	s_mov_b64 s[28:29], 0
	v_mov_b32_e32 v2, s46
	s_mov_b32 s46, 2
	s_andn2_b64 exec, exec, s[26:27]
	s_cbranch_execz .LBB27_192
.LBB27_57:                              ;   Parent Loop BB27_47 Depth=1
                                        ; =>  This Loop Header: Depth=2
                                        ;       Child Loop BB27_65 Depth 3
                                        ;       Child Loop BB27_89 Depth 3
	;; [unrolled: 1-line block ×9, first 2 shown]
	s_and_saveexec_b64 s[22:23], s[0:1]
	s_cbranch_execz .LBB27_59
; %bb.58:                               ;   in Loop: Header=BB27_57 Depth=2
	s_trap 2
	ds_read_b64 v[14:15], v0
	v_ashrrev_i32_e32 v11, 31, v10
	s_waitcnt lgkmcnt(0)
	v_lshl_add_u64 v[14:15], v[62:63], 1, v[14:15]
	v_lshl_add_u64 v[14:15], v[12:13], 1, v[14:15]
	;; [unrolled: 1-line block ×3, first 2 shown]
	ds_write_b64 v0, v[14:15]
	ds_write_b64 v0, v[54:55]
.LBB27_59:                              ;   in Loop: Header=BB27_57 Depth=2
	s_or_b64 exec, exec, s[22:23]
	v_sub_u32_e32 v2, v24, v10
	v_min_i32_e32 v8, v8, v2
	v_and_b32_e32 v2, 8, v108
	v_cmp_ne_u32_e32 vcc, 0, v2
	s_and_saveexec_b64 s[40:41], vcc
	s_cbranch_execz .LBB27_81
; %bb.60:                               ;   in Loop: Header=BB27_57 Depth=2
	s_waitcnt vmcnt(0) lgkmcnt(0)
	v_lshl_add_u64 v[16:17], v[80:81], 0, 8
	v_lshl_add_u64 v[14:15], v[58:59], 0, 2
	v_cmp_lt_u64_e32 vcc, v[16:17], v[14:15]
	s_and_saveexec_b64 s[90:91], vcc
	s_cbranch_execz .LBB27_72
; %bb.61:                               ;   in Loop: Header=BB27_57 Depth=2
	v_and_b32_e32 v2, 64, v108
	s_mov_b32 s54, 0
	v_cmp_eq_u32_e32 vcc, 0, v2
	s_mov_b64 s[92:93], 0
                                        ; implicit-def: $sgpr94_sgpr95
                                        ; implicit-def: $sgpr30_sgpr31
                                        ; implicit-def: $sgpr34_sgpr35
	s_branch .LBB27_65
.LBB27_62:                              ;   in Loop: Header=BB27_65 Depth=3
	s_waitcnt vmcnt(0) lgkmcnt(0)
	v_lshl_add_u64 v[16:17], v[80:81], 0, 8
	v_cmp_ge_u64_e64 s[22:23], v[16:17], v[14:15]
	s_or_b64 s[48:49], s[48:49], exec
	s_orn2_b64 s[38:39], s[22:23], exec
.LBB27_63:                              ;   in Loop: Header=BB27_65 Depth=3
	s_or_b64 exec, exec, s[52:53]
	s_andn2_b64 s[22:23], s[34:35], exec
	s_and_b64 s[34:35], s[48:49], exec
	s_or_b64 s[34:35], s[22:23], s[34:35]
	s_andn2_b64 s[22:23], s[30:31], exec
	s_and_b64 s[30:31], s[38:39], exec
	s_or_b64 s[30:31], s[22:23], s[30:31]
.LBB27_64:                              ;   in Loop: Header=BB27_65 Depth=3
	s_or_b64 exec, exec, s[36:37]
	s_and_b64 s[22:23], exec, s[30:31]
	s_or_b64 s[92:93], s[22:23], s[92:93]
	s_andn2_b64 s[22:23], s[94:95], exec
	s_and_b64 s[94:95], s[34:35], exec
	s_or_b64 s[94:95], s[22:23], s[94:95]
	s_andn2_b64 exec, exec, s[92:93]
	s_cbranch_execz .LBB27_69
.LBB27_65:                              ;   Parent Loop BB27_47 Depth=1
                                        ;     Parent Loop BB27_57 Depth=2
                                        ; =>    This Inner Loop Header: Depth=3
	s_sleep 1
	s_waitcnt vmcnt(0) lgkmcnt(0)
	flat_load_dwordx2 v[80:81], v[64:65] sc0 sc1
	s_or_b64 s[34:35], s[34:35], exec
	s_or_b64 s[30:31], s[30:31], exec
                                        ; implicit-def: $vgpr2
	s_and_saveexec_b64 s[36:37], vcc
	s_cbranch_execz .LBB27_64
; %bb.66:                               ;   in Loop: Header=BB27_65 Depth=3
	s_cmpk_lt_i32 s54, 0x270f
	s_cselect_b64 s[50:51], -1, 0
	s_cmpk_gt_i32 s54, 0x270e
	s_mov_b64 s[38:39], -1
	s_cbranch_scc0 .LBB27_68
; %bb.67:                               ;   in Loop: Header=BB27_65 Depth=3
	s_trap 2
	ds_read_b64 v[16:17], v0
	s_andn2_b64 s[50:51], s[50:51], exec
	s_mov_b32 s54, 0
	s_mov_b64 s[48:49], 0
	s_waitcnt vmcnt(0) lgkmcnt(0)
	flat_load_dword v2, v[16:17] sc0 sc1
	s_waitcnt vmcnt(0) lgkmcnt(0)
	buffer_inv sc0 sc1
	v_cmp_eq_u32_e64 s[22:23], 0, v2
	s_and_b64 s[22:23], s[22:23], exec
	s_or_b64 s[50:51], s[50:51], s[22:23]
	s_and_saveexec_b64 s[52:53], s[50:51]
	s_cbranch_execz .LBB27_63
	s_branch .LBB27_62
.LBB27_68:                              ;   in Loop: Header=BB27_65 Depth=3
	s_add_i32 s54, s54, 1
	s_mov_b64 s[48:49], -1
                                        ; implicit-def: $vgpr2
	s_and_saveexec_b64 s[52:53], s[50:51]
	s_cbranch_execz .LBB27_63
	s_branch .LBB27_62
.LBB27_69:                              ;   in Loop: Header=BB27_57 Depth=2
	s_or_b64 exec, exec, s[92:93]
	s_xor_b64 s[22:23], s[94:95], -1
	s_and_saveexec_b64 s[92:93], s[22:23]
	s_xor_b64 s[22:23], exec, s[92:93]
	s_cbranch_execz .LBB27_71
; %bb.70:                               ;   in Loop: Header=BB27_57 Depth=2
	v_or_b32_e32 v108, 64, v108
	s_waitcnt lgkmcnt(0)
	ds_write_b32 v0, v2
	s_trap 2
.LBB27_71:                              ;   in Loop: Header=BB27_57 Depth=2
	s_or_b64 exec, exec, s[22:23]
.LBB27_72:                              ;   in Loop: Header=BB27_57 Depth=2
	s_or_b64 exec, exec, s[90:91]
	v_and_b32_e32 v2, 0x100, v108
	v_cmp_ne_u32_e32 vcc, 0, v2
	v_and_b32_e32 v2, 7, v58
	s_mov_b64 s[22:23], -1
	;;#ASMSTART
	s_wakeup
	;;#ASMEND
                                        ; implicit-def: $vgpr16_vgpr17
	s_and_saveexec_b64 s[90:91], vcc
	s_cbranch_execz .LBB27_76
; %bb.73:                               ;   in Loop: Header=BB27_57 Depth=2
	v_mad_u64_u32 v[18:19], s[22:23], v2, 24, v[6:7]
	flat_load_dword v11, v[18:19]
	v_ashrrev_i32_e32 v9, 31, v8
	v_lshlrev_b64 v[16:17], 1, v[8:9]
	flat_store_dwordx2 v[18:19], v[16:17] offset:8
                                        ; implicit-def: $vgpr16_vgpr17
	s_waitcnt vmcnt(0) lgkmcnt(0)
	v_cmp_ne_u32_e32 vcc, 1, v11
	v_cmp_eq_u32_e64 s[22:23], 1, v11
	s_and_saveexec_b64 s[92:93], s[22:23]
	s_cbranch_execz .LBB27_75
; %bb.74:                               ;   in Loop: Header=BB27_57 Depth=2
	flat_load_dword v16, v[18:19] offset:4 sc0 sc1
	s_waitcnt vmcnt(0) lgkmcnt(0)
	v_ashrrev_i32_e32 v17, 31, v16
	v_lshrrev_b64 v[16:17], 1, v[16:17]
.LBB27_75:                              ;   in Loop: Header=BB27_57 Depth=2
	s_or_b64 exec, exec, s[92:93]
	s_orn2_b64 s[22:23], vcc, exec
.LBB27_76:                              ;   in Loop: Header=BB27_57 Depth=2
	s_or_b64 exec, exec, s[90:91]
	s_and_saveexec_b64 s[90:91], s[22:23]
; %bb.77:                               ;   in Loop: Header=BB27_57 Depth=2
	v_mad_i64_i32 v[16:17], s[22:23], v2, v30, 0
; %bb.78:                               ;   in Loop: Header=BB27_57 Depth=2
	s_or_b64 exec, exec, s[90:91]
	v_and_b32_e32 v2, 0x2000, v108
	v_lshl_add_u64 v[16:17], v[16:17], 1, v[66:67]
	v_cmp_ne_u32_e32 vcc, 0, v2
	ds_write_b64 v0, v[16:17] offset:784
	s_and_saveexec_b64 s[22:23], vcc
	s_cbranch_execz .LBB27_80
; %bb.79:                               ;   in Loop: Header=BB27_57 Depth=2
	ds_read_b64 v[16:17], v0 offset:872
	s_waitcnt lgkmcnt(0)
	v_lshl_add_u64 v[16:17], v[16:17], 0, 1
	ds_write_b64 v0, v[16:17] offset:872
.LBB27_80:                              ;   in Loop: Header=BB27_57 Depth=2
	s_or_b64 exec, exec, s[22:23]
	v_mov_b64_e32 v[58:59], v[14:15]
.LBB27_81:                              ;   in Loop: Header=BB27_57 Depth=2
	s_or_b64 exec, exec, s[40:41]
	s_and_saveexec_b64 s[22:23], s[4:5]
	s_cbranch_execz .LBB27_100
; %bb.82:                               ;   in Loop: Header=BB27_57 Depth=2
	s_and_saveexec_b64 s[40:41], s[56:57]
	s_xor_b64 s[40:41], exec, s[40:41]
	s_cbranch_execz .LBB27_97
; %bb.83:                               ;   in Loop: Header=BB27_57 Depth=2
	s_and_saveexec_b64 s[90:91], s[12:13]
	s_cbranch_execz .LBB27_96
; %bb.84:                               ;   in Loop: Header=BB27_57 Depth=2
	s_mov_b64 s[94:95], exec
	v_mbcnt_lo_u32_b32 v2, s94, 0
	v_mbcnt_hi_u32_b32 v2, s95, v2
	v_cmp_eq_u32_e32 vcc, 0, v2
	s_waitcnt lgkmcnt(0)
	s_and_saveexec_b64 s[92:93], vcc
	s_cbranch_execz .LBB27_86
; %bb.85:                               ;   in Loop: Header=BB27_57 Depth=2
	s_bcnt1_i32_b64 s94, s[94:95]
	v_mov_b32_e32 v2, s94
	ds_add_u64 v0, v[2:3]
	s_trap 2
.LBB27_86:                              ;   in Loop: Header=BB27_57 Depth=2
	s_or_b64 exec, exec, s[92:93]
	s_trap 2
	ds_read_b64 v[14:15], v0
	s_waitcnt lgkmcnt(0)
	v_lshl_add_u64 v[70:71], v[70:71], 0, v[84:85]
	v_cmp_lt_u64_e32 vcc, v[14:15], v[70:71]
	s_and_saveexec_b64 s[92:93], vcc
	s_cbranch_execz .LBB27_95
; %bb.87:                               ;   in Loop: Header=BB27_57 Depth=2
	s_mov_b32 s48, 0
	s_mov_b64 s[94:95], 0
                                        ; implicit-def: $sgpr30_sgpr31
                                        ; implicit-def: $sgpr34_sgpr35
	s_branch .LBB27_89
.LBB27_88:                              ;   in Loop: Header=BB27_89 Depth=3
	s_or_b64 exec, exec, s[38:39]
	s_and_b64 vcc, exec, vcc
	s_or_b64 s[94:95], vcc, s[94:95]
	s_andn2_b64 vcc, s[30:31], exec
	s_and_b64 s[30:31], s[34:35], exec
	s_or_b64 s[30:31], vcc, s[30:31]
	s_andn2_b64 exec, exec, s[94:95]
	s_cbranch_execz .LBB27_93
.LBB27_89:                              ;   Parent Loop BB27_47 Depth=1
                                        ;     Parent Loop BB27_57 Depth=2
                                        ; =>    This Inner Loop Header: Depth=3
	s_add_i32 s48, s48, 1
	s_cmpk_lg_i32 s48, 0x2710
	s_cselect_b64 s[36:37], -1, 0
	s_and_b64 vcc, exec, s[36:37]
	s_cbranch_vccz .LBB27_91
; %bb.90:                               ;   in Loop: Header=BB27_89 Depth=3
	s_mov_b64 vcc, -1
	s_or_b64 s[34:35], s[34:35], exec
	s_and_saveexec_b64 s[38:39], s[36:37]
	s_cbranch_execz .LBB27_88
	s_branch .LBB27_92
.LBB27_91:                              ;   in Loop: Header=BB27_89 Depth=3
	s_trap 2
	ds_read_b64 v[14:15], v0
	s_andn2_b64 s[36:37], s[36:37], exec
	s_mov_b32 s48, 0
	s_waitcnt vmcnt(0) lgkmcnt(0)
	flat_load_dword v2, v[14:15] sc0 sc1
	s_waitcnt vmcnt(0) lgkmcnt(0)
	buffer_inv sc0 sc1
	v_cmp_eq_u32_e32 vcc, 0, v2
	s_and_b64 vcc, vcc, exec
	s_or_b64 s[36:37], s[36:37], vcc
	s_mov_b64 vcc, -1
	s_or_b64 s[34:35], s[34:35], exec
	s_and_saveexec_b64 s[38:39], s[36:37]
	s_cbranch_execz .LBB27_88
.LBB27_92:                              ;   in Loop: Header=BB27_89 Depth=3
	s_sleep 1
	s_trap 2
	ds_read_b64 v[14:15], v0
	s_waitcnt lgkmcnt(0)
	s_andn2_b64 s[34:35], s[34:35], exec
	v_cmp_ge_u64_e32 vcc, v[14:15], v[70:71]
	s_orn2_b64 vcc, vcc, exec
	s_branch .LBB27_88
.LBB27_93:                              ;   in Loop: Header=BB27_57 Depth=2
	s_or_b64 exec, exec, s[94:95]
	s_and_saveexec_b64 s[94:95], s[30:31]
	s_xor_b64 s[94:95], exec, s[94:95]
	s_cbranch_execz .LBB27_95
; %bb.94:                               ;   in Loop: Header=BB27_57 Depth=2
	ds_write_b32 v0, v111
	s_trap 2
.LBB27_95:                              ;   in Loop: Header=BB27_57 Depth=2
	s_or_b64 exec, exec, s[92:93]
	;;#ASMSTART
	s_wakeup
	;;#ASMEND
.LBB27_96:                              ;   in Loop: Header=BB27_57 Depth=2
	s_or_b64 exec, exec, s[90:91]
.LBB27_97:                              ;   in Loop: Header=BB27_57 Depth=2
	s_andn2_saveexec_b64 s[40:41], s[40:41]
	s_cbranch_execz .LBB27_99
; %bb.98:                               ;   in Loop: Header=BB27_57 Depth=2
	s_waitcnt lgkmcnt(0)
	s_barrier
.LBB27_99:                              ;   in Loop: Header=BB27_57 Depth=2
	s_or_b64 exec, exec, s[40:41]
.LBB27_100:                             ;   in Loop: Header=BB27_57 Depth=2
	s_or_b64 exec, exec, s[22:23]
	s_trap 2
	ds_read_b32 v9, v0
	v_and_b32_e32 v2, 0x4000, v108
	v_cmp_ne_u32_e32 vcc, 0, v2
	s_xor_b64 s[22:23], s[2:3], -1
	s_and_b64 s[40:41], s[22:23], vcc
	s_and_saveexec_b64 s[22:23], s[40:41]
	s_cbranch_execz .LBB27_119
; %bb.101:                              ;   in Loop: Header=BB27_57 Depth=2
	s_and_saveexec_b64 s[40:41], s[56:57]
	s_xor_b64 s[40:41], exec, s[40:41]
	s_cbranch_execz .LBB27_116
; %bb.102:                              ;   in Loop: Header=BB27_57 Depth=2
	s_and_saveexec_b64 s[90:91], s[12:13]
	s_cbranch_execz .LBB27_115
; %bb.103:                              ;   in Loop: Header=BB27_57 Depth=2
	s_mov_b64 s[94:95], exec
	v_mbcnt_lo_u32_b32 v2, s94, 0
	v_mbcnt_hi_u32_b32 v2, s95, v2
	v_cmp_eq_u32_e32 vcc, 0, v2
	s_waitcnt lgkmcnt(0)
	s_and_saveexec_b64 s[92:93], vcc
	s_cbranch_execz .LBB27_105
; %bb.104:                              ;   in Loop: Header=BB27_57 Depth=2
	s_bcnt1_i32_b64 s94, s[94:95]
	v_mov_b32_e32 v2, s94
	ds_add_u64 v0, v[2:3]
	s_trap 2
.LBB27_105:                             ;   in Loop: Header=BB27_57 Depth=2
	s_or_b64 exec, exec, s[92:93]
	s_trap 2
	ds_read_b64 v[14:15], v0
	s_waitcnt lgkmcnt(0)
	v_lshl_add_u64 v[70:71], v[70:71], 0, v[84:85]
	v_cmp_lt_u64_e32 vcc, v[14:15], v[70:71]
	s_and_saveexec_b64 s[92:93], vcc
	s_cbranch_execz .LBB27_114
; %bb.106:                              ;   in Loop: Header=BB27_57 Depth=2
	s_mov_b32 s48, 0
	s_mov_b64 s[94:95], 0
                                        ; implicit-def: $sgpr30_sgpr31
                                        ; implicit-def: $sgpr34_sgpr35
	s_branch .LBB27_108
.LBB27_107:                             ;   in Loop: Header=BB27_108 Depth=3
	s_or_b64 exec, exec, s[38:39]
	s_and_b64 vcc, exec, vcc
	s_or_b64 s[94:95], vcc, s[94:95]
	s_andn2_b64 vcc, s[30:31], exec
	s_and_b64 s[30:31], s[34:35], exec
	s_or_b64 s[30:31], vcc, s[30:31]
	s_andn2_b64 exec, exec, s[94:95]
	s_cbranch_execz .LBB27_112
.LBB27_108:                             ;   Parent Loop BB27_47 Depth=1
                                        ;     Parent Loop BB27_57 Depth=2
                                        ; =>    This Inner Loop Header: Depth=3
	s_add_i32 s48, s48, 1
	s_cmpk_lg_i32 s48, 0x2710
	s_cselect_b64 s[36:37], -1, 0
	s_and_b64 vcc, exec, s[36:37]
	s_cbranch_vccz .LBB27_110
; %bb.109:                              ;   in Loop: Header=BB27_108 Depth=3
	s_mov_b64 vcc, -1
	s_or_b64 s[34:35], s[34:35], exec
	s_and_saveexec_b64 s[38:39], s[36:37]
	s_cbranch_execz .LBB27_107
	s_branch .LBB27_111
.LBB27_110:                             ;   in Loop: Header=BB27_108 Depth=3
	s_trap 2
	ds_read_b64 v[14:15], v0
	s_andn2_b64 s[36:37], s[36:37], exec
	s_mov_b32 s48, 0
	s_waitcnt vmcnt(0) lgkmcnt(0)
	flat_load_dword v2, v[14:15] sc0 sc1
	s_waitcnt vmcnt(0) lgkmcnt(0)
	buffer_inv sc0 sc1
	v_cmp_eq_u32_e32 vcc, 0, v2
	s_and_b64 vcc, vcc, exec
	s_or_b64 s[36:37], s[36:37], vcc
	s_mov_b64 vcc, -1
	s_or_b64 s[34:35], s[34:35], exec
	s_and_saveexec_b64 s[38:39], s[36:37]
	s_cbranch_execz .LBB27_107
.LBB27_111:                             ;   in Loop: Header=BB27_108 Depth=3
	s_sleep 1
	s_trap 2
	ds_read_b64 v[14:15], v0
	s_waitcnt lgkmcnt(0)
	s_andn2_b64 s[34:35], s[34:35], exec
	v_cmp_ge_u64_e32 vcc, v[14:15], v[70:71]
	s_orn2_b64 vcc, vcc, exec
	s_branch .LBB27_107
.LBB27_112:                             ;   in Loop: Header=BB27_57 Depth=2
	s_or_b64 exec, exec, s[94:95]
	s_and_saveexec_b64 s[94:95], s[30:31]
	s_xor_b64 s[94:95], exec, s[94:95]
	s_cbranch_execz .LBB27_114
; %bb.113:                              ;   in Loop: Header=BB27_57 Depth=2
	ds_write_b32 v0, v111
	s_trap 2
.LBB27_114:                             ;   in Loop: Header=BB27_57 Depth=2
	s_or_b64 exec, exec, s[92:93]
	;;#ASMSTART
	s_wakeup
	;;#ASMEND
.LBB27_115:                             ;   in Loop: Header=BB27_57 Depth=2
	s_or_b64 exec, exec, s[90:91]
.LBB27_116:                             ;   in Loop: Header=BB27_57 Depth=2
	s_andn2_saveexec_b64 s[40:41], s[40:41]
	s_cbranch_execz .LBB27_118
; %bb.117:                              ;   in Loop: Header=BB27_57 Depth=2
	s_waitcnt lgkmcnt(0)
	s_barrier
.LBB27_118:                             ;   in Loop: Header=BB27_57 Depth=2
	s_or_b64 exec, exec, s[40:41]
.LBB27_119:                             ;   in Loop: Header=BB27_57 Depth=2
	s_or_b64 exec, exec, s[22:23]
	s_trap 2
	ds_read_b64 v[14:15], v0
	s_waitcnt lgkmcnt(0)
	v_cmp_eq_u64_e32 vcc, 0, v[14:15]
	s_cbranch_vccnz .LBB27_127
; %bb.120:                              ;   in Loop: Header=BB27_57 Depth=2
	s_trap 2
	ds_read_b64 v[16:17], v0
	s_waitcnt lgkmcnt(0)
	v_cmp_eq_u64_e32 vcc, 0, v[16:17]
	s_cbranch_vccnz .LBB27_127
; %bb.121:                              ;   in Loop: Header=BB27_57 Depth=2
	s_mov_b64 s[22:23], -1
	s_and_saveexec_b64 s[40:41], s[14:15]
	s_cbranch_execz .LBB27_123
; %bb.122:                              ;   in Loop: Header=BB27_57 Depth=2
	ds_read_b32 v2, v0 offset:720
	s_waitcnt lgkmcnt(0)
	v_and_b32_e32 v2, 15, v2
	v_cmp_eq_u32_e32 vcc, 0, v2
	s_orn2_b64 s[22:23], vcc, exec
.LBB27_123:                             ;   in Loop: Header=BB27_57 Depth=2
	s_or_b64 exec, exec, s[40:41]
	s_and_saveexec_b64 s[40:41], s[16:17]
	s_cbranch_execz .LBB27_125
; %bb.124:                              ;   in Loop: Header=BB27_57 Depth=2
	ds_read_b32 v2, v0 offset:784
	s_waitcnt lgkmcnt(0)
	v_and_b32_e32 v2, 15, v2
	v_cmp_eq_u32_e32 vcc, 0, v2
	s_and_b64 s[90:91], s[22:23], vcc
	s_andn2_b64 s[22:23], s[22:23], exec
	s_and_b64 s[90:91], s[90:91], exec
	s_or_b64 s[22:23], s[22:23], s[90:91]
.LBB27_125:                             ;   in Loop: Header=BB27_57 Depth=2
	s_or_b64 exec, exec, s[40:41]
	v_cmp_eq_u32_e32 vcc, 0, v9
	s_xor_b64 s[22:23], s[22:23], -1
	v_cndmask_b32_e64 v11, 0, 1, s[22:23]
	v_cndmask_b32_e32 v2, 0, v8, vcc
	v_lshlrev_b32_e32 v9, 1, v2
	s_mov_b64 s[90:91], -1
	v_cmp_ne_u32_e32 vcc, 0, v11
	v_mov_b32_e32 v11, 0
	s_cbranch_vccz .LBB27_133
; %bb.126:                              ;   in Loop: Header=BB27_57 Depth=2
	v_mov_b32_e32 v25, v0
	s_and_saveexec_b64 s[22:23], s[90:91]
	s_cbranch_execnz .LBB27_144
	s_branch .LBB27_152
.LBB27_127:                             ;   in Loop: Header=BB27_57 Depth=2
	s_mov_b64 s[22:23], 0
	s_and_saveexec_b64 s[40:41], s[4:5]
	s_cbranch_execnz .LBB27_153
.LBB27_128:                             ;   in Loop: Header=BB27_57 Depth=2
	s_or_b64 exec, exec, s[40:41]
                                        ; implicit-def: $vgpr2
	s_and_saveexec_b64 s[40:41], s[20:21]
	s_xor_b64 s[40:41], exec, s[40:41]
	s_cbranch_execz .LBB27_171
.LBB27_129:                             ;   in Loop: Header=BB27_57 Depth=2
	v_and_b32_e32 v9, 16, v108
	v_cmp_ne_u32_e32 vcc, 0, v9
	v_and_b32_e32 v2, 16, v108
	s_and_b64 s[90:91], vcc, s[22:23]
	s_and_saveexec_b64 s[22:23], s[90:91]
	s_cbranch_execz .LBB27_131
; %bb.130:                              ;   in Loop: Header=BB27_57 Depth=2
	v_mov_b32_e32 v2, 1
	buffer_wbl2 sc1
	s_waitcnt vmcnt(0) lgkmcnt(0)
	buffer_inv sc1
.LBB27_131:                             ;   in Loop: Header=BB27_57 Depth=2
	s_or_b64 exec, exec, s[22:23]
	s_andn2_saveexec_b64 s[22:23], s[40:41]
	s_cbranch_execnz .LBB27_172
.LBB27_132:                             ;   in Loop: Header=BB27_57 Depth=2
	s_or_b64 exec, exec, s[22:23]
	v_cmp_ne_u32_e32 vcc, 0, v2
	s_and_saveexec_b64 s[22:23], vcc
	s_cbranch_execz .LBB27_56
	s_branch .LBB27_190
.LBB27_133:                             ;   in Loop: Header=BB27_57 Depth=2
	v_ashrrev_i32_e32 v11, 31, v9
	v_lshrrev_b32_e32 v11, 19, v11
	v_add_u32_e32 v11, v9, v11
	v_ashrrev_i32_e32 v11, 13, v11
	v_sub_u32_e32 v22, v11, v110
	v_cmp_lt_i32_e32 vcc, 0, v22
	s_and_saveexec_b64 s[40:41], vcc
	s_cbranch_execz .LBB27_137
; %bb.134:                              ;   in Loop: Header=BB27_57 Depth=2
	s_mov_b64 s[90:91], 0
	v_mov_b64_e32 v[18:19], v[16:17]
	v_mov_b64_e32 v[20:21], v[14:15]
.LBB27_135:                             ;   Parent Loop BB27_47 Depth=1
                                        ;     Parent Loop BB27_57 Depth=2
                                        ; =>    This Inner Loop Header: Depth=3
	v_lshl_add_u64 v[26:27], v[118:119], 0, v[20:21]
	global_load_dwordx4 v[32:35], v[26:27], off nt
	global_load_dwordx4 v[36:39], v[26:27], off offset:1024 nt
	global_load_dwordx4 v[48:51], v[26:27], off offset:2048 nt
	;; [unrolled: 1-line block ×3, first 2 shown]
	v_add_co_u32_e32 v26, vcc, 0x1000, v26
	v_sub_u32_e32 v22, v22, v84
	s_nop 0
	v_addc_co_u32_e32 v27, vcc, 0, v27, vcc
	global_load_dwordx4 v[76:79], v[26:27], off nt
	global_load_dwordx4 v[88:91], v[26:27], off offset:1024 nt
	global_load_dwordx4 v[92:95], v[26:27], off offset:2048 nt
	;; [unrolled: 1-line block ×3, first 2 shown]
	v_lshl_add_u64 v[26:27], v[118:119], 0, v[18:19]
	v_cmp_gt_i32_e64 s[22:23], 1, v22
	v_lshl_add_u64 v[20:21], v[20:21], 0, v[98:99]
	v_lshl_add_u64 v[18:19], v[18:19], 0, v[98:99]
	v_add_co_u32_e32 v52, vcc, 0x1000, v26
	s_or_b64 s[90:91], s[22:23], s[90:91]
	s_nop 0
	v_addc_co_u32_e32 v53, vcc, 0, v27, vcc
	s_waitcnt vmcnt(0)
	global_store_dwordx4 v[26:27], v[32:35], off
	global_store_dwordx4 v[26:27], v[36:39], off offset:1024
	global_store_dwordx4 v[26:27], v[48:51], off offset:2048
	global_store_dwordx4 v[26:27], v[72:75], off offset:3072
	global_store_dwordx4 v[52:53], v[76:79], off
	global_store_dwordx4 v[52:53], v[88:91], off offset:1024
	global_store_dwordx4 v[52:53], v[92:95], off offset:2048
	;; [unrolled: 1-line block ×3, first 2 shown]
	s_andn2_b64 exec, exec, s[90:91]
	s_cbranch_execnz .LBB27_135
; %bb.136:                              ;   in Loop: Header=BB27_57 Depth=2
	s_or_b64 exec, exec, s[90:91]
.LBB27_137:                             ;   in Loop: Header=BB27_57 Depth=2
	s_or_b64 exec, exec, s[40:41]
	v_lshlrev_b32_e32 v20, 13, v11
	v_cmp_ne_u32_e32 vcc, v9, v20
	s_mov_b64 s[90:91], 0
	v_mov_b32_e32 v11, 0
                                        ; implicit-def: $vgpr25
	s_and_saveexec_b64 s[40:41], vcc
	s_cbranch_execz .LBB27_143
; %bb.138:                              ;   in Loop: Header=BB27_57 Depth=2
	v_lshlrev_b32_e32 v11, 6, v22
	v_sub_u32_e32 v11, v109, v11
	v_ashrrev_i32_e32 v18, 31, v11
	v_lshrrev_b32_e32 v18, 26, v18
	v_add_u32_e32 v18, v11, v18
	v_ashrrev_i32_e32 v23, 6, v18
	v_and_b32_e32 v18, 0xffffffc0, v18
	v_sub_u32_e32 v21, v11, v18
	v_sub_u32_e32 v19, v9, v20
	v_lshlrev_b32_e32 v11, 4, v21
	v_lshl_add_u32 v18, v23, 10, v11
	v_ashrrev_i32_e32 v11, 31, v19
	v_lshrrev_b32_e32 v11, 22, v11
	v_add_u32_e32 v11, v19, v11
	v_ashrrev_i32_e32 v26, 10, v11
	v_and_b32_e32 v11, 0xfffffc00, v11
	v_sub_u32_e32 v22, v19, v11
	v_cmp_lt_i32_e32 vcc, 15, v22
	v_sub_u32_e32 v25, v19, v18
	s_nop 0
	v_addc_co_u32_e64 v19, s[22:23], 0, v26, vcc
	v_sub_u32_e32 v23, v19, v23
	v_cmp_lt_i32_e64 s[22:23], 15, v25
	s_and_saveexec_b64 s[90:91], s[22:23]
	s_cbranch_execz .LBB27_142
; %bb.139:                              ;   in Loop: Header=BB27_57 Depth=2
	v_add_u32_e32 v18, v18, v20
	v_ashrrev_i32_e32 v19, 31, v18
	s_mov_b64 s[92:93], 0
.LBB27_140:                             ;   Parent Loop BB27_47 Depth=1
                                        ;     Parent Loop BB27_57 Depth=2
                                        ; =>    This Inner Loop Header: Depth=3
	v_lshl_add_u64 v[26:27], v[14:15], 0, v[18:19]
	global_load_dwordx4 v[32:35], v[26:27], off nt
	v_sub_u32_e32 v25, v25, v100
	v_cmp_gt_i32_e64 s[22:23], 16, v25
	v_lshl_add_u64 v[26:27], v[16:17], 0, v[18:19]
	v_sub_u32_e32 v23, v23, v84
	v_lshl_add_u64 v[18:19], v[18:19], 0, v[100:101]
	s_or_b64 s[92:93], s[22:23], s[92:93]
	s_waitcnt vmcnt(0)
	global_store_dwordx4 v[26:27], v[32:35], off
	s_andn2_b64 exec, exec, s[92:93]
	s_cbranch_execnz .LBB27_140
; %bb.141:                              ;   in Loop: Header=BB27_57 Depth=2
	s_or_b64 exec, exec, s[92:93]
.LBB27_142:                             ;   in Loop: Header=BB27_57 Depth=2
	s_or_b64 exec, exec, s[90:91]
	v_and_b32_e32 v9, 14, v9
	v_sub_u32_e32 v18, v22, v9
	v_cndmask_b32_e32 v18, 0, v18, vcc
	v_cndmask_b32_e32 v9, v22, v9, vcc
	v_cmp_lt_i32_e32 vcc, 0, v23
	v_add3_u32 v11, v11, v20, v18
	s_nop 0
	v_cndmask_b32_e32 v18, 0, v84, vcc
	v_sub_u32_e32 v18, v18, v23
	v_cmp_ne_u32_e32 vcc, 0, v9
	v_lshl_add_u32 v25, v18, 6, v21
	s_and_b64 s[90:91], vcc, exec
.LBB27_143:                             ;   in Loop: Header=BB27_57 Depth=2
	s_or_b64 exec, exec, s[40:41]
	s_and_saveexec_b64 s[22:23], s[90:91]
	s_cbranch_execz .LBB27_152
.LBB27_144:                             ;   in Loop: Header=BB27_57 Depth=2
	v_ashrrev_i32_e32 v18, 31, v25
	v_ashrrev_i32_e32 v19, 31, v9
	v_lshrrev_b32_e32 v18, 26, v18
	v_lshrrev_b32_e32 v19, 21, v19
	v_add_u32_e32 v18, v25, v18
	v_add_u32_e32 v19, v9, v19
	v_ashrrev_i32_e32 v26, 6, v18
	v_ashrrev_i32_e32 v32, 11, v19
	v_sub_u32_e32 v27, v32, v26
	v_cmp_lt_i32_e32 vcc, 0, v27
	s_and_saveexec_b64 s[40:41], vcc
	s_cbranch_execz .LBB27_148
; %bb.145:                              ;   in Loop: Header=BB27_57 Depth=2
	v_and_b32_e32 v18, 0x7fffffc0, v18
	v_sub_u32_e32 v18, v25, v18
	v_lshlrev_b32_e32 v18, 1, v18
	v_lshlrev_b32_e32 v19, 11, v26
	v_add3_u32 v18, v18, v11, v19
	v_ashrrev_i32_e32 v19, 31, v18
	s_mov_b64 s[90:91], 0
	v_mov_b64_e32 v[20:21], v[16:17]
	v_mov_b64_e32 v[22:23], v[14:15]
.LBB27_146:                             ;   Parent Loop BB27_47 Depth=1
                                        ;     Parent Loop BB27_57 Depth=2
                                        ; =>    This Inner Loop Header: Depth=3
	v_lshl_add_u64 v[34:35], v[18:19], 0, v[22:23]
	flat_load_ushort v33, v[34:35] nt
	flat_load_ushort v36, v[34:35] offset:128 nt
	flat_load_ushort v37, v[34:35] offset:256 nt
	;; [unrolled: 1-line block ×15, first 2 shown]
	v_sub_u32_e32 v27, v27, v84
	v_cmp_gt_i32_e32 vcc, 1, v27
	v_lshl_add_u64 v[34:35], v[18:19], 0, v[20:21]
	v_lshl_add_u64 v[22:23], v[22:23], 0, v[102:103]
	;; [unrolled: 1-line block ×3, first 2 shown]
	s_or_b64 s[90:91], vcc, s[90:91]
	s_waitcnt vmcnt(0) lgkmcnt(0)
	flat_store_short v[34:35], v33 nt
	flat_store_short v[34:35], v36 offset:128 nt
	flat_store_short v[34:35], v37 offset:256 nt
	;; [unrolled: 1-line block ×15, first 2 shown]
	s_andn2_b64 exec, exec, s[90:91]
	s_cbranch_execnz .LBB27_146
; %bb.147:                              ;   in Loop: Header=BB27_57 Depth=2
	s_or_b64 exec, exec, s[90:91]
.LBB27_148:                             ;   in Loop: Header=BB27_57 Depth=2
	s_or_b64 exec, exec, s[40:41]
	v_lshlrev_b32_e32 v18, 11, v32
	v_cmp_ne_u32_e32 vcc, v9, v18
	s_and_b64 exec, exec, vcc
	s_cbranch_execz .LBB27_152
; %bb.149:                              ;   in Loop: Header=BB27_57 Depth=2
	v_lshlrev_b32_e32 v19, 6, v26
	v_sub_u32_e32 v19, v25, v19
	v_lshlrev_b32_e32 v20, 6, v27
	v_sub_u32_e32 v19, v19, v20
	v_ashrrev_i32_e32 v20, 31, v19
	v_lshrrev_b32_e32 v20, 26, v20
	v_add_u32_e32 v20, v19, v20
	v_and_b32_e32 v21, 0x7fffffc0, v20
	v_sub_u32_e32 v19, v19, v21
	v_lshlrev_b32_e32 v20, 1, v20
	v_and_b32_e32 v20, 0xffffff80, v20
	v_lshlrev_b32_e32 v19, 1, v19
	v_add3_u32 v18, v20, v19, v18
	v_sub_u32_e32 v9, v9, v18
	v_cmp_lt_i32_e32 vcc, 1, v9
	s_and_b64 exec, exec, vcc
	s_cbranch_execz .LBB27_152
; %bb.150:                              ;   in Loop: Header=BB27_57 Depth=2
	v_add_u32_e32 v18, v18, v11
	v_ashrrev_i32_e32 v19, 31, v18
	s_mov_b64 s[40:41], 0
.LBB27_151:                             ;   Parent Loop BB27_47 Depth=1
                                        ;     Parent Loop BB27_57 Depth=2
                                        ; =>    This Inner Loop Header: Depth=3
	v_lshl_add_u64 v[20:21], v[14:15], 0, v[18:19]
	flat_load_ushort v11, v[20:21] nt
	v_sub_u32_e32 v9, v9, v112
	v_cmp_gt_i32_e32 vcc, 2, v9
	v_lshl_add_u64 v[20:21], v[16:17], 0, v[18:19]
	v_lshl_add_u64 v[18:19], v[18:19], 0, v[112:113]
	s_or_b64 s[40:41], vcc, s[40:41]
	s_waitcnt vmcnt(0) lgkmcnt(0)
	flat_store_short v[20:21], v11 nt
	s_andn2_b64 exec, exec, s[40:41]
	s_cbranch_execnz .LBB27_151
.LBB27_152:                             ;   in Loop: Header=BB27_57 Depth=2
	s_or_b64 exec, exec, s[22:23]
	v_cmp_lt_i32_e64 s[22:23], 0, v2
	s_and_saveexec_b64 s[40:41], s[4:5]
	s_cbranch_execz .LBB27_128
.LBB27_153:                             ;   in Loop: Header=BB27_57 Depth=2
	s_and_saveexec_b64 s[90:91], s[56:57]
	s_xor_b64 s[90:91], exec, s[90:91]
	s_cbranch_execz .LBB27_168
; %bb.154:                              ;   in Loop: Header=BB27_57 Depth=2
	s_and_saveexec_b64 s[92:93], s[12:13]
	s_cbranch_execz .LBB27_167
; %bb.155:                              ;   in Loop: Header=BB27_57 Depth=2
	s_mov_b64 s[30:31], exec
	v_mbcnt_lo_u32_b32 v2, s30, 0
	v_mbcnt_hi_u32_b32 v2, s31, v2
	v_cmp_eq_u32_e32 vcc, 0, v2
	s_waitcnt lgkmcnt(0)
	s_and_saveexec_b64 s[94:95], vcc
	s_cbranch_execz .LBB27_157
; %bb.156:                              ;   in Loop: Header=BB27_57 Depth=2
	s_bcnt1_i32_b64 vcc_lo, s[30:31]
	v_mov_b32_e32 v2, vcc_lo
	ds_add_u64 v0, v[2:3]
	s_trap 2
.LBB27_157:                             ;   in Loop: Header=BB27_57 Depth=2
	s_or_b64 exec, exec, s[94:95]
	s_trap 2
	ds_read_b64 v[14:15], v0
	s_waitcnt lgkmcnt(0)
	v_lshl_add_u64 v[70:71], v[70:71], 0, v[84:85]
	v_cmp_lt_u64_e32 vcc, v[14:15], v[70:71]
	s_and_saveexec_b64 s[94:95], vcc
	s_cbranch_execz .LBB27_166
; %bb.158:                              ;   in Loop: Header=BB27_57 Depth=2
	s_mov_b32 s50, 0
	s_mov_b64 s[30:31], 0
                                        ; implicit-def: $sgpr34_sgpr35
                                        ; implicit-def: $sgpr36_sgpr37
	s_branch .LBB27_160
.LBB27_159:                             ;   in Loop: Header=BB27_160 Depth=3
	s_or_b64 exec, exec, s[48:49]
	s_and_b64 vcc, exec, vcc
	s_or_b64 s[30:31], vcc, s[30:31]
	s_andn2_b64 vcc, s[34:35], exec
	s_and_b64 s[34:35], s[36:37], exec
	s_or_b64 s[34:35], vcc, s[34:35]
	s_andn2_b64 exec, exec, s[30:31]
	s_cbranch_execz .LBB27_164
.LBB27_160:                             ;   Parent Loop BB27_47 Depth=1
                                        ;     Parent Loop BB27_57 Depth=2
                                        ; =>    This Inner Loop Header: Depth=3
	s_add_i32 s50, s50, 1
	s_cmpk_lg_i32 s50, 0x2710
	s_cselect_b64 s[38:39], -1, 0
	s_and_b64 vcc, exec, s[38:39]
	s_cbranch_vccz .LBB27_162
; %bb.161:                              ;   in Loop: Header=BB27_160 Depth=3
	s_mov_b64 vcc, -1
	s_or_b64 s[36:37], s[36:37], exec
	s_and_saveexec_b64 s[48:49], s[38:39]
	s_cbranch_execz .LBB27_159
	s_branch .LBB27_163
.LBB27_162:                             ;   in Loop: Header=BB27_160 Depth=3
	s_trap 2
	ds_read_b64 v[14:15], v0
	s_andn2_b64 s[38:39], s[38:39], exec
	s_mov_b32 s50, 0
	s_waitcnt vmcnt(0) lgkmcnt(0)
	flat_load_dword v2, v[14:15] sc0 sc1
	s_waitcnt vmcnt(0) lgkmcnt(0)
	buffer_inv sc0 sc1
	v_cmp_eq_u32_e32 vcc, 0, v2
	s_and_b64 vcc, vcc, exec
	s_or_b64 s[38:39], s[38:39], vcc
	s_mov_b64 vcc, -1
	s_or_b64 s[36:37], s[36:37], exec
	s_and_saveexec_b64 s[48:49], s[38:39]
	s_cbranch_execz .LBB27_159
.LBB27_163:                             ;   in Loop: Header=BB27_160 Depth=3
	s_sleep 1
	s_trap 2
	ds_read_b64 v[14:15], v0
	s_waitcnt lgkmcnt(0)
	s_andn2_b64 s[36:37], s[36:37], exec
	v_cmp_ge_u64_e32 vcc, v[14:15], v[70:71]
	s_orn2_b64 vcc, vcc, exec
	s_branch .LBB27_159
.LBB27_164:                             ;   in Loop: Header=BB27_57 Depth=2
	s_or_b64 exec, exec, s[30:31]
	s_and_saveexec_b64 vcc, s[34:35]
	s_xor_b64 vcc, exec, vcc
	s_cbranch_execz .LBB27_166
; %bb.165:                              ;   in Loop: Header=BB27_57 Depth=2
	ds_write_b32 v0, v111
	s_trap 2
.LBB27_166:                             ;   in Loop: Header=BB27_57 Depth=2
	s_or_b64 exec, exec, s[94:95]
	;;#ASMSTART
	s_wakeup
	;;#ASMEND
.LBB27_167:                             ;   in Loop: Header=BB27_57 Depth=2
	s_or_b64 exec, exec, s[92:93]
.LBB27_168:                             ;   in Loop: Header=BB27_57 Depth=2
	s_andn2_saveexec_b64 s[90:91], s[90:91]
	s_cbranch_execz .LBB27_170
; %bb.169:                              ;   in Loop: Header=BB27_57 Depth=2
	s_waitcnt lgkmcnt(0)
	s_barrier
.LBB27_170:                             ;   in Loop: Header=BB27_57 Depth=2
	s_or_b64 exec, exec, s[90:91]
	s_or_b64 exec, exec, s[40:41]
                                        ; implicit-def: $vgpr2
	s_and_saveexec_b64 s[40:41], s[20:21]
	s_xor_b64 s[40:41], exec, s[40:41]
	s_cbranch_execnz .LBB27_129
.LBB27_171:                             ;   in Loop: Header=BB27_57 Depth=2
	s_andn2_saveexec_b64 s[22:23], s[40:41]
	s_cbranch_execz .LBB27_132
.LBB27_172:                             ;   in Loop: Header=BB27_57 Depth=2
	s_and_saveexec_b64 s[40:41], s[56:57]
	s_xor_b64 s[40:41], exec, s[40:41]
	s_cbranch_execz .LBB27_187
; %bb.173:                              ;   in Loop: Header=BB27_57 Depth=2
	s_and_saveexec_b64 s[90:91], s[12:13]
	s_cbranch_execz .LBB27_186
; %bb.174:                              ;   in Loop: Header=BB27_57 Depth=2
	s_mov_b64 s[94:95], exec
	v_mbcnt_lo_u32_b32 v2, s94, 0
	v_mbcnt_hi_u32_b32 v2, s95, v2
	v_cmp_eq_u32_e32 vcc, 0, v2
	;;#ASMSTART
	s_waitcnt lgkmcnt(0) vmcnt(0)
	;;#ASMEND
	s_and_saveexec_b64 s[92:93], vcc
	s_cbranch_execz .LBB27_176
; %bb.175:                              ;   in Loop: Header=BB27_57 Depth=2
	s_bcnt1_i32_b64 s94, s[94:95]
	v_mov_b32_e32 v2, s94
	s_waitcnt lgkmcnt(0)
	ds_add_u64 v0, v[2:3]
	s_trap 2
.LBB27_176:                             ;   in Loop: Header=BB27_57 Depth=2
	s_or_b64 exec, exec, s[92:93]
	s_trap 2
	ds_read_b64 v[14:15], v0
	s_waitcnt lgkmcnt(0)
	v_lshl_add_u64 v[70:71], v[70:71], 0, v[84:85]
	v_cmp_lt_u64_e32 vcc, v[14:15], v[70:71]
	s_and_saveexec_b64 s[92:93], vcc
	s_cbranch_execz .LBB27_185
; %bb.177:                              ;   in Loop: Header=BB27_57 Depth=2
	s_mov_b32 s48, 0
	s_mov_b64 s[94:95], 0
                                        ; implicit-def: $sgpr30_sgpr31
                                        ; implicit-def: $sgpr34_sgpr35
	s_branch .LBB27_179
.LBB27_178:                             ;   in Loop: Header=BB27_179 Depth=3
	s_or_b64 exec, exec, s[38:39]
	s_and_b64 vcc, exec, vcc
	s_or_b64 s[94:95], vcc, s[94:95]
	s_andn2_b64 vcc, s[30:31], exec
	s_and_b64 s[30:31], s[34:35], exec
	s_or_b64 s[30:31], vcc, s[30:31]
	s_andn2_b64 exec, exec, s[94:95]
	s_cbranch_execz .LBB27_183
.LBB27_179:                             ;   Parent Loop BB27_47 Depth=1
                                        ;     Parent Loop BB27_57 Depth=2
                                        ; =>    This Inner Loop Header: Depth=3
	s_add_i32 s48, s48, 1
	s_cmpk_lg_i32 s48, 0x2710
	s_cselect_b64 s[36:37], -1, 0
	s_and_b64 vcc, exec, s[36:37]
	s_cbranch_vccz .LBB27_181
; %bb.180:                              ;   in Loop: Header=BB27_179 Depth=3
	s_mov_b64 vcc, -1
	s_or_b64 s[34:35], s[34:35], exec
	s_and_saveexec_b64 s[38:39], s[36:37]
	s_cbranch_execz .LBB27_178
	s_branch .LBB27_182
.LBB27_181:                             ;   in Loop: Header=BB27_179 Depth=3
	s_trap 2
	ds_read_b64 v[14:15], v0
	s_andn2_b64 s[36:37], s[36:37], exec
	s_mov_b32 s48, 0
	s_waitcnt vmcnt(0) lgkmcnt(0)
	flat_load_dword v2, v[14:15] sc0 sc1
	s_waitcnt vmcnt(0) lgkmcnt(0)
	buffer_inv sc0 sc1
	v_cmp_eq_u32_e32 vcc, 0, v2
	s_and_b64 vcc, vcc, exec
	s_or_b64 s[36:37], s[36:37], vcc
	s_mov_b64 vcc, -1
	s_or_b64 s[34:35], s[34:35], exec
	s_and_saveexec_b64 s[38:39], s[36:37]
	s_cbranch_execz .LBB27_178
.LBB27_182:                             ;   in Loop: Header=BB27_179 Depth=3
	s_sleep 1
	s_trap 2
	ds_read_b64 v[14:15], v0
	s_waitcnt lgkmcnt(0)
	s_andn2_b64 s[34:35], s[34:35], exec
	v_cmp_ge_u64_e32 vcc, v[14:15], v[70:71]
	s_orn2_b64 vcc, vcc, exec
	s_branch .LBB27_178
.LBB27_183:                             ;   in Loop: Header=BB27_57 Depth=2
	s_or_b64 exec, exec, s[94:95]
	s_and_saveexec_b64 s[94:95], s[30:31]
	s_xor_b64 s[94:95], exec, s[94:95]
	s_cbranch_execz .LBB27_185
; %bb.184:                              ;   in Loop: Header=BB27_57 Depth=2
	ds_write_b32 v0, v111
	s_trap 2
.LBB27_185:                             ;   in Loop: Header=BB27_57 Depth=2
	s_or_b64 exec, exec, s[92:93]
	;;#ASMSTART
	s_wakeup
	;;#ASMEND
.LBB27_186:                             ;   in Loop: Header=BB27_57 Depth=2
	s_or_b64 exec, exec, s[90:91]
.LBB27_187:                             ;   in Loop: Header=BB27_57 Depth=2
	s_andn2_saveexec_b64 s[40:41], s[40:41]
	s_cbranch_execz .LBB27_189
; %bb.188:                              ;   in Loop: Header=BB27_57 Depth=2
	;;#ASMSTART
	s_waitcnt lgkmcnt(0) vmcnt(0)
	;;#ASMEND
	s_barrier
.LBB27_189:                             ;   in Loop: Header=BB27_57 Depth=2
	s_or_b64 exec, exec, s[40:41]
	v_and_b32_e32 v2, 16, v108
	s_or_b64 exec, exec, s[22:23]
	v_cmp_ne_u32_e32 vcc, 0, v2
	s_and_saveexec_b64 s[22:23], vcc
	s_cbranch_execz .LBB27_56
.LBB27_190:                             ;   in Loop: Header=BB27_57 Depth=2
	s_and_saveexec_b64 s[40:41], s[10:11]
	s_cbranch_execz .LBB27_55
; %bb.191:                              ;   in Loop: Header=BB27_57 Depth=2
	flat_store_dword v[68:69], v111 sc0 sc1
	s_branch .LBB27_55
.LBB27_192:                             ;   in Loop: Header=BB27_47 Depth=1
	s_or_b64 exec, exec, s[26:27]
.LBB27_193:                             ;   in Loop: Header=BB27_47 Depth=1
	s_or_b64 exec, exec, s[24:25]
	v_cmp_gt_i32_e32 vcc, 2, v2
	s_and_saveexec_b64 s[24:25], vcc
	s_cbranch_execz .LBB27_265
; %bb.194:                              ;   in Loop: Header=BB27_47 Depth=1
	v_cmp_eq_u32_e64 s[28:29], 0, v2
	s_mov_b64 s[26:27], 0
	s_branch .LBB27_197
.LBB27_195:                             ;   in Loop: Header=BB27_197 Depth=2
	s_or_b64 exec, exec, s[28:29]
	v_lshl_add_u64 v[58:59], v[58:59], 0, 2
	flat_store_dwordx2 v[64:65], v[58:59] sc0 sc1
.LBB27_196:                             ;   in Loop: Header=BB27_197 Depth=2
	s_or_b64 exec, exec, s[22:23]
	v_add_u32_e32 v10, v8, v10
	s_mov_b64 s[28:29], 0
	s_andn2_b64 exec, exec, s[26:27]
	s_cbranch_execz .LBB27_264
.LBB27_197:                             ;   Parent Loop BB27_47 Depth=1
                                        ; =>  This Loop Header: Depth=2
                                        ;       Child Loop BB27_203 Depth 3
                                        ;       Child Loop BB27_227 Depth 3
	;; [unrolled: 1-line block ×3, first 2 shown]
	v_sub_u32_e32 v2, v24, v10
	v_min_i32_e32 v8, v8, v2
	v_and_b32_e32 v2, 8, v108
	v_cmp_ne_u32_e32 vcc, 0, v2
	s_and_saveexec_b64 s[40:41], vcc
	s_cbranch_execz .LBB27_219
; %bb.198:                              ;   in Loop: Header=BB27_197 Depth=2
	s_waitcnt vmcnt(0) lgkmcnt(0)
	v_lshl_add_u64 v[14:15], v[80:81], 0, 8
	v_lshl_add_u64 v[12:13], v[58:59], 0, 2
	v_cmp_lt_u64_e32 vcc, v[14:15], v[12:13]
	s_and_saveexec_b64 s[90:91], vcc
	s_cbranch_execz .LBB27_210
; %bb.199:                              ;   in Loop: Header=BB27_197 Depth=2
	v_and_b32_e32 v2, 64, v108
	s_mov_b32 s46, 0
	v_cmp_eq_u32_e32 vcc, 0, v2
	s_mov_b64 s[92:93], 0
                                        ; implicit-def: $sgpr94_sgpr95
                                        ; implicit-def: $sgpr30_sgpr31
                                        ; implicit-def: $sgpr34_sgpr35
	s_branch .LBB27_203
.LBB27_200:                             ;   in Loop: Header=BB27_203 Depth=3
	s_waitcnt vmcnt(0) lgkmcnt(0)
	v_lshl_add_u64 v[14:15], v[80:81], 0, 8
	v_cmp_ge_u64_e64 s[22:23], v[14:15], v[12:13]
	s_or_b64 s[48:49], s[48:49], exec
	s_orn2_b64 s[38:39], s[22:23], exec
.LBB27_201:                             ;   in Loop: Header=BB27_203 Depth=3
	s_or_b64 exec, exec, s[52:53]
	s_andn2_b64 s[22:23], s[34:35], exec
	s_and_b64 s[34:35], s[48:49], exec
	s_or_b64 s[34:35], s[22:23], s[34:35]
	s_andn2_b64 s[22:23], s[30:31], exec
	s_and_b64 s[30:31], s[38:39], exec
	s_or_b64 s[30:31], s[22:23], s[30:31]
.LBB27_202:                             ;   in Loop: Header=BB27_203 Depth=3
	s_or_b64 exec, exec, s[36:37]
	s_and_b64 s[22:23], exec, s[30:31]
	s_or_b64 s[92:93], s[22:23], s[92:93]
	s_andn2_b64 s[22:23], s[94:95], exec
	s_and_b64 s[94:95], s[34:35], exec
	s_or_b64 s[94:95], s[22:23], s[94:95]
	s_andn2_b64 exec, exec, s[92:93]
	s_cbranch_execz .LBB27_207
.LBB27_203:                             ;   Parent Loop BB27_47 Depth=1
                                        ;     Parent Loop BB27_197 Depth=2
                                        ; =>    This Inner Loop Header: Depth=3
	s_sleep 1
	s_waitcnt vmcnt(0) lgkmcnt(0)
	flat_load_dwordx2 v[80:81], v[64:65] sc0 sc1
	s_or_b64 s[34:35], s[34:35], exec
	s_or_b64 s[30:31], s[30:31], exec
                                        ; implicit-def: $vgpr2
	s_and_saveexec_b64 s[36:37], vcc
	s_cbranch_execz .LBB27_202
; %bb.204:                              ;   in Loop: Header=BB27_203 Depth=3
	s_cmpk_lt_i32 s46, 0x270f
	s_cselect_b64 s[50:51], -1, 0
	s_cmpk_gt_i32 s46, 0x270e
	s_mov_b64 s[38:39], -1
	s_cbranch_scc0 .LBB27_206
; %bb.205:                              ;   in Loop: Header=BB27_203 Depth=3
	s_trap 2
	ds_read_b64 v[14:15], v0
	s_andn2_b64 s[50:51], s[50:51], exec
	s_mov_b32 s46, 0
	s_mov_b64 s[48:49], 0
	s_waitcnt vmcnt(0) lgkmcnt(0)
	flat_load_dword v2, v[14:15] sc0 sc1
	s_waitcnt vmcnt(0) lgkmcnt(0)
	buffer_inv sc0 sc1
	v_cmp_eq_u32_e64 s[22:23], 0, v2
	s_and_b64 s[22:23], s[22:23], exec
	s_or_b64 s[50:51], s[50:51], s[22:23]
	s_and_saveexec_b64 s[52:53], s[50:51]
	s_cbranch_execz .LBB27_201
	s_branch .LBB27_200
.LBB27_206:                             ;   in Loop: Header=BB27_203 Depth=3
	s_add_i32 s46, s46, 1
	s_mov_b64 s[48:49], -1
                                        ; implicit-def: $vgpr2
	s_and_saveexec_b64 s[52:53], s[50:51]
	s_cbranch_execz .LBB27_201
	s_branch .LBB27_200
.LBB27_207:                             ;   in Loop: Header=BB27_197 Depth=2
	s_or_b64 exec, exec, s[92:93]
	s_xor_b64 s[22:23], s[94:95], -1
	s_and_saveexec_b64 s[92:93], s[22:23]
	s_xor_b64 s[22:23], exec, s[92:93]
	s_cbranch_execz .LBB27_209
; %bb.208:                              ;   in Loop: Header=BB27_197 Depth=2
	v_or_b32_e32 v108, 64, v108
	s_waitcnt lgkmcnt(0)
	ds_write_b32 v0, v2
	s_trap 2
.LBB27_209:                             ;   in Loop: Header=BB27_197 Depth=2
	s_or_b64 exec, exec, s[22:23]
.LBB27_210:                             ;   in Loop: Header=BB27_197 Depth=2
	s_or_b64 exec, exec, s[90:91]
	v_and_b32_e32 v2, 0x100, v108
	v_cmp_ne_u32_e32 vcc, 0, v2
	v_and_b32_e32 v2, 7, v58
	s_mov_b64 s[22:23], -1
	;;#ASMSTART
	s_wakeup
	;;#ASMEND
                                        ; implicit-def: $vgpr14_vgpr15
	s_and_saveexec_b64 s[90:91], vcc
	s_cbranch_execz .LBB27_214
; %bb.211:                              ;   in Loop: Header=BB27_197 Depth=2
	v_mad_u64_u32 v[16:17], s[22:23], v2, 24, v[6:7]
	flat_load_dword v11, v[16:17]
	v_ashrrev_i32_e32 v9, 31, v8
	v_lshlrev_b64 v[14:15], 1, v[8:9]
	flat_store_dwordx2 v[16:17], v[14:15] offset:8
                                        ; implicit-def: $vgpr14_vgpr15
	s_waitcnt vmcnt(0) lgkmcnt(0)
	v_cmp_ne_u32_e32 vcc, 1, v11
	v_cmp_eq_u32_e64 s[22:23], 1, v11
	s_and_saveexec_b64 s[92:93], s[22:23]
	s_cbranch_execz .LBB27_213
; %bb.212:                              ;   in Loop: Header=BB27_197 Depth=2
	flat_load_dword v14, v[16:17] offset:4 sc0 sc1
	s_waitcnt vmcnt(0) lgkmcnt(0)
	v_ashrrev_i32_e32 v15, 31, v14
	v_lshrrev_b64 v[14:15], 1, v[14:15]
.LBB27_213:                             ;   in Loop: Header=BB27_197 Depth=2
	s_or_b64 exec, exec, s[92:93]
	s_orn2_b64 s[22:23], vcc, exec
.LBB27_214:                             ;   in Loop: Header=BB27_197 Depth=2
	s_or_b64 exec, exec, s[90:91]
	s_and_saveexec_b64 s[90:91], s[22:23]
; %bb.215:                              ;   in Loop: Header=BB27_197 Depth=2
	v_mad_i64_i32 v[14:15], s[22:23], v2, v30, 0
; %bb.216:                              ;   in Loop: Header=BB27_197 Depth=2
	s_or_b64 exec, exec, s[90:91]
	v_and_b32_e32 v2, 0x2000, v108
	v_lshl_add_u64 v[14:15], v[14:15], 1, v[66:67]
	v_cmp_ne_u32_e32 vcc, 0, v2
	ds_write_b64 v0, v[14:15] offset:784
	s_and_saveexec_b64 s[22:23], vcc
	s_cbranch_execz .LBB27_218
; %bb.217:                              ;   in Loop: Header=BB27_197 Depth=2
	ds_read_b64 v[14:15], v0 offset:872
	s_waitcnt lgkmcnt(0)
	v_lshl_add_u64 v[14:15], v[14:15], 0, 1
	ds_write_b64 v0, v[14:15] offset:872
.LBB27_218:                             ;   in Loop: Header=BB27_197 Depth=2
	s_or_b64 exec, exec, s[22:23]
	v_mov_b64_e32 v[58:59], v[12:13]
.LBB27_219:                             ;   in Loop: Header=BB27_197 Depth=2
	s_or_b64 exec, exec, s[40:41]
	s_xor_b64 s[22:23], s[28:29], -1
	s_and_b64 s[22:23], exec, s[22:23]
	s_or_b64 s[26:27], s[22:23], s[26:27]
	s_and_saveexec_b64 s[22:23], s[4:5]
	s_cbranch_execz .LBB27_238
; %bb.220:                              ;   in Loop: Header=BB27_197 Depth=2
	s_and_saveexec_b64 s[28:29], s[56:57]
	s_xor_b64 s[28:29], exec, s[28:29]
	s_cbranch_execz .LBB27_235
; %bb.221:                              ;   in Loop: Header=BB27_197 Depth=2
	s_and_saveexec_b64 s[40:41], s[12:13]
	s_cbranch_execz .LBB27_234
; %bb.222:                              ;   in Loop: Header=BB27_197 Depth=2
	s_mov_b64 s[92:93], exec
	v_mbcnt_lo_u32_b32 v2, s92, 0
	v_mbcnt_hi_u32_b32 v2, s93, v2
	v_cmp_eq_u32_e32 vcc, 0, v2
	s_waitcnt lgkmcnt(0)
	s_and_saveexec_b64 s[90:91], vcc
	s_cbranch_execz .LBB27_224
; %bb.223:                              ;   in Loop: Header=BB27_197 Depth=2
	s_bcnt1_i32_b64 s46, s[92:93]
	v_mov_b32_e32 v2, s46
	ds_add_u64 v0, v[2:3]
	s_trap 2
.LBB27_224:                             ;   in Loop: Header=BB27_197 Depth=2
	s_or_b64 exec, exec, s[90:91]
	s_trap 2
	ds_read_b64 v[12:13], v0
	s_waitcnt lgkmcnt(0)
	v_lshl_add_u64 v[70:71], v[70:71], 0, v[84:85]
	v_cmp_lt_u64_e32 vcc, v[12:13], v[70:71]
	s_and_saveexec_b64 s[90:91], vcc
	s_cbranch_execz .LBB27_233
; %bb.225:                              ;   in Loop: Header=BB27_197 Depth=2
	s_mov_b32 s46, 0
	s_mov_b64 s[92:93], 0
                                        ; implicit-def: $sgpr94_sgpr95
                                        ; implicit-def: $sgpr30_sgpr31
	s_branch .LBB27_227
.LBB27_226:                             ;   in Loop: Header=BB27_227 Depth=3
	s_or_b64 exec, exec, s[36:37]
	s_and_b64 vcc, exec, vcc
	s_or_b64 s[92:93], vcc, s[92:93]
	s_andn2_b64 s[94:95], s[94:95], exec
	s_and_b64 vcc, s[30:31], exec
	s_or_b64 s[94:95], s[94:95], vcc
	s_andn2_b64 exec, exec, s[92:93]
	s_cbranch_execz .LBB27_231
.LBB27_227:                             ;   Parent Loop BB27_47 Depth=1
                                        ;     Parent Loop BB27_197 Depth=2
                                        ; =>    This Inner Loop Header: Depth=3
	s_add_i32 s46, s46, 1
	s_cmpk_lg_i32 s46, 0x2710
	s_cselect_b64 s[34:35], -1, 0
	s_and_b64 vcc, exec, s[34:35]
	s_cbranch_vccz .LBB27_229
; %bb.228:                              ;   in Loop: Header=BB27_227 Depth=3
	s_mov_b64 vcc, -1
	s_or_b64 s[30:31], s[30:31], exec
	s_and_saveexec_b64 s[36:37], s[34:35]
	s_cbranch_execz .LBB27_226
	s_branch .LBB27_230
.LBB27_229:                             ;   in Loop: Header=BB27_227 Depth=3
	s_trap 2
	ds_read_b64 v[12:13], v0
	s_andn2_b64 s[34:35], s[34:35], exec
	s_mov_b32 s46, 0
	s_waitcnt vmcnt(0) lgkmcnt(0)
	flat_load_dword v2, v[12:13] sc0 sc1
	s_waitcnt vmcnt(0) lgkmcnt(0)
	buffer_inv sc0 sc1
	v_cmp_eq_u32_e32 vcc, 0, v2
	s_and_b64 vcc, vcc, exec
	s_or_b64 s[34:35], s[34:35], vcc
	s_mov_b64 vcc, -1
	s_or_b64 s[30:31], s[30:31], exec
	s_and_saveexec_b64 s[36:37], s[34:35]
	s_cbranch_execz .LBB27_226
.LBB27_230:                             ;   in Loop: Header=BB27_227 Depth=3
	s_sleep 1
	s_trap 2
	ds_read_b64 v[12:13], v0
	s_waitcnt lgkmcnt(0)
	s_andn2_b64 s[30:31], s[30:31], exec
	v_cmp_ge_u64_e32 vcc, v[12:13], v[70:71]
	s_orn2_b64 vcc, vcc, exec
	s_branch .LBB27_226
.LBB27_231:                             ;   in Loop: Header=BB27_197 Depth=2
	s_or_b64 exec, exec, s[92:93]
	s_and_saveexec_b64 s[92:93], s[94:95]
	s_xor_b64 s[92:93], exec, s[92:93]
	s_cbranch_execz .LBB27_233
; %bb.232:                              ;   in Loop: Header=BB27_197 Depth=2
	ds_write_b32 v0, v111
	s_trap 2
.LBB27_233:                             ;   in Loop: Header=BB27_197 Depth=2
	s_or_b64 exec, exec, s[90:91]
	;;#ASMSTART
	s_wakeup
	;;#ASMEND
.LBB27_234:                             ;   in Loop: Header=BB27_197 Depth=2
	s_or_b64 exec, exec, s[40:41]
.LBB27_235:                             ;   in Loop: Header=BB27_197 Depth=2
	s_andn2_saveexec_b64 s[28:29], s[28:29]
	s_cbranch_execz .LBB27_237
; %bb.236:                              ;   in Loop: Header=BB27_197 Depth=2
	s_waitcnt lgkmcnt(0)
	s_barrier
.LBB27_237:                             ;   in Loop: Header=BB27_197 Depth=2
	s_or_b64 exec, exec, s[28:29]
.LBB27_238:                             ;   in Loop: Header=BB27_197 Depth=2
	s_or_b64 exec, exec, s[22:23]
                                        ; implicit-def: $vgpr2
	s_and_saveexec_b64 s[22:23], s[20:21]
	s_xor_b64 s[22:23], exec, s[22:23]
	s_cbranch_execz .LBB27_243
; %bb.239:                              ;   in Loop: Header=BB27_197 Depth=2
	s_trap 2
	ds_read_b32 v9, v0
	v_cmp_lt_i32_e32 vcc, 0, v8
	v_and_b32_e32 v11, 16, v108
	v_and_b32_e32 v2, 16, v108
	s_waitcnt lgkmcnt(0)
	v_readfirstlane_b32 s28, v9
	s_cmp_eq_u32 s28, 0
	s_cselect_b64 s[28:29], -1, 0
	s_and_b64 s[28:29], vcc, s[28:29]
	v_cmp_ne_u32_e32 vcc, 0, v11
	s_and_b64 s[40:41], vcc, s[28:29]
	s_and_saveexec_b64 s[28:29], s[40:41]
	s_cbranch_execz .LBB27_241
; %bb.240:                              ;   in Loop: Header=BB27_197 Depth=2
	v_mov_b32_e32 v2, 1
	buffer_wbl2 sc1
	s_waitcnt vmcnt(0)
	buffer_inv sc1
.LBB27_241:                             ;   in Loop: Header=BB27_197 Depth=2
	s_or_b64 exec, exec, s[28:29]
	s_andn2_saveexec_b64 s[22:23], s[22:23]
	s_cbranch_execnz .LBB27_244
.LBB27_242:                             ;   in Loop: Header=BB27_197 Depth=2
	s_or_b64 exec, exec, s[22:23]
	v_cmp_ne_u32_e32 vcc, 0, v2
	s_and_saveexec_b64 s[22:23], vcc
	s_cbranch_execz .LBB27_196
	s_branch .LBB27_262
.LBB27_243:                             ;   in Loop: Header=BB27_197 Depth=2
	s_andn2_saveexec_b64 s[22:23], s[22:23]
	s_cbranch_execz .LBB27_242
.LBB27_244:                             ;   in Loop: Header=BB27_197 Depth=2
	s_and_saveexec_b64 s[28:29], s[56:57]
	s_xor_b64 s[28:29], exec, s[28:29]
	s_cbranch_execz .LBB27_259
; %bb.245:                              ;   in Loop: Header=BB27_197 Depth=2
	s_and_saveexec_b64 s[40:41], s[12:13]
	s_cbranch_execz .LBB27_258
; %bb.246:                              ;   in Loop: Header=BB27_197 Depth=2
	s_mov_b64 s[92:93], exec
	v_mbcnt_lo_u32_b32 v2, s92, 0
	v_mbcnt_hi_u32_b32 v2, s93, v2
	v_cmp_eq_u32_e32 vcc, 0, v2
	;;#ASMSTART
	s_waitcnt lgkmcnt(0) vmcnt(0)
	;;#ASMEND
	s_and_saveexec_b64 s[90:91], vcc
	s_cbranch_execz .LBB27_248
; %bb.247:                              ;   in Loop: Header=BB27_197 Depth=2
	s_bcnt1_i32_b64 s46, s[92:93]
	v_mov_b32_e32 v2, s46
	s_waitcnt lgkmcnt(0)
	ds_add_u64 v0, v[2:3]
	s_trap 2
.LBB27_248:                             ;   in Loop: Header=BB27_197 Depth=2
	s_or_b64 exec, exec, s[90:91]
	s_trap 2
	ds_read_b64 v[12:13], v0
	s_waitcnt lgkmcnt(0)
	v_lshl_add_u64 v[70:71], v[70:71], 0, v[84:85]
	v_cmp_lt_u64_e32 vcc, v[12:13], v[70:71]
	s_and_saveexec_b64 s[90:91], vcc
	s_cbranch_execz .LBB27_257
; %bb.249:                              ;   in Loop: Header=BB27_197 Depth=2
	s_mov_b32 s46, 0
	s_mov_b64 s[92:93], 0
                                        ; implicit-def: $sgpr94_sgpr95
                                        ; implicit-def: $sgpr30_sgpr31
	s_branch .LBB27_251
.LBB27_250:                             ;   in Loop: Header=BB27_251 Depth=3
	s_or_b64 exec, exec, s[36:37]
	s_and_b64 vcc, exec, vcc
	s_or_b64 s[92:93], vcc, s[92:93]
	s_andn2_b64 s[94:95], s[94:95], exec
	s_and_b64 vcc, s[30:31], exec
	s_or_b64 s[94:95], s[94:95], vcc
	s_andn2_b64 exec, exec, s[92:93]
	s_cbranch_execz .LBB27_255
.LBB27_251:                             ;   Parent Loop BB27_47 Depth=1
                                        ;     Parent Loop BB27_197 Depth=2
                                        ; =>    This Inner Loop Header: Depth=3
	s_add_i32 s46, s46, 1
	s_cmpk_lg_i32 s46, 0x2710
	s_cselect_b64 s[34:35], -1, 0
	s_and_b64 vcc, exec, s[34:35]
	s_cbranch_vccz .LBB27_253
; %bb.252:                              ;   in Loop: Header=BB27_251 Depth=3
	s_mov_b64 vcc, -1
	s_or_b64 s[30:31], s[30:31], exec
	s_and_saveexec_b64 s[36:37], s[34:35]
	s_cbranch_execz .LBB27_250
	s_branch .LBB27_254
.LBB27_253:                             ;   in Loop: Header=BB27_251 Depth=3
	s_trap 2
	ds_read_b64 v[12:13], v0
	s_andn2_b64 s[34:35], s[34:35], exec
	s_mov_b32 s46, 0
	s_waitcnt vmcnt(0) lgkmcnt(0)
	flat_load_dword v2, v[12:13] sc0 sc1
	s_waitcnt vmcnt(0) lgkmcnt(0)
	buffer_inv sc0 sc1
	v_cmp_eq_u32_e32 vcc, 0, v2
	s_and_b64 vcc, vcc, exec
	s_or_b64 s[34:35], s[34:35], vcc
	s_mov_b64 vcc, -1
	s_or_b64 s[30:31], s[30:31], exec
	s_and_saveexec_b64 s[36:37], s[34:35]
	s_cbranch_execz .LBB27_250
.LBB27_254:                             ;   in Loop: Header=BB27_251 Depth=3
	s_sleep 1
	s_trap 2
	ds_read_b64 v[12:13], v0
	s_waitcnt lgkmcnt(0)
	s_andn2_b64 s[30:31], s[30:31], exec
	v_cmp_ge_u64_e32 vcc, v[12:13], v[70:71]
	s_orn2_b64 vcc, vcc, exec
	s_branch .LBB27_250
.LBB27_255:                             ;   in Loop: Header=BB27_197 Depth=2
	s_or_b64 exec, exec, s[92:93]
	s_and_saveexec_b64 s[92:93], s[94:95]
	s_xor_b64 s[92:93], exec, s[92:93]
	s_cbranch_execz .LBB27_257
; %bb.256:                              ;   in Loop: Header=BB27_197 Depth=2
	ds_write_b32 v0, v111
	s_trap 2
.LBB27_257:                             ;   in Loop: Header=BB27_197 Depth=2
	s_or_b64 exec, exec, s[90:91]
	;;#ASMSTART
	s_wakeup
	;;#ASMEND
.LBB27_258:                             ;   in Loop: Header=BB27_197 Depth=2
	s_or_b64 exec, exec, s[40:41]
.LBB27_259:                             ;   in Loop: Header=BB27_197 Depth=2
	s_andn2_saveexec_b64 s[28:29], s[28:29]
	s_cbranch_execz .LBB27_261
; %bb.260:                              ;   in Loop: Header=BB27_197 Depth=2
	;;#ASMSTART
	s_waitcnt lgkmcnt(0) vmcnt(0)
	;;#ASMEND
	s_barrier
.LBB27_261:                             ;   in Loop: Header=BB27_197 Depth=2
	s_or_b64 exec, exec, s[28:29]
	v_and_b32_e32 v2, 16, v108
	s_or_b64 exec, exec, s[22:23]
	v_cmp_ne_u32_e32 vcc, 0, v2
	s_and_saveexec_b64 s[22:23], vcc
	s_cbranch_execz .LBB27_196
.LBB27_262:                             ;   in Loop: Header=BB27_197 Depth=2
	s_and_saveexec_b64 s[28:29], s[10:11]
	s_cbranch_execz .LBB27_195
; %bb.263:                              ;   in Loop: Header=BB27_197 Depth=2
	flat_store_dword v[68:69], v111 sc0 sc1
	s_branch .LBB27_195
.LBB27_264:                             ;   in Loop: Header=BB27_47 Depth=1
	s_or_b64 exec, exec, s[26:27]
.LBB27_265:                             ;   in Loop: Header=BB27_47 Depth=1
	s_or_b64 exec, exec, s[24:25]
	v_cndmask_b32_e64 v2, 0, 1, s[74:75]
	v_cmp_ne_u32_e64 s[22:23], 1, v2
	s_andn2_b64 vcc, exec, s[74:75]
	s_cbranch_vccnz .LBB27_716
; %bb.266:                              ;   in Loop: Header=BB27_47 Depth=1
	s_mov_b32 s87, 2
	s_branch .LBB27_269
.LBB27_267:                             ;   in Loop: Header=BB27_269 Depth=2
	s_or_b64 exec, exec, s[28:29]
.LBB27_268:                             ;   in Loop: Header=BB27_269 Depth=2
	s_or_b64 exec, exec, s[26:27]
	s_add_i32 s87, s87, 1
	s_cmp_eq_u32 s87, s64
	s_cbranch_scc1 .LBB27_716
.LBB27_269:                             ;   Parent Loop BB27_47 Depth=1
                                        ; =>  This Loop Header: Depth=2
                                        ;       Child Loop BB27_272 Depth 3
                                        ;         Child Loop BB27_280 Depth 4
                                        ;         Child Loop BB27_308 Depth 4
	;; [unrolled: 1-line block ×9, first 2 shown]
                                        ;       Child Loop BB27_644 Depth 3
                                        ;         Child Loop BB27_650 Depth 4
                                        ;         Child Loop BB27_678 Depth 4
	;; [unrolled: 1-line block ×3, first 2 shown]
	s_sub_i32 s24, s71, s87
	s_cmp_ge_i32 s24, s64
	s_cselect_b32 s25, s64, 0
	s_sub_i32 s24, s24, s25
	s_ashr_i32 s25, s24, 31
	v_mul_lo_u32 v2, v56, s25
	v_mul_lo_u32 v8, v57, s24
	v_mad_u64_u32 v[76:77], s[24:25], v56, s24, 0
	v_add3_u32 v77, v77, v2, v8
	v_sub_co_u32_e32 v8, vcc, v60, v76
	v_mov_b32_e32 v74, 0
	s_nop 0
	v_subb_co_u32_e32 v9, vcc, v61, v77, vcc
	v_cmp_lt_i64_e32 vcc, v[56:57], v[8:9]
	s_nop 1
	v_cndmask_b32_e32 v2, v8, v56, vcc
	v_max_i32_e32 v104, 0, v2
	v_add_u32_e32 v8, 31, v104
	v_ashrrev_i32_e32 v9, 31, v8
	v_lshrrev_b32_e32 v9, 27, v9
	v_add_u32_e32 v8, v8, v9
	v_ashrrev_i32_e32 v8, 5, v8
	v_lshlrev_b32_e32 v8, 4, v8
	v_cmp_lt_i32_e32 vcc, 0, v2
	v_max_i32_e32 v72, s82, v8
	s_and_b64 s[24:25], s[78:79], vcc
	v_mov_b32_e32 v2, 0
	s_and_saveexec_b64 s[28:29], s[24:25]
	s_cbranch_execz .LBB27_641
; %bb.270:                              ;   in Loop: Header=BB27_269 Depth=2
	s_mov_b32 s96, 1
	s_mov_b64 s[90:91], -1
	v_mov_b32_e32 v74, 0
	s_mov_b64 s[40:41], 0
	s_branch .LBB27_272
.LBB27_271:                             ;   in Loop: Header=BB27_272 Depth=3
	s_or_b64 exec, exec, s[24:25]
	v_add_u32_e32 v74, v72, v74
	v_cmp_ge_i32_e32 vcc, v74, v104
	s_xor_b64 s[24:25], s[90:91], -1
	s_or_b64 s[24:25], s[24:25], vcc
	s_and_b64 s[24:25], exec, s[24:25]
	s_or_b64 s[40:41], s[24:25], s[40:41]
	s_mov_b64 s[90:91], 0
	v_mov_b32_e32 v2, s96
	s_mov_b32 s96, 2
	s_andn2_b64 exec, exec, s[40:41]
	s_cbranch_execz .LBB27_640
.LBB27_272:                             ;   Parent Loop BB27_47 Depth=1
                                        ;     Parent Loop BB27_269 Depth=2
                                        ; =>    This Loop Header: Depth=3
                                        ;         Child Loop BB27_280 Depth 4
                                        ;         Child Loop BB27_308 Depth 4
	;; [unrolled: 1-line block ×9, first 2 shown]
	s_and_saveexec_b64 s[24:25], s[0:1]
	s_cbranch_execz .LBB27_274
; %bb.273:                              ;   in Loop: Header=BB27_272 Depth=3
	s_trap 2
	ds_read_b64 v[8:9], v0
	v_ashrrev_i32_e32 v75, 31, v74
	s_waitcnt lgkmcnt(0)
	v_lshl_add_u64 v[8:9], v[62:63], 1, v[8:9]
	v_lshl_add_u64 v[8:9], v[76:77], 1, v[8:9]
	;; [unrolled: 1-line block ×3, first 2 shown]
	ds_write_b64 v0, v[8:9]
	ds_write_b64 v0, v[54:55]
.LBB27_274:                             ;   in Loop: Header=BB27_272 Depth=3
	s_or_b64 exec, exec, s[24:25]
	v_sub_u32_e32 v2, v104, v74
	v_min_i32_e32 v72, v72, v2
	v_and_b32_e32 v2, 12, v108
	v_cmp_ne_u32_e32 vcc, 0, v2
	s_and_saveexec_b64 s[26:27], vcc
	s_cbranch_execz .LBB27_300
; %bb.275:                              ;   in Loop: Header=BB27_272 Depth=3
	v_and_b32_e32 v2, 8, v108
	s_waitcnt vmcnt(0) lgkmcnt(0)
	v_lshl_add_u64 v[10:11], v[80:81], 0, v[2:3]
	v_lshl_add_u64 v[8:9], v[58:59], 0, 2
	v_cmp_lt_u64_e32 vcc, v[10:11], v[8:9]
	s_and_saveexec_b64 s[92:93], vcc
	s_cbranch_execz .LBB27_287
; %bb.276:                              ;   in Loop: Header=BB27_272 Depth=3
	v_and_b32_e32 v10, 64, v108
	s_mov_b32 s46, 0
	v_cmp_eq_u32_e32 vcc, 0, v10
	s_mov_b64 s[94:95], 0
                                        ; implicit-def: $sgpr30_sgpr31
                                        ; implicit-def: $sgpr34_sgpr35
                                        ; implicit-def: $sgpr36_sgpr37
	s_branch .LBB27_280
.LBB27_277:                             ;   in Loop: Header=BB27_280 Depth=4
	s_waitcnt vmcnt(0) lgkmcnt(0)
	v_lshl_add_u64 v[12:13], v[80:81], 0, v[2:3]
	v_cmp_ge_u64_e64 s[24:25], v[12:13], v[8:9]
	s_or_b64 s[50:51], s[50:51], exec
	s_orn2_b64 s[48:49], s[24:25], exec
.LBB27_278:                             ;   in Loop: Header=BB27_280 Depth=4
	s_or_b64 exec, exec, s[54:55]
	s_andn2_b64 s[24:25], s[36:37], exec
	s_and_b64 s[36:37], s[50:51], exec
	s_or_b64 s[36:37], s[24:25], s[36:37]
	s_andn2_b64 s[24:25], s[34:35], exec
	s_and_b64 s[34:35], s[48:49], exec
	s_or_b64 s[34:35], s[24:25], s[34:35]
.LBB27_279:                             ;   in Loop: Header=BB27_280 Depth=4
	s_or_b64 exec, exec, s[38:39]
	s_and_b64 s[24:25], exec, s[34:35]
	s_or_b64 s[94:95], s[24:25], s[94:95]
	s_andn2_b64 s[24:25], s[30:31], exec
	s_and_b64 s[30:31], s[36:37], exec
	s_or_b64 s[30:31], s[24:25], s[30:31]
	s_andn2_b64 exec, exec, s[94:95]
	s_cbranch_execz .LBB27_284
.LBB27_280:                             ;   Parent Loop BB27_47 Depth=1
                                        ;     Parent Loop BB27_269 Depth=2
                                        ;       Parent Loop BB27_272 Depth=3
                                        ; =>      This Inner Loop Header: Depth=4
	s_sleep 1
	s_waitcnt vmcnt(0) lgkmcnt(0)
	flat_load_dwordx2 v[80:81], v[64:65] sc0 sc1
	s_or_b64 s[36:37], s[36:37], exec
	s_or_b64 s[34:35], s[34:35], exec
                                        ; implicit-def: $vgpr10
	s_and_saveexec_b64 s[38:39], vcc
	s_cbranch_execz .LBB27_279
; %bb.281:                              ;   in Loop: Header=BB27_280 Depth=4
	s_cmpk_lt_i32 s46, 0x270f
	s_cselect_b64 s[52:53], -1, 0
	s_cmpk_gt_i32 s46, 0x270e
	s_mov_b64 s[48:49], -1
	s_cbranch_scc0 .LBB27_283
; %bb.282:                              ;   in Loop: Header=BB27_280 Depth=4
	s_trap 2
	ds_read_b64 v[10:11], v0
	s_andn2_b64 s[52:53], s[52:53], exec
	s_mov_b32 s46, 0
	s_mov_b64 s[50:51], 0
	s_waitcnt vmcnt(0) lgkmcnt(0)
	flat_load_dword v10, v[10:11] sc0 sc1
	s_waitcnt vmcnt(0) lgkmcnt(0)
	buffer_inv sc0 sc1
	v_cmp_eq_u32_e64 s[24:25], 0, v10
	s_and_b64 s[24:25], s[24:25], exec
	s_or_b64 s[52:53], s[52:53], s[24:25]
	s_and_saveexec_b64 s[54:55], s[52:53]
	s_cbranch_execz .LBB27_278
	s_branch .LBB27_277
.LBB27_283:                             ;   in Loop: Header=BB27_280 Depth=4
	s_add_i32 s46, s46, 1
	s_mov_b64 s[50:51], -1
                                        ; implicit-def: $vgpr10
	s_and_saveexec_b64 s[54:55], s[52:53]
	s_cbranch_execz .LBB27_278
	s_branch .LBB27_277
.LBB27_284:                             ;   in Loop: Header=BB27_272 Depth=3
	s_or_b64 exec, exec, s[94:95]
	s_xor_b64 s[24:25], s[30:31], -1
	s_and_saveexec_b64 s[94:95], s[24:25]
	s_xor_b64 s[24:25], exec, s[94:95]
	s_cbranch_execz .LBB27_286
; %bb.285:                              ;   in Loop: Header=BB27_272 Depth=3
	v_or_b32_e32 v108, 64, v108
	s_waitcnt lgkmcnt(0)
	ds_write_b32 v0, v10
	s_trap 2
.LBB27_286:                             ;   in Loop: Header=BB27_272 Depth=3
	s_or_b64 exec, exec, s[24:25]
.LBB27_287:                             ;   in Loop: Header=BB27_272 Depth=3
	s_or_b64 exec, exec, s[92:93]
	v_and_b32_e32 v10, 0x108, v108
	v_cmp_ne_u32_e32 vcc, s68, v10
	;;#ASMSTART
	s_wakeup
	;;#ASMEND
                                        ; implicit-def: $vgpr10_vgpr11
	s_and_saveexec_b64 s[24:25], vcc
	s_xor_b64 s[24:25], exec, s[24:25]
; %bb.288:                              ;   in Loop: Header=BB27_272 Depth=3
	v_and_b32_e32 v10, 7, v58
	v_mov_b32_e32 v11, v3
                                        ; implicit-def: $vgpr58_vgpr59
; %bb.289:                              ;   in Loop: Header=BB27_272 Depth=3
	s_andn2_saveexec_b64 s[24:25], s[24:25]
	s_cbranch_execz .LBB27_291
; %bb.290:                              ;   in Loop: Header=BB27_272 Depth=3
	v_and_b32_e32 v10, 7, v58
	v_ashrrev_i32_e32 v73, 31, v72
	v_mov_b32_e32 v11, v3
	v_mad_u64_u32 v[12:13], s[92:93], v10, 24, v[6:7]
	v_lshlrev_b64 v[14:15], 1, v[72:73]
	flat_store_dwordx2 v[12:13], v[14:15] offset:8
.LBB27_291:                             ;   in Loop: Header=BB27_272 Depth=3
	s_or_b64 exec, exec, s[24:25]
	v_and_b32_e32 v12, 0x100, v108
	v_cmp_ne_u32_e32 vcc, 0, v12
	s_mov_b64 s[24:25], -1
                                        ; implicit-def: $vgpr12_vgpr13
	s_and_saveexec_b64 s[92:93], vcc
	s_cbranch_execz .LBB27_295
; %bb.292:                              ;   in Loop: Header=BB27_272 Depth=3
	v_mad_u64_u32 v[14:15], s[24:25], v10, 24, v[6:7]
	v_mov_b32_e32 v12, v15
	v_mad_u64_u32 v[12:13], s[24:25], v11, 24, v[12:13]
	v_mov_b32_e32 v15, v12
	flat_load_dword v12, v[14:15]
	s_waitcnt vmcnt(0) lgkmcnt(0)
	v_cmp_ne_u32_e32 vcc, 1, v12
	v_cmp_eq_u32_e64 s[24:25], 1, v12
                                        ; implicit-def: $vgpr12_vgpr13
	s_and_saveexec_b64 s[94:95], s[24:25]
	s_cbranch_execz .LBB27_294
; %bb.293:                              ;   in Loop: Header=BB27_272 Depth=3
	flat_load_dword v12, v[14:15] offset:4 sc0 sc1
	s_waitcnt vmcnt(0) lgkmcnt(0)
	v_ashrrev_i32_e32 v13, 31, v12
	v_lshrrev_b64 v[12:13], 1, v[12:13]
.LBB27_294:                             ;   in Loop: Header=BB27_272 Depth=3
	s_or_b64 exec, exec, s[94:95]
	s_orn2_b64 s[24:25], vcc, exec
.LBB27_295:                             ;   in Loop: Header=BB27_272 Depth=3
	s_or_b64 exec, exec, s[92:93]
	s_and_saveexec_b64 s[92:93], s[24:25]
; %bb.296:                              ;   in Loop: Header=BB27_272 Depth=3
	v_mul_lo_u32 v11, v11, v30
	v_mul_lo_u32 v14, v10, v83
	v_mad_u64_u32 v[12:13], s[24:25], v10, v30, 0
	v_add3_u32 v13, v13, v14, v11
; %bb.297:                              ;   in Loop: Header=BB27_272 Depth=3
	s_or_b64 exec, exec, s[92:93]
	v_cmp_eq_u32_e32 vcc, 0, v2
	v_lshl_add_u64 v[10:11], v[12:13], 1, v[66:67]
	s_nop 0
	v_cndmask_b32_e32 v2, v120, v121, vcc
	v_add_u32_e32 v2, v0, v2
	ds_write_b64 v2, v[10:11] offset:584
	v_and_b32_e32 v2, 0x2000, v108
	v_cmp_ne_u32_e32 vcc, 0, v2
	s_and_saveexec_b64 s[24:25], vcc
	s_cbranch_execz .LBB27_299
; %bb.298:                              ;   in Loop: Header=BB27_272 Depth=3
	ds_read_b64 v[10:11], v0 offset:872
	s_waitcnt lgkmcnt(0)
	v_lshl_add_u64 v[10:11], v[10:11], 0, 1
	ds_write_b64 v0, v[10:11] offset:872
.LBB27_299:                             ;   in Loop: Header=BB27_272 Depth=3
	s_or_b64 exec, exec, s[24:25]
	v_mov_b64_e32 v[58:59], v[8:9]
.LBB27_300:                             ;   in Loop: Header=BB27_272 Depth=3
	s_or_b64 exec, exec, s[26:27]
	s_and_saveexec_b64 s[24:25], s[4:5]
	s_cbranch_execz .LBB27_319
; %bb.301:                              ;   in Loop: Header=BB27_272 Depth=3
	s_and_saveexec_b64 s[26:27], s[56:57]
	s_xor_b64 s[26:27], exec, s[26:27]
	s_cbranch_execz .LBB27_316
; %bb.302:                              ;   in Loop: Header=BB27_272 Depth=3
	s_and_saveexec_b64 s[92:93], s[12:13]
	s_cbranch_execz .LBB27_315
; %bb.303:                              ;   in Loop: Header=BB27_272 Depth=3
	s_mov_b64 s[30:31], exec
	v_mbcnt_lo_u32_b32 v2, s30, 0
	v_mbcnt_hi_u32_b32 v2, s31, v2
	v_cmp_eq_u32_e32 vcc, 0, v2
	s_waitcnt lgkmcnt(0)
	s_and_saveexec_b64 s[94:95], vcc
	s_cbranch_execz .LBB27_305
; %bb.304:                              ;   in Loop: Header=BB27_272 Depth=3
	s_bcnt1_i32_b64 s46, s[30:31]
	v_mov_b32_e32 v2, s46
	ds_add_u64 v0, v[2:3]
	s_trap 2
.LBB27_305:                             ;   in Loop: Header=BB27_272 Depth=3
	s_or_b64 exec, exec, s[94:95]
	s_trap 2
	ds_read_b64 v[8:9], v0
	s_waitcnt lgkmcnt(0)
	v_lshl_add_u64 v[70:71], v[70:71], 0, v[84:85]
	v_cmp_lt_u64_e32 vcc, v[8:9], v[70:71]
	s_and_saveexec_b64 s[94:95], vcc
	s_cbranch_execz .LBB27_314
; %bb.306:                              ;   in Loop: Header=BB27_272 Depth=3
	s_mov_b32 s46, 0
	s_mov_b64 s[30:31], 0
                                        ; implicit-def: $sgpr34_sgpr35
                                        ; implicit-def: $sgpr36_sgpr37
	s_branch .LBB27_308
.LBB27_307:                             ;   in Loop: Header=BB27_308 Depth=4
	s_or_b64 exec, exec, s[48:49]
	s_and_b64 vcc, exec, vcc
	s_or_b64 s[30:31], vcc, s[30:31]
	s_andn2_b64 vcc, s[34:35], exec
	s_and_b64 s[34:35], s[36:37], exec
	s_or_b64 s[34:35], vcc, s[34:35]
	s_andn2_b64 exec, exec, s[30:31]
	s_cbranch_execz .LBB27_312
.LBB27_308:                             ;   Parent Loop BB27_47 Depth=1
                                        ;     Parent Loop BB27_269 Depth=2
                                        ;       Parent Loop BB27_272 Depth=3
                                        ; =>      This Inner Loop Header: Depth=4
	s_add_i32 s46, s46, 1
	s_cmpk_lg_i32 s46, 0x2710
	s_cselect_b64 s[38:39], -1, 0
	s_and_b64 vcc, exec, s[38:39]
	s_cbranch_vccz .LBB27_310
; %bb.309:                              ;   in Loop: Header=BB27_308 Depth=4
	s_mov_b64 vcc, -1
	s_or_b64 s[36:37], s[36:37], exec
	s_and_saveexec_b64 s[48:49], s[38:39]
	s_cbranch_execz .LBB27_307
	s_branch .LBB27_311
.LBB27_310:                             ;   in Loop: Header=BB27_308 Depth=4
	s_trap 2
	ds_read_b64 v[8:9], v0
	s_andn2_b64 s[38:39], s[38:39], exec
	s_mov_b32 s46, 0
	s_waitcnt vmcnt(0) lgkmcnt(0)
	flat_load_dword v2, v[8:9] sc0 sc1
	s_waitcnt vmcnt(0) lgkmcnt(0)
	buffer_inv sc0 sc1
	v_cmp_eq_u32_e32 vcc, 0, v2
	s_and_b64 vcc, vcc, exec
	s_or_b64 s[38:39], s[38:39], vcc
	s_mov_b64 vcc, -1
	s_or_b64 s[36:37], s[36:37], exec
	s_and_saveexec_b64 s[48:49], s[38:39]
	s_cbranch_execz .LBB27_307
.LBB27_311:                             ;   in Loop: Header=BB27_308 Depth=4
	s_sleep 1
	s_trap 2
	ds_read_b64 v[8:9], v0
	s_waitcnt lgkmcnt(0)
	s_andn2_b64 s[36:37], s[36:37], exec
	v_cmp_ge_u64_e32 vcc, v[8:9], v[70:71]
	s_orn2_b64 vcc, vcc, exec
	s_branch .LBB27_307
.LBB27_312:                             ;   in Loop: Header=BB27_272 Depth=3
	s_or_b64 exec, exec, s[30:31]
	s_and_saveexec_b64 vcc, s[34:35]
	s_xor_b64 vcc, exec, vcc
	s_cbranch_execz .LBB27_314
; %bb.313:                              ;   in Loop: Header=BB27_272 Depth=3
	ds_write_b32 v0, v111
	s_trap 2
.LBB27_314:                             ;   in Loop: Header=BB27_272 Depth=3
	s_or_b64 exec, exec, s[94:95]
	;;#ASMSTART
	s_wakeup
	;;#ASMEND
.LBB27_315:                             ;   in Loop: Header=BB27_272 Depth=3
	s_or_b64 exec, exec, s[92:93]
.LBB27_316:                             ;   in Loop: Header=BB27_272 Depth=3
	s_andn2_saveexec_b64 s[26:27], s[26:27]
	s_cbranch_execz .LBB27_318
; %bb.317:                              ;   in Loop: Header=BB27_272 Depth=3
	s_waitcnt lgkmcnt(0)
	s_barrier
.LBB27_318:                             ;   in Loop: Header=BB27_272 Depth=3
	s_or_b64 exec, exec, s[26:27]
.LBB27_319:                             ;   in Loop: Header=BB27_272 Depth=3
	s_or_b64 exec, exec, s[24:25]
	s_trap 2
	ds_read_b32 v8, v0
	v_and_b32_e32 v2, 0x4000, v108
	v_cmp_ne_u32_e32 vcc, 0, v2
	s_xor_b64 s[24:25], s[2:3], -1
	s_and_b64 s[26:27], s[24:25], vcc
	s_and_saveexec_b64 s[24:25], s[26:27]
	s_cbranch_execz .LBB27_338
; %bb.320:                              ;   in Loop: Header=BB27_272 Depth=3
	s_and_saveexec_b64 s[26:27], s[56:57]
	s_xor_b64 s[26:27], exec, s[26:27]
	s_cbranch_execz .LBB27_335
; %bb.321:                              ;   in Loop: Header=BB27_272 Depth=3
	s_and_saveexec_b64 s[92:93], s[12:13]
	s_cbranch_execz .LBB27_334
; %bb.322:                              ;   in Loop: Header=BB27_272 Depth=3
	s_mov_b64 s[30:31], exec
	v_mbcnt_lo_u32_b32 v2, s30, 0
	v_mbcnt_hi_u32_b32 v2, s31, v2
	v_cmp_eq_u32_e32 vcc, 0, v2
	s_waitcnt lgkmcnt(0)
	s_and_saveexec_b64 s[94:95], vcc
	s_cbranch_execz .LBB27_324
; %bb.323:                              ;   in Loop: Header=BB27_272 Depth=3
	s_bcnt1_i32_b64 s46, s[30:31]
	v_mov_b32_e32 v2, s46
	ds_add_u64 v0, v[2:3]
	s_trap 2
.LBB27_324:                             ;   in Loop: Header=BB27_272 Depth=3
	s_or_b64 exec, exec, s[94:95]
	s_trap 2
	ds_read_b64 v[10:11], v0
	s_waitcnt lgkmcnt(0)
	v_lshl_add_u64 v[70:71], v[70:71], 0, v[84:85]
	v_cmp_lt_u64_e32 vcc, v[10:11], v[70:71]
	s_and_saveexec_b64 s[94:95], vcc
	s_cbranch_execz .LBB27_333
; %bb.325:                              ;   in Loop: Header=BB27_272 Depth=3
	s_mov_b32 s46, 0
	s_mov_b64 s[30:31], 0
                                        ; implicit-def: $sgpr34_sgpr35
                                        ; implicit-def: $sgpr36_sgpr37
	s_branch .LBB27_327
.LBB27_326:                             ;   in Loop: Header=BB27_327 Depth=4
	s_or_b64 exec, exec, s[48:49]
	s_and_b64 vcc, exec, vcc
	s_or_b64 s[30:31], vcc, s[30:31]
	s_andn2_b64 vcc, s[34:35], exec
	s_and_b64 s[34:35], s[36:37], exec
	s_or_b64 s[34:35], vcc, s[34:35]
	s_andn2_b64 exec, exec, s[30:31]
	s_cbranch_execz .LBB27_331
.LBB27_327:                             ;   Parent Loop BB27_47 Depth=1
                                        ;     Parent Loop BB27_269 Depth=2
                                        ;       Parent Loop BB27_272 Depth=3
                                        ; =>      This Inner Loop Header: Depth=4
	s_add_i32 s46, s46, 1
	s_cmpk_lg_i32 s46, 0x2710
	s_cselect_b64 s[38:39], -1, 0
	s_and_b64 vcc, exec, s[38:39]
	s_cbranch_vccz .LBB27_329
; %bb.328:                              ;   in Loop: Header=BB27_327 Depth=4
	s_mov_b64 vcc, -1
	s_or_b64 s[36:37], s[36:37], exec
	s_and_saveexec_b64 s[48:49], s[38:39]
	s_cbranch_execz .LBB27_326
	s_branch .LBB27_330
.LBB27_329:                             ;   in Loop: Header=BB27_327 Depth=4
	s_trap 2
	ds_read_b64 v[10:11], v0
	s_andn2_b64 s[38:39], s[38:39], exec
	s_mov_b32 s46, 0
	s_waitcnt vmcnt(0) lgkmcnt(0)
	flat_load_dword v2, v[10:11] sc0 sc1
	s_waitcnt vmcnt(0) lgkmcnt(0)
	buffer_inv sc0 sc1
	v_cmp_eq_u32_e32 vcc, 0, v2
	s_and_b64 vcc, vcc, exec
	s_or_b64 s[38:39], s[38:39], vcc
	s_mov_b64 vcc, -1
	s_or_b64 s[36:37], s[36:37], exec
	s_and_saveexec_b64 s[48:49], s[38:39]
	s_cbranch_execz .LBB27_326
.LBB27_330:                             ;   in Loop: Header=BB27_327 Depth=4
	s_sleep 1
	s_trap 2
	ds_read_b64 v[10:11], v0
	s_waitcnt lgkmcnt(0)
	s_andn2_b64 s[36:37], s[36:37], exec
	v_cmp_ge_u64_e32 vcc, v[10:11], v[70:71]
	s_orn2_b64 vcc, vcc, exec
	s_branch .LBB27_326
.LBB27_331:                             ;   in Loop: Header=BB27_272 Depth=3
	s_or_b64 exec, exec, s[30:31]
	s_and_saveexec_b64 vcc, s[34:35]
	s_xor_b64 vcc, exec, vcc
	s_cbranch_execz .LBB27_333
; %bb.332:                              ;   in Loop: Header=BB27_272 Depth=3
	ds_write_b32 v0, v111
	s_trap 2
.LBB27_333:                             ;   in Loop: Header=BB27_272 Depth=3
	s_or_b64 exec, exec, s[94:95]
	;;#ASMSTART
	s_wakeup
	;;#ASMEND
.LBB27_334:                             ;   in Loop: Header=BB27_272 Depth=3
	s_or_b64 exec, exec, s[92:93]
.LBB27_335:                             ;   in Loop: Header=BB27_272 Depth=3
	s_andn2_saveexec_b64 s[26:27], s[26:27]
	s_cbranch_execz .LBB27_337
; %bb.336:                              ;   in Loop: Header=BB27_272 Depth=3
	s_waitcnt lgkmcnt(0)
	s_barrier
.LBB27_337:                             ;   in Loop: Header=BB27_272 Depth=3
	s_or_b64 exec, exec, s[26:27]
.LBB27_338:                             ;   in Loop: Header=BB27_272 Depth=3
	s_or_b64 exec, exec, s[24:25]
	s_trap 2
	ds_read_b64 v[78:79], v0
	s_waitcnt lgkmcnt(0)
	v_cmp_eq_u64_e32 vcc, 0, v[78:79]
	s_cbranch_vccnz .LBB27_346
; %bb.339:                              ;   in Loop: Header=BB27_272 Depth=3
	s_trap 2
	ds_read_b64 v[88:89], v0
	s_waitcnt lgkmcnt(0)
	v_cmp_eq_u64_e32 vcc, 0, v[88:89]
	s_cbranch_vccnz .LBB27_346
; %bb.340:                              ;   in Loop: Header=BB27_272 Depth=3
	s_trap 2
	ds_read_b64 v[10:11], v0
	s_mov_b64 s[26:27], -1
	s_waitcnt lgkmcnt(0)
	v_readfirstlane_b32 s36, v10
	s_and_saveexec_b64 s[24:25], s[18:19]
	s_cbranch_execz .LBB27_342
; %bb.341:                              ;   in Loop: Header=BB27_272 Depth=3
	ds_read_b32 v2, v0 offset:720
	s_waitcnt lgkmcnt(0)
	v_and_b32_e32 v2, 15, v2
	v_cmp_eq_u32_e32 vcc, 0, v2
	s_orn2_b64 s[26:27], vcc, exec
.LBB27_342:                             ;   in Loop: Header=BB27_272 Depth=3
	s_or_b64 exec, exec, s[24:25]
	s_and_saveexec_b64 s[24:25], s[16:17]
	s_cbranch_execz .LBB27_344
; %bb.343:                              ;   in Loop: Header=BB27_272 Depth=3
	ds_read_b32 v2, v0 offset:784
	s_waitcnt lgkmcnt(0)
	v_and_b32_e32 v2, 15, v2
	v_cmp_eq_u32_e32 vcc, 0, v2
	s_and_b64 s[92:93], s[26:27], vcc
	s_andn2_b64 s[26:27], s[26:27], exec
	s_and_b64 s[92:93], s[92:93], exec
	s_or_b64 s[26:27], s[26:27], s[92:93]
.LBB27_344:                             ;   in Loop: Header=BB27_272 Depth=3
	s_or_b64 exec, exec, s[24:25]
	v_cmp_eq_u32_e32 vcc, 0, v8
	s_xor_b64 s[26:27], s[26:27], -1
	v_cndmask_b32_e64 v8, 0, 1, s[26:27]
	v_cndmask_b32_e32 v2, 0, v72, vcc
	v_lshlrev_b32_e32 v73, 1, v2
	s_mov_b64 s[24:25], -1
	v_cmp_ne_u32_e32 vcc, 0, v8
	v_mov_b32_e32 v14, 0
	s_cbranch_vccz .LBB27_351
; %bb.345:                              ;   in Loop: Header=BB27_272 Depth=3
	v_mov_b32_e32 v15, v0
	s_and_saveexec_b64 s[26:27], s[24:25]
	s_cbranch_execnz .LBB27_522
	s_branch .LBB27_598
.LBB27_346:                             ;   in Loop: Header=BB27_272 Depth=3
	s_mov_b64 s[24:25], 0
	s_and_saveexec_b64 s[26:27], s[4:5]
	s_cbranch_execnz .LBB27_599
.LBB27_347:                             ;   in Loop: Header=BB27_272 Depth=3
	s_or_b64 exec, exec, s[26:27]
                                        ; implicit-def: $vgpr2
	s_and_saveexec_b64 s[26:27], s[20:21]
	s_xor_b64 s[26:27], exec, s[26:27]
	s_cbranch_execz .LBB27_617
.LBB27_348:                             ;   in Loop: Header=BB27_272 Depth=3
	v_and_b32_e32 v8, 16, v108
	v_cmp_ne_u32_e32 vcc, 0, v8
	v_and_b32_e32 v2, 16, v108
	s_and_b64 s[92:93], vcc, s[24:25]
	s_and_saveexec_b64 s[24:25], s[92:93]
	s_cbranch_execz .LBB27_350
; %bb.349:                              ;   in Loop: Header=BB27_272 Depth=3
	v_mov_b32_e32 v2, 1
	buffer_wbl2 sc1
	s_waitcnt vmcnt(0) lgkmcnt(0)
	buffer_inv sc1
.LBB27_350:                             ;   in Loop: Header=BB27_272 Depth=3
	s_or_b64 exec, exec, s[24:25]
	s_andn2_saveexec_b64 s[24:25], s[26:27]
	s_cbranch_execz .LBB27_636
	s_branch .LBB27_618
.LBB27_351:                             ;   in Loop: Header=BB27_272 Depth=3
	v_ashrrev_i32_e32 v8, 31, v73
	v_lshrrev_b32_e32 v8, 20, v8
	v_add_u32_e32 v8, v73, v8
	v_ashrrev_i32_e32 v105, 12, v8
	v_sub_u32_e32 v75, v105, v110
	v_cmp_lt_i32_e32 vcc, 0, v75
	s_and_saveexec_b64 s[26:27], vcc
	s_cbranch_execz .LBB27_483
; %bb.352:                              ;   in Loop: Header=BB27_272 Depth=3
	s_trap 2
	ds_read_b64 v[8:9], v0
	s_and_b32 s46, s36, 1
	s_cmp_eq_u64 s[46:47], 0
	v_lshl_add_u64 v[90:91], v[78:79], 0, v[114:115]
	v_lshl_add_u64 v[92:93], v[88:89], 0, v[114:115]
	s_waitcnt lgkmcnt(0)
	v_lshl_add_u64 v[94:95], v[8:9], 0, v[114:115]
	s_mov_b64 s[92:93], 0
	s_cselect_b64 vcc, -1, 0
	s_branch .LBB27_354
.LBB27_353:                             ;   in Loop: Header=BB27_354 Depth=4
	s_or_b64 exec, exec, s[94:95]
	v_lshrrev_b32_e32 v15, 16, v20
	v_and_or_b32 v17, v17, s86, v15
	v_lshrrev_b32_e32 v15, 16, v35
	v_and_or_b32 v16, v16, s86, v15
	v_lshrrev_b32_e32 v15, 16, v21
	v_and_or_b32 v18, v18, s86, v15
	v_lshrrev_b32_e32 v15, 16, v22
	v_and_or_b32 v19, v19, s86, v15
	v_lshrrev_b32_e32 v15, 16, v32
	v_and_or_b32 v25, v25, s86, v15
	v_lshrrev_b32_e32 v15, 16, v51
	v_and_or_b32 v24, v24, s86, v15
	v_lshrrev_b32_e32 v15, 16, v33
	v_and_or_b32 v26, v26, s86, v15
	v_lshrrev_b32_e32 v15, 16, v34
	v_and_or_b32 v27, v27, s86, v15
	v_lshrrev_b32_e32 v15, 16, v48
	v_and_or_b32 v33, v37, s86, v15
	v_lshrrev_b32_e32 v15, 16, v106
	v_lshrrev_b32_e32 v12, 16, v12
	v_and_or_b32 v32, v36, s86, v15
	v_lshrrev_b32_e32 v15, 16, v49
	v_and_or_b32 v9, v9, s86, v12
	;; [unrolled: 2-line block ×4, first 2 shown]
	v_lshrrev_b32_e32 v12, 16, v13
	v_sub_u32_e32 v75, v75, v84
	v_and_or_b32 v35, v39, s86, v15
	v_and_or_b32 v10, v10, s86, v12
	v_lshrrev_b32_e32 v12, 16, v14
	v_cmp_gt_i32_e64 s[24:25], 1, v75
	v_and_or_b32 v11, v11, s86, v12
	global_store_dwordx4 v[92:93], v[32:35], off
	global_store_dwordx4 v[92:93], v[24:27], off offset:1024
	global_store_dwordx4 v[92:93], v[16:19], off offset:2048
	;; [unrolled: 1-line block ×3, first 2 shown]
	v_lshl_add_u64 v[90:91], v[90:91], 0, v[116:117]
	v_lshl_add_u64 v[94:95], v[94:95], 0, v[116:117]
	s_or_b64 s[92:93], s[24:25], s[92:93]
	v_lshl_add_u64 v[92:93], v[92:93], 0, v[116:117]
	s_andn2_b64 exec, exec, s[92:93]
	s_cbranch_execz .LBB27_482
.LBB27_354:                             ;   Parent Loop BB27_47 Depth=1
                                        ;     Parent Loop BB27_269 Depth=2
                                        ;       Parent Loop BB27_272 Depth=3
                                        ; =>      This Inner Loop Header: Depth=4
	global_load_dwordx4 v[36:39], v[90:91], off nt
	global_load_dwordx4 v[48:51], v[94:95], off nt
	global_load_dwordx4 v[24:27], v[90:91], off offset:1024 nt
	global_load_dwordx4 v[16:19], v[90:91], off offset:2048 nt
	;; [unrolled: 1-line block ×6, first 2 shown]
                                        ; implicit-def: $vgpr106
	s_waitcnt vmcnt(0)
	v_lshlrev_b32_e32 v28, 16, v36
	v_lshlrev_b32_e32 v29, 16, v48
	v_max_f32_e32 v29, v29, v29
	v_max_f32_e32 v28, v28, v28
	v_min_f32_e32 v52, v28, v29
	v_max_f32_e32 v28, v28, v29
	v_cndmask_b32_e32 v52, v28, v52, vcc
	v_and_b32_e32 v28, 0x7f800000, v52
	v_cmp_ne_u32_e64 s[24:25], s69, v28
	s_and_saveexec_b64 s[94:95], s[24:25]
	s_xor_b64 s[24:25], exec, s[94:95]
; %bb.355:                              ;   in Loop: Header=BB27_354 Depth=4
	v_bfe_u32 v28, v52, 16, 1
	v_add3_u32 v106, v52, v28, s70
                                        ; implicit-def: $vgpr52
; %bb.356:                              ;   in Loop: Header=BB27_354 Depth=4
	s_andn2_saveexec_b64 s[94:95], s[24:25]
; %bb.357:                              ;   in Loop: Header=BB27_354 Depth=4
	v_or_b32_e32 v28, 0x10000, v52
	v_cmp_eq_u32_sdwa s[24:25], v52, v3 src0_sel:WORD_0 src1_sel:DWORD
	s_nop 1
	v_cndmask_b32_e64 v106, v28, v52, s[24:25]
; %bb.358:                              ;   in Loop: Header=BB27_354 Depth=4
	s_or_b64 exec, exec, s[94:95]
	v_and_b32_e32 v28, 0xffff0000, v36
	v_and_b32_e32 v29, 0xffff0000, v48
	v_max_f32_e32 v29, v29, v29
	v_max_f32_e32 v28, v28, v28
	v_min_f32_e32 v36, v28, v29
	v_max_f32_e32 v28, v28, v29
	v_cndmask_b32_e32 v48, v28, v36, vcc
	v_and_b32_e32 v28, 0x7f800000, v48
	v_cmp_ne_u32_e64 s[24:25], s69, v28
                                        ; implicit-def: $vgpr36
	s_and_saveexec_b64 s[94:95], s[24:25]
	s_xor_b64 s[24:25], exec, s[94:95]
; %bb.359:                              ;   in Loop: Header=BB27_354 Depth=4
	v_bfe_u32 v28, v48, 16, 1
	v_add3_u32 v36, v48, v28, s70
                                        ; implicit-def: $vgpr48
; %bb.360:                              ;   in Loop: Header=BB27_354 Depth=4
	s_andn2_saveexec_b64 s[94:95], s[24:25]
; %bb.361:                              ;   in Loop: Header=BB27_354 Depth=4
	v_or_b32_e32 v28, 0x10000, v48
	v_cmp_eq_u32_sdwa s[24:25], v48, v3 src0_sel:WORD_0 src1_sel:DWORD
	s_nop 1
	v_cndmask_b32_e64 v36, v28, v48, s[24:25]
; %bb.362:                              ;   in Loop: Header=BB27_354 Depth=4
	s_or_b64 exec, exec, s[94:95]
	v_lshlrev_b32_e32 v28, 16, v37
	v_lshlrev_b32_e32 v29, 16, v49
	v_max_f32_e32 v29, v29, v29
	v_max_f32_e32 v28, v28, v28
	v_min_f32_e32 v48, v28, v29
	v_max_f32_e32 v28, v28, v29
	v_cndmask_b32_e32 v52, v28, v48, vcc
	v_and_b32_e32 v28, 0x7f800000, v52
	v_cmp_ne_u32_e64 s[24:25], s69, v28
                                        ; implicit-def: $vgpr48
	s_and_saveexec_b64 s[94:95], s[24:25]
	s_xor_b64 s[24:25], exec, s[94:95]
; %bb.363:                              ;   in Loop: Header=BB27_354 Depth=4
	v_bfe_u32 v28, v52, 16, 1
	v_add3_u32 v48, v52, v28, s70
                                        ; implicit-def: $vgpr52
; %bb.364:                              ;   in Loop: Header=BB27_354 Depth=4
	s_andn2_saveexec_b64 s[94:95], s[24:25]
; %bb.365:                              ;   in Loop: Header=BB27_354 Depth=4
	v_or_b32_e32 v28, 0x10000, v52
	v_cmp_eq_u32_sdwa s[24:25], v52, v3 src0_sel:WORD_0 src1_sel:DWORD
	s_nop 1
	v_cndmask_b32_e64 v48, v28, v52, s[24:25]
; %bb.366:                              ;   in Loop: Header=BB27_354 Depth=4
	s_or_b64 exec, exec, s[94:95]
	v_and_b32_e32 v28, 0xffff0000, v37
	v_and_b32_e32 v29, 0xffff0000, v49
	v_max_f32_e32 v29, v29, v29
	v_max_f32_e32 v28, v28, v28
	v_min_f32_e32 v37, v28, v29
	v_max_f32_e32 v28, v28, v29
	v_cndmask_b32_e32 v49, v28, v37, vcc
	v_and_b32_e32 v28, 0x7f800000, v49
	v_cmp_ne_u32_e64 s[24:25], s69, v28
                                        ; implicit-def: $vgpr37
	s_and_saveexec_b64 s[94:95], s[24:25]
	s_xor_b64 s[24:25], exec, s[94:95]
; %bb.367:                              ;   in Loop: Header=BB27_354 Depth=4
	v_bfe_u32 v28, v49, 16, 1
	v_add3_u32 v37, v49, v28, s70
                                        ; implicit-def: $vgpr49
; %bb.368:                              ;   in Loop: Header=BB27_354 Depth=4
	s_andn2_saveexec_b64 s[94:95], s[24:25]
; %bb.369:                              ;   in Loop: Header=BB27_354 Depth=4
	v_or_b32_e32 v28, 0x10000, v49
	v_cmp_eq_u32_sdwa s[24:25], v49, v3 src0_sel:WORD_0 src1_sel:DWORD
	s_nop 1
	v_cndmask_b32_e64 v37, v28, v49, s[24:25]
; %bb.370:                              ;   in Loop: Header=BB27_354 Depth=4
	s_or_b64 exec, exec, s[94:95]
	v_lshlrev_b32_e32 v28, 16, v38
	v_lshlrev_b32_e32 v29, 16, v50
	v_max_f32_e32 v29, v29, v29
	v_max_f32_e32 v28, v28, v28
	v_min_f32_e32 v49, v28, v29
	v_max_f32_e32 v28, v28, v29
	v_cndmask_b32_e32 v52, v28, v49, vcc
	v_and_b32_e32 v28, 0x7f800000, v52
	v_cmp_ne_u32_e64 s[24:25], s69, v28
                                        ; implicit-def: $vgpr49
	s_and_saveexec_b64 s[94:95], s[24:25]
	s_xor_b64 s[24:25], exec, s[94:95]
; %bb.371:                              ;   in Loop: Header=BB27_354 Depth=4
	v_bfe_u32 v28, v52, 16, 1
	v_add3_u32 v49, v52, v28, s70
                                        ; implicit-def: $vgpr52
; %bb.372:                              ;   in Loop: Header=BB27_354 Depth=4
	s_andn2_saveexec_b64 s[94:95], s[24:25]
; %bb.373:                              ;   in Loop: Header=BB27_354 Depth=4
	v_or_b32_e32 v28, 0x10000, v52
	v_cmp_eq_u32_sdwa s[24:25], v52, v3 src0_sel:WORD_0 src1_sel:DWORD
	s_nop 1
	v_cndmask_b32_e64 v49, v28, v52, s[24:25]
; %bb.374:                              ;   in Loop: Header=BB27_354 Depth=4
	s_or_b64 exec, exec, s[94:95]
	v_and_b32_e32 v28, 0xffff0000, v38
	v_and_b32_e32 v29, 0xffff0000, v50
	v_max_f32_e32 v29, v29, v29
	v_max_f32_e32 v28, v28, v28
	v_min_f32_e32 v38, v28, v29
	v_max_f32_e32 v28, v28, v29
	v_cndmask_b32_e32 v50, v28, v38, vcc
	v_and_b32_e32 v28, 0x7f800000, v50
	v_cmp_ne_u32_e64 s[24:25], s69, v28
                                        ; implicit-def: $vgpr38
	s_and_saveexec_b64 s[94:95], s[24:25]
	s_xor_b64 s[24:25], exec, s[94:95]
; %bb.375:                              ;   in Loop: Header=BB27_354 Depth=4
	v_bfe_u32 v28, v50, 16, 1
	v_add3_u32 v38, v50, v28, s70
                                        ; implicit-def: $vgpr50
; %bb.376:                              ;   in Loop: Header=BB27_354 Depth=4
	s_andn2_saveexec_b64 s[94:95], s[24:25]
; %bb.377:                              ;   in Loop: Header=BB27_354 Depth=4
	v_or_b32_e32 v28, 0x10000, v50
	v_cmp_eq_u32_sdwa s[24:25], v50, v3 src0_sel:WORD_0 src1_sel:DWORD
	s_nop 1
	v_cndmask_b32_e64 v38, v28, v50, s[24:25]
; %bb.378:                              ;   in Loop: Header=BB27_354 Depth=4
	s_or_b64 exec, exec, s[94:95]
	v_lshlrev_b32_e32 v28, 16, v39
	v_lshlrev_b32_e32 v29, 16, v51
	v_max_f32_e32 v29, v29, v29
	v_max_f32_e32 v28, v28, v28
	v_min_f32_e32 v50, v28, v29
	v_max_f32_e32 v28, v28, v29
	v_cndmask_b32_e32 v52, v28, v50, vcc
	v_and_b32_e32 v28, 0x7f800000, v52
	v_cmp_ne_u32_e64 s[24:25], s69, v28
                                        ; implicit-def: $vgpr50
	s_and_saveexec_b64 s[94:95], s[24:25]
	s_xor_b64 s[24:25], exec, s[94:95]
; %bb.379:                              ;   in Loop: Header=BB27_354 Depth=4
	v_bfe_u32 v28, v52, 16, 1
	v_add3_u32 v50, v52, v28, s70
                                        ; implicit-def: $vgpr52
; %bb.380:                              ;   in Loop: Header=BB27_354 Depth=4
	s_andn2_saveexec_b64 s[94:95], s[24:25]
; %bb.381:                              ;   in Loop: Header=BB27_354 Depth=4
	v_or_b32_e32 v28, 0x10000, v52
	v_cmp_eq_u32_sdwa s[24:25], v52, v3 src0_sel:WORD_0 src1_sel:DWORD
	s_nop 1
	v_cndmask_b32_e64 v50, v28, v52, s[24:25]
; %bb.382:                              ;   in Loop: Header=BB27_354 Depth=4
	s_or_b64 exec, exec, s[94:95]
	v_and_b32_e32 v28, 0xffff0000, v39
	v_and_b32_e32 v29, 0xffff0000, v51
	v_max_f32_e32 v29, v29, v29
	v_max_f32_e32 v28, v28, v28
	v_min_f32_e32 v39, v28, v29
	v_max_f32_e32 v28, v28, v29
	v_cndmask_b32_e32 v51, v28, v39, vcc
	v_and_b32_e32 v28, 0x7f800000, v51
	v_cmp_ne_u32_e64 s[24:25], s69, v28
                                        ; implicit-def: $vgpr39
	s_and_saveexec_b64 s[94:95], s[24:25]
	s_xor_b64 s[24:25], exec, s[94:95]
; %bb.383:                              ;   in Loop: Header=BB27_354 Depth=4
	v_bfe_u32 v28, v51, 16, 1
	v_add3_u32 v39, v51, v28, s70
                                        ; implicit-def: $vgpr51
; %bb.384:                              ;   in Loop: Header=BB27_354 Depth=4
	s_andn2_saveexec_b64 s[94:95], s[24:25]
; %bb.385:                              ;   in Loop: Header=BB27_354 Depth=4
	v_or_b32_e32 v28, 0x10000, v51
	v_cmp_eq_u32_sdwa s[24:25], v51, v3 src0_sel:WORD_0 src1_sel:DWORD
	s_nop 1
	v_cndmask_b32_e64 v39, v28, v51, s[24:25]
; %bb.386:                              ;   in Loop: Header=BB27_354 Depth=4
	s_or_b64 exec, exec, s[94:95]
	v_lshlrev_b32_e32 v28, 16, v24
	v_lshlrev_b32_e32 v29, 16, v32
	v_max_f32_e32 v29, v29, v29
	v_max_f32_e32 v28, v28, v28
	v_min_f32_e32 v51, v28, v29
	v_max_f32_e32 v28, v28, v29
	v_cndmask_b32_e32 v52, v28, v51, vcc
	v_and_b32_e32 v28, 0x7f800000, v52
	v_cmp_ne_u32_e64 s[24:25], s69, v28
                                        ; implicit-def: $vgpr51
	s_and_saveexec_b64 s[94:95], s[24:25]
	s_xor_b64 s[24:25], exec, s[94:95]
; %bb.387:                              ;   in Loop: Header=BB27_354 Depth=4
	v_bfe_u32 v28, v52, 16, 1
	v_add3_u32 v51, v52, v28, s70
                                        ; implicit-def: $vgpr52
; %bb.388:                              ;   in Loop: Header=BB27_354 Depth=4
	s_andn2_saveexec_b64 s[94:95], s[24:25]
; %bb.389:                              ;   in Loop: Header=BB27_354 Depth=4
	v_or_b32_e32 v28, 0x10000, v52
	v_cmp_eq_u32_sdwa s[24:25], v52, v3 src0_sel:WORD_0 src1_sel:DWORD
	s_nop 1
	v_cndmask_b32_e64 v51, v28, v52, s[24:25]
; %bb.390:                              ;   in Loop: Header=BB27_354 Depth=4
	s_or_b64 exec, exec, s[94:95]
	v_and_b32_e32 v24, 0xffff0000, v24
	v_and_b32_e32 v28, 0xffff0000, v32
	v_max_f32_e32 v28, v28, v28
	v_max_f32_e32 v24, v24, v24
	v_min_f32_e32 v29, v24, v28
	v_max_f32_e32 v24, v24, v28
	v_cndmask_b32_e32 v32, v24, v29, vcc
	v_and_b32_e32 v24, 0x7f800000, v32
	v_cmp_ne_u32_e64 s[24:25], s69, v24
                                        ; implicit-def: $vgpr24
	s_and_saveexec_b64 s[94:95], s[24:25]
	s_xor_b64 s[24:25], exec, s[94:95]
; %bb.391:                              ;   in Loop: Header=BB27_354 Depth=4
	v_bfe_u32 v24, v32, 16, 1
	v_add3_u32 v24, v32, v24, s70
                                        ; implicit-def: $vgpr32
; %bb.392:                              ;   in Loop: Header=BB27_354 Depth=4
	s_andn2_saveexec_b64 s[94:95], s[24:25]
; %bb.393:                              ;   in Loop: Header=BB27_354 Depth=4
	v_or_b32_e32 v24, 0x10000, v32
	v_cmp_eq_u32_sdwa s[24:25], v32, v3 src0_sel:WORD_0 src1_sel:DWORD
	s_nop 1
	v_cndmask_b32_e64 v24, v24, v32, s[24:25]
; %bb.394:                              ;   in Loop: Header=BB27_354 Depth=4
	s_or_b64 exec, exec, s[94:95]
	v_lshlrev_b32_e32 v28, 16, v25
	v_lshlrev_b32_e32 v29, 16, v33
	v_max_f32_e32 v29, v29, v29
	v_max_f32_e32 v28, v28, v28
	v_min_f32_e32 v32, v28, v29
	v_max_f32_e32 v28, v28, v29
	v_cndmask_b32_e32 v52, v28, v32, vcc
	v_and_b32_e32 v28, 0x7f800000, v52
	v_cmp_ne_u32_e64 s[24:25], s69, v28
                                        ; implicit-def: $vgpr32
	s_and_saveexec_b64 s[94:95], s[24:25]
	s_xor_b64 s[24:25], exec, s[94:95]
; %bb.395:                              ;   in Loop: Header=BB27_354 Depth=4
	v_bfe_u32 v28, v52, 16, 1
	v_add3_u32 v32, v52, v28, s70
                                        ; implicit-def: $vgpr52
; %bb.396:                              ;   in Loop: Header=BB27_354 Depth=4
	s_andn2_saveexec_b64 s[94:95], s[24:25]
; %bb.397:                              ;   in Loop: Header=BB27_354 Depth=4
	v_or_b32_e32 v28, 0x10000, v52
	v_cmp_eq_u32_sdwa s[24:25], v52, v3 src0_sel:WORD_0 src1_sel:DWORD
	s_nop 1
	v_cndmask_b32_e64 v32, v28, v52, s[24:25]
; %bb.398:                              ;   in Loop: Header=BB27_354 Depth=4
	s_or_b64 exec, exec, s[94:95]
	v_and_b32_e32 v25, 0xffff0000, v25
	v_and_b32_e32 v28, 0xffff0000, v33
	v_max_f32_e32 v28, v28, v28
	v_max_f32_e32 v25, v25, v25
	v_min_f32_e32 v29, v25, v28
	v_max_f32_e32 v25, v25, v28
	v_cndmask_b32_e32 v33, v25, v29, vcc
	v_and_b32_e32 v25, 0x7f800000, v33
	v_cmp_ne_u32_e64 s[24:25], s69, v25
                                        ; implicit-def: $vgpr25
	s_and_saveexec_b64 s[94:95], s[24:25]
	s_xor_b64 s[24:25], exec, s[94:95]
; %bb.399:                              ;   in Loop: Header=BB27_354 Depth=4
	v_bfe_u32 v25, v33, 16, 1
	v_add3_u32 v25, v33, v25, s70
                                        ; implicit-def: $vgpr33
; %bb.400:                              ;   in Loop: Header=BB27_354 Depth=4
	s_andn2_saveexec_b64 s[94:95], s[24:25]
; %bb.401:                              ;   in Loop: Header=BB27_354 Depth=4
	v_or_b32_e32 v25, 0x10000, v33
	v_cmp_eq_u32_sdwa s[24:25], v33, v3 src0_sel:WORD_0 src1_sel:DWORD
	s_nop 1
	v_cndmask_b32_e64 v25, v25, v33, s[24:25]
; %bb.402:                              ;   in Loop: Header=BB27_354 Depth=4
	s_or_b64 exec, exec, s[94:95]
	v_lshlrev_b32_e32 v28, 16, v26
	v_lshlrev_b32_e32 v29, 16, v34
	v_max_f32_e32 v29, v29, v29
	v_max_f32_e32 v28, v28, v28
	v_min_f32_e32 v33, v28, v29
	v_max_f32_e32 v28, v28, v29
	v_cndmask_b32_e32 v52, v28, v33, vcc
	v_and_b32_e32 v28, 0x7f800000, v52
	v_cmp_ne_u32_e64 s[24:25], s69, v28
                                        ; implicit-def: $vgpr33
	s_and_saveexec_b64 s[94:95], s[24:25]
	s_xor_b64 s[24:25], exec, s[94:95]
; %bb.403:                              ;   in Loop: Header=BB27_354 Depth=4
	v_bfe_u32 v28, v52, 16, 1
	v_add3_u32 v33, v52, v28, s70
                                        ; implicit-def: $vgpr52
; %bb.404:                              ;   in Loop: Header=BB27_354 Depth=4
	s_andn2_saveexec_b64 s[94:95], s[24:25]
; %bb.405:                              ;   in Loop: Header=BB27_354 Depth=4
	v_or_b32_e32 v28, 0x10000, v52
	v_cmp_eq_u32_sdwa s[24:25], v52, v3 src0_sel:WORD_0 src1_sel:DWORD
	s_nop 1
	v_cndmask_b32_e64 v33, v28, v52, s[24:25]
; %bb.406:                              ;   in Loop: Header=BB27_354 Depth=4
	s_or_b64 exec, exec, s[94:95]
	v_and_b32_e32 v26, 0xffff0000, v26
	v_and_b32_e32 v28, 0xffff0000, v34
	v_max_f32_e32 v28, v28, v28
	v_max_f32_e32 v26, v26, v26
	v_min_f32_e32 v29, v26, v28
	v_max_f32_e32 v26, v26, v28
	v_cndmask_b32_e32 v34, v26, v29, vcc
	v_and_b32_e32 v26, 0x7f800000, v34
	v_cmp_ne_u32_e64 s[24:25], s69, v26
                                        ; implicit-def: $vgpr26
	s_and_saveexec_b64 s[94:95], s[24:25]
	s_xor_b64 s[24:25], exec, s[94:95]
; %bb.407:                              ;   in Loop: Header=BB27_354 Depth=4
	v_bfe_u32 v26, v34, 16, 1
	v_add3_u32 v26, v34, v26, s70
                                        ; implicit-def: $vgpr34
; %bb.408:                              ;   in Loop: Header=BB27_354 Depth=4
	s_andn2_saveexec_b64 s[94:95], s[24:25]
; %bb.409:                              ;   in Loop: Header=BB27_354 Depth=4
	v_or_b32_e32 v26, 0x10000, v34
	v_cmp_eq_u32_sdwa s[24:25], v34, v3 src0_sel:WORD_0 src1_sel:DWORD
	s_nop 1
	v_cndmask_b32_e64 v26, v26, v34, s[24:25]
; %bb.410:                              ;   in Loop: Header=BB27_354 Depth=4
	s_or_b64 exec, exec, s[94:95]
	v_lshlrev_b32_e32 v28, 16, v27
	v_lshlrev_b32_e32 v29, 16, v35
	v_max_f32_e32 v29, v29, v29
	v_max_f32_e32 v28, v28, v28
	v_min_f32_e32 v34, v28, v29
	v_max_f32_e32 v28, v28, v29
	v_cndmask_b32_e32 v52, v28, v34, vcc
	v_and_b32_e32 v28, 0x7f800000, v52
	v_cmp_ne_u32_e64 s[24:25], s69, v28
                                        ; implicit-def: $vgpr34
	s_and_saveexec_b64 s[94:95], s[24:25]
	s_xor_b64 s[24:25], exec, s[94:95]
; %bb.411:                              ;   in Loop: Header=BB27_354 Depth=4
	v_bfe_u32 v28, v52, 16, 1
	v_add3_u32 v34, v52, v28, s70
                                        ; implicit-def: $vgpr52
; %bb.412:                              ;   in Loop: Header=BB27_354 Depth=4
	s_andn2_saveexec_b64 s[94:95], s[24:25]
; %bb.413:                              ;   in Loop: Header=BB27_354 Depth=4
	v_or_b32_e32 v28, 0x10000, v52
	v_cmp_eq_u32_sdwa s[24:25], v52, v3 src0_sel:WORD_0 src1_sel:DWORD
	s_nop 1
	v_cndmask_b32_e64 v34, v28, v52, s[24:25]
; %bb.414:                              ;   in Loop: Header=BB27_354 Depth=4
	s_or_b64 exec, exec, s[94:95]
	v_and_b32_e32 v27, 0xffff0000, v27
	v_and_b32_e32 v28, 0xffff0000, v35
	v_max_f32_e32 v28, v28, v28
	v_max_f32_e32 v27, v27, v27
	v_min_f32_e32 v29, v27, v28
	v_max_f32_e32 v27, v27, v28
	v_cndmask_b32_e32 v35, v27, v29, vcc
	v_and_b32_e32 v27, 0x7f800000, v35
	v_cmp_ne_u32_e64 s[24:25], s69, v27
                                        ; implicit-def: $vgpr27
	s_and_saveexec_b64 s[94:95], s[24:25]
	s_xor_b64 s[24:25], exec, s[94:95]
; %bb.415:                              ;   in Loop: Header=BB27_354 Depth=4
	v_bfe_u32 v27, v35, 16, 1
	v_add3_u32 v27, v35, v27, s70
                                        ; implicit-def: $vgpr35
; %bb.416:                              ;   in Loop: Header=BB27_354 Depth=4
	s_andn2_saveexec_b64 s[94:95], s[24:25]
; %bb.417:                              ;   in Loop: Header=BB27_354 Depth=4
	v_or_b32_e32 v27, 0x10000, v35
	v_cmp_eq_u32_sdwa s[24:25], v35, v3 src0_sel:WORD_0 src1_sel:DWORD
	s_nop 1
	v_cndmask_b32_e64 v27, v27, v35, s[24:25]
; %bb.418:                              ;   in Loop: Header=BB27_354 Depth=4
	s_or_b64 exec, exec, s[94:95]
	v_lshlrev_b32_e32 v28, 16, v16
	v_lshlrev_b32_e32 v29, 16, v20
	v_max_f32_e32 v29, v29, v29
	v_max_f32_e32 v28, v28, v28
	v_min_f32_e32 v35, v28, v29
	v_max_f32_e32 v28, v28, v29
	v_cndmask_b32_e32 v52, v28, v35, vcc
	v_and_b32_e32 v28, 0x7f800000, v52
	v_cmp_ne_u32_e64 s[24:25], s69, v28
                                        ; implicit-def: $vgpr35
	s_and_saveexec_b64 s[94:95], s[24:25]
	s_xor_b64 s[24:25], exec, s[94:95]
; %bb.419:                              ;   in Loop: Header=BB27_354 Depth=4
	v_bfe_u32 v28, v52, 16, 1
	v_add3_u32 v35, v52, v28, s70
                                        ; implicit-def: $vgpr52
; %bb.420:                              ;   in Loop: Header=BB27_354 Depth=4
	s_andn2_saveexec_b64 s[94:95], s[24:25]
; %bb.421:                              ;   in Loop: Header=BB27_354 Depth=4
	v_or_b32_e32 v28, 0x10000, v52
	v_cmp_eq_u32_sdwa s[24:25], v52, v3 src0_sel:WORD_0 src1_sel:DWORD
	s_nop 1
	v_cndmask_b32_e64 v35, v28, v52, s[24:25]
; %bb.422:                              ;   in Loop: Header=BB27_354 Depth=4
	s_or_b64 exec, exec, s[94:95]
	v_and_b32_e32 v16, 0xffff0000, v16
	v_and_b32_e32 v20, 0xffff0000, v20
	v_max_f32_e32 v20, v20, v20
	v_max_f32_e32 v16, v16, v16
	v_min_f32_e32 v28, v16, v20
	v_max_f32_e32 v16, v16, v20
	v_cndmask_b32_e32 v20, v16, v28, vcc
	v_and_b32_e32 v16, 0x7f800000, v20
	v_cmp_ne_u32_e64 s[24:25], s69, v16
                                        ; implicit-def: $vgpr16
	s_and_saveexec_b64 s[94:95], s[24:25]
	s_xor_b64 s[24:25], exec, s[94:95]
; %bb.423:                              ;   in Loop: Header=BB27_354 Depth=4
	v_bfe_u32 v16, v20, 16, 1
	v_add3_u32 v16, v20, v16, s70
                                        ; implicit-def: $vgpr20
; %bb.424:                              ;   in Loop: Header=BB27_354 Depth=4
	s_andn2_saveexec_b64 s[94:95], s[24:25]
; %bb.425:                              ;   in Loop: Header=BB27_354 Depth=4
	v_or_b32_e32 v16, 0x10000, v20
	v_cmp_eq_u32_sdwa s[24:25], v20, v3 src0_sel:WORD_0 src1_sel:DWORD
	s_nop 1
	v_cndmask_b32_e64 v16, v16, v20, s[24:25]
; %bb.426:                              ;   in Loop: Header=BB27_354 Depth=4
	s_or_b64 exec, exec, s[94:95]
	v_lshlrev_b32_e32 v20, 16, v17
	v_lshlrev_b32_e32 v28, 16, v21
	v_max_f32_e32 v28, v28, v28
	v_max_f32_e32 v20, v20, v20
	v_min_f32_e32 v29, v20, v28
	v_max_f32_e32 v20, v20, v28
	v_cndmask_b32_e32 v52, v20, v29, vcc
	v_and_b32_e32 v20, 0x7f800000, v52
	v_cmp_ne_u32_e64 s[24:25], s69, v20
                                        ; implicit-def: $vgpr20
	s_and_saveexec_b64 s[94:95], s[24:25]
	s_xor_b64 s[24:25], exec, s[94:95]
; %bb.427:                              ;   in Loop: Header=BB27_354 Depth=4
	v_bfe_u32 v20, v52, 16, 1
	v_add3_u32 v20, v52, v20, s70
                                        ; implicit-def: $vgpr52
; %bb.428:                              ;   in Loop: Header=BB27_354 Depth=4
	s_andn2_saveexec_b64 s[94:95], s[24:25]
; %bb.429:                              ;   in Loop: Header=BB27_354 Depth=4
	v_or_b32_e32 v20, 0x10000, v52
	v_cmp_eq_u32_sdwa s[24:25], v52, v3 src0_sel:WORD_0 src1_sel:DWORD
	s_nop 1
	v_cndmask_b32_e64 v20, v20, v52, s[24:25]
; %bb.430:                              ;   in Loop: Header=BB27_354 Depth=4
	s_or_b64 exec, exec, s[94:95]
	v_and_b32_e32 v17, 0xffff0000, v17
	v_and_b32_e32 v21, 0xffff0000, v21
	v_max_f32_e32 v21, v21, v21
	v_max_f32_e32 v17, v17, v17
	v_min_f32_e32 v28, v17, v21
	v_max_f32_e32 v17, v17, v21
	v_cndmask_b32_e32 v21, v17, v28, vcc
	v_and_b32_e32 v17, 0x7f800000, v21
	v_cmp_ne_u32_e64 s[24:25], s69, v17
                                        ; implicit-def: $vgpr17
	s_and_saveexec_b64 s[94:95], s[24:25]
	s_xor_b64 s[24:25], exec, s[94:95]
; %bb.431:                              ;   in Loop: Header=BB27_354 Depth=4
	v_bfe_u32 v17, v21, 16, 1
	v_add3_u32 v17, v21, v17, s70
                                        ; implicit-def: $vgpr21
; %bb.432:                              ;   in Loop: Header=BB27_354 Depth=4
	s_andn2_saveexec_b64 s[94:95], s[24:25]
; %bb.433:                              ;   in Loop: Header=BB27_354 Depth=4
	v_or_b32_e32 v17, 0x10000, v21
	v_cmp_eq_u32_sdwa s[24:25], v21, v3 src0_sel:WORD_0 src1_sel:DWORD
	s_nop 1
	v_cndmask_b32_e64 v17, v17, v21, s[24:25]
; %bb.434:                              ;   in Loop: Header=BB27_354 Depth=4
	s_or_b64 exec, exec, s[94:95]
	v_lshlrev_b32_e32 v21, 16, v18
	v_lshlrev_b32_e32 v28, 16, v22
	v_max_f32_e32 v28, v28, v28
	v_max_f32_e32 v21, v21, v21
	v_min_f32_e32 v29, v21, v28
	v_max_f32_e32 v21, v21, v28
	v_cndmask_b32_e32 v52, v21, v29, vcc
	v_and_b32_e32 v21, 0x7f800000, v52
	v_cmp_ne_u32_e64 s[24:25], s69, v21
                                        ; implicit-def: $vgpr21
	s_and_saveexec_b64 s[94:95], s[24:25]
	s_xor_b64 s[24:25], exec, s[94:95]
; %bb.435:                              ;   in Loop: Header=BB27_354 Depth=4
	v_bfe_u32 v21, v52, 16, 1
	v_add3_u32 v21, v52, v21, s70
                                        ; implicit-def: $vgpr52
; %bb.436:                              ;   in Loop: Header=BB27_354 Depth=4
	s_andn2_saveexec_b64 s[94:95], s[24:25]
; %bb.437:                              ;   in Loop: Header=BB27_354 Depth=4
	v_or_b32_e32 v21, 0x10000, v52
	v_cmp_eq_u32_sdwa s[24:25], v52, v3 src0_sel:WORD_0 src1_sel:DWORD
	s_nop 1
	v_cndmask_b32_e64 v21, v21, v52, s[24:25]
; %bb.438:                              ;   in Loop: Header=BB27_354 Depth=4
	s_or_b64 exec, exec, s[94:95]
	v_and_b32_e32 v18, 0xffff0000, v18
	v_and_b32_e32 v22, 0xffff0000, v22
	v_max_f32_e32 v22, v22, v22
	v_max_f32_e32 v18, v18, v18
	v_min_f32_e32 v28, v18, v22
	v_max_f32_e32 v18, v18, v22
	v_cndmask_b32_e32 v22, v18, v28, vcc
	v_and_b32_e32 v18, 0x7f800000, v22
	v_cmp_ne_u32_e64 s[24:25], s69, v18
                                        ; implicit-def: $vgpr18
	s_and_saveexec_b64 s[94:95], s[24:25]
	s_xor_b64 s[24:25], exec, s[94:95]
; %bb.439:                              ;   in Loop: Header=BB27_354 Depth=4
	v_bfe_u32 v18, v22, 16, 1
	v_add3_u32 v18, v22, v18, s70
                                        ; implicit-def: $vgpr22
; %bb.440:                              ;   in Loop: Header=BB27_354 Depth=4
	s_andn2_saveexec_b64 s[94:95], s[24:25]
; %bb.441:                              ;   in Loop: Header=BB27_354 Depth=4
	v_or_b32_e32 v18, 0x10000, v22
	v_cmp_eq_u32_sdwa s[24:25], v22, v3 src0_sel:WORD_0 src1_sel:DWORD
	s_nop 1
	v_cndmask_b32_e64 v18, v18, v22, s[24:25]
; %bb.442:                              ;   in Loop: Header=BB27_354 Depth=4
	s_or_b64 exec, exec, s[94:95]
	v_lshlrev_b32_e32 v22, 16, v19
	v_lshlrev_b32_e32 v28, 16, v23
	v_max_f32_e32 v28, v28, v28
	v_max_f32_e32 v22, v22, v22
	v_min_f32_e32 v29, v22, v28
	v_max_f32_e32 v22, v22, v28
	v_cndmask_b32_e32 v52, v22, v29, vcc
	v_and_b32_e32 v22, 0x7f800000, v52
	v_cmp_ne_u32_e64 s[24:25], s69, v22
                                        ; implicit-def: $vgpr22
	s_and_saveexec_b64 s[94:95], s[24:25]
	s_xor_b64 s[24:25], exec, s[94:95]
; %bb.443:                              ;   in Loop: Header=BB27_354 Depth=4
	v_bfe_u32 v22, v52, 16, 1
	v_add3_u32 v22, v52, v22, s70
                                        ; implicit-def: $vgpr52
; %bb.444:                              ;   in Loop: Header=BB27_354 Depth=4
	s_andn2_saveexec_b64 s[94:95], s[24:25]
; %bb.445:                              ;   in Loop: Header=BB27_354 Depth=4
	v_or_b32_e32 v22, 0x10000, v52
	v_cmp_eq_u32_sdwa s[24:25], v52, v3 src0_sel:WORD_0 src1_sel:DWORD
	s_nop 1
	v_cndmask_b32_e64 v22, v22, v52, s[24:25]
; %bb.446:                              ;   in Loop: Header=BB27_354 Depth=4
	s_or_b64 exec, exec, s[94:95]
	v_and_b32_e32 v19, 0xffff0000, v19
	v_and_b32_e32 v23, 0xffff0000, v23
	v_max_f32_e32 v23, v23, v23
	v_max_f32_e32 v19, v19, v19
	v_min_f32_e32 v28, v19, v23
	v_max_f32_e32 v19, v19, v23
	v_cndmask_b32_e32 v23, v19, v28, vcc
	v_and_b32_e32 v19, 0x7f800000, v23
	v_cmp_ne_u32_e64 s[24:25], s69, v19
                                        ; implicit-def: $vgpr19
	s_and_saveexec_b64 s[94:95], s[24:25]
	s_xor_b64 s[24:25], exec, s[94:95]
; %bb.447:                              ;   in Loop: Header=BB27_354 Depth=4
	v_bfe_u32 v19, v23, 16, 1
	v_add3_u32 v19, v23, v19, s70
                                        ; implicit-def: $vgpr23
; %bb.448:                              ;   in Loop: Header=BB27_354 Depth=4
	s_andn2_saveexec_b64 s[94:95], s[24:25]
; %bb.449:                              ;   in Loop: Header=BB27_354 Depth=4
	v_or_b32_e32 v19, 0x10000, v23
	v_cmp_eq_u32_sdwa s[24:25], v23, v3 src0_sel:WORD_0 src1_sel:DWORD
	s_nop 1
	v_cndmask_b32_e64 v19, v19, v23, s[24:25]
; %bb.450:                              ;   in Loop: Header=BB27_354 Depth=4
	s_or_b64 exec, exec, s[94:95]
	v_lshlrev_b32_e32 v23, 16, v8
	v_lshlrev_b32_e32 v28, 16, v12
	v_max_f32_e32 v28, v28, v28
	v_max_f32_e32 v23, v23, v23
	v_min_f32_e32 v29, v23, v28
	v_max_f32_e32 v23, v23, v28
	v_cndmask_b32_e32 v52, v23, v29, vcc
	v_and_b32_e32 v23, 0x7f800000, v52
	v_cmp_ne_u32_e64 s[24:25], s69, v23
                                        ; implicit-def: $vgpr23
	s_and_saveexec_b64 s[94:95], s[24:25]
	s_xor_b64 s[24:25], exec, s[94:95]
; %bb.451:                              ;   in Loop: Header=BB27_354 Depth=4
	v_bfe_u32 v23, v52, 16, 1
	v_add3_u32 v23, v52, v23, s70
                                        ; implicit-def: $vgpr52
; %bb.452:                              ;   in Loop: Header=BB27_354 Depth=4
	s_andn2_saveexec_b64 s[94:95], s[24:25]
; %bb.453:                              ;   in Loop: Header=BB27_354 Depth=4
	v_or_b32_e32 v23, 0x10000, v52
	v_cmp_eq_u32_sdwa s[24:25], v52, v3 src0_sel:WORD_0 src1_sel:DWORD
	s_nop 1
	v_cndmask_b32_e64 v23, v23, v52, s[24:25]
; %bb.454:                              ;   in Loop: Header=BB27_354 Depth=4
	s_or_b64 exec, exec, s[94:95]
	v_and_b32_e32 v8, 0xffff0000, v8
	v_and_b32_e32 v12, 0xffff0000, v12
	v_max_f32_e32 v12, v12, v12
	v_max_f32_e32 v8, v8, v8
	v_min_f32_e32 v28, v8, v12
	v_max_f32_e32 v8, v8, v12
	v_cndmask_b32_e32 v12, v8, v28, vcc
	v_and_b32_e32 v8, 0x7f800000, v12
	v_cmp_ne_u32_e64 s[24:25], s69, v8
                                        ; implicit-def: $vgpr8
	s_and_saveexec_b64 s[94:95], s[24:25]
	s_xor_b64 s[24:25], exec, s[94:95]
; %bb.455:                              ;   in Loop: Header=BB27_354 Depth=4
	v_bfe_u32 v8, v12, 16, 1
	v_add3_u32 v8, v12, v8, s70
                                        ; implicit-def: $vgpr12
; %bb.456:                              ;   in Loop: Header=BB27_354 Depth=4
	s_andn2_saveexec_b64 s[94:95], s[24:25]
; %bb.457:                              ;   in Loop: Header=BB27_354 Depth=4
	v_or_b32_e32 v8, 0x10000, v12
	v_cmp_eq_u32_sdwa s[24:25], v12, v3 src0_sel:WORD_0 src1_sel:DWORD
	s_nop 1
	v_cndmask_b32_e64 v8, v8, v12, s[24:25]
; %bb.458:                              ;   in Loop: Header=BB27_354 Depth=4
	s_or_b64 exec, exec, s[94:95]
	v_lshlrev_b32_e32 v12, 16, v9
	v_lshlrev_b32_e32 v28, 16, v13
	v_max_f32_e32 v28, v28, v28
	v_max_f32_e32 v12, v12, v12
	v_min_f32_e32 v29, v12, v28
	v_max_f32_e32 v12, v12, v28
	v_cndmask_b32_e32 v52, v12, v29, vcc
	v_and_b32_e32 v12, 0x7f800000, v52
	v_cmp_ne_u32_e64 s[24:25], s69, v12
                                        ; implicit-def: $vgpr12
	s_and_saveexec_b64 s[94:95], s[24:25]
	s_xor_b64 s[24:25], exec, s[94:95]
; %bb.459:                              ;   in Loop: Header=BB27_354 Depth=4
	v_bfe_u32 v12, v52, 16, 1
	v_add3_u32 v12, v52, v12, s70
                                        ; implicit-def: $vgpr52
; %bb.460:                              ;   in Loop: Header=BB27_354 Depth=4
	s_andn2_saveexec_b64 s[94:95], s[24:25]
; %bb.461:                              ;   in Loop: Header=BB27_354 Depth=4
	v_or_b32_e32 v12, 0x10000, v52
	v_cmp_eq_u32_sdwa s[24:25], v52, v3 src0_sel:WORD_0 src1_sel:DWORD
	s_nop 1
	v_cndmask_b32_e64 v12, v12, v52, s[24:25]
; %bb.462:                              ;   in Loop: Header=BB27_354 Depth=4
	s_or_b64 exec, exec, s[94:95]
	v_and_b32_e32 v9, 0xffff0000, v9
	v_and_b32_e32 v13, 0xffff0000, v13
	v_max_f32_e32 v13, v13, v13
	v_max_f32_e32 v9, v9, v9
	v_min_f32_e32 v28, v9, v13
	v_max_f32_e32 v9, v9, v13
	v_cndmask_b32_e32 v13, v9, v28, vcc
	v_and_b32_e32 v9, 0x7f800000, v13
	v_cmp_ne_u32_e64 s[24:25], s69, v9
                                        ; implicit-def: $vgpr9
	s_and_saveexec_b64 s[94:95], s[24:25]
	s_xor_b64 s[24:25], exec, s[94:95]
; %bb.463:                              ;   in Loop: Header=BB27_354 Depth=4
	v_bfe_u32 v9, v13, 16, 1
	v_add3_u32 v9, v13, v9, s70
                                        ; implicit-def: $vgpr13
; %bb.464:                              ;   in Loop: Header=BB27_354 Depth=4
	s_andn2_saveexec_b64 s[94:95], s[24:25]
; %bb.465:                              ;   in Loop: Header=BB27_354 Depth=4
	v_or_b32_e32 v9, 0x10000, v13
	v_cmp_eq_u32_sdwa s[24:25], v13, v3 src0_sel:WORD_0 src1_sel:DWORD
	s_nop 1
	v_cndmask_b32_e64 v9, v9, v13, s[24:25]
; %bb.466:                              ;   in Loop: Header=BB27_354 Depth=4
	s_or_b64 exec, exec, s[94:95]
	v_lshlrev_b32_e32 v13, 16, v10
	v_lshlrev_b32_e32 v28, 16, v14
	v_max_f32_e32 v28, v28, v28
	v_max_f32_e32 v13, v13, v13
	v_min_f32_e32 v29, v13, v28
	v_max_f32_e32 v13, v13, v28
	v_cndmask_b32_e32 v52, v13, v29, vcc
	v_and_b32_e32 v13, 0x7f800000, v52
	v_cmp_ne_u32_e64 s[24:25], s69, v13
                                        ; implicit-def: $vgpr13
	s_and_saveexec_b64 s[94:95], s[24:25]
	s_xor_b64 s[24:25], exec, s[94:95]
; %bb.467:                              ;   in Loop: Header=BB27_354 Depth=4
	v_bfe_u32 v13, v52, 16, 1
	v_add3_u32 v13, v52, v13, s70
                                        ; implicit-def: $vgpr52
; %bb.468:                              ;   in Loop: Header=BB27_354 Depth=4
	s_andn2_saveexec_b64 s[94:95], s[24:25]
; %bb.469:                              ;   in Loop: Header=BB27_354 Depth=4
	v_or_b32_e32 v13, 0x10000, v52
	v_cmp_eq_u32_sdwa s[24:25], v52, v3 src0_sel:WORD_0 src1_sel:DWORD
	s_nop 1
	v_cndmask_b32_e64 v13, v13, v52, s[24:25]
; %bb.470:                              ;   in Loop: Header=BB27_354 Depth=4
	s_or_b64 exec, exec, s[94:95]
	v_and_b32_e32 v10, 0xffff0000, v10
	v_and_b32_e32 v14, 0xffff0000, v14
	v_max_f32_e32 v14, v14, v14
	v_max_f32_e32 v10, v10, v10
	v_min_f32_e32 v28, v10, v14
	v_max_f32_e32 v10, v10, v14
	v_cndmask_b32_e32 v14, v10, v28, vcc
	v_and_b32_e32 v10, 0x7f800000, v14
	v_cmp_ne_u32_e64 s[24:25], s69, v10
                                        ; implicit-def: $vgpr10
	s_and_saveexec_b64 s[94:95], s[24:25]
	s_xor_b64 s[24:25], exec, s[94:95]
; %bb.471:                              ;   in Loop: Header=BB27_354 Depth=4
	v_bfe_u32 v10, v14, 16, 1
	v_add3_u32 v10, v14, v10, s70
                                        ; implicit-def: $vgpr14
; %bb.472:                              ;   in Loop: Header=BB27_354 Depth=4
	s_andn2_saveexec_b64 s[94:95], s[24:25]
; %bb.473:                              ;   in Loop: Header=BB27_354 Depth=4
	v_or_b32_e32 v10, 0x10000, v14
	v_cmp_eq_u32_sdwa s[24:25], v14, v3 src0_sel:WORD_0 src1_sel:DWORD
	s_nop 1
	v_cndmask_b32_e64 v10, v10, v14, s[24:25]
; %bb.474:                              ;   in Loop: Header=BB27_354 Depth=4
	s_or_b64 exec, exec, s[94:95]
	v_lshlrev_b32_e32 v14, 16, v11
	v_lshlrev_b32_e32 v28, 16, v15
	v_max_f32_e32 v28, v28, v28
	v_max_f32_e32 v14, v14, v14
	v_min_f32_e32 v29, v14, v28
	v_max_f32_e32 v14, v14, v28
	v_cndmask_b32_e32 v52, v14, v29, vcc
	v_and_b32_e32 v14, 0x7f800000, v52
	v_cmp_ne_u32_e64 s[24:25], s69, v14
                                        ; implicit-def: $vgpr14
	s_and_saveexec_b64 s[94:95], s[24:25]
	s_xor_b64 s[24:25], exec, s[94:95]
; %bb.475:                              ;   in Loop: Header=BB27_354 Depth=4
	v_bfe_u32 v14, v52, 16, 1
	v_add3_u32 v14, v52, v14, s70
                                        ; implicit-def: $vgpr52
; %bb.476:                              ;   in Loop: Header=BB27_354 Depth=4
	s_andn2_saveexec_b64 s[94:95], s[24:25]
; %bb.477:                              ;   in Loop: Header=BB27_354 Depth=4
	v_or_b32_e32 v14, 0x10000, v52
	v_cmp_eq_u32_sdwa s[24:25], v52, v3 src0_sel:WORD_0 src1_sel:DWORD
	s_nop 1
	v_cndmask_b32_e64 v14, v14, v52, s[24:25]
; %bb.478:                              ;   in Loop: Header=BB27_354 Depth=4
	s_or_b64 exec, exec, s[94:95]
	v_and_b32_e32 v11, 0xffff0000, v11
	v_and_b32_e32 v15, 0xffff0000, v15
	v_max_f32_e32 v15, v15, v15
	v_max_f32_e32 v11, v11, v11
	v_min_f32_e32 v28, v11, v15
	v_max_f32_e32 v11, v11, v15
	v_cndmask_b32_e32 v15, v11, v28, vcc
	v_and_b32_e32 v11, 0x7f800000, v15
	v_cmp_ne_u32_e64 s[24:25], s69, v11
                                        ; implicit-def: $vgpr11
	s_and_saveexec_b64 s[94:95], s[24:25]
	s_xor_b64 s[24:25], exec, s[94:95]
; %bb.479:                              ;   in Loop: Header=BB27_354 Depth=4
	v_bfe_u32 v11, v15, 16, 1
	v_add3_u32 v11, v15, v11, s70
                                        ; implicit-def: $vgpr15
; %bb.480:                              ;   in Loop: Header=BB27_354 Depth=4
	s_andn2_saveexec_b64 s[94:95], s[24:25]
	s_cbranch_execz .LBB27_353
; %bb.481:                              ;   in Loop: Header=BB27_354 Depth=4
	v_or_b32_e32 v11, 0x10000, v15
	v_cmp_eq_u32_sdwa s[24:25], v15, v3 src0_sel:WORD_0 src1_sel:DWORD
	s_nop 1
	v_cndmask_b32_e64 v11, v11, v15, s[24:25]
	s_branch .LBB27_353
.LBB27_482:                             ;   in Loop: Header=BB27_272 Depth=3
	s_or_b64 exec, exec, s[92:93]
.LBB27_483:                             ;   in Loop: Header=BB27_272 Depth=3
	s_or_b64 exec, exec, s[26:27]
	v_lshlrev_b32_e32 v22, 12, v105
	v_cmp_ne_u32_e32 vcc, v73, v22
	s_mov_b64 s[24:25], 0
	v_mov_b32_e32 v14, 0
                                        ; implicit-def: $vgpr15
	s_and_saveexec_b64 s[92:93], vcc
	s_cbranch_execz .LBB27_521
; %bb.484:                              ;   in Loop: Header=BB27_272 Depth=3
	v_lshlrev_b32_e32 v8, 6, v75
	v_sub_u32_e32 v8, v109, v8
	v_ashrrev_i32_e32 v10, 31, v8
	v_lshrrev_b32_e32 v10, 26, v10
	v_add_u32_e32 v10, v8, v10
	v_sub_u32_e32 v9, v73, v22
	v_ashrrev_i32_e32 v11, 6, v10
	v_and_b32_e32 v10, 0xffffffc0, v10
	v_sub_u32_e32 v23, v8, v10
	v_ashrrev_i32_e32 v10, 31, v9
	v_lshrrev_b32_e32 v10, 22, v10
	v_add_u32_e32 v10, v9, v10
	v_and_b32_e32 v24, 0xfffffc00, v10
	v_lshlrev_b32_e32 v8, 4, v23
	v_sub_u32_e32 v25, v9, v24
	v_lshl_add_u32 v8, v11, 10, v8
	v_ashrrev_i32_e32 v12, 10, v10
	v_cmp_lt_i32_e32 vcc, 15, v25
	v_sub_u32_e32 v27, v9, v8
	s_nop 0
	v_addc_co_u32_e64 v9, s[24:25], 0, v12, vcc
	v_sub_u32_e32 v26, v9, v11
	v_cmp_lt_i32_e64 s[24:25], 15, v27
	s_and_saveexec_b64 s[94:95], s[24:25]
	s_cbranch_execz .LBB27_520
; %bb.485:                              ;   in Loop: Header=BB27_272 Depth=3
	s_trap 2
	ds_read_b64 v[10:11], v0
	v_add_u32_e32 v8, v8, v22
	s_and_b32 s46, s36, 1
	v_ashrrev_i32_e32 v9, 31, v8
	s_cmp_eq_u64 s[46:47], 0
	v_lshl_add_u64 v[16:17], v[8:9], 0, v[78:79]
	s_waitcnt lgkmcnt(0)
	v_lshl_add_u64 v[18:19], v[10:11], 0, v[8:9]
	v_lshl_add_u64 v[20:21], v[8:9], 0, v[88:89]
	s_mov_b64 s[30:31], 0
	s_cselect_b64 s[24:25], -1, 0
	s_branch .LBB27_487
.LBB27_486:                             ;   in Loop: Header=BB27_487 Depth=4
	s_or_b64 exec, exec, s[34:35]
	v_lshrrev_b32_e32 v12, 16, v12
	v_and_or_b32 v9, v9, s86, v12
	v_lshrrev_b32_e32 v12, 16, v32
	v_and_or_b32 v8, v8, s86, v12
	;; [unrolled: 2-line block ×3, first 2 shown]
	v_lshrrev_b32_e32 v12, 16, v14
	v_sub_u32_e32 v27, v27, v100
	v_and_or_b32 v11, v11, s86, v12
	v_cmp_gt_i32_e64 s[26:27], 16, v27
	global_store_dwordx4 v[20:21], v[8:11], off
	v_lshl_add_u64 v[16:17], v[16:17], 0, v[100:101]
	v_lshl_add_u64 v[18:19], v[18:19], 0, v[100:101]
	;; [unrolled: 1-line block ×3, first 2 shown]
	s_or_b64 s[30:31], s[26:27], s[30:31]
	v_sub_u32_e32 v26, v26, v84
	s_andn2_b64 exec, exec, s[30:31]
	s_cbranch_execz .LBB27_519
.LBB27_487:                             ;   Parent Loop BB27_47 Depth=1
                                        ;     Parent Loop BB27_269 Depth=2
                                        ;       Parent Loop BB27_272 Depth=3
                                        ; =>      This Inner Loop Header: Depth=4
	global_load_dwordx4 v[8:11], v[18:19], off nt
	global_load_dwordx4 v[12:15], v[16:17], off nt
	s_waitcnt vmcnt(0)
	v_lshlrev_b32_e32 v28, 16, v8
	v_lshlrev_b32_e32 v29, 16, v12
	v_max_f32_e32 v28, v28, v28
	v_max_f32_e32 v29, v29, v29
	v_min_f32_e32 v32, v29, v28
	v_max_f32_e32 v28, v29, v28
	v_cndmask_b32_e64 v33, v28, v32, s[24:25]
	v_and_b32_e32 v28, 0x7f800000, v33
	v_cmp_ne_u32_e64 s[26:27], s69, v28
                                        ; implicit-def: $vgpr32
	s_and_saveexec_b64 s[34:35], s[26:27]
	s_xor_b64 s[26:27], exec, s[34:35]
; %bb.488:                              ;   in Loop: Header=BB27_487 Depth=4
	v_bfe_u32 v28, v33, 16, 1
	v_add3_u32 v32, v33, v28, s70
                                        ; implicit-def: $vgpr33
; %bb.489:                              ;   in Loop: Header=BB27_487 Depth=4
	s_andn2_saveexec_b64 s[34:35], s[26:27]
; %bb.490:                              ;   in Loop: Header=BB27_487 Depth=4
	v_or_b32_e32 v28, 0x10000, v33
	v_cmp_eq_u32_sdwa s[26:27], v33, v3 src0_sel:WORD_0 src1_sel:DWORD
	s_nop 1
	v_cndmask_b32_e64 v32, v28, v33, s[26:27]
; %bb.491:                              ;   in Loop: Header=BB27_487 Depth=4
	s_or_b64 exec, exec, s[34:35]
	v_and_b32_e32 v8, 0xffff0000, v8
	v_and_b32_e32 v12, 0xffff0000, v12
	v_max_f32_e32 v8, v8, v8
	v_max_f32_e32 v12, v12, v12
	v_min_f32_e32 v28, v12, v8
	v_max_f32_e32 v8, v12, v8
	v_cndmask_b32_e64 v12, v8, v28, s[24:25]
	v_and_b32_e32 v8, 0x7f800000, v12
	v_cmp_ne_u32_e64 s[26:27], s69, v8
                                        ; implicit-def: $vgpr8
	s_and_saveexec_b64 s[34:35], s[26:27]
	s_xor_b64 s[26:27], exec, s[34:35]
; %bb.492:                              ;   in Loop: Header=BB27_487 Depth=4
	v_bfe_u32 v8, v12, 16, 1
	v_add3_u32 v8, v12, v8, s70
                                        ; implicit-def: $vgpr12
; %bb.493:                              ;   in Loop: Header=BB27_487 Depth=4
	s_andn2_saveexec_b64 s[34:35], s[26:27]
; %bb.494:                              ;   in Loop: Header=BB27_487 Depth=4
	v_or_b32_e32 v8, 0x10000, v12
	v_cmp_eq_u32_sdwa s[26:27], v12, v3 src0_sel:WORD_0 src1_sel:DWORD
	s_nop 1
	v_cndmask_b32_e64 v8, v8, v12, s[26:27]
; %bb.495:                              ;   in Loop: Header=BB27_487 Depth=4
	s_or_b64 exec, exec, s[34:35]
	v_lshlrev_b32_e32 v12, 16, v9
	v_lshlrev_b32_e32 v28, 16, v13
	v_max_f32_e32 v12, v12, v12
	v_max_f32_e32 v28, v28, v28
	v_min_f32_e32 v29, v28, v12
	v_max_f32_e32 v12, v28, v12
	v_cndmask_b32_e64 v33, v12, v29, s[24:25]
	v_and_b32_e32 v12, 0x7f800000, v33
	v_cmp_ne_u32_e64 s[26:27], s69, v12
                                        ; implicit-def: $vgpr12
	s_and_saveexec_b64 s[34:35], s[26:27]
	s_xor_b64 s[26:27], exec, s[34:35]
; %bb.496:                              ;   in Loop: Header=BB27_487 Depth=4
	v_bfe_u32 v12, v33, 16, 1
	v_add3_u32 v12, v33, v12, s70
                                        ; implicit-def: $vgpr33
; %bb.497:                              ;   in Loop: Header=BB27_487 Depth=4
	s_andn2_saveexec_b64 s[34:35], s[26:27]
; %bb.498:                              ;   in Loop: Header=BB27_487 Depth=4
	v_or_b32_e32 v12, 0x10000, v33
	v_cmp_eq_u32_sdwa s[26:27], v33, v3 src0_sel:WORD_0 src1_sel:DWORD
	s_nop 1
	v_cndmask_b32_e64 v12, v12, v33, s[26:27]
; %bb.499:                              ;   in Loop: Header=BB27_487 Depth=4
	s_or_b64 exec, exec, s[34:35]
	v_and_b32_e32 v13, 0xffff0000, v13
	v_and_b32_e32 v9, 0xffff0000, v9
	v_max_f32_e32 v9, v9, v9
	v_max_f32_e32 v13, v13, v13
	v_min_f32_e32 v28, v13, v9
	v_max_f32_e32 v9, v13, v9
	v_cndmask_b32_e64 v13, v9, v28, s[24:25]
	v_and_b32_e32 v9, 0x7f800000, v13
	v_cmp_ne_u32_e64 s[26:27], s69, v9
                                        ; implicit-def: $vgpr9
	s_and_saveexec_b64 s[34:35], s[26:27]
	s_xor_b64 s[26:27], exec, s[34:35]
; %bb.500:                              ;   in Loop: Header=BB27_487 Depth=4
	v_bfe_u32 v9, v13, 16, 1
	v_add3_u32 v9, v13, v9, s70
                                        ; implicit-def: $vgpr13
; %bb.501:                              ;   in Loop: Header=BB27_487 Depth=4
	s_andn2_saveexec_b64 s[34:35], s[26:27]
; %bb.502:                              ;   in Loop: Header=BB27_487 Depth=4
	v_or_b32_e32 v9, 0x10000, v13
	v_cmp_eq_u32_sdwa s[26:27], v13, v3 src0_sel:WORD_0 src1_sel:DWORD
	s_nop 1
	v_cndmask_b32_e64 v9, v9, v13, s[26:27]
; %bb.503:                              ;   in Loop: Header=BB27_487 Depth=4
	s_or_b64 exec, exec, s[34:35]
	v_lshlrev_b32_e32 v13, 16, v10
	v_lshlrev_b32_e32 v28, 16, v14
	v_max_f32_e32 v13, v13, v13
	v_max_f32_e32 v28, v28, v28
	v_min_f32_e32 v29, v28, v13
	v_max_f32_e32 v13, v28, v13
	v_cndmask_b32_e64 v33, v13, v29, s[24:25]
	v_and_b32_e32 v13, 0x7f800000, v33
	v_cmp_ne_u32_e64 s[26:27], s69, v13
                                        ; implicit-def: $vgpr13
	s_and_saveexec_b64 s[34:35], s[26:27]
	s_xor_b64 s[26:27], exec, s[34:35]
; %bb.504:                              ;   in Loop: Header=BB27_487 Depth=4
	v_bfe_u32 v13, v33, 16, 1
	v_add3_u32 v13, v33, v13, s70
                                        ; implicit-def: $vgpr33
; %bb.505:                              ;   in Loop: Header=BB27_487 Depth=4
	s_andn2_saveexec_b64 s[34:35], s[26:27]
; %bb.506:                              ;   in Loop: Header=BB27_487 Depth=4
	v_or_b32_e32 v13, 0x10000, v33
	v_cmp_eq_u32_sdwa s[26:27], v33, v3 src0_sel:WORD_0 src1_sel:DWORD
	s_nop 1
	v_cndmask_b32_e64 v13, v13, v33, s[26:27]
; %bb.507:                              ;   in Loop: Header=BB27_487 Depth=4
	s_or_b64 exec, exec, s[34:35]
	v_and_b32_e32 v14, 0xffff0000, v14
	v_and_b32_e32 v10, 0xffff0000, v10
	v_max_f32_e32 v10, v10, v10
	v_max_f32_e32 v14, v14, v14
	v_min_f32_e32 v28, v14, v10
	v_max_f32_e32 v10, v14, v10
	v_cndmask_b32_e64 v14, v10, v28, s[24:25]
	v_and_b32_e32 v10, 0x7f800000, v14
	v_cmp_ne_u32_e64 s[26:27], s69, v10
                                        ; implicit-def: $vgpr10
	s_and_saveexec_b64 s[34:35], s[26:27]
	s_xor_b64 s[26:27], exec, s[34:35]
; %bb.508:                              ;   in Loop: Header=BB27_487 Depth=4
	v_bfe_u32 v10, v14, 16, 1
	v_add3_u32 v10, v14, v10, s70
                                        ; implicit-def: $vgpr14
; %bb.509:                              ;   in Loop: Header=BB27_487 Depth=4
	s_andn2_saveexec_b64 s[34:35], s[26:27]
; %bb.510:                              ;   in Loop: Header=BB27_487 Depth=4
	v_or_b32_e32 v10, 0x10000, v14
	v_cmp_eq_u32_sdwa s[26:27], v14, v3 src0_sel:WORD_0 src1_sel:DWORD
	s_nop 1
	v_cndmask_b32_e64 v10, v10, v14, s[26:27]
; %bb.511:                              ;   in Loop: Header=BB27_487 Depth=4
	s_or_b64 exec, exec, s[34:35]
	v_lshlrev_b32_e32 v14, 16, v11
	v_lshlrev_b32_e32 v28, 16, v15
	v_max_f32_e32 v14, v14, v14
	v_max_f32_e32 v28, v28, v28
	v_min_f32_e32 v29, v28, v14
	v_max_f32_e32 v14, v28, v14
	v_cndmask_b32_e64 v33, v14, v29, s[24:25]
	v_and_b32_e32 v14, 0x7f800000, v33
	v_cmp_ne_u32_e64 s[26:27], s69, v14
                                        ; implicit-def: $vgpr14
	s_and_saveexec_b64 s[34:35], s[26:27]
	s_xor_b64 s[26:27], exec, s[34:35]
; %bb.512:                              ;   in Loop: Header=BB27_487 Depth=4
	v_bfe_u32 v14, v33, 16, 1
	v_add3_u32 v14, v33, v14, s70
                                        ; implicit-def: $vgpr33
; %bb.513:                              ;   in Loop: Header=BB27_487 Depth=4
	s_andn2_saveexec_b64 s[34:35], s[26:27]
; %bb.514:                              ;   in Loop: Header=BB27_487 Depth=4
	v_or_b32_e32 v14, 0x10000, v33
	v_cmp_eq_u32_sdwa s[26:27], v33, v3 src0_sel:WORD_0 src1_sel:DWORD
	s_nop 1
	v_cndmask_b32_e64 v14, v14, v33, s[26:27]
; %bb.515:                              ;   in Loop: Header=BB27_487 Depth=4
	s_or_b64 exec, exec, s[34:35]
	v_and_b32_e32 v15, 0xffff0000, v15
	v_and_b32_e32 v11, 0xffff0000, v11
	v_max_f32_e32 v11, v11, v11
	v_max_f32_e32 v15, v15, v15
	v_min_f32_e32 v28, v15, v11
	v_max_f32_e32 v11, v15, v11
	v_cndmask_b32_e64 v15, v11, v28, s[24:25]
	v_and_b32_e32 v11, 0x7f800000, v15
	v_cmp_ne_u32_e64 s[26:27], s69, v11
                                        ; implicit-def: $vgpr11
	s_and_saveexec_b64 s[34:35], s[26:27]
	s_xor_b64 s[26:27], exec, s[34:35]
; %bb.516:                              ;   in Loop: Header=BB27_487 Depth=4
	v_bfe_u32 v11, v15, 16, 1
	v_add3_u32 v11, v15, v11, s70
                                        ; implicit-def: $vgpr15
; %bb.517:                              ;   in Loop: Header=BB27_487 Depth=4
	s_andn2_saveexec_b64 s[34:35], s[26:27]
	s_cbranch_execz .LBB27_486
; %bb.518:                              ;   in Loop: Header=BB27_487 Depth=4
	v_or_b32_e32 v11, 0x10000, v15
	v_cmp_eq_u32_sdwa s[26:27], v15, v3 src0_sel:WORD_0 src1_sel:DWORD
	s_nop 1
	v_cndmask_b32_e64 v11, v11, v15, s[26:27]
	s_branch .LBB27_486
.LBB27_519:                             ;   in Loop: Header=BB27_272 Depth=3
	s_or_b64 exec, exec, s[30:31]
.LBB27_520:                             ;   in Loop: Header=BB27_272 Depth=3
	s_or_b64 exec, exec, s[94:95]
	v_and_b32_e32 v8, 14, v73
	v_sub_u32_e32 v9, v25, v8
	v_cndmask_b32_e32 v9, 0, v9, vcc
	v_cndmask_b32_e32 v73, v25, v8, vcc
	v_cmp_lt_i32_e32 vcc, 0, v26
	v_add3_u32 v14, v24, v22, v9
	s_nop 0
	v_cndmask_b32_e32 v8, 0, v84, vcc
	v_sub_u32_e32 v8, v8, v26
	v_cmp_ne_u32_e32 vcc, 0, v73
	v_lshl_add_u32 v15, v8, 6, v23
	s_and_b64 s[24:25], vcc, exec
.LBB27_521:                             ;   in Loop: Header=BB27_272 Depth=3
	s_or_b64 exec, exec, s[92:93]
	s_and_saveexec_b64 s[26:27], s[24:25]
	s_cbranch_execz .LBB27_598
.LBB27_522:                             ;   in Loop: Header=BB27_272 Depth=3
	v_ashrrev_i32_e32 v8, 31, v15
	v_ashrrev_i32_e32 v9, 31, v73
	v_lshrrev_b32_e32 v8, 26, v8
	v_lshrrev_b32_e32 v9, 21, v9
	v_add_u32_e32 v8, v15, v8
	v_add_u32_e32 v9, v73, v9
	v_ashrrev_i32_e32 v16, 6, v8
	v_ashrrev_i32_e32 v18, 11, v9
	v_sub_u32_e32 v17, v18, v16
	v_cmp_lt_i32_e32 vcc, 0, v17
	s_and_saveexec_b64 s[92:93], vcc
	s_cbranch_execz .LBB27_590
; %bb.523:                              ;   in Loop: Header=BB27_272 Depth=3
	v_and_b32_e32 v8, 0x7fffffc0, v8
	s_trap 2
	ds_read_b64 v[10:11], v0
	v_sub_u32_e32 v8, v15, v8
	v_lshlrev_b32_e32 v8, 1, v8
	v_lshlrev_b32_e32 v9, 11, v16
	v_add3_u32 v12, v8, v14, v9
	s_and_b32 s46, s36, 1
	v_ashrrev_i32_e32 v13, 31, v12
	s_cmp_eq_u64 s[46:47], 0
	v_lshl_add_u64 v[20:21], v[88:89], 0, s[88:89]
	v_lshl_add_u64 v[8:9], v[12:13], 0, v[78:79]
	s_waitcnt lgkmcnt(0)
	v_lshl_add_u64 v[10:11], v[10:11], 0, v[12:13]
	s_mov_b64 s[94:95], 0
	s_cselect_b64 s[24:25], -1, 0
	v_lshl_add_u64 v[12:13], v[20:21], 0, v[12:13]
	s_branch .LBB27_525
.LBB27_524:                             ;   in Loop: Header=BB27_525 Depth=4
	s_or_b64 exec, exec, s[30:31]
	v_add_co_u32_e32 v52, vcc, 0xfffff880, v12
	v_sub_u32_e32 v17, v17, v84
	s_nop 0
	v_addc_co_u32_e32 v53, vcc, -1, v13, vcc
	flat_store_short_d16_hi v[52:53], v20 nt
	v_add_co_u32_e32 v52, vcc, 0xfffff900, v12
	v_lshl_add_u64 v[8:9], v[8:9], 0, v[102:103]
	s_nop 0
	v_addc_co_u32_e32 v53, vcc, -1, v13, vcc
	v_add_co_u32_e32 v22, vcc, 0xfffff980, v12
	flat_store_short_d16_hi v[52:53], v23 nt
	s_nop 0
	v_addc_co_u32_e32 v23, vcc, -1, v13, vcc
	flat_store_short_d16_hi v[22:23], v25 nt
	v_add_co_u32_e32 v22, vcc, 0xfffffa00, v12
	v_lshl_add_u64 v[10:11], v[10:11], 0, v[102:103]
	s_nop 0
	v_addc_co_u32_e32 v23, vcc, -1, v13, vcc
	flat_store_short_d16_hi v[22:23], v27 nt
	v_add_co_u32_e32 v22, vcc, 0xfffffa80, v12
	s_nop 1
	v_addc_co_u32_e32 v23, vcc, -1, v13, vcc
	flat_store_short_d16_hi v[22:23], v34 nt
	v_add_co_u32_e32 v22, vcc, 0xfffffb00, v12
	;; [unrolled: 4-line block ×11, first 2 shown]
	s_nop 1
	v_addc_co_u32_e32 v23, vcc, -1, v13, vcc
	v_cmp_gt_i32_e32 vcc, 1, v17
	flat_store_short_d16_hi v[22:23], v21 nt
	flat_store_short_d16_hi v[12:13], v19 nt
	s_or_b64 s[94:95], vcc, s[94:95]
	v_lshl_add_u64 v[12:13], v[12:13], 0, v[102:103]
	s_andn2_b64 exec, exec, s[94:95]
	s_cbranch_execz .LBB27_589
.LBB27_525:                             ;   Parent Loop BB27_47 Depth=1
                                        ;     Parent Loop BB27_269 Depth=2
                                        ;       Parent Loop BB27_272 Depth=3
                                        ; =>      This Inner Loop Header: Depth=4
	flat_load_ushort v75, v[8:9] offset:1024 nt
	flat_load_ushort v49, v[8:9] offset:1152 nt
	;; [unrolled: 1-line block ×15, first 2 shown]
	flat_load_ushort v20, v[8:9] nt
	flat_load_ushort v53, v[10:11] offset:128 nt
	flat_load_ushort v52, v[10:11] offset:256 nt
	;; [unrolled: 1-line block ×7, first 2 shown]
	flat_load_ushort v28, v[10:11] nt
	flat_load_ushort v91, v[10:11] offset:1024 nt
	flat_load_ushort v90, v[10:11] offset:1152 nt
	;; [unrolled: 1-line block ×8, first 2 shown]
	s_waitcnt vmcnt(0) lgkmcnt(0)
	v_lshlrev_b32_e32 v20, 16, v20
	v_max_f32_e32 v20, v20, v20
	v_lshlrev_b32_e32 v28, 16, v28
	v_max_f32_e32 v28, v28, v28
	v_min_f32_e32 v29, v20, v28
	v_max_f32_e32 v20, v20, v28
	v_cndmask_b32_e64 v82, v20, v29, s[24:25]
	v_and_b32_e32 v20, 0x7f800000, v82
	v_cmp_ne_u32_e32 vcc, s69, v20
                                        ; implicit-def: $vgpr20
	s_and_saveexec_b64 s[30:31], vcc
	s_xor_b64 vcc, exec, s[30:31]
; %bb.526:                              ;   in Loop: Header=BB27_525 Depth=4
	v_bfe_u32 v20, v82, 16, 1
	v_add3_u32 v20, v82, v20, s70
                                        ; implicit-def: $vgpr82
; %bb.527:                              ;   in Loop: Header=BB27_525 Depth=4
	s_andn2_saveexec_b64 s[30:31], vcc
; %bb.528:                              ;   in Loop: Header=BB27_525 Depth=4
	v_or_b32_e32 v20, 0x10000, v82
	v_cmp_eq_u32_sdwa vcc, v82, v3 src0_sel:WORD_0 src1_sel:DWORD
	s_nop 1
	v_cndmask_b32_e32 v20, v20, v82, vcc
; %bb.529:                              ;   in Loop: Header=BB27_525 Depth=4
	s_or_b64 exec, exec, s[30:31]
	v_lshlrev_b32_e32 v23, 16, v23
	v_lshlrev_b32_e32 v28, 16, v53
	v_max_f32_e32 v28, v28, v28
	v_max_f32_e32 v23, v23, v23
	v_min_f32_e32 v29, v23, v28
	v_max_f32_e32 v23, v23, v28
	v_cndmask_b32_e64 v53, v23, v29, s[24:25]
	v_and_b32_e32 v23, 0x7f800000, v53
	v_cmp_ne_u32_e32 vcc, s69, v23
                                        ; implicit-def: $vgpr23
	s_and_saveexec_b64 s[30:31], vcc
	s_xor_b64 vcc, exec, s[30:31]
; %bb.530:                              ;   in Loop: Header=BB27_525 Depth=4
	v_bfe_u32 v23, v53, 16, 1
	v_add3_u32 v23, v53, v23, s70
                                        ; implicit-def: $vgpr53
; %bb.531:                              ;   in Loop: Header=BB27_525 Depth=4
	s_andn2_saveexec_b64 s[30:31], vcc
; %bb.532:                              ;   in Loop: Header=BB27_525 Depth=4
	v_or_b32_e32 v23, 0x10000, v53
	v_cmp_eq_u32_sdwa vcc, v53, v3 src0_sel:WORD_0 src1_sel:DWORD
	s_nop 1
	v_cndmask_b32_e32 v23, v23, v53, vcc
; %bb.533:                              ;   in Loop: Header=BB27_525 Depth=4
	s_or_b64 exec, exec, s[30:31]
	v_lshlrev_b32_e32 v25, 16, v25
	v_lshlrev_b32_e32 v28, 16, v52
	v_max_f32_e32 v28, v28, v28
	v_max_f32_e32 v25, v25, v25
	v_min_f32_e32 v29, v25, v28
	v_max_f32_e32 v25, v25, v28
	v_cndmask_b32_e64 v52, v25, v29, s[24:25]
	v_and_b32_e32 v25, 0x7f800000, v52
	v_cmp_ne_u32_e32 vcc, s69, v25
                                        ; implicit-def: $vgpr25
	s_and_saveexec_b64 s[30:31], vcc
	s_xor_b64 vcc, exec, s[30:31]
; %bb.534:                              ;   in Loop: Header=BB27_525 Depth=4
	v_bfe_u32 v25, v52, 16, 1
	v_add3_u32 v25, v52, v25, s70
                                        ; implicit-def: $vgpr52
; %bb.535:                              ;   in Loop: Header=BB27_525 Depth=4
	s_andn2_saveexec_b64 s[30:31], vcc
; %bb.536:                              ;   in Loop: Header=BB27_525 Depth=4
	v_or_b32_e32 v25, 0x10000, v52
	v_cmp_eq_u32_sdwa vcc, v52, v3 src0_sel:WORD_0 src1_sel:DWORD
	s_nop 1
	v_cndmask_b32_e32 v25, v25, v52, vcc
; %bb.537:                              ;   in Loop: Header=BB27_525 Depth=4
	s_or_b64 exec, exec, s[30:31]
	v_lshlrev_b32_e32 v27, 16, v27
	v_lshlrev_b32_e32 v28, 16, v105
	v_max_f32_e32 v28, v28, v28
	v_max_f32_e32 v27, v27, v27
	v_min_f32_e32 v29, v27, v28
	v_max_f32_e32 v27, v27, v28
	v_cndmask_b32_e64 v52, v27, v29, s[24:25]
	v_and_b32_e32 v27, 0x7f800000, v52
	v_cmp_ne_u32_e32 vcc, s69, v27
                                        ; implicit-def: $vgpr27
	s_and_saveexec_b64 s[30:31], vcc
	s_xor_b64 vcc, exec, s[30:31]
; %bb.538:                              ;   in Loop: Header=BB27_525 Depth=4
	v_bfe_u32 v27, v52, 16, 1
	v_add3_u32 v27, v52, v27, s70
                                        ; implicit-def: $vgpr52
; %bb.539:                              ;   in Loop: Header=BB27_525 Depth=4
	s_andn2_saveexec_b64 s[30:31], vcc
; %bb.540:                              ;   in Loop: Header=BB27_525 Depth=4
	v_or_b32_e32 v27, 0x10000, v52
	v_cmp_eq_u32_sdwa vcc, v52, v3 src0_sel:WORD_0 src1_sel:DWORD
	s_nop 1
	v_cndmask_b32_e32 v27, v27, v52, vcc
; %bb.541:                              ;   in Loop: Header=BB27_525 Depth=4
	s_or_b64 exec, exec, s[30:31]
	v_lshlrev_b32_e32 v28, 16, v34
	v_lshlrev_b32_e32 v29, 16, v95
	v_max_f32_e32 v29, v29, v29
	v_max_f32_e32 v28, v28, v28
	v_min_f32_e32 v34, v28, v29
	v_max_f32_e32 v28, v28, v29
	v_cndmask_b32_e64 v52, v28, v34, s[24:25]
	v_and_b32_e32 v28, 0x7f800000, v52
	v_cmp_ne_u32_e32 vcc, s69, v28
                                        ; implicit-def: $vgpr34
	s_and_saveexec_b64 s[30:31], vcc
	s_xor_b64 vcc, exec, s[30:31]
; %bb.542:                              ;   in Loop: Header=BB27_525 Depth=4
	v_bfe_u32 v28, v52, 16, 1
	v_add3_u32 v34, v52, v28, s70
                                        ; implicit-def: $vgpr52
; %bb.543:                              ;   in Loop: Header=BB27_525 Depth=4
	s_andn2_saveexec_b64 s[30:31], vcc
; %bb.544:                              ;   in Loop: Header=BB27_525 Depth=4
	v_or_b32_e32 v28, 0x10000, v52
	v_cmp_eq_u32_sdwa vcc, v52, v3 src0_sel:WORD_0 src1_sel:DWORD
	s_nop 1
	v_cndmask_b32_e32 v34, v28, v52, vcc
; %bb.545:                              ;   in Loop: Header=BB27_525 Depth=4
	s_or_b64 exec, exec, s[30:31]
	v_lshlrev_b32_e32 v28, 16, v37
	v_lshlrev_b32_e32 v29, 16, v94
	v_max_f32_e32 v29, v29, v29
	v_max_f32_e32 v28, v28, v28
	v_min_f32_e32 v37, v28, v29
	v_max_f32_e32 v28, v28, v29
	v_cndmask_b32_e64 v52, v28, v37, s[24:25]
	v_and_b32_e32 v28, 0x7f800000, v52
	v_cmp_ne_u32_e32 vcc, s69, v28
                                        ; implicit-def: $vgpr37
	s_and_saveexec_b64 s[30:31], vcc
	s_xor_b64 vcc, exec, s[30:31]
; %bb.546:                              ;   in Loop: Header=BB27_525 Depth=4
	v_bfe_u32 v28, v52, 16, 1
	v_add3_u32 v37, v52, v28, s70
                                        ; implicit-def: $vgpr52
; %bb.547:                              ;   in Loop: Header=BB27_525 Depth=4
	s_andn2_saveexec_b64 s[30:31], vcc
; %bb.548:                              ;   in Loop: Header=BB27_525 Depth=4
	v_or_b32_e32 v28, 0x10000, v52
	v_cmp_eq_u32_sdwa vcc, v52, v3 src0_sel:WORD_0 src1_sel:DWORD
	s_nop 1
	v_cndmask_b32_e32 v37, v28, v52, vcc
; %bb.549:                              ;   in Loop: Header=BB27_525 Depth=4
	s_or_b64 exec, exec, s[30:31]
	v_lshlrev_b32_e32 v28, 16, v48
	v_lshlrev_b32_e32 v29, 16, v93
	v_max_f32_e32 v29, v29, v29
	v_max_f32_e32 v28, v28, v28
	v_min_f32_e32 v48, v28, v29
	v_max_f32_e32 v28, v28, v29
	v_cndmask_b32_e64 v52, v28, v48, s[24:25]
	v_and_b32_e32 v28, 0x7f800000, v52
	v_cmp_ne_u32_e32 vcc, s69, v28
                                        ; implicit-def: $vgpr48
	s_and_saveexec_b64 s[30:31], vcc
	s_xor_b64 vcc, exec, s[30:31]
; %bb.550:                              ;   in Loop: Header=BB27_525 Depth=4
	v_bfe_u32 v28, v52, 16, 1
	v_add3_u32 v48, v52, v28, s70
                                        ; implicit-def: $vgpr52
; %bb.551:                              ;   in Loop: Header=BB27_525 Depth=4
	s_andn2_saveexec_b64 s[30:31], vcc
; %bb.552:                              ;   in Loop: Header=BB27_525 Depth=4
	v_or_b32_e32 v28, 0x10000, v52
	v_cmp_eq_u32_sdwa vcc, v52, v3 src0_sel:WORD_0 src1_sel:DWORD
	s_nop 1
	v_cndmask_b32_e32 v48, v28, v52, vcc
; %bb.553:                              ;   in Loop: Header=BB27_525 Depth=4
	s_or_b64 exec, exec, s[30:31]
	v_lshlrev_b32_e32 v28, 16, v51
	v_lshlrev_b32_e32 v29, 16, v92
	v_max_f32_e32 v29, v29, v29
	v_max_f32_e32 v28, v28, v28
	v_min_f32_e32 v51, v28, v29
	v_max_f32_e32 v28, v28, v29
	v_cndmask_b32_e64 v52, v28, v51, s[24:25]
	v_and_b32_e32 v28, 0x7f800000, v52
	v_cmp_ne_u32_e32 vcc, s69, v28
                                        ; implicit-def: $vgpr51
	s_and_saveexec_b64 s[30:31], vcc
	s_xor_b64 vcc, exec, s[30:31]
; %bb.554:                              ;   in Loop: Header=BB27_525 Depth=4
	v_bfe_u32 v28, v52, 16, 1
	v_add3_u32 v51, v52, v28, s70
                                        ; implicit-def: $vgpr52
; %bb.555:                              ;   in Loop: Header=BB27_525 Depth=4
	s_andn2_saveexec_b64 s[30:31], vcc
; %bb.556:                              ;   in Loop: Header=BB27_525 Depth=4
	v_or_b32_e32 v28, 0x10000, v52
	v_cmp_eq_u32_sdwa vcc, v52, v3 src0_sel:WORD_0 src1_sel:DWORD
	s_nop 1
	v_cndmask_b32_e32 v51, v28, v52, vcc
; %bb.557:                              ;   in Loop: Header=BB27_525 Depth=4
	s_or_b64 exec, exec, s[30:31]
	v_lshlrev_b32_e32 v28, 16, v75
	v_lshlrev_b32_e32 v29, 16, v91
	v_max_f32_e32 v29, v29, v29
	v_max_f32_e32 v28, v28, v28
	v_min_f32_e32 v52, v28, v29
	v_max_f32_e32 v28, v28, v29
	v_cndmask_b32_e64 v52, v28, v52, s[24:25]
	v_and_b32_e32 v28, 0x7f800000, v52
	v_cmp_ne_u32_e32 vcc, s69, v28
                                        ; implicit-def: $vgpr75
	s_and_saveexec_b64 s[30:31], vcc
	s_xor_b64 vcc, exec, s[30:31]
; %bb.558:                              ;   in Loop: Header=BB27_525 Depth=4
	v_bfe_u32 v28, v52, 16, 1
	v_add3_u32 v75, v52, v28, s70
                                        ; implicit-def: $vgpr52
; %bb.559:                              ;   in Loop: Header=BB27_525 Depth=4
	s_andn2_saveexec_b64 s[30:31], vcc
; %bb.560:                              ;   in Loop: Header=BB27_525 Depth=4
	v_or_b32_e32 v28, 0x10000, v52
	v_cmp_eq_u32_sdwa vcc, v52, v3 src0_sel:WORD_0 src1_sel:DWORD
	s_nop 1
	v_cndmask_b32_e32 v75, v28, v52, vcc
; %bb.561:                              ;   in Loop: Header=BB27_525 Depth=4
	s_or_b64 exec, exec, s[30:31]
	v_lshlrev_b32_e32 v28, 16, v49
	v_lshlrev_b32_e32 v29, 16, v90
	v_max_f32_e32 v29, v29, v29
	v_max_f32_e32 v28, v28, v28
	v_min_f32_e32 v49, v28, v29
	v_max_f32_e32 v28, v28, v29
	v_cndmask_b32_e64 v52, v28, v49, s[24:25]
	v_and_b32_e32 v28, 0x7f800000, v52
	v_cmp_ne_u32_e32 vcc, s69, v28
                                        ; implicit-def: $vgpr49
	s_and_saveexec_b64 s[30:31], vcc
	s_xor_b64 vcc, exec, s[30:31]
; %bb.562:                              ;   in Loop: Header=BB27_525 Depth=4
	v_bfe_u32 v28, v52, 16, 1
	v_add3_u32 v49, v52, v28, s70
                                        ; implicit-def: $vgpr52
; %bb.563:                              ;   in Loop: Header=BB27_525 Depth=4
	s_andn2_saveexec_b64 s[30:31], vcc
; %bb.564:                              ;   in Loop: Header=BB27_525 Depth=4
	v_or_b32_e32 v28, 0x10000, v52
	v_cmp_eq_u32_sdwa vcc, v52, v3 src0_sel:WORD_0 src1_sel:DWORD
	s_nop 1
	v_cndmask_b32_e32 v49, v28, v52, vcc
; %bb.565:                              ;   in Loop: Header=BB27_525 Depth=4
	s_or_b64 exec, exec, s[30:31]
	v_lshlrev_b32_e32 v28, 16, v38
	v_lshlrev_b32_e32 v29, 16, v50
	v_max_f32_e32 v29, v29, v29
	v_max_f32_e32 v28, v28, v28
	v_min_f32_e32 v38, v28, v29
	v_max_f32_e32 v28, v28, v29
	v_cndmask_b32_e64 v50, v28, v38, s[24:25]
	v_and_b32_e32 v28, 0x7f800000, v50
	v_cmp_ne_u32_e32 vcc, s69, v28
                                        ; implicit-def: $vgpr38
	s_and_saveexec_b64 s[30:31], vcc
	s_xor_b64 vcc, exec, s[30:31]
; %bb.566:                              ;   in Loop: Header=BB27_525 Depth=4
	v_bfe_u32 v28, v50, 16, 1
	v_add3_u32 v38, v50, v28, s70
                                        ; implicit-def: $vgpr50
; %bb.567:                              ;   in Loop: Header=BB27_525 Depth=4
	s_andn2_saveexec_b64 s[30:31], vcc
; %bb.568:                              ;   in Loop: Header=BB27_525 Depth=4
	v_or_b32_e32 v28, 0x10000, v50
	v_cmp_eq_u32_sdwa vcc, v50, v3 src0_sel:WORD_0 src1_sel:DWORD
	s_nop 1
	v_cndmask_b32_e32 v38, v28, v50, vcc
; %bb.569:                              ;   in Loop: Header=BB27_525 Depth=4
	s_or_b64 exec, exec, s[30:31]
	v_lshlrev_b32_e32 v28, 16, v35
	v_lshlrev_b32_e32 v29, 16, v39
	v_max_f32_e32 v29, v29, v29
	v_max_f32_e32 v28, v28, v28
	v_min_f32_e32 v35, v28, v29
	v_max_f32_e32 v28, v28, v29
	v_cndmask_b32_e64 v39, v28, v35, s[24:25]
	v_and_b32_e32 v28, 0x7f800000, v39
	v_cmp_ne_u32_e32 vcc, s69, v28
                                        ; implicit-def: $vgpr35
	s_and_saveexec_b64 s[30:31], vcc
	s_xor_b64 vcc, exec, s[30:31]
; %bb.570:                              ;   in Loop: Header=BB27_525 Depth=4
	v_bfe_u32 v28, v39, 16, 1
	v_add3_u32 v35, v39, v28, s70
                                        ; implicit-def: $vgpr39
; %bb.571:                              ;   in Loop: Header=BB27_525 Depth=4
	s_andn2_saveexec_b64 s[30:31], vcc
; %bb.572:                              ;   in Loop: Header=BB27_525 Depth=4
	v_or_b32_e32 v28, 0x10000, v39
	v_cmp_eq_u32_sdwa vcc, v39, v3 src0_sel:WORD_0 src1_sel:DWORD
	s_nop 1
	v_cndmask_b32_e32 v35, v28, v39, vcc
; %bb.573:                              ;   in Loop: Header=BB27_525 Depth=4
	s_or_b64 exec, exec, s[30:31]
	v_lshlrev_b32_e32 v28, 16, v32
	v_lshlrev_b32_e32 v29, 16, v36
	v_max_f32_e32 v29, v29, v29
	v_max_f32_e32 v28, v28, v28
	v_min_f32_e32 v32, v28, v29
	v_max_f32_e32 v28, v28, v29
	v_cndmask_b32_e64 v36, v28, v32, s[24:25]
	v_and_b32_e32 v28, 0x7f800000, v36
	v_cmp_ne_u32_e32 vcc, s69, v28
                                        ; implicit-def: $vgpr32
	s_and_saveexec_b64 s[30:31], vcc
	s_xor_b64 vcc, exec, s[30:31]
; %bb.574:                              ;   in Loop: Header=BB27_525 Depth=4
	v_bfe_u32 v28, v36, 16, 1
	v_add3_u32 v32, v36, v28, s70
                                        ; implicit-def: $vgpr36
; %bb.575:                              ;   in Loop: Header=BB27_525 Depth=4
	s_andn2_saveexec_b64 s[30:31], vcc
; %bb.576:                              ;   in Loop: Header=BB27_525 Depth=4
	v_or_b32_e32 v28, 0x10000, v36
	v_cmp_eq_u32_sdwa vcc, v36, v3 src0_sel:WORD_0 src1_sel:DWORD
	s_nop 1
	v_cndmask_b32_e32 v32, v28, v36, vcc
; %bb.577:                              ;   in Loop: Header=BB27_525 Depth=4
	s_or_b64 exec, exec, s[30:31]
	v_lshlrev_b32_e32 v24, 16, v24
	v_lshlrev_b32_e32 v28, 16, v33
	v_max_f32_e32 v28, v28, v28
	v_max_f32_e32 v24, v24, v24
	v_min_f32_e32 v29, v24, v28
	v_max_f32_e32 v24, v24, v28
	v_cndmask_b32_e64 v33, v24, v29, s[24:25]
	v_and_b32_e32 v24, 0x7f800000, v33
	v_cmp_ne_u32_e32 vcc, s69, v24
                                        ; implicit-def: $vgpr24
	s_and_saveexec_b64 s[30:31], vcc
	s_xor_b64 vcc, exec, s[30:31]
; %bb.578:                              ;   in Loop: Header=BB27_525 Depth=4
	v_bfe_u32 v24, v33, 16, 1
	v_add3_u32 v24, v33, v24, s70
                                        ; implicit-def: $vgpr33
; %bb.579:                              ;   in Loop: Header=BB27_525 Depth=4
	s_andn2_saveexec_b64 s[30:31], vcc
; %bb.580:                              ;   in Loop: Header=BB27_525 Depth=4
	v_or_b32_e32 v24, 0x10000, v33
	v_cmp_eq_u32_sdwa vcc, v33, v3 src0_sel:WORD_0 src1_sel:DWORD
	s_nop 1
	v_cndmask_b32_e32 v24, v24, v33, vcc
; %bb.581:                              ;   in Loop: Header=BB27_525 Depth=4
	s_or_b64 exec, exec, s[30:31]
	v_lshlrev_b32_e32 v21, 16, v21
	v_lshlrev_b32_e32 v26, 16, v26
	v_max_f32_e32 v26, v26, v26
	v_max_f32_e32 v21, v21, v21
	v_min_f32_e32 v28, v21, v26
	v_max_f32_e32 v21, v21, v26
	v_cndmask_b32_e64 v26, v21, v28, s[24:25]
	v_and_b32_e32 v21, 0x7f800000, v26
	v_cmp_ne_u32_e32 vcc, s69, v21
                                        ; implicit-def: $vgpr21
	s_and_saveexec_b64 s[30:31], vcc
	s_xor_b64 vcc, exec, s[30:31]
; %bb.582:                              ;   in Loop: Header=BB27_525 Depth=4
	v_bfe_u32 v21, v26, 16, 1
	v_add3_u32 v21, v26, v21, s70
                                        ; implicit-def: $vgpr26
; %bb.583:                              ;   in Loop: Header=BB27_525 Depth=4
	s_andn2_saveexec_b64 s[30:31], vcc
; %bb.584:                              ;   in Loop: Header=BB27_525 Depth=4
	v_or_b32_e32 v21, 0x10000, v26
	v_cmp_eq_u32_sdwa vcc, v26, v3 src0_sel:WORD_0 src1_sel:DWORD
	s_nop 1
	v_cndmask_b32_e32 v21, v21, v26, vcc
; %bb.585:                              ;   in Loop: Header=BB27_525 Depth=4
	s_or_b64 exec, exec, s[30:31]
	v_lshlrev_b32_e32 v19, 16, v19
	v_lshlrev_b32_e32 v22, 16, v22
	v_max_f32_e32 v22, v22, v22
	v_max_f32_e32 v19, v19, v19
	v_min_f32_e32 v26, v19, v22
	v_max_f32_e32 v19, v19, v22
	v_cndmask_b32_e64 v22, v19, v26, s[24:25]
	v_and_b32_e32 v19, 0x7f800000, v22
	v_cmp_ne_u32_e32 vcc, s69, v19
                                        ; implicit-def: $vgpr19
	s_and_saveexec_b64 s[30:31], vcc
	s_xor_b64 vcc, exec, s[30:31]
; %bb.586:                              ;   in Loop: Header=BB27_525 Depth=4
	v_bfe_u32 v19, v22, 16, 1
	v_add3_u32 v19, v22, v19, s70
                                        ; implicit-def: $vgpr22
; %bb.587:                              ;   in Loop: Header=BB27_525 Depth=4
	s_andn2_saveexec_b64 s[30:31], vcc
	s_cbranch_execz .LBB27_524
; %bb.588:                              ;   in Loop: Header=BB27_525 Depth=4
	v_or_b32_e32 v19, 0x10000, v22
	v_cmp_eq_u32_sdwa vcc, v22, v3 src0_sel:WORD_0 src1_sel:DWORD
	s_nop 1
	v_cndmask_b32_e32 v19, v19, v22, vcc
	s_branch .LBB27_524
.LBB27_589:                             ;   in Loop: Header=BB27_272 Depth=3
	s_or_b64 exec, exec, s[94:95]
.LBB27_590:                             ;   in Loop: Header=BB27_272 Depth=3
	s_or_b64 exec, exec, s[92:93]
	v_lshlrev_b32_e32 v8, 11, v18
	v_cmp_ne_u32_e32 vcc, v73, v8
	s_and_b64 exec, exec, vcc
	s_cbranch_execz .LBB27_598
; %bb.591:                              ;   in Loop: Header=BB27_272 Depth=3
	v_lshlrev_b32_e32 v9, 6, v16
	v_sub_u32_e32 v9, v15, v9
	v_lshlrev_b32_e32 v10, 6, v17
	v_sub_u32_e32 v9, v9, v10
	v_ashrrev_i32_e32 v10, 31, v9
	v_lshrrev_b32_e32 v10, 26, v10
	v_add_u32_e32 v10, v9, v10
	v_and_b32_e32 v11, 0x7fffffc0, v10
	v_sub_u32_e32 v9, v9, v11
	v_lshlrev_b32_e32 v10, 1, v10
	v_and_b32_e32 v10, 0xffffff80, v10
	v_lshlrev_b32_e32 v9, 1, v9
	v_add3_u32 v8, v10, v9, v8
	v_sub_u32_e32 v15, v73, v8
	v_cmp_lt_i32_e32 vcc, 1, v15
	s_and_b64 exec, exec, vcc
	s_cbranch_execz .LBB27_598
; %bb.592:                              ;   in Loop: Header=BB27_272 Depth=3
	s_trap 2
	ds_read_b64 v[10:11], v0
	v_add_u32_e32 v12, v8, v14
	s_and_b32 s46, s36, 1
	v_ashrrev_i32_e32 v13, 31, v12
	s_cmp_eq_u64 s[46:47], 0
	v_lshl_add_u64 v[8:9], v[12:13], 0, v[78:79]
	s_waitcnt lgkmcnt(0)
	v_lshl_add_u64 v[10:11], v[10:11], 0, v[12:13]
	v_lshl_add_u64 v[12:13], v[12:13], 0, v[88:89]
	s_mov_b64 s[92:93], 0
	s_cselect_b64 vcc, -1, 0
	s_branch .LBB27_594
.LBB27_593:                             ;   in Loop: Header=BB27_594 Depth=4
	s_or_b64 exec, exec, s[94:95]
	v_sub_u32_e32 v15, v15, v112
	v_cmp_gt_i32_e64 s[24:25], 2, v15
	flat_store_short_d16_hi v[12:13], v16 nt
	v_lshl_add_u64 v[8:9], v[8:9], 0, v[112:113]
	v_lshl_add_u64 v[10:11], v[10:11], 0, v[112:113]
	s_or_b64 s[92:93], s[24:25], s[92:93]
	v_lshl_add_u64 v[12:13], v[12:13], 0, v[112:113]
	s_andn2_b64 exec, exec, s[92:93]
	s_cbranch_execz .LBB27_598
.LBB27_594:                             ;   Parent Loop BB27_47 Depth=1
                                        ;     Parent Loop BB27_269 Depth=2
                                        ;       Parent Loop BB27_272 Depth=3
                                        ; =>      This Inner Loop Header: Depth=4
	flat_load_ushort v14, v[10:11] nt
	flat_load_ushort v16, v[8:9] nt
	s_waitcnt vmcnt(0) lgkmcnt(0)
	v_lshlrev_b32_e32 v14, 16, v14
	v_lshlrev_b32_e32 v16, 16, v16
	v_max_f32_e32 v14, v14, v14
	v_max_f32_e32 v16, v16, v16
	v_min_f32_e32 v17, v16, v14
	v_max_f32_e32 v14, v16, v14
	v_cndmask_b32_e32 v14, v14, v17, vcc
	v_and_b32_e32 v16, 0x7f800000, v14
	v_cmp_ne_u32_e64 s[24:25], s69, v16
                                        ; implicit-def: $vgpr16
	s_and_saveexec_b64 s[94:95], s[24:25]
	s_xor_b64 s[24:25], exec, s[94:95]
; %bb.595:                              ;   in Loop: Header=BB27_594 Depth=4
	v_bfe_u32 v16, v14, 16, 1
	v_add3_u32 v16, v14, v16, s70
                                        ; implicit-def: $vgpr14
; %bb.596:                              ;   in Loop: Header=BB27_594 Depth=4
	s_andn2_saveexec_b64 s[94:95], s[24:25]
	s_cbranch_execz .LBB27_593
; %bb.597:                              ;   in Loop: Header=BB27_594 Depth=4
	v_or_b32_e32 v16, 0x10000, v14
	v_cmp_eq_u32_sdwa s[24:25], v14, v3 src0_sel:WORD_0 src1_sel:DWORD
	s_nop 1
	v_cndmask_b32_e64 v16, v16, v14, s[24:25]
	s_branch .LBB27_593
.LBB27_598:                             ;   in Loop: Header=BB27_272 Depth=3
	s_or_b64 exec, exec, s[26:27]
	v_cmp_lt_i32_e64 s[24:25], 0, v2
	s_and_saveexec_b64 s[26:27], s[4:5]
	s_cbranch_execz .LBB27_347
.LBB27_599:                             ;   in Loop: Header=BB27_272 Depth=3
	s_and_saveexec_b64 s[92:93], s[56:57]
	s_xor_b64 s[92:93], exec, s[92:93]
	s_cbranch_execz .LBB27_614
; %bb.600:                              ;   in Loop: Header=BB27_272 Depth=3
	s_and_saveexec_b64 s[94:95], s[12:13]
	s_cbranch_execz .LBB27_613
; %bb.601:                              ;   in Loop: Header=BB27_272 Depth=3
	s_mov_b64 s[34:35], exec
	v_mbcnt_lo_u32_b32 v2, s34, 0
	v_mbcnt_hi_u32_b32 v2, s35, v2
	v_cmp_eq_u32_e32 vcc, 0, v2
	s_waitcnt lgkmcnt(0)
	s_and_saveexec_b64 s[30:31], vcc
	s_cbranch_execz .LBB27_603
; %bb.602:                              ;   in Loop: Header=BB27_272 Depth=3
	s_bcnt1_i32_b64 s46, s[34:35]
	v_mov_b32_e32 v2, s46
	ds_add_u64 v0, v[2:3]
	s_trap 2
.LBB27_603:                             ;   in Loop: Header=BB27_272 Depth=3
	s_or_b64 exec, exec, s[30:31]
	s_trap 2
	ds_read_b64 v[8:9], v0
	s_waitcnt lgkmcnt(0)
	v_lshl_add_u64 v[70:71], v[70:71], 0, v[84:85]
	v_cmp_lt_u64_e32 vcc, v[8:9], v[70:71]
	s_and_saveexec_b64 s[30:31], vcc
	s_cbranch_execz .LBB27_612
; %bb.604:                              ;   in Loop: Header=BB27_272 Depth=3
	s_mov_b32 s46, 0
	s_mov_b64 s[34:35], 0
                                        ; implicit-def: $sgpr36_sgpr37
                                        ; implicit-def: $sgpr38_sgpr39
	s_branch .LBB27_606
.LBB27_605:                             ;   in Loop: Header=BB27_606 Depth=4
	s_or_b64 exec, exec, s[50:51]
	s_and_b64 vcc, exec, vcc
	s_or_b64 s[34:35], vcc, s[34:35]
	s_andn2_b64 vcc, s[36:37], exec
	s_and_b64 s[36:37], s[38:39], exec
	s_or_b64 s[36:37], vcc, s[36:37]
	s_andn2_b64 exec, exec, s[34:35]
	s_cbranch_execz .LBB27_610
.LBB27_606:                             ;   Parent Loop BB27_47 Depth=1
                                        ;     Parent Loop BB27_269 Depth=2
                                        ;       Parent Loop BB27_272 Depth=3
                                        ; =>      This Inner Loop Header: Depth=4
	s_add_i32 s46, s46, 1
	s_cmpk_lg_i32 s46, 0x2710
	s_cselect_b64 s[48:49], -1, 0
	s_and_b64 vcc, exec, s[48:49]
	s_cbranch_vccz .LBB27_608
; %bb.607:                              ;   in Loop: Header=BB27_606 Depth=4
	s_mov_b64 vcc, -1
	s_or_b64 s[38:39], s[38:39], exec
	s_and_saveexec_b64 s[50:51], s[48:49]
	s_cbranch_execz .LBB27_605
	s_branch .LBB27_609
.LBB27_608:                             ;   in Loop: Header=BB27_606 Depth=4
	s_trap 2
	ds_read_b64 v[8:9], v0
	s_andn2_b64 s[48:49], s[48:49], exec
	s_mov_b32 s46, 0
	s_waitcnt vmcnt(0) lgkmcnt(0)
	flat_load_dword v2, v[8:9] sc0 sc1
	s_waitcnt vmcnt(0) lgkmcnt(0)
	buffer_inv sc0 sc1
	v_cmp_eq_u32_e32 vcc, 0, v2
	s_and_b64 vcc, vcc, exec
	s_or_b64 s[48:49], s[48:49], vcc
	s_mov_b64 vcc, -1
	s_or_b64 s[38:39], s[38:39], exec
	s_and_saveexec_b64 s[50:51], s[48:49]
	s_cbranch_execz .LBB27_605
.LBB27_609:                             ;   in Loop: Header=BB27_606 Depth=4
	s_sleep 1
	s_trap 2
	ds_read_b64 v[8:9], v0
	s_waitcnt lgkmcnt(0)
	s_andn2_b64 s[38:39], s[38:39], exec
	v_cmp_ge_u64_e32 vcc, v[8:9], v[70:71]
	s_orn2_b64 vcc, vcc, exec
	s_branch .LBB27_605
.LBB27_610:                             ;   in Loop: Header=BB27_272 Depth=3
	s_or_b64 exec, exec, s[34:35]
	s_and_saveexec_b64 vcc, s[36:37]
	s_xor_b64 vcc, exec, vcc
	s_cbranch_execz .LBB27_612
; %bb.611:                              ;   in Loop: Header=BB27_272 Depth=3
	ds_write_b32 v0, v111
	s_trap 2
.LBB27_612:                             ;   in Loop: Header=BB27_272 Depth=3
	s_or_b64 exec, exec, s[30:31]
	;;#ASMSTART
	s_wakeup
	;;#ASMEND
.LBB27_613:                             ;   in Loop: Header=BB27_272 Depth=3
	s_or_b64 exec, exec, s[94:95]
.LBB27_614:                             ;   in Loop: Header=BB27_272 Depth=3
	s_andn2_saveexec_b64 s[92:93], s[92:93]
	s_cbranch_execz .LBB27_616
; %bb.615:                              ;   in Loop: Header=BB27_272 Depth=3
	s_waitcnt lgkmcnt(0)
	s_barrier
.LBB27_616:                             ;   in Loop: Header=BB27_272 Depth=3
	s_or_b64 exec, exec, s[92:93]
	s_or_b64 exec, exec, s[26:27]
                                        ; implicit-def: $vgpr2
	s_and_saveexec_b64 s[26:27], s[20:21]
	s_xor_b64 s[26:27], exec, s[26:27]
	s_cbranch_execnz .LBB27_348
.LBB27_617:                             ;   in Loop: Header=BB27_272 Depth=3
	s_andn2_saveexec_b64 s[24:25], s[26:27]
	s_cbranch_execz .LBB27_636
.LBB27_618:                             ;   in Loop: Header=BB27_272 Depth=3
	s_and_saveexec_b64 s[26:27], s[56:57]
	s_xor_b64 s[26:27], exec, s[26:27]
	s_cbranch_execz .LBB27_633
; %bb.619:                              ;   in Loop: Header=BB27_272 Depth=3
	s_and_saveexec_b64 s[92:93], s[12:13]
	s_cbranch_execz .LBB27_632
; %bb.620:                              ;   in Loop: Header=BB27_272 Depth=3
	s_mov_b64 s[30:31], exec
	v_mbcnt_lo_u32_b32 v2, s30, 0
	v_mbcnt_hi_u32_b32 v2, s31, v2
	v_cmp_eq_u32_e32 vcc, 0, v2
	;;#ASMSTART
	s_waitcnt lgkmcnt(0) vmcnt(0)
	;;#ASMEND
	s_and_saveexec_b64 s[94:95], vcc
	s_cbranch_execz .LBB27_622
; %bb.621:                              ;   in Loop: Header=BB27_272 Depth=3
	s_bcnt1_i32_b64 s46, s[30:31]
	v_mov_b32_e32 v2, s46
	s_waitcnt lgkmcnt(0)
	ds_add_u64 v0, v[2:3]
	s_trap 2
.LBB27_622:                             ;   in Loop: Header=BB27_272 Depth=3
	s_or_b64 exec, exec, s[94:95]
	s_trap 2
	ds_read_b64 v[8:9], v0
	s_waitcnt lgkmcnt(0)
	v_lshl_add_u64 v[70:71], v[70:71], 0, v[84:85]
	v_cmp_lt_u64_e32 vcc, v[8:9], v[70:71]
	s_and_saveexec_b64 s[94:95], vcc
	s_cbranch_execz .LBB27_631
; %bb.623:                              ;   in Loop: Header=BB27_272 Depth=3
	s_mov_b32 s46, 0
	s_mov_b64 s[30:31], 0
                                        ; implicit-def: $sgpr34_sgpr35
                                        ; implicit-def: $sgpr36_sgpr37
	s_branch .LBB27_625
.LBB27_624:                             ;   in Loop: Header=BB27_625 Depth=4
	s_or_b64 exec, exec, s[48:49]
	s_and_b64 vcc, exec, vcc
	s_or_b64 s[30:31], vcc, s[30:31]
	s_andn2_b64 vcc, s[34:35], exec
	s_and_b64 s[34:35], s[36:37], exec
	s_or_b64 s[34:35], vcc, s[34:35]
	s_andn2_b64 exec, exec, s[30:31]
	s_cbranch_execz .LBB27_629
.LBB27_625:                             ;   Parent Loop BB27_47 Depth=1
                                        ;     Parent Loop BB27_269 Depth=2
                                        ;       Parent Loop BB27_272 Depth=3
                                        ; =>      This Inner Loop Header: Depth=4
	s_add_i32 s46, s46, 1
	s_cmpk_lg_i32 s46, 0x2710
	s_cselect_b64 s[38:39], -1, 0
	s_and_b64 vcc, exec, s[38:39]
	s_cbranch_vccz .LBB27_627
; %bb.626:                              ;   in Loop: Header=BB27_625 Depth=4
	s_mov_b64 vcc, -1
	s_or_b64 s[36:37], s[36:37], exec
	s_and_saveexec_b64 s[48:49], s[38:39]
	s_cbranch_execz .LBB27_624
	s_branch .LBB27_628
.LBB27_627:                             ;   in Loop: Header=BB27_625 Depth=4
	s_trap 2
	ds_read_b64 v[8:9], v0
	s_andn2_b64 s[38:39], s[38:39], exec
	s_mov_b32 s46, 0
	s_waitcnt vmcnt(0) lgkmcnt(0)
	flat_load_dword v2, v[8:9] sc0 sc1
	s_waitcnt vmcnt(0) lgkmcnt(0)
	buffer_inv sc0 sc1
	v_cmp_eq_u32_e32 vcc, 0, v2
	s_and_b64 vcc, vcc, exec
	s_or_b64 s[38:39], s[38:39], vcc
	s_mov_b64 vcc, -1
	s_or_b64 s[36:37], s[36:37], exec
	s_and_saveexec_b64 s[48:49], s[38:39]
	s_cbranch_execz .LBB27_624
.LBB27_628:                             ;   in Loop: Header=BB27_625 Depth=4
	s_sleep 1
	s_trap 2
	ds_read_b64 v[8:9], v0
	s_waitcnt lgkmcnt(0)
	s_andn2_b64 s[36:37], s[36:37], exec
	v_cmp_ge_u64_e32 vcc, v[8:9], v[70:71]
	s_orn2_b64 vcc, vcc, exec
	s_branch .LBB27_624
.LBB27_629:                             ;   in Loop: Header=BB27_272 Depth=3
	s_or_b64 exec, exec, s[30:31]
	s_and_saveexec_b64 vcc, s[34:35]
	s_xor_b64 vcc, exec, vcc
	s_cbranch_execz .LBB27_631
; %bb.630:                              ;   in Loop: Header=BB27_272 Depth=3
	ds_write_b32 v0, v111
	s_trap 2
.LBB27_631:                             ;   in Loop: Header=BB27_272 Depth=3
	s_or_b64 exec, exec, s[94:95]
	;;#ASMSTART
	s_wakeup
	;;#ASMEND
.LBB27_632:                             ;   in Loop: Header=BB27_272 Depth=3
	s_or_b64 exec, exec, s[92:93]
.LBB27_633:                             ;   in Loop: Header=BB27_272 Depth=3
	s_andn2_saveexec_b64 s[26:27], s[26:27]
	s_cbranch_execz .LBB27_635
; %bb.634:                              ;   in Loop: Header=BB27_272 Depth=3
	;;#ASMSTART
	s_waitcnt lgkmcnt(0) vmcnt(0)
	;;#ASMEND
	s_barrier
.LBB27_635:                             ;   in Loop: Header=BB27_272 Depth=3
	s_or_b64 exec, exec, s[26:27]
	v_and_b32_e32 v2, 16, v108
.LBB27_636:                             ;   in Loop: Header=BB27_272 Depth=3
	s_or_b64 exec, exec, s[24:25]
	v_cmp_ne_u32_e32 vcc, 0, v2
	s_xor_b64 s[24:25], s[6:7], -1
	s_and_b64 s[26:27], vcc, s[24:25]
	s_and_saveexec_b64 s[24:25], s[26:27]
	s_cbranch_execz .LBB27_638
; %bb.637:                              ;   in Loop: Header=BB27_272 Depth=3
	flat_store_dword v[68:69], v111 sc0 sc1
.LBB27_638:                             ;   in Loop: Header=BB27_272 Depth=3
	s_or_b64 exec, exec, s[24:25]
	v_and_b32_e32 v2, 48, v108
	v_cmp_ne_u32_e32 vcc, 0, v2
	s_and_saveexec_b64 s[24:25], vcc
	s_cbranch_execz .LBB27_271
; %bb.639:                              ;   in Loop: Header=BB27_272 Depth=3
	v_lshl_add_u64 v[58:59], v[58:59], 0, 2
	flat_store_dwordx2 v[64:65], v[58:59] sc0 sc1
	s_branch .LBB27_271
.LBB27_640:                             ;   in Loop: Header=BB27_269 Depth=2
	s_or_b64 exec, exec, s[40:41]
.LBB27_641:                             ;   in Loop: Header=BB27_269 Depth=2
	s_or_b64 exec, exec, s[28:29]
	v_cmp_gt_i32_e32 vcc, 2, v2
	s_and_saveexec_b64 s[26:27], vcc
	s_cbranch_execz .LBB27_268
; %bb.642:                              ;   in Loop: Header=BB27_269 Depth=2
	v_cmp_eq_u32_e64 s[40:41], 0, v2
	s_mov_b64 s[28:29], 0
	s_branch .LBB27_644
.LBB27_643:                             ;   in Loop: Header=BB27_644 Depth=3
	s_or_b64 exec, exec, s[24:25]
	v_add_u32_e32 v74, v72, v74
	s_mov_b64 s[40:41], 0
	s_andn2_b64 exec, exec, s[28:29]
	s_cbranch_execz .LBB27_267
.LBB27_644:                             ;   Parent Loop BB27_47 Depth=1
                                        ;     Parent Loop BB27_269 Depth=2
                                        ; =>    This Loop Header: Depth=3
                                        ;         Child Loop BB27_650 Depth 4
                                        ;         Child Loop BB27_678 Depth 4
	;; [unrolled: 1-line block ×3, first 2 shown]
	v_sub_u32_e32 v2, v104, v74
	v_min_i32_e32 v72, v72, v2
	v_and_b32_e32 v2, 12, v108
	v_cmp_ne_u32_e32 vcc, 0, v2
	s_and_saveexec_b64 s[90:91], vcc
	s_cbranch_execz .LBB27_670
; %bb.645:                              ;   in Loop: Header=BB27_644 Depth=3
	v_and_b32_e32 v2, 8, v108
	s_waitcnt vmcnt(0) lgkmcnt(0)
	v_lshl_add_u64 v[10:11], v[80:81], 0, v[2:3]
	v_lshl_add_u64 v[8:9], v[58:59], 0, 2
	v_cmp_lt_u64_e32 vcc, v[10:11], v[8:9]
	s_and_saveexec_b64 s[92:93], vcc
	s_cbranch_execz .LBB27_657
; %bb.646:                              ;   in Loop: Header=BB27_644 Depth=3
	v_and_b32_e32 v10, 64, v108
	s_mov_b32 s46, 0
	v_cmp_eq_u32_e32 vcc, 0, v10
	s_mov_b64 s[94:95], 0
                                        ; implicit-def: $sgpr30_sgpr31
                                        ; implicit-def: $sgpr34_sgpr35
                                        ; implicit-def: $sgpr36_sgpr37
	s_branch .LBB27_650
.LBB27_647:                             ;   in Loop: Header=BB27_650 Depth=4
	s_waitcnt vmcnt(0) lgkmcnt(0)
	v_lshl_add_u64 v[12:13], v[80:81], 0, v[2:3]
	v_cmp_ge_u64_e64 s[24:25], v[12:13], v[8:9]
	s_or_b64 s[50:51], s[50:51], exec
	s_orn2_b64 s[48:49], s[24:25], exec
.LBB27_648:                             ;   in Loop: Header=BB27_650 Depth=4
	s_or_b64 exec, exec, s[54:55]
	s_andn2_b64 s[24:25], s[36:37], exec
	s_and_b64 s[36:37], s[50:51], exec
	s_or_b64 s[36:37], s[24:25], s[36:37]
	s_andn2_b64 s[24:25], s[34:35], exec
	s_and_b64 s[34:35], s[48:49], exec
	s_or_b64 s[34:35], s[24:25], s[34:35]
.LBB27_649:                             ;   in Loop: Header=BB27_650 Depth=4
	s_or_b64 exec, exec, s[38:39]
	s_and_b64 s[24:25], exec, s[34:35]
	s_or_b64 s[94:95], s[24:25], s[94:95]
	s_andn2_b64 s[24:25], s[30:31], exec
	s_and_b64 s[30:31], s[36:37], exec
	s_or_b64 s[30:31], s[24:25], s[30:31]
	s_andn2_b64 exec, exec, s[94:95]
	s_cbranch_execz .LBB27_654
.LBB27_650:                             ;   Parent Loop BB27_47 Depth=1
                                        ;     Parent Loop BB27_269 Depth=2
                                        ;       Parent Loop BB27_644 Depth=3
                                        ; =>      This Inner Loop Header: Depth=4
	s_sleep 1
	s_waitcnt vmcnt(0) lgkmcnt(0)
	flat_load_dwordx2 v[80:81], v[64:65] sc0 sc1
	s_or_b64 s[36:37], s[36:37], exec
	s_or_b64 s[34:35], s[34:35], exec
                                        ; implicit-def: $vgpr10
	s_and_saveexec_b64 s[38:39], vcc
	s_cbranch_execz .LBB27_649
; %bb.651:                              ;   in Loop: Header=BB27_650 Depth=4
	s_cmpk_lt_i32 s46, 0x270f
	s_cselect_b64 s[52:53], -1, 0
	s_cmpk_gt_i32 s46, 0x270e
	s_mov_b64 s[48:49], -1
	s_cbranch_scc0 .LBB27_653
; %bb.652:                              ;   in Loop: Header=BB27_650 Depth=4
	s_trap 2
	ds_read_b64 v[10:11], v0
	s_andn2_b64 s[52:53], s[52:53], exec
	s_mov_b32 s46, 0
	s_mov_b64 s[50:51], 0
	s_waitcnt vmcnt(0) lgkmcnt(0)
	flat_load_dword v10, v[10:11] sc0 sc1
	s_waitcnt vmcnt(0) lgkmcnt(0)
	buffer_inv sc0 sc1
	v_cmp_eq_u32_e64 s[24:25], 0, v10
	s_and_b64 s[24:25], s[24:25], exec
	s_or_b64 s[52:53], s[52:53], s[24:25]
	s_and_saveexec_b64 s[54:55], s[52:53]
	s_cbranch_execz .LBB27_648
	s_branch .LBB27_647
.LBB27_653:                             ;   in Loop: Header=BB27_650 Depth=4
	s_add_i32 s46, s46, 1
	s_mov_b64 s[50:51], -1
                                        ; implicit-def: $vgpr10
	s_and_saveexec_b64 s[54:55], s[52:53]
	s_cbranch_execz .LBB27_648
	s_branch .LBB27_647
.LBB27_654:                             ;   in Loop: Header=BB27_644 Depth=3
	s_or_b64 exec, exec, s[94:95]
	s_xor_b64 s[24:25], s[30:31], -1
	s_and_saveexec_b64 s[94:95], s[24:25]
	s_xor_b64 s[24:25], exec, s[94:95]
	s_cbranch_execz .LBB27_656
; %bb.655:                              ;   in Loop: Header=BB27_644 Depth=3
	v_or_b32_e32 v108, 64, v108
	s_waitcnt lgkmcnt(0)
	ds_write_b32 v0, v10
	s_trap 2
.LBB27_656:                             ;   in Loop: Header=BB27_644 Depth=3
	s_or_b64 exec, exec, s[24:25]
.LBB27_657:                             ;   in Loop: Header=BB27_644 Depth=3
	s_or_b64 exec, exec, s[92:93]
	v_and_b32_e32 v10, 0x108, v108
	v_cmp_ne_u32_e32 vcc, s68, v10
	;;#ASMSTART
	s_wakeup
	;;#ASMEND
                                        ; implicit-def: $vgpr10_vgpr11
	s_and_saveexec_b64 s[24:25], vcc
	s_xor_b64 s[24:25], exec, s[24:25]
; %bb.658:                              ;   in Loop: Header=BB27_644 Depth=3
	v_and_b32_e32 v10, 7, v58
	v_mov_b32_e32 v11, v3
                                        ; implicit-def: $vgpr58_vgpr59
; %bb.659:                              ;   in Loop: Header=BB27_644 Depth=3
	s_andn2_saveexec_b64 s[24:25], s[24:25]
	s_cbranch_execz .LBB27_661
; %bb.660:                              ;   in Loop: Header=BB27_644 Depth=3
	v_and_b32_e32 v10, 7, v58
	v_ashrrev_i32_e32 v73, 31, v72
	v_mov_b32_e32 v11, v3
	v_mad_u64_u32 v[12:13], s[92:93], v10, 24, v[6:7]
	v_lshlrev_b64 v[14:15], 1, v[72:73]
	flat_store_dwordx2 v[12:13], v[14:15] offset:8
.LBB27_661:                             ;   in Loop: Header=BB27_644 Depth=3
	s_or_b64 exec, exec, s[24:25]
	v_and_b32_e32 v12, 0x100, v108
	v_cmp_ne_u32_e32 vcc, 0, v12
	s_mov_b64 s[24:25], -1
                                        ; implicit-def: $vgpr12_vgpr13
	s_and_saveexec_b64 s[92:93], vcc
	s_cbranch_execz .LBB27_665
; %bb.662:                              ;   in Loop: Header=BB27_644 Depth=3
	v_mad_u64_u32 v[14:15], s[24:25], v10, 24, v[6:7]
	v_mov_b32_e32 v12, v15
	v_mad_u64_u32 v[12:13], s[24:25], v11, 24, v[12:13]
	v_mov_b32_e32 v15, v12
	flat_load_dword v12, v[14:15]
	s_waitcnt vmcnt(0) lgkmcnt(0)
	v_cmp_ne_u32_e32 vcc, 1, v12
	v_cmp_eq_u32_e64 s[24:25], 1, v12
                                        ; implicit-def: $vgpr12_vgpr13
	s_and_saveexec_b64 s[94:95], s[24:25]
	s_cbranch_execz .LBB27_664
; %bb.663:                              ;   in Loop: Header=BB27_644 Depth=3
	flat_load_dword v12, v[14:15] offset:4 sc0 sc1
	s_waitcnt vmcnt(0) lgkmcnt(0)
	v_ashrrev_i32_e32 v13, 31, v12
	v_lshrrev_b64 v[12:13], 1, v[12:13]
.LBB27_664:                             ;   in Loop: Header=BB27_644 Depth=3
	s_or_b64 exec, exec, s[94:95]
	s_orn2_b64 s[24:25], vcc, exec
.LBB27_665:                             ;   in Loop: Header=BB27_644 Depth=3
	s_or_b64 exec, exec, s[92:93]
	s_and_saveexec_b64 s[92:93], s[24:25]
; %bb.666:                              ;   in Loop: Header=BB27_644 Depth=3
	v_mul_lo_u32 v11, v11, v30
	v_mul_lo_u32 v14, v10, v83
	v_mad_u64_u32 v[12:13], s[24:25], v10, v30, 0
	v_add3_u32 v13, v13, v14, v11
; %bb.667:                              ;   in Loop: Header=BB27_644 Depth=3
	s_or_b64 exec, exec, s[92:93]
	v_cmp_eq_u32_e32 vcc, 0, v2
	v_lshl_add_u64 v[10:11], v[12:13], 1, v[66:67]
	s_nop 0
	v_cndmask_b32_e32 v2, v120, v121, vcc
	v_add_u32_e32 v2, v0, v2
	ds_write_b64 v2, v[10:11] offset:584
	v_and_b32_e32 v2, 0x2000, v108
	v_cmp_ne_u32_e32 vcc, 0, v2
	s_and_saveexec_b64 s[24:25], vcc
	s_cbranch_execz .LBB27_669
; %bb.668:                              ;   in Loop: Header=BB27_644 Depth=3
	ds_read_b64 v[10:11], v0 offset:872
	s_waitcnt lgkmcnt(0)
	v_lshl_add_u64 v[10:11], v[10:11], 0, 1
	ds_write_b64 v0, v[10:11] offset:872
.LBB27_669:                             ;   in Loop: Header=BB27_644 Depth=3
	s_or_b64 exec, exec, s[24:25]
	v_mov_b64_e32 v[58:59], v[8:9]
.LBB27_670:                             ;   in Loop: Header=BB27_644 Depth=3
	s_or_b64 exec, exec, s[90:91]
	s_xor_b64 s[24:25], s[40:41], -1
	s_and_b64 s[24:25], exec, s[24:25]
	s_or_b64 s[28:29], s[24:25], s[28:29]
	s_and_saveexec_b64 s[24:25], s[4:5]
	s_cbranch_execz .LBB27_689
; %bb.671:                              ;   in Loop: Header=BB27_644 Depth=3
	s_and_saveexec_b64 s[40:41], s[56:57]
	s_xor_b64 s[40:41], exec, s[40:41]
	s_cbranch_execz .LBB27_686
; %bb.672:                              ;   in Loop: Header=BB27_644 Depth=3
	s_and_saveexec_b64 s[90:91], s[12:13]
	s_cbranch_execz .LBB27_685
; %bb.673:                              ;   in Loop: Header=BB27_644 Depth=3
	s_mov_b64 s[94:95], exec
	v_mbcnt_lo_u32_b32 v2, s94, 0
	v_mbcnt_hi_u32_b32 v2, s95, v2
	v_cmp_eq_u32_e32 vcc, 0, v2
	s_waitcnt lgkmcnt(0)
	s_and_saveexec_b64 s[92:93], vcc
	s_cbranch_execz .LBB27_675
; %bb.674:                              ;   in Loop: Header=BB27_644 Depth=3
	s_bcnt1_i32_b64 s46, s[94:95]
	v_mov_b32_e32 v2, s46
	ds_add_u64 v0, v[2:3]
	s_trap 2
.LBB27_675:                             ;   in Loop: Header=BB27_644 Depth=3
	s_or_b64 exec, exec, s[92:93]
	s_trap 2
	ds_read_b64 v[8:9], v0
	s_waitcnt lgkmcnt(0)
	v_lshl_add_u64 v[70:71], v[70:71], 0, v[84:85]
	v_cmp_lt_u64_e32 vcc, v[8:9], v[70:71]
	s_and_saveexec_b64 s[92:93], vcc
	s_cbranch_execz .LBB27_684
; %bb.676:                              ;   in Loop: Header=BB27_644 Depth=3
	s_mov_b32 s46, 0
	s_mov_b64 s[94:95], 0
                                        ; implicit-def: $sgpr30_sgpr31
                                        ; implicit-def: $sgpr34_sgpr35
	s_branch .LBB27_678
.LBB27_677:                             ;   in Loop: Header=BB27_678 Depth=4
	s_or_b64 exec, exec, s[38:39]
	s_and_b64 vcc, exec, vcc
	s_or_b64 s[94:95], vcc, s[94:95]
	s_andn2_b64 vcc, s[30:31], exec
	s_and_b64 s[30:31], s[34:35], exec
	s_or_b64 s[30:31], vcc, s[30:31]
	s_andn2_b64 exec, exec, s[94:95]
	s_cbranch_execz .LBB27_682
.LBB27_678:                             ;   Parent Loop BB27_47 Depth=1
                                        ;     Parent Loop BB27_269 Depth=2
                                        ;       Parent Loop BB27_644 Depth=3
                                        ; =>      This Inner Loop Header: Depth=4
	s_add_i32 s46, s46, 1
	s_cmpk_lg_i32 s46, 0x2710
	s_cselect_b64 s[36:37], -1, 0
	s_and_b64 vcc, exec, s[36:37]
	s_cbranch_vccz .LBB27_680
; %bb.679:                              ;   in Loop: Header=BB27_678 Depth=4
	s_mov_b64 vcc, -1
	s_or_b64 s[34:35], s[34:35], exec
	s_and_saveexec_b64 s[38:39], s[36:37]
	s_cbranch_execz .LBB27_677
	s_branch .LBB27_681
.LBB27_680:                             ;   in Loop: Header=BB27_678 Depth=4
	s_trap 2
	ds_read_b64 v[8:9], v0
	s_andn2_b64 s[36:37], s[36:37], exec
	s_mov_b32 s46, 0
	s_waitcnt vmcnt(0) lgkmcnt(0)
	flat_load_dword v2, v[8:9] sc0 sc1
	s_waitcnt vmcnt(0) lgkmcnt(0)
	buffer_inv sc0 sc1
	v_cmp_eq_u32_e32 vcc, 0, v2
	s_and_b64 vcc, vcc, exec
	s_or_b64 s[36:37], s[36:37], vcc
	s_mov_b64 vcc, -1
	s_or_b64 s[34:35], s[34:35], exec
	s_and_saveexec_b64 s[38:39], s[36:37]
	s_cbranch_execz .LBB27_677
.LBB27_681:                             ;   in Loop: Header=BB27_678 Depth=4
	s_sleep 1
	s_trap 2
	ds_read_b64 v[8:9], v0
	s_waitcnt lgkmcnt(0)
	s_andn2_b64 s[34:35], s[34:35], exec
	v_cmp_ge_u64_e32 vcc, v[8:9], v[70:71]
	s_orn2_b64 vcc, vcc, exec
	s_branch .LBB27_677
.LBB27_682:                             ;   in Loop: Header=BB27_644 Depth=3
	s_or_b64 exec, exec, s[94:95]
	s_and_saveexec_b64 s[94:95], s[30:31]
	s_xor_b64 s[94:95], exec, s[94:95]
	s_cbranch_execz .LBB27_684
; %bb.683:                              ;   in Loop: Header=BB27_644 Depth=3
	ds_write_b32 v0, v111
	s_trap 2
.LBB27_684:                             ;   in Loop: Header=BB27_644 Depth=3
	s_or_b64 exec, exec, s[92:93]
	;;#ASMSTART
	s_wakeup
	;;#ASMEND
.LBB27_685:                             ;   in Loop: Header=BB27_644 Depth=3
	s_or_b64 exec, exec, s[90:91]
.LBB27_686:                             ;   in Loop: Header=BB27_644 Depth=3
	s_andn2_saveexec_b64 s[40:41], s[40:41]
	s_cbranch_execz .LBB27_688
; %bb.687:                              ;   in Loop: Header=BB27_644 Depth=3
	s_waitcnt lgkmcnt(0)
	s_barrier
.LBB27_688:                             ;   in Loop: Header=BB27_644 Depth=3
	s_or_b64 exec, exec, s[40:41]
.LBB27_689:                             ;   in Loop: Header=BB27_644 Depth=3
	s_or_b64 exec, exec, s[24:25]
                                        ; implicit-def: $vgpr2
	s_and_saveexec_b64 s[24:25], s[76:77]
	s_xor_b64 s[24:25], exec, s[24:25]
	s_cbranch_execz .LBB27_701
; %bb.690:                              ;   in Loop: Header=BB27_644 Depth=3
	s_and_saveexec_b64 s[40:41], s[56:57]
	s_xor_b64 s[40:41], exec, s[40:41]
	s_cbranch_execz .LBB27_706
; %bb.691:                              ;   in Loop: Header=BB27_644 Depth=3
	s_and_saveexec_b64 s[90:91], s[12:13]
	s_cbranch_execz .LBB27_705
; %bb.692:                              ;   in Loop: Header=BB27_644 Depth=3
	s_mov_b64 s[94:95], exec
	v_mbcnt_lo_u32_b32 v2, s94, 0
	v_mbcnt_hi_u32_b32 v2, s95, v2
	v_cmp_eq_u32_e32 vcc, 0, v2
	;;#ASMSTART
	s_waitcnt lgkmcnt(0) vmcnt(0)
	;;#ASMEND
	s_and_saveexec_b64 s[92:93], vcc
	s_cbranch_execz .LBB27_694
; %bb.693:                              ;   in Loop: Header=BB27_644 Depth=3
	s_bcnt1_i32_b64 s46, s[94:95]
	v_mov_b32_e32 v2, s46
	s_waitcnt lgkmcnt(0)
	ds_add_u64 v0, v[2:3]
	s_trap 2
.LBB27_694:                             ;   in Loop: Header=BB27_644 Depth=3
	s_or_b64 exec, exec, s[92:93]
	s_trap 2
	ds_read_b64 v[8:9], v0
	s_waitcnt lgkmcnt(0)
	v_lshl_add_u64 v[70:71], v[70:71], 0, v[84:85]
	v_cmp_lt_u64_e32 vcc, v[8:9], v[70:71]
	s_and_saveexec_b64 s[92:93], vcc
	s_cbranch_execz .LBB27_704
; %bb.695:                              ;   in Loop: Header=BB27_644 Depth=3
	s_mov_b32 s46, 0
	s_mov_b64 s[94:95], 0
                                        ; implicit-def: $sgpr30_sgpr31
                                        ; implicit-def: $sgpr34_sgpr35
	s_branch .LBB27_697
.LBB27_696:                             ;   in Loop: Header=BB27_697 Depth=4
	s_or_b64 exec, exec, s[38:39]
	s_and_b64 vcc, exec, vcc
	s_or_b64 s[94:95], vcc, s[94:95]
	s_andn2_b64 vcc, s[30:31], exec
	s_and_b64 s[30:31], s[34:35], exec
	s_or_b64 s[30:31], vcc, s[30:31]
	s_andn2_b64 exec, exec, s[94:95]
	s_cbranch_execz .LBB27_702
.LBB27_697:                             ;   Parent Loop BB27_47 Depth=1
                                        ;     Parent Loop BB27_269 Depth=2
                                        ;       Parent Loop BB27_644 Depth=3
                                        ; =>      This Inner Loop Header: Depth=4
	s_add_i32 s46, s46, 1
	s_cmpk_lg_i32 s46, 0x2710
	s_cselect_b64 s[36:37], -1, 0
	s_and_b64 vcc, exec, s[36:37]
	s_cbranch_vccz .LBB27_699
; %bb.698:                              ;   in Loop: Header=BB27_697 Depth=4
	s_mov_b64 vcc, -1
	s_or_b64 s[34:35], s[34:35], exec
	s_and_saveexec_b64 s[38:39], s[36:37]
	s_cbranch_execz .LBB27_696
	s_branch .LBB27_700
.LBB27_699:                             ;   in Loop: Header=BB27_697 Depth=4
	s_trap 2
	ds_read_b64 v[8:9], v0
	s_andn2_b64 s[36:37], s[36:37], exec
	s_mov_b32 s46, 0
	s_waitcnt vmcnt(0) lgkmcnt(0)
	flat_load_dword v2, v[8:9] sc0 sc1
	s_waitcnt vmcnt(0) lgkmcnt(0)
	buffer_inv sc0 sc1
	v_cmp_eq_u32_e32 vcc, 0, v2
	s_and_b64 vcc, vcc, exec
	s_or_b64 s[36:37], s[36:37], vcc
	s_mov_b64 vcc, -1
	s_or_b64 s[34:35], s[34:35], exec
	s_and_saveexec_b64 s[38:39], s[36:37]
	s_cbranch_execz .LBB27_696
.LBB27_700:                             ;   in Loop: Header=BB27_697 Depth=4
	s_sleep 1
	s_trap 2
	ds_read_b64 v[8:9], v0
	s_waitcnt lgkmcnt(0)
	s_andn2_b64 s[34:35], s[34:35], exec
	v_cmp_ge_u64_e32 vcc, v[8:9], v[70:71]
	s_orn2_b64 vcc, vcc, exec
	s_branch .LBB27_696
.LBB27_701:                             ;   in Loop: Header=BB27_644 Depth=3
	s_andn2_saveexec_b64 s[24:25], s[24:25]
	s_cbranch_execnz .LBB27_709
	s_branch .LBB27_712
.LBB27_702:                             ;   in Loop: Header=BB27_644 Depth=3
	s_or_b64 exec, exec, s[94:95]
	s_and_saveexec_b64 s[94:95], s[30:31]
	s_xor_b64 s[94:95], exec, s[94:95]
	s_cbranch_execz .LBB27_704
; %bb.703:                              ;   in Loop: Header=BB27_644 Depth=3
	ds_write_b32 v0, v111
	s_trap 2
.LBB27_704:                             ;   in Loop: Header=BB27_644 Depth=3
	s_or_b64 exec, exec, s[92:93]
	;;#ASMSTART
	s_wakeup
	;;#ASMEND
.LBB27_705:                             ;   in Loop: Header=BB27_644 Depth=3
	s_or_b64 exec, exec, s[90:91]
.LBB27_706:                             ;   in Loop: Header=BB27_644 Depth=3
	s_andn2_saveexec_b64 s[40:41], s[40:41]
	s_cbranch_execz .LBB27_708
; %bb.707:                              ;   in Loop: Header=BB27_644 Depth=3
	;;#ASMSTART
	s_waitcnt lgkmcnt(0) vmcnt(0)
	;;#ASMEND
	s_barrier
.LBB27_708:                             ;   in Loop: Header=BB27_644 Depth=3
	s_or_b64 exec, exec, s[40:41]
	v_and_b32_e32 v2, 16, v108
	s_andn2_saveexec_b64 s[24:25], s[24:25]
	s_cbranch_execz .LBB27_712
.LBB27_709:                             ;   in Loop: Header=BB27_644 Depth=3
	s_trap 2
	ds_read_b32 v8, v0
	v_cmp_lt_i32_e32 vcc, 0, v72
	v_and_b32_e32 v9, 16, v108
	v_and_b32_e32 v2, 16, v108
	s_waitcnt lgkmcnt(0)
	v_readfirstlane_b32 s40, v8
	s_cmp_eq_u32 s40, 0
	s_cselect_b64 s[40:41], -1, 0
	s_and_b64 s[40:41], vcc, s[40:41]
	v_cmp_ne_u32_e32 vcc, 0, v9
	s_and_b64 s[90:91], vcc, s[40:41]
	s_and_saveexec_b64 s[40:41], s[90:91]
	s_cbranch_execz .LBB27_711
; %bb.710:                              ;   in Loop: Header=BB27_644 Depth=3
	v_mov_b32_e32 v2, 1
	buffer_wbl2 sc1
	s_waitcnt vmcnt(0)
	buffer_inv sc1
.LBB27_711:                             ;   in Loop: Header=BB27_644 Depth=3
	s_or_b64 exec, exec, s[40:41]
.LBB27_712:                             ;   in Loop: Header=BB27_644 Depth=3
	s_or_b64 exec, exec, s[24:25]
	v_cmp_ne_u32_e32 vcc, 0, v2
	s_xor_b64 s[24:25], s[6:7], -1
	s_and_b64 s[40:41], vcc, s[24:25]
	s_and_saveexec_b64 s[24:25], s[40:41]
	s_cbranch_execz .LBB27_714
; %bb.713:                              ;   in Loop: Header=BB27_644 Depth=3
	flat_store_dword v[68:69], v111 sc0 sc1
.LBB27_714:                             ;   in Loop: Header=BB27_644 Depth=3
	s_or_b64 exec, exec, s[24:25]
	v_and_b32_e32 v2, 48, v108
	v_cmp_ne_u32_e32 vcc, 0, v2
	s_and_saveexec_b64 s[24:25], vcc
	s_cbranch_execz .LBB27_643
; %bb.715:                              ;   in Loop: Header=BB27_644 Depth=3
	v_lshl_add_u64 v[58:59], v[58:59], 0, 2
	flat_store_dwordx2 v[64:65], v[58:59] sc0 sc1
	s_branch .LBB27_643
.LBB27_716:                             ;   in Loop: Header=BB27_47 Depth=1
	v_mul_lo_u32 v2, v57, s64
	v_mul_lo_u32 v10, v56, s65
	v_mad_u64_u32 v[8:9], s[24:25], v56, s64, 0
	v_add3_u32 v9, v9, v10, v2
	v_sub_co_u32_e32 v10, vcc, v60, v8
	v_mov_b32_e32 v2, 0
	s_nop 0
	v_subb_co_u32_e32 v11, vcc, v61, v9, vcc
	v_cmp_lt_i64_e32 vcc, v[56:57], v[10:11]
	v_mov_b32_e32 v74, 0
	s_nop 0
	v_cndmask_b32_e32 v10, v10, v56, vcc
	v_max_i32_e32 v124, 0, v10
	v_add_u32_e32 v11, 31, v124
	v_ashrrev_i32_e32 v12, 31, v11
	v_lshrrev_b32_e32 v12, 27, v12
	v_add_u32_e32 v11, v11, v12
	v_ashrrev_i32_e32 v11, 5, v11
	v_lshlrev_b32_e32 v11, 4, v11
	v_cmp_lt_i32_e32 vcc, 0, v10
	v_max_i32_e32 v72, s82, v11
	s_and_b64 s[24:25], s[78:79], vcc
	s_and_saveexec_b64 s[90:91], s[24:25]
	s_cbranch_execz .LBB27_1348
; %bb.717:                              ;   in Loop: Header=BB27_47 Depth=1
	v_lshl_add_u64 v[8:9], v[8:9], 0, v[62:63]
	s_mov_b32 s87, 1
	s_mov_b64 s[94:95], -1
	v_mov_b32_e32 v74, 0
	s_mov_b64 s[92:93], 0
	v_lshlrev_b64 v[76:77], 1, v[8:9]
	s_branch .LBB27_719
.LBB27_718:                             ;   in Loop: Header=BB27_719 Depth=2
	s_or_b64 exec, exec, s[24:25]
	v_add_u32_e32 v74, v72, v74
	v_cmp_ge_i32_e32 vcc, v74, v124
	s_xor_b64 s[24:25], s[94:95], -1
	s_or_b64 s[24:25], s[24:25], vcc
	s_and_b64 s[24:25], exec, s[24:25]
	s_or_b64 s[92:93], s[24:25], s[92:93]
	s_mov_b64 s[94:95], 0
	v_mov_b32_e32 v2, s87
	s_mov_b32 s87, 2
	s_andn2_b64 exec, exec, s[92:93]
	s_cbranch_execz .LBB27_1423
.LBB27_719:                             ;   Parent Loop BB27_47 Depth=1
                                        ; =>  This Loop Header: Depth=2
                                        ;       Child Loop BB27_727 Depth 3
                                        ;       Child Loop BB27_755 Depth 3
	;; [unrolled: 1-line block ×9, first 2 shown]
                                        ;         Child Loop BB27_969 Depth 4
                                        ;       Child Loop BB27_977 Depth 3
                                        ;       Child Loop BB27_1045 Depth 3
                                        ;         Child Loop BB27_1050 Depth 4
                                        ;       Child Loop BB27_1314 Depth 3
                                        ;       Child Loop BB27_1333 Depth 3
	s_and_saveexec_b64 s[24:25], s[0:1]
	s_cbranch_execz .LBB27_721
; %bb.720:                              ;   in Loop: Header=BB27_719 Depth=2
	s_trap 2
	ds_read2_b64 v[8:11], v0 offset1:1
	ds_read_b64 v[12:13], v0
	v_ashrrev_i32_e32 v75, 31, v74
	v_lshlrev_b64 v[14:15], 1, v[74:75]
	s_waitcnt lgkmcnt(0)
	v_lshl_add_u64 v[8:9], v[8:9], 0, v[76:77]
	v_lshl_add_u64 v[8:9], v[8:9], 0, v[14:15]
	ds_write_b64 v0, v[8:9]
	v_lshl_add_u64 v[8:9], v[10:11], 0, v[76:77]
	v_lshl_add_u64 v[8:9], v[8:9], 0, v[14:15]
	ds_write_b64 v0, v[8:9]
	v_lshl_add_u64 v[8:9], v[12:13], 0, v[76:77]
	v_lshl_add_u64 v[8:9], v[8:9], 0, v[14:15]
	v_cmp_ne_u64_e32 vcc, 0, v[12:13]
	s_nop 1
	v_cndmask_b32_e32 v9, 0, v9, vcc
	v_cndmask_b32_e32 v8, 0, v8, vcc
	ds_write_b64 v0, v[8:9]
.LBB27_721:                             ;   in Loop: Header=BB27_719 Depth=2
	s_or_b64 exec, exec, s[24:25]
	v_sub_u32_e32 v2, v124, v74
	v_min_i32_e32 v72, v72, v2
	v_and_b32_e32 v2, 12, v108
	v_cmp_ne_u32_e32 vcc, 0, v2
	s_and_saveexec_b64 s[26:27], vcc
	s_cbranch_execz .LBB27_747
; %bb.722:                              ;   in Loop: Header=BB27_719 Depth=2
	v_and_b32_e32 v2, 8, v108
	s_waitcnt vmcnt(0) lgkmcnt(0)
	v_lshl_add_u64 v[10:11], v[80:81], 0, v[2:3]
	v_lshl_add_u64 v[8:9], v[58:59], 0, 2
	v_cmp_lt_u64_e32 vcc, v[10:11], v[8:9]
	s_and_saveexec_b64 s[28:29], vcc
	s_cbranch_execz .LBB27_734
; %bb.723:                              ;   in Loop: Header=BB27_719 Depth=2
	v_and_b32_e32 v10, 64, v108
	s_mov_b32 s46, 0
	v_cmp_eq_u32_e32 vcc, 0, v10
	s_mov_b64 s[40:41], 0
                                        ; implicit-def: $sgpr30_sgpr31
                                        ; implicit-def: $sgpr34_sgpr35
                                        ; implicit-def: $sgpr36_sgpr37
	s_branch .LBB27_727
.LBB27_724:                             ;   in Loop: Header=BB27_727 Depth=3
	s_waitcnt vmcnt(0) lgkmcnt(0)
	v_lshl_add_u64 v[12:13], v[80:81], 0, v[2:3]
	v_cmp_ge_u64_e64 s[24:25], v[12:13], v[8:9]
	s_or_b64 s[50:51], s[50:51], exec
	s_orn2_b64 s[48:49], s[24:25], exec
.LBB27_725:                             ;   in Loop: Header=BB27_727 Depth=3
	s_or_b64 exec, exec, s[54:55]
	s_andn2_b64 s[24:25], s[36:37], exec
	s_and_b64 s[36:37], s[50:51], exec
	s_or_b64 s[36:37], s[24:25], s[36:37]
	s_andn2_b64 s[24:25], s[34:35], exec
	s_and_b64 s[34:35], s[48:49], exec
	s_or_b64 s[34:35], s[24:25], s[34:35]
.LBB27_726:                             ;   in Loop: Header=BB27_727 Depth=3
	s_or_b64 exec, exec, s[38:39]
	s_and_b64 s[24:25], exec, s[34:35]
	s_or_b64 s[40:41], s[24:25], s[40:41]
	s_andn2_b64 s[24:25], s[30:31], exec
	s_and_b64 s[30:31], s[36:37], exec
	s_or_b64 s[30:31], s[24:25], s[30:31]
	s_andn2_b64 exec, exec, s[40:41]
	s_cbranch_execz .LBB27_731
.LBB27_727:                             ;   Parent Loop BB27_47 Depth=1
                                        ;     Parent Loop BB27_719 Depth=2
                                        ; =>    This Inner Loop Header: Depth=3
	s_sleep 1
	s_waitcnt vmcnt(0) lgkmcnt(0)
	flat_load_dwordx2 v[80:81], v[64:65] sc0 sc1
	s_or_b64 s[36:37], s[36:37], exec
	s_or_b64 s[34:35], s[34:35], exec
                                        ; implicit-def: $vgpr10
	s_and_saveexec_b64 s[38:39], vcc
	s_cbranch_execz .LBB27_726
; %bb.728:                              ;   in Loop: Header=BB27_727 Depth=3
	s_cmpk_lt_i32 s46, 0x270f
	s_cselect_b64 s[52:53], -1, 0
	s_cmpk_gt_i32 s46, 0x270e
	s_mov_b64 s[48:49], -1
	s_cbranch_scc0 .LBB27_730
; %bb.729:                              ;   in Loop: Header=BB27_727 Depth=3
	s_trap 2
	ds_read_b64 v[10:11], v0
	s_andn2_b64 s[52:53], s[52:53], exec
	s_mov_b32 s46, 0
	s_mov_b64 s[50:51], 0
	s_waitcnt vmcnt(0) lgkmcnt(0)
	flat_load_dword v10, v[10:11] sc0 sc1
	s_waitcnt vmcnt(0) lgkmcnt(0)
	buffer_inv sc0 sc1
	v_cmp_eq_u32_e64 s[24:25], 0, v10
	s_and_b64 s[24:25], s[24:25], exec
	s_or_b64 s[52:53], s[52:53], s[24:25]
	s_and_saveexec_b64 s[54:55], s[52:53]
	s_cbranch_execz .LBB27_725
	s_branch .LBB27_724
.LBB27_730:                             ;   in Loop: Header=BB27_727 Depth=3
	s_add_i32 s46, s46, 1
	s_mov_b64 s[50:51], -1
                                        ; implicit-def: $vgpr10
	s_and_saveexec_b64 s[54:55], s[52:53]
	s_cbranch_execz .LBB27_725
	s_branch .LBB27_724
.LBB27_731:                             ;   in Loop: Header=BB27_719 Depth=2
	s_or_b64 exec, exec, s[40:41]
	s_xor_b64 s[24:25], s[30:31], -1
	s_and_saveexec_b64 s[40:41], s[24:25]
	s_xor_b64 s[24:25], exec, s[40:41]
	s_cbranch_execz .LBB27_733
; %bb.732:                              ;   in Loop: Header=BB27_719 Depth=2
	v_or_b32_e32 v108, 64, v108
	s_waitcnt lgkmcnt(0)
	ds_write_b32 v0, v10
	s_trap 2
.LBB27_733:                             ;   in Loop: Header=BB27_719 Depth=2
	s_or_b64 exec, exec, s[24:25]
.LBB27_734:                             ;   in Loop: Header=BB27_719 Depth=2
	s_or_b64 exec, exec, s[28:29]
	v_and_b32_e32 v10, 0x108, v108
	v_cmp_ne_u32_e32 vcc, s68, v10
	;;#ASMSTART
	s_wakeup
	;;#ASMEND
                                        ; implicit-def: $vgpr10_vgpr11
	s_and_saveexec_b64 s[24:25], vcc
	s_xor_b64 s[24:25], exec, s[24:25]
; %bb.735:                              ;   in Loop: Header=BB27_719 Depth=2
	v_and_b32_e32 v10, 7, v58
	v_mov_b32_e32 v11, v3
                                        ; implicit-def: $vgpr58_vgpr59
; %bb.736:                              ;   in Loop: Header=BB27_719 Depth=2
	s_andn2_saveexec_b64 s[24:25], s[24:25]
	s_cbranch_execz .LBB27_738
; %bb.737:                              ;   in Loop: Header=BB27_719 Depth=2
	v_and_b32_e32 v10, 7, v58
	v_ashrrev_i32_e32 v73, 31, v72
	v_mov_b32_e32 v11, v3
	v_mad_u64_u32 v[12:13], s[28:29], v10, 24, v[6:7]
	v_lshlrev_b64 v[14:15], 1, v[72:73]
	flat_store_dwordx2 v[12:13], v[14:15] offset:8
.LBB27_738:                             ;   in Loop: Header=BB27_719 Depth=2
	s_or_b64 exec, exec, s[24:25]
	v_and_b32_e32 v12, 0x100, v108
	v_cmp_ne_u32_e32 vcc, 0, v12
	s_mov_b64 s[24:25], -1
                                        ; implicit-def: $vgpr12_vgpr13
	s_and_saveexec_b64 s[28:29], vcc
	s_cbranch_execz .LBB27_742
; %bb.739:                              ;   in Loop: Header=BB27_719 Depth=2
	v_mad_u64_u32 v[14:15], s[24:25], v10, 24, v[6:7]
	v_mov_b32_e32 v12, v15
	v_mad_u64_u32 v[12:13], s[24:25], v11, 24, v[12:13]
	v_mov_b32_e32 v15, v12
	flat_load_dword v12, v[14:15]
	s_waitcnt vmcnt(0) lgkmcnt(0)
	v_cmp_ne_u32_e32 vcc, 1, v12
	v_cmp_eq_u32_e64 s[24:25], 1, v12
                                        ; implicit-def: $vgpr12_vgpr13
	s_and_saveexec_b64 s[40:41], s[24:25]
	s_cbranch_execz .LBB27_741
; %bb.740:                              ;   in Loop: Header=BB27_719 Depth=2
	flat_load_dword v12, v[14:15] offset:4 sc0 sc1
	s_waitcnt vmcnt(0) lgkmcnt(0)
	v_ashrrev_i32_e32 v13, 31, v12
	v_lshrrev_b64 v[12:13], 1, v[12:13]
.LBB27_741:                             ;   in Loop: Header=BB27_719 Depth=2
	s_or_b64 exec, exec, s[40:41]
	s_orn2_b64 s[24:25], vcc, exec
.LBB27_742:                             ;   in Loop: Header=BB27_719 Depth=2
	s_or_b64 exec, exec, s[28:29]
	s_and_saveexec_b64 s[28:29], s[24:25]
; %bb.743:                              ;   in Loop: Header=BB27_719 Depth=2
	v_mul_lo_u32 v11, v11, v30
	v_mul_lo_u32 v14, v10, v83
	v_mad_u64_u32 v[12:13], s[24:25], v10, v30, 0
	v_add3_u32 v13, v13, v14, v11
; %bb.744:                              ;   in Loop: Header=BB27_719 Depth=2
	s_or_b64 exec, exec, s[28:29]
	v_cmp_eq_u32_e32 vcc, 0, v2
	v_lshl_add_u64 v[10:11], v[12:13], 1, v[66:67]
	s_nop 0
	v_cndmask_b32_e32 v2, v122, v121, vcc
	v_add_u32_e32 v2, v0, v2
	ds_write_b64 v2, v[10:11] offset:584
	v_and_b32_e32 v2, 0x2000, v108
	v_cmp_ne_u32_e32 vcc, 0, v2
	s_and_saveexec_b64 s[24:25], vcc
	s_cbranch_execz .LBB27_746
; %bb.745:                              ;   in Loop: Header=BB27_719 Depth=2
	ds_read_b64 v[10:11], v0 offset:872
	s_waitcnt lgkmcnt(0)
	v_lshl_add_u64 v[10:11], v[10:11], 0, 1
	ds_write_b64 v0, v[10:11] offset:872
.LBB27_746:                             ;   in Loop: Header=BB27_719 Depth=2
	s_or_b64 exec, exec, s[24:25]
	v_mov_b64_e32 v[58:59], v[8:9]
.LBB27_747:                             ;   in Loop: Header=BB27_719 Depth=2
	s_or_b64 exec, exec, s[26:27]
	s_and_saveexec_b64 s[24:25], s[4:5]
	s_cbranch_execz .LBB27_766
; %bb.748:                              ;   in Loop: Header=BB27_719 Depth=2
	s_and_saveexec_b64 s[26:27], s[56:57]
	s_xor_b64 s[26:27], exec, s[26:27]
	s_cbranch_execz .LBB27_763
; %bb.749:                              ;   in Loop: Header=BB27_719 Depth=2
	s_and_saveexec_b64 s[28:29], s[12:13]
	s_cbranch_execz .LBB27_762
; %bb.750:                              ;   in Loop: Header=BB27_719 Depth=2
	s_mov_b64 s[30:31], exec
	v_mbcnt_lo_u32_b32 v2, s30, 0
	v_mbcnt_hi_u32_b32 v2, s31, v2
	v_cmp_eq_u32_e32 vcc, 0, v2
	s_waitcnt lgkmcnt(0)
	s_and_saveexec_b64 s[40:41], vcc
	s_cbranch_execz .LBB27_752
; %bb.751:                              ;   in Loop: Header=BB27_719 Depth=2
	s_bcnt1_i32_b64 s46, s[30:31]
	v_mov_b32_e32 v2, s46
	ds_add_u64 v0, v[2:3]
	s_trap 2
.LBB27_752:                             ;   in Loop: Header=BB27_719 Depth=2
	s_or_b64 exec, exec, s[40:41]
	s_trap 2
	ds_read_b64 v[8:9], v0
	s_waitcnt lgkmcnt(0)
	v_lshl_add_u64 v[70:71], v[70:71], 0, v[84:85]
	v_cmp_lt_u64_e32 vcc, v[8:9], v[70:71]
	s_and_saveexec_b64 s[40:41], vcc
	s_cbranch_execz .LBB27_761
; %bb.753:                              ;   in Loop: Header=BB27_719 Depth=2
	s_mov_b32 s46, 0
	s_mov_b64 s[30:31], 0
                                        ; implicit-def: $sgpr34_sgpr35
                                        ; implicit-def: $sgpr36_sgpr37
	s_branch .LBB27_755
.LBB27_754:                             ;   in Loop: Header=BB27_755 Depth=3
	s_or_b64 exec, exec, s[48:49]
	s_and_b64 vcc, exec, vcc
	s_or_b64 s[30:31], vcc, s[30:31]
	s_andn2_b64 vcc, s[34:35], exec
	s_and_b64 s[34:35], s[36:37], exec
	s_or_b64 s[34:35], vcc, s[34:35]
	s_andn2_b64 exec, exec, s[30:31]
	s_cbranch_execz .LBB27_759
.LBB27_755:                             ;   Parent Loop BB27_47 Depth=1
                                        ;     Parent Loop BB27_719 Depth=2
                                        ; =>    This Inner Loop Header: Depth=3
	s_add_i32 s46, s46, 1
	s_cmpk_lg_i32 s46, 0x2710
	s_cselect_b64 s[38:39], -1, 0
	s_and_b64 vcc, exec, s[38:39]
	s_cbranch_vccz .LBB27_757
; %bb.756:                              ;   in Loop: Header=BB27_755 Depth=3
	s_mov_b64 vcc, -1
	s_or_b64 s[36:37], s[36:37], exec
	s_and_saveexec_b64 s[48:49], s[38:39]
	s_cbranch_execz .LBB27_754
	s_branch .LBB27_758
.LBB27_757:                             ;   in Loop: Header=BB27_755 Depth=3
	s_trap 2
	ds_read_b64 v[8:9], v0
	s_andn2_b64 s[38:39], s[38:39], exec
	s_mov_b32 s46, 0
	s_waitcnt vmcnt(0) lgkmcnt(0)
	flat_load_dword v2, v[8:9] sc0 sc1
	s_waitcnt vmcnt(0) lgkmcnt(0)
	buffer_inv sc0 sc1
	v_cmp_eq_u32_e32 vcc, 0, v2
	s_and_b64 vcc, vcc, exec
	s_or_b64 s[38:39], s[38:39], vcc
	s_mov_b64 vcc, -1
	s_or_b64 s[36:37], s[36:37], exec
	s_and_saveexec_b64 s[48:49], s[38:39]
	s_cbranch_execz .LBB27_754
.LBB27_758:                             ;   in Loop: Header=BB27_755 Depth=3
	s_sleep 1
	s_trap 2
	ds_read_b64 v[8:9], v0
	s_waitcnt lgkmcnt(0)
	s_andn2_b64 s[36:37], s[36:37], exec
	v_cmp_ge_u64_e32 vcc, v[8:9], v[70:71]
	s_orn2_b64 vcc, vcc, exec
	s_branch .LBB27_754
.LBB27_759:                             ;   in Loop: Header=BB27_719 Depth=2
	s_or_b64 exec, exec, s[30:31]
	s_and_saveexec_b64 vcc, s[34:35]
	s_xor_b64 vcc, exec, vcc
	s_cbranch_execz .LBB27_761
; %bb.760:                              ;   in Loop: Header=BB27_719 Depth=2
	ds_write_b32 v0, v111
	s_trap 2
.LBB27_761:                             ;   in Loop: Header=BB27_719 Depth=2
	s_or_b64 exec, exec, s[40:41]
	;;#ASMSTART
	s_wakeup
	;;#ASMEND
.LBB27_762:                             ;   in Loop: Header=BB27_719 Depth=2
	s_or_b64 exec, exec, s[28:29]
.LBB27_763:                             ;   in Loop: Header=BB27_719 Depth=2
	s_andn2_saveexec_b64 s[26:27], s[26:27]
	s_cbranch_execz .LBB27_765
; %bb.764:                              ;   in Loop: Header=BB27_719 Depth=2
	s_waitcnt lgkmcnt(0)
	s_barrier
.LBB27_765:                             ;   in Loop: Header=BB27_719 Depth=2
	s_or_b64 exec, exec, s[26:27]
.LBB27_766:                             ;   in Loop: Header=BB27_719 Depth=2
	s_or_b64 exec, exec, s[24:25]
	s_trap 2
	ds_read_b32 v8, v0
	v_and_b32_e32 v2, 0x4000, v108
	v_cmp_ne_u32_e32 vcc, 0, v2
	s_xor_b64 s[24:25], s[2:3], -1
	s_and_b64 s[26:27], s[24:25], vcc
	s_and_saveexec_b64 s[24:25], s[26:27]
	s_cbranch_execz .LBB27_785
; %bb.767:                              ;   in Loop: Header=BB27_719 Depth=2
	s_and_saveexec_b64 s[26:27], s[56:57]
	s_xor_b64 s[26:27], exec, s[26:27]
	s_cbranch_execz .LBB27_782
; %bb.768:                              ;   in Loop: Header=BB27_719 Depth=2
	s_and_saveexec_b64 s[28:29], s[12:13]
	s_cbranch_execz .LBB27_781
; %bb.769:                              ;   in Loop: Header=BB27_719 Depth=2
	s_mov_b64 s[30:31], exec
	v_mbcnt_lo_u32_b32 v2, s30, 0
	v_mbcnt_hi_u32_b32 v2, s31, v2
	v_cmp_eq_u32_e32 vcc, 0, v2
	s_waitcnt lgkmcnt(0)
	s_and_saveexec_b64 s[40:41], vcc
	s_cbranch_execz .LBB27_771
; %bb.770:                              ;   in Loop: Header=BB27_719 Depth=2
	s_bcnt1_i32_b64 s46, s[30:31]
	v_mov_b32_e32 v2, s46
	ds_add_u64 v0, v[2:3]
	s_trap 2
.LBB27_771:                             ;   in Loop: Header=BB27_719 Depth=2
	s_or_b64 exec, exec, s[40:41]
	s_trap 2
	ds_read_b64 v[10:11], v0
	s_waitcnt lgkmcnt(0)
	v_lshl_add_u64 v[70:71], v[70:71], 0, v[84:85]
	v_cmp_lt_u64_e32 vcc, v[10:11], v[70:71]
	s_and_saveexec_b64 s[40:41], vcc
	s_cbranch_execz .LBB27_780
; %bb.772:                              ;   in Loop: Header=BB27_719 Depth=2
	s_mov_b32 s46, 0
	s_mov_b64 s[30:31], 0
                                        ; implicit-def: $sgpr34_sgpr35
                                        ; implicit-def: $sgpr36_sgpr37
	s_branch .LBB27_774
.LBB27_773:                             ;   in Loop: Header=BB27_774 Depth=3
	s_or_b64 exec, exec, s[48:49]
	s_and_b64 vcc, exec, vcc
	s_or_b64 s[30:31], vcc, s[30:31]
	s_andn2_b64 vcc, s[34:35], exec
	s_and_b64 s[34:35], s[36:37], exec
	s_or_b64 s[34:35], vcc, s[34:35]
	s_andn2_b64 exec, exec, s[30:31]
	s_cbranch_execz .LBB27_778
.LBB27_774:                             ;   Parent Loop BB27_47 Depth=1
                                        ;     Parent Loop BB27_719 Depth=2
                                        ; =>    This Inner Loop Header: Depth=3
	s_add_i32 s46, s46, 1
	s_cmpk_lg_i32 s46, 0x2710
	s_cselect_b64 s[38:39], -1, 0
	s_and_b64 vcc, exec, s[38:39]
	s_cbranch_vccz .LBB27_776
; %bb.775:                              ;   in Loop: Header=BB27_774 Depth=3
	s_mov_b64 vcc, -1
	s_or_b64 s[36:37], s[36:37], exec
	s_and_saveexec_b64 s[48:49], s[38:39]
	s_cbranch_execz .LBB27_773
	s_branch .LBB27_777
.LBB27_776:                             ;   in Loop: Header=BB27_774 Depth=3
	s_trap 2
	ds_read_b64 v[10:11], v0
	s_andn2_b64 s[38:39], s[38:39], exec
	s_mov_b32 s46, 0
	s_waitcnt vmcnt(0) lgkmcnt(0)
	flat_load_dword v2, v[10:11] sc0 sc1
	s_waitcnt vmcnt(0) lgkmcnt(0)
	buffer_inv sc0 sc1
	v_cmp_eq_u32_e32 vcc, 0, v2
	s_and_b64 vcc, vcc, exec
	s_or_b64 s[38:39], s[38:39], vcc
	s_mov_b64 vcc, -1
	s_or_b64 s[36:37], s[36:37], exec
	s_and_saveexec_b64 s[48:49], s[38:39]
	s_cbranch_execz .LBB27_773
.LBB27_777:                             ;   in Loop: Header=BB27_774 Depth=3
	s_sleep 1
	s_trap 2
	ds_read_b64 v[10:11], v0
	s_waitcnt lgkmcnt(0)
	s_andn2_b64 s[36:37], s[36:37], exec
	v_cmp_ge_u64_e32 vcc, v[10:11], v[70:71]
	s_orn2_b64 vcc, vcc, exec
	s_branch .LBB27_773
.LBB27_778:                             ;   in Loop: Header=BB27_719 Depth=2
	s_or_b64 exec, exec, s[30:31]
	s_and_saveexec_b64 vcc, s[34:35]
	s_xor_b64 vcc, exec, vcc
	s_cbranch_execz .LBB27_780
; %bb.779:                              ;   in Loop: Header=BB27_719 Depth=2
	ds_write_b32 v0, v111
	s_trap 2
.LBB27_780:                             ;   in Loop: Header=BB27_719 Depth=2
	s_or_b64 exec, exec, s[40:41]
	;;#ASMSTART
	s_wakeup
	;;#ASMEND
.LBB27_781:                             ;   in Loop: Header=BB27_719 Depth=2
	s_or_b64 exec, exec, s[28:29]
.LBB27_782:                             ;   in Loop: Header=BB27_719 Depth=2
	s_andn2_saveexec_b64 s[26:27], s[26:27]
	s_cbranch_execz .LBB27_784
; %bb.783:                              ;   in Loop: Header=BB27_719 Depth=2
	s_waitcnt lgkmcnt(0)
	s_barrier
.LBB27_784:                             ;   in Loop: Header=BB27_719 Depth=2
	s_or_b64 exec, exec, s[26:27]
.LBB27_785:                             ;   in Loop: Header=BB27_719 Depth=2
	s_or_b64 exec, exec, s[24:25]
	s_trap 2
	ds_read_b64 v[78:79], v0
	s_waitcnt lgkmcnt(0)
	v_cmp_eq_u64_e32 vcc, 0, v[78:79]
	s_cbranch_vccnz .LBB27_794
; %bb.786:                              ;   in Loop: Header=BB27_719 Depth=2
	s_trap 2
	ds_read_b64 v[88:89], v0
	s_waitcnt lgkmcnt(0)
	v_cmp_eq_u64_e32 vcc, 0, v[88:89]
	s_cbranch_vccnz .LBB27_794
; %bb.787:                              ;   in Loop: Header=BB27_719 Depth=2
	s_trap 2
	ds_read_b64 v[90:91], v0
	v_cmp_eq_u32_e32 vcc, 0, v8
	s_waitcnt lgkmcnt(0)
	v_readfirstlane_b32 s50, v90
	v_cndmask_b32_e32 v2, 0, v72, vcc
	v_cmp_ne_u64_e32 vcc, 0, v[90:91]
	v_lshlrev_b32_e32 v73, 1, v2
	s_cbranch_vccz .LBB27_799
; %bb.788:                              ;   in Loop: Header=BB27_719 Depth=2
	s_mov_b64 s[26:27], -1
	s_and_saveexec_b64 s[24:25], s[18:19]
	s_cbranch_execz .LBB27_790
; %bb.789:                              ;   in Loop: Header=BB27_719 Depth=2
	ds_read_b32 v8, v0 offset:720
	s_waitcnt lgkmcnt(0)
	v_and_b32_e32 v8, 15, v8
	v_cmp_eq_u32_e32 vcc, 0, v8
	s_orn2_b64 s[26:27], vcc, exec
.LBB27_790:                             ;   in Loop: Header=BB27_719 Depth=2
	s_or_b64 exec, exec, s[24:25]
	s_and_saveexec_b64 s[24:25], s[18:19]
	s_cbranch_execz .LBB27_792
; %bb.791:                              ;   in Loop: Header=BB27_719 Depth=2
	ds_read_b32 v8, v0 offset:784
	s_waitcnt lgkmcnt(0)
	v_and_b32_e32 v8, 15, v8
	v_cmp_eq_u32_e32 vcc, 0, v8
	s_and_b64 s[28:29], s[26:27], vcc
	s_andn2_b64 s[26:27], s[26:27], exec
	s_and_b64 s[28:29], s[28:29], exec
	s_or_b64 s[26:27], s[26:27], s[28:29]
.LBB27_792:                             ;   in Loop: Header=BB27_719 Depth=2
	s_or_b64 exec, exec, s[24:25]
	s_xor_b64 s[26:27], s[26:27], -1
	v_cndmask_b32_e64 v8, 0, 1, s[26:27]
	s_mov_b64 s[24:25], -1
	v_mov_b32_e32 v16, 0
	v_cmp_ne_u32_e32 vcc, 0, v8
	v_mov_b32_e32 v17, v73
	v_mov_b32_e32 v18, v0
	s_cbranch_vccz .LBB27_801
; %bb.793:                              ;   in Loop: Header=BB27_719 Depth=2
	s_and_saveexec_b64 s[40:41], s[24:25]
	s_cbranch_execnz .LBB27_974
	s_branch .LBB27_1052
.LBB27_794:                             ;   in Loop: Header=BB27_719 Depth=2
	s_mov_b64 s[24:25], 0
	s_and_saveexec_b64 s[26:27], s[4:5]
	s_cbranch_execnz .LBB27_1307
.LBB27_795:                             ;   in Loop: Header=BB27_719 Depth=2
	s_or_b64 exec, exec, s[26:27]
                                        ; implicit-def: $vgpr2
	s_and_saveexec_b64 s[26:27], s[20:21]
	s_xor_b64 s[26:27], exec, s[26:27]
	s_cbranch_execz .LBB27_1325
.LBB27_796:                             ;   in Loop: Header=BB27_719 Depth=2
	v_and_b32_e32 v8, 16, v108
	v_cmp_ne_u32_e32 vcc, 0, v8
	v_and_b32_e32 v2, 16, v108
	s_and_b64 s[28:29], vcc, s[24:25]
	s_and_saveexec_b64 s[24:25], s[28:29]
	s_cbranch_execz .LBB27_798
; %bb.797:                              ;   in Loop: Header=BB27_719 Depth=2
	v_mov_b32_e32 v2, 1
	buffer_wbl2 sc1
	s_waitcnt vmcnt(0) lgkmcnt(0)
	buffer_inv sc1
.LBB27_798:                             ;   in Loop: Header=BB27_719 Depth=2
	s_or_b64 exec, exec, s[24:25]
	s_andn2_saveexec_b64 s[24:25], s[26:27]
	s_cbranch_execz .LBB27_1344
	s_branch .LBB27_1326
.LBB27_799:                             ;   in Loop: Header=BB27_719 Depth=2
	s_cbranch_execnz .LBB27_1053
.LBB27_800:                             ;   in Loop: Header=BB27_719 Depth=2
	v_cmp_lt_i32_e64 s[24:25], 0, v2
	s_and_saveexec_b64 s[26:27], s[4:5]
	s_cbranch_execnz .LBB27_1307
	s_branch .LBB27_795
.LBB27_801:                             ;   in Loop: Header=BB27_719 Depth=2
	v_ashrrev_i32_e32 v8, 31, v73
	v_lshrrev_b32_e32 v8, 20, v8
	v_add_u32_e32 v8, v73, v8
	v_ashrrev_i32_e32 v125, 12, v8
	v_sub_u32_e32 v75, v125, v110
	v_cmp_lt_i32_e32 vcc, 0, v75
	s_and_saveexec_b64 s[26:27], vcc
	s_cbranch_execz .LBB27_933
; %bb.802:                              ;   in Loop: Header=BB27_719 Depth=2
	s_trap 2
	ds_read_b64 v[8:9], v0
	s_and_b32 s46, s50, 1
	s_cmp_eq_u64 s[46:47], 0
	v_lshl_add_u64 v[92:93], v[88:89], 0, v[114:115]
	v_lshl_add_u64 v[94:95], v[90:91], 0, v[114:115]
	;; [unrolled: 1-line block ×3, first 2 shown]
	s_waitcnt lgkmcnt(0)
	v_lshl_add_u64 v[106:107], v[8:9], 0, v[114:115]
	s_mov_b64 s[28:29], 0
	s_cselect_b64 vcc, -1, 0
	s_branch .LBB27_804
.LBB27_803:                             ;   in Loop: Header=BB27_804 Depth=3
	s_or_b64 exec, exec, s[40:41]
	v_lshrrev_b32_e32 v15, 16, v20
	v_and_or_b32 v17, v17, s86, v15
	v_lshrrev_b32_e32 v15, 16, v35
	v_and_or_b32 v16, v16, s86, v15
	;; [unrolled: 2-line block ×9, first 2 shown]
	v_lshrrev_b32_e32 v15, 16, v126
	v_lshrrev_b32_e32 v12, 16, v12
	v_and_or_b32 v32, v36, s86, v15
	v_lshrrev_b32_e32 v15, 16, v49
	v_and_or_b32 v9, v9, s86, v12
	;; [unrolled: 2-line block ×4, first 2 shown]
	v_lshrrev_b32_e32 v12, 16, v13
	v_sub_u32_e32 v75, v75, v84
	v_and_or_b32 v35, v39, s86, v15
	v_and_or_b32 v10, v10, s86, v12
	v_lshrrev_b32_e32 v12, 16, v14
	v_cmp_gt_i32_e64 s[24:25], 1, v75
	v_and_or_b32 v11, v11, s86, v12
	global_store_dwordx4 v[92:93], v[32:35], off
	global_store_dwordx4 v[92:93], v[24:27], off offset:1024
	global_store_dwordx4 v[92:93], v[16:19], off offset:2048
	;; [unrolled: 1-line block ×3, first 2 shown]
	global_store_dwordx4 v[94:95], v[32:35], off
	global_store_dwordx4 v[94:95], v[24:27], off offset:1024
	global_store_dwordx4 v[94:95], v[16:19], off offset:2048
	;; [unrolled: 1-line block ×3, first 2 shown]
	v_lshl_add_u64 v[104:105], v[104:105], 0, v[116:117]
	v_lshl_add_u64 v[106:107], v[106:107], 0, v[116:117]
	;; [unrolled: 1-line block ×3, first 2 shown]
	s_or_b64 s[28:29], s[24:25], s[28:29]
	v_lshl_add_u64 v[94:95], v[94:95], 0, v[116:117]
	s_andn2_b64 exec, exec, s[28:29]
	s_cbranch_execz .LBB27_932
.LBB27_804:                             ;   Parent Loop BB27_47 Depth=1
                                        ;     Parent Loop BB27_719 Depth=2
                                        ; =>    This Inner Loop Header: Depth=3
	global_load_dwordx4 v[36:39], v[104:105], off nt
	global_load_dwordx4 v[48:51], v[106:107], off nt
	global_load_dwordx4 v[24:27], v[104:105], off offset:1024 nt
	global_load_dwordx4 v[16:19], v[104:105], off offset:2048 nt
	;; [unrolled: 1-line block ×6, first 2 shown]
                                        ; implicit-def: $vgpr126
	s_waitcnt vmcnt(0)
	v_lshlrev_b32_e32 v52, 16, v36
	v_lshlrev_b32_e32 v53, 16, v48
	v_max_f32_e32 v53, v53, v53
	v_max_f32_e32 v52, v52, v52
	v_min_f32_e32 v82, v52, v53
	v_max_f32_e32 v52, v52, v53
	v_cndmask_b32_e32 v52, v52, v82, vcc
	v_and_b32_e32 v53, 0x7f800000, v52
	v_cmp_ne_u32_e64 s[24:25], s69, v53
	s_and_saveexec_b64 s[40:41], s[24:25]
	s_xor_b64 s[24:25], exec, s[40:41]
; %bb.805:                              ;   in Loop: Header=BB27_804 Depth=3
	v_bfe_u32 v53, v52, 16, 1
	v_add3_u32 v126, v52, v53, s70
                                        ; implicit-def: $vgpr52
; %bb.806:                              ;   in Loop: Header=BB27_804 Depth=3
	s_andn2_saveexec_b64 s[40:41], s[24:25]
; %bb.807:                              ;   in Loop: Header=BB27_804 Depth=3
	v_or_b32_e32 v53, 0x10000, v52
	v_cmp_eq_u32_sdwa s[24:25], v52, v3 src0_sel:WORD_0 src1_sel:DWORD
	s_nop 1
	v_cndmask_b32_e64 v126, v53, v52, s[24:25]
; %bb.808:                              ;   in Loop: Header=BB27_804 Depth=3
	s_or_b64 exec, exec, s[40:41]
	v_and_b32_e32 v36, 0xffff0000, v36
	v_and_b32_e32 v48, 0xffff0000, v48
	v_max_f32_e32 v48, v48, v48
	v_max_f32_e32 v36, v36, v36
	v_min_f32_e32 v52, v36, v48
	v_max_f32_e32 v36, v36, v48
	v_cndmask_b32_e32 v48, v36, v52, vcc
	v_and_b32_e32 v36, 0x7f800000, v48
	v_cmp_ne_u32_e64 s[24:25], s69, v36
                                        ; implicit-def: $vgpr36
	s_and_saveexec_b64 s[40:41], s[24:25]
	s_xor_b64 s[24:25], exec, s[40:41]
; %bb.809:                              ;   in Loop: Header=BB27_804 Depth=3
	v_bfe_u32 v36, v48, 16, 1
	v_add3_u32 v36, v48, v36, s70
                                        ; implicit-def: $vgpr48
; %bb.810:                              ;   in Loop: Header=BB27_804 Depth=3
	s_andn2_saveexec_b64 s[40:41], s[24:25]
; %bb.811:                              ;   in Loop: Header=BB27_804 Depth=3
	v_or_b32_e32 v36, 0x10000, v48
	v_cmp_eq_u32_sdwa s[24:25], v48, v3 src0_sel:WORD_0 src1_sel:DWORD
	s_nop 1
	v_cndmask_b32_e64 v36, v36, v48, s[24:25]
; %bb.812:                              ;   in Loop: Header=BB27_804 Depth=3
	s_or_b64 exec, exec, s[40:41]
	v_lshlrev_b32_e32 v48, 16, v37
	v_lshlrev_b32_e32 v52, 16, v49
	v_max_f32_e32 v52, v52, v52
	v_max_f32_e32 v48, v48, v48
	v_min_f32_e32 v53, v48, v52
	v_max_f32_e32 v48, v48, v52
	v_cndmask_b32_e32 v52, v48, v53, vcc
	v_and_b32_e32 v48, 0x7f800000, v52
	v_cmp_ne_u32_e64 s[24:25], s69, v48
                                        ; implicit-def: $vgpr48
	s_and_saveexec_b64 s[40:41], s[24:25]
	s_xor_b64 s[24:25], exec, s[40:41]
; %bb.813:                              ;   in Loop: Header=BB27_804 Depth=3
	v_bfe_u32 v48, v52, 16, 1
	v_add3_u32 v48, v52, v48, s70
                                        ; implicit-def: $vgpr52
; %bb.814:                              ;   in Loop: Header=BB27_804 Depth=3
	s_andn2_saveexec_b64 s[40:41], s[24:25]
; %bb.815:                              ;   in Loop: Header=BB27_804 Depth=3
	v_or_b32_e32 v48, 0x10000, v52
	v_cmp_eq_u32_sdwa s[24:25], v52, v3 src0_sel:WORD_0 src1_sel:DWORD
	s_nop 1
	v_cndmask_b32_e64 v48, v48, v52, s[24:25]
; %bb.816:                              ;   in Loop: Header=BB27_804 Depth=3
	s_or_b64 exec, exec, s[40:41]
	v_and_b32_e32 v37, 0xffff0000, v37
	v_and_b32_e32 v49, 0xffff0000, v49
	v_max_f32_e32 v49, v49, v49
	v_max_f32_e32 v37, v37, v37
	v_min_f32_e32 v52, v37, v49
	v_max_f32_e32 v37, v37, v49
	v_cndmask_b32_e32 v49, v37, v52, vcc
	v_and_b32_e32 v37, 0x7f800000, v49
	v_cmp_ne_u32_e64 s[24:25], s69, v37
                                        ; implicit-def: $vgpr37
	s_and_saveexec_b64 s[40:41], s[24:25]
	s_xor_b64 s[24:25], exec, s[40:41]
; %bb.817:                              ;   in Loop: Header=BB27_804 Depth=3
	v_bfe_u32 v37, v49, 16, 1
	v_add3_u32 v37, v49, v37, s70
                                        ; implicit-def: $vgpr49
; %bb.818:                              ;   in Loop: Header=BB27_804 Depth=3
	s_andn2_saveexec_b64 s[40:41], s[24:25]
; %bb.819:                              ;   in Loop: Header=BB27_804 Depth=3
	v_or_b32_e32 v37, 0x10000, v49
	v_cmp_eq_u32_sdwa s[24:25], v49, v3 src0_sel:WORD_0 src1_sel:DWORD
	s_nop 1
	v_cndmask_b32_e64 v37, v37, v49, s[24:25]
; %bb.820:                              ;   in Loop: Header=BB27_804 Depth=3
	s_or_b64 exec, exec, s[40:41]
	v_lshlrev_b32_e32 v49, 16, v38
	v_lshlrev_b32_e32 v52, 16, v50
	v_max_f32_e32 v52, v52, v52
	v_max_f32_e32 v49, v49, v49
	v_min_f32_e32 v53, v49, v52
	v_max_f32_e32 v49, v49, v52
	v_cndmask_b32_e32 v52, v49, v53, vcc
	v_and_b32_e32 v49, 0x7f800000, v52
	v_cmp_ne_u32_e64 s[24:25], s69, v49
                                        ; implicit-def: $vgpr49
	s_and_saveexec_b64 s[40:41], s[24:25]
	s_xor_b64 s[24:25], exec, s[40:41]
; %bb.821:                              ;   in Loop: Header=BB27_804 Depth=3
	v_bfe_u32 v49, v52, 16, 1
	v_add3_u32 v49, v52, v49, s70
                                        ; implicit-def: $vgpr52
; %bb.822:                              ;   in Loop: Header=BB27_804 Depth=3
	s_andn2_saveexec_b64 s[40:41], s[24:25]
; %bb.823:                              ;   in Loop: Header=BB27_804 Depth=3
	v_or_b32_e32 v49, 0x10000, v52
	v_cmp_eq_u32_sdwa s[24:25], v52, v3 src0_sel:WORD_0 src1_sel:DWORD
	s_nop 1
	v_cndmask_b32_e64 v49, v49, v52, s[24:25]
; %bb.824:                              ;   in Loop: Header=BB27_804 Depth=3
	s_or_b64 exec, exec, s[40:41]
	v_and_b32_e32 v38, 0xffff0000, v38
	v_and_b32_e32 v50, 0xffff0000, v50
	v_max_f32_e32 v50, v50, v50
	v_max_f32_e32 v38, v38, v38
	v_min_f32_e32 v52, v38, v50
	v_max_f32_e32 v38, v38, v50
	v_cndmask_b32_e32 v50, v38, v52, vcc
	v_and_b32_e32 v38, 0x7f800000, v50
	v_cmp_ne_u32_e64 s[24:25], s69, v38
                                        ; implicit-def: $vgpr38
	s_and_saveexec_b64 s[40:41], s[24:25]
	s_xor_b64 s[24:25], exec, s[40:41]
; %bb.825:                              ;   in Loop: Header=BB27_804 Depth=3
	v_bfe_u32 v38, v50, 16, 1
	v_add3_u32 v38, v50, v38, s70
                                        ; implicit-def: $vgpr50
; %bb.826:                              ;   in Loop: Header=BB27_804 Depth=3
	s_andn2_saveexec_b64 s[40:41], s[24:25]
; %bb.827:                              ;   in Loop: Header=BB27_804 Depth=3
	v_or_b32_e32 v38, 0x10000, v50
	v_cmp_eq_u32_sdwa s[24:25], v50, v3 src0_sel:WORD_0 src1_sel:DWORD
	s_nop 1
	v_cndmask_b32_e64 v38, v38, v50, s[24:25]
; %bb.828:                              ;   in Loop: Header=BB27_804 Depth=3
	s_or_b64 exec, exec, s[40:41]
	v_lshlrev_b32_e32 v50, 16, v39
	v_lshlrev_b32_e32 v52, 16, v51
	v_max_f32_e32 v52, v52, v52
	v_max_f32_e32 v50, v50, v50
	v_min_f32_e32 v53, v50, v52
	v_max_f32_e32 v50, v50, v52
	v_cndmask_b32_e32 v52, v50, v53, vcc
	v_and_b32_e32 v50, 0x7f800000, v52
	v_cmp_ne_u32_e64 s[24:25], s69, v50
                                        ; implicit-def: $vgpr50
	s_and_saveexec_b64 s[40:41], s[24:25]
	s_xor_b64 s[24:25], exec, s[40:41]
; %bb.829:                              ;   in Loop: Header=BB27_804 Depth=3
	v_bfe_u32 v50, v52, 16, 1
	v_add3_u32 v50, v52, v50, s70
                                        ; implicit-def: $vgpr52
; %bb.830:                              ;   in Loop: Header=BB27_804 Depth=3
	s_andn2_saveexec_b64 s[40:41], s[24:25]
; %bb.831:                              ;   in Loop: Header=BB27_804 Depth=3
	v_or_b32_e32 v50, 0x10000, v52
	v_cmp_eq_u32_sdwa s[24:25], v52, v3 src0_sel:WORD_0 src1_sel:DWORD
	s_nop 1
	v_cndmask_b32_e64 v50, v50, v52, s[24:25]
; %bb.832:                              ;   in Loop: Header=BB27_804 Depth=3
	s_or_b64 exec, exec, s[40:41]
	v_and_b32_e32 v39, 0xffff0000, v39
	v_and_b32_e32 v51, 0xffff0000, v51
	v_max_f32_e32 v51, v51, v51
	v_max_f32_e32 v39, v39, v39
	v_min_f32_e32 v52, v39, v51
	v_max_f32_e32 v39, v39, v51
	v_cndmask_b32_e32 v51, v39, v52, vcc
	v_and_b32_e32 v39, 0x7f800000, v51
	v_cmp_ne_u32_e64 s[24:25], s69, v39
                                        ; implicit-def: $vgpr39
	s_and_saveexec_b64 s[40:41], s[24:25]
	s_xor_b64 s[24:25], exec, s[40:41]
; %bb.833:                              ;   in Loop: Header=BB27_804 Depth=3
	v_bfe_u32 v39, v51, 16, 1
	v_add3_u32 v39, v51, v39, s70
                                        ; implicit-def: $vgpr51
; %bb.834:                              ;   in Loop: Header=BB27_804 Depth=3
	s_andn2_saveexec_b64 s[40:41], s[24:25]
; %bb.835:                              ;   in Loop: Header=BB27_804 Depth=3
	v_or_b32_e32 v39, 0x10000, v51
	v_cmp_eq_u32_sdwa s[24:25], v51, v3 src0_sel:WORD_0 src1_sel:DWORD
	s_nop 1
	v_cndmask_b32_e64 v39, v39, v51, s[24:25]
; %bb.836:                              ;   in Loop: Header=BB27_804 Depth=3
	s_or_b64 exec, exec, s[40:41]
	v_lshlrev_b32_e32 v51, 16, v24
	v_lshlrev_b32_e32 v52, 16, v32
	v_max_f32_e32 v52, v52, v52
	v_max_f32_e32 v51, v51, v51
	v_min_f32_e32 v53, v51, v52
	v_max_f32_e32 v51, v51, v52
	v_cndmask_b32_e32 v52, v51, v53, vcc
	v_and_b32_e32 v51, 0x7f800000, v52
	v_cmp_ne_u32_e64 s[24:25], s69, v51
                                        ; implicit-def: $vgpr51
	s_and_saveexec_b64 s[40:41], s[24:25]
	s_xor_b64 s[24:25], exec, s[40:41]
; %bb.837:                              ;   in Loop: Header=BB27_804 Depth=3
	v_bfe_u32 v51, v52, 16, 1
	v_add3_u32 v51, v52, v51, s70
                                        ; implicit-def: $vgpr52
; %bb.838:                              ;   in Loop: Header=BB27_804 Depth=3
	s_andn2_saveexec_b64 s[40:41], s[24:25]
; %bb.839:                              ;   in Loop: Header=BB27_804 Depth=3
	v_or_b32_e32 v51, 0x10000, v52
	v_cmp_eq_u32_sdwa s[24:25], v52, v3 src0_sel:WORD_0 src1_sel:DWORD
	s_nop 1
	v_cndmask_b32_e64 v51, v51, v52, s[24:25]
; %bb.840:                              ;   in Loop: Header=BB27_804 Depth=3
	s_or_b64 exec, exec, s[40:41]
	v_and_b32_e32 v24, 0xffff0000, v24
	v_and_b32_e32 v32, 0xffff0000, v32
	v_max_f32_e32 v32, v32, v32
	v_max_f32_e32 v24, v24, v24
	v_min_f32_e32 v52, v24, v32
	v_max_f32_e32 v24, v24, v32
	v_cndmask_b32_e32 v32, v24, v52, vcc
	v_and_b32_e32 v24, 0x7f800000, v32
	v_cmp_ne_u32_e64 s[24:25], s69, v24
                                        ; implicit-def: $vgpr24
	s_and_saveexec_b64 s[40:41], s[24:25]
	s_xor_b64 s[24:25], exec, s[40:41]
; %bb.841:                              ;   in Loop: Header=BB27_804 Depth=3
	v_bfe_u32 v24, v32, 16, 1
	v_add3_u32 v24, v32, v24, s70
                                        ; implicit-def: $vgpr32
; %bb.842:                              ;   in Loop: Header=BB27_804 Depth=3
	s_andn2_saveexec_b64 s[40:41], s[24:25]
; %bb.843:                              ;   in Loop: Header=BB27_804 Depth=3
	v_or_b32_e32 v24, 0x10000, v32
	v_cmp_eq_u32_sdwa s[24:25], v32, v3 src0_sel:WORD_0 src1_sel:DWORD
	s_nop 1
	v_cndmask_b32_e64 v24, v24, v32, s[24:25]
; %bb.844:                              ;   in Loop: Header=BB27_804 Depth=3
	s_or_b64 exec, exec, s[40:41]
	v_lshlrev_b32_e32 v32, 16, v25
	v_lshlrev_b32_e32 v52, 16, v33
	v_max_f32_e32 v52, v52, v52
	v_max_f32_e32 v32, v32, v32
	v_min_f32_e32 v53, v32, v52
	v_max_f32_e32 v32, v32, v52
	v_cndmask_b32_e32 v52, v32, v53, vcc
	v_and_b32_e32 v32, 0x7f800000, v52
	v_cmp_ne_u32_e64 s[24:25], s69, v32
                                        ; implicit-def: $vgpr32
	s_and_saveexec_b64 s[40:41], s[24:25]
	s_xor_b64 s[24:25], exec, s[40:41]
; %bb.845:                              ;   in Loop: Header=BB27_804 Depth=3
	v_bfe_u32 v32, v52, 16, 1
	v_add3_u32 v32, v52, v32, s70
                                        ; implicit-def: $vgpr52
; %bb.846:                              ;   in Loop: Header=BB27_804 Depth=3
	s_andn2_saveexec_b64 s[40:41], s[24:25]
; %bb.847:                              ;   in Loop: Header=BB27_804 Depth=3
	v_or_b32_e32 v32, 0x10000, v52
	v_cmp_eq_u32_sdwa s[24:25], v52, v3 src0_sel:WORD_0 src1_sel:DWORD
	s_nop 1
	v_cndmask_b32_e64 v32, v32, v52, s[24:25]
; %bb.848:                              ;   in Loop: Header=BB27_804 Depth=3
	s_or_b64 exec, exec, s[40:41]
	v_and_b32_e32 v25, 0xffff0000, v25
	v_and_b32_e32 v33, 0xffff0000, v33
	v_max_f32_e32 v33, v33, v33
	v_max_f32_e32 v25, v25, v25
	v_min_f32_e32 v52, v25, v33
	v_max_f32_e32 v25, v25, v33
	v_cndmask_b32_e32 v33, v25, v52, vcc
	v_and_b32_e32 v25, 0x7f800000, v33
	v_cmp_ne_u32_e64 s[24:25], s69, v25
                                        ; implicit-def: $vgpr25
	s_and_saveexec_b64 s[40:41], s[24:25]
	s_xor_b64 s[24:25], exec, s[40:41]
; %bb.849:                              ;   in Loop: Header=BB27_804 Depth=3
	v_bfe_u32 v25, v33, 16, 1
	v_add3_u32 v25, v33, v25, s70
                                        ; implicit-def: $vgpr33
; %bb.850:                              ;   in Loop: Header=BB27_804 Depth=3
	s_andn2_saveexec_b64 s[40:41], s[24:25]
; %bb.851:                              ;   in Loop: Header=BB27_804 Depth=3
	v_or_b32_e32 v25, 0x10000, v33
	v_cmp_eq_u32_sdwa s[24:25], v33, v3 src0_sel:WORD_0 src1_sel:DWORD
	s_nop 1
	v_cndmask_b32_e64 v25, v25, v33, s[24:25]
; %bb.852:                              ;   in Loop: Header=BB27_804 Depth=3
	s_or_b64 exec, exec, s[40:41]
	v_lshlrev_b32_e32 v33, 16, v26
	v_lshlrev_b32_e32 v52, 16, v34
	v_max_f32_e32 v52, v52, v52
	v_max_f32_e32 v33, v33, v33
	v_min_f32_e32 v53, v33, v52
	v_max_f32_e32 v33, v33, v52
	v_cndmask_b32_e32 v52, v33, v53, vcc
	v_and_b32_e32 v33, 0x7f800000, v52
	v_cmp_ne_u32_e64 s[24:25], s69, v33
                                        ; implicit-def: $vgpr33
	s_and_saveexec_b64 s[40:41], s[24:25]
	s_xor_b64 s[24:25], exec, s[40:41]
; %bb.853:                              ;   in Loop: Header=BB27_804 Depth=3
	v_bfe_u32 v33, v52, 16, 1
	v_add3_u32 v33, v52, v33, s70
                                        ; implicit-def: $vgpr52
; %bb.854:                              ;   in Loop: Header=BB27_804 Depth=3
	s_andn2_saveexec_b64 s[40:41], s[24:25]
; %bb.855:                              ;   in Loop: Header=BB27_804 Depth=3
	v_or_b32_e32 v33, 0x10000, v52
	v_cmp_eq_u32_sdwa s[24:25], v52, v3 src0_sel:WORD_0 src1_sel:DWORD
	s_nop 1
	v_cndmask_b32_e64 v33, v33, v52, s[24:25]
; %bb.856:                              ;   in Loop: Header=BB27_804 Depth=3
	s_or_b64 exec, exec, s[40:41]
	v_and_b32_e32 v26, 0xffff0000, v26
	v_and_b32_e32 v34, 0xffff0000, v34
	v_max_f32_e32 v34, v34, v34
	v_max_f32_e32 v26, v26, v26
	v_min_f32_e32 v52, v26, v34
	v_max_f32_e32 v26, v26, v34
	v_cndmask_b32_e32 v34, v26, v52, vcc
	v_and_b32_e32 v26, 0x7f800000, v34
	v_cmp_ne_u32_e64 s[24:25], s69, v26
                                        ; implicit-def: $vgpr26
	s_and_saveexec_b64 s[40:41], s[24:25]
	s_xor_b64 s[24:25], exec, s[40:41]
; %bb.857:                              ;   in Loop: Header=BB27_804 Depth=3
	v_bfe_u32 v26, v34, 16, 1
	v_add3_u32 v26, v34, v26, s70
                                        ; implicit-def: $vgpr34
; %bb.858:                              ;   in Loop: Header=BB27_804 Depth=3
	s_andn2_saveexec_b64 s[40:41], s[24:25]
; %bb.859:                              ;   in Loop: Header=BB27_804 Depth=3
	v_or_b32_e32 v26, 0x10000, v34
	v_cmp_eq_u32_sdwa s[24:25], v34, v3 src0_sel:WORD_0 src1_sel:DWORD
	s_nop 1
	v_cndmask_b32_e64 v26, v26, v34, s[24:25]
; %bb.860:                              ;   in Loop: Header=BB27_804 Depth=3
	s_or_b64 exec, exec, s[40:41]
	v_lshlrev_b32_e32 v34, 16, v27
	v_lshlrev_b32_e32 v52, 16, v35
	v_max_f32_e32 v52, v52, v52
	v_max_f32_e32 v34, v34, v34
	v_min_f32_e32 v53, v34, v52
	v_max_f32_e32 v34, v34, v52
	v_cndmask_b32_e32 v52, v34, v53, vcc
	v_and_b32_e32 v34, 0x7f800000, v52
	v_cmp_ne_u32_e64 s[24:25], s69, v34
                                        ; implicit-def: $vgpr34
	s_and_saveexec_b64 s[40:41], s[24:25]
	s_xor_b64 s[24:25], exec, s[40:41]
; %bb.861:                              ;   in Loop: Header=BB27_804 Depth=3
	v_bfe_u32 v34, v52, 16, 1
	v_add3_u32 v34, v52, v34, s70
                                        ; implicit-def: $vgpr52
; %bb.862:                              ;   in Loop: Header=BB27_804 Depth=3
	s_andn2_saveexec_b64 s[40:41], s[24:25]
; %bb.863:                              ;   in Loop: Header=BB27_804 Depth=3
	v_or_b32_e32 v34, 0x10000, v52
	v_cmp_eq_u32_sdwa s[24:25], v52, v3 src0_sel:WORD_0 src1_sel:DWORD
	s_nop 1
	v_cndmask_b32_e64 v34, v34, v52, s[24:25]
; %bb.864:                              ;   in Loop: Header=BB27_804 Depth=3
	s_or_b64 exec, exec, s[40:41]
	v_and_b32_e32 v27, 0xffff0000, v27
	v_and_b32_e32 v35, 0xffff0000, v35
	v_max_f32_e32 v35, v35, v35
	v_max_f32_e32 v27, v27, v27
	v_min_f32_e32 v52, v27, v35
	v_max_f32_e32 v27, v27, v35
	v_cndmask_b32_e32 v35, v27, v52, vcc
	v_and_b32_e32 v27, 0x7f800000, v35
	v_cmp_ne_u32_e64 s[24:25], s69, v27
                                        ; implicit-def: $vgpr27
	s_and_saveexec_b64 s[40:41], s[24:25]
	s_xor_b64 s[24:25], exec, s[40:41]
; %bb.865:                              ;   in Loop: Header=BB27_804 Depth=3
	v_bfe_u32 v27, v35, 16, 1
	v_add3_u32 v27, v35, v27, s70
                                        ; implicit-def: $vgpr35
; %bb.866:                              ;   in Loop: Header=BB27_804 Depth=3
	s_andn2_saveexec_b64 s[40:41], s[24:25]
; %bb.867:                              ;   in Loop: Header=BB27_804 Depth=3
	v_or_b32_e32 v27, 0x10000, v35
	v_cmp_eq_u32_sdwa s[24:25], v35, v3 src0_sel:WORD_0 src1_sel:DWORD
	s_nop 1
	v_cndmask_b32_e64 v27, v27, v35, s[24:25]
; %bb.868:                              ;   in Loop: Header=BB27_804 Depth=3
	s_or_b64 exec, exec, s[40:41]
	v_lshlrev_b32_e32 v35, 16, v16
	v_lshlrev_b32_e32 v52, 16, v20
	v_max_f32_e32 v52, v52, v52
	v_max_f32_e32 v35, v35, v35
	v_min_f32_e32 v53, v35, v52
	v_max_f32_e32 v35, v35, v52
	v_cndmask_b32_e32 v52, v35, v53, vcc
	v_and_b32_e32 v35, 0x7f800000, v52
	v_cmp_ne_u32_e64 s[24:25], s69, v35
                                        ; implicit-def: $vgpr35
	s_and_saveexec_b64 s[40:41], s[24:25]
	s_xor_b64 s[24:25], exec, s[40:41]
; %bb.869:                              ;   in Loop: Header=BB27_804 Depth=3
	v_bfe_u32 v35, v52, 16, 1
	v_add3_u32 v35, v52, v35, s70
                                        ; implicit-def: $vgpr52
; %bb.870:                              ;   in Loop: Header=BB27_804 Depth=3
	s_andn2_saveexec_b64 s[40:41], s[24:25]
; %bb.871:                              ;   in Loop: Header=BB27_804 Depth=3
	v_or_b32_e32 v35, 0x10000, v52
	v_cmp_eq_u32_sdwa s[24:25], v52, v3 src0_sel:WORD_0 src1_sel:DWORD
	s_nop 1
	v_cndmask_b32_e64 v35, v35, v52, s[24:25]
; %bb.872:                              ;   in Loop: Header=BB27_804 Depth=3
	s_or_b64 exec, exec, s[40:41]
	v_and_b32_e32 v16, 0xffff0000, v16
	v_and_b32_e32 v20, 0xffff0000, v20
	v_max_f32_e32 v20, v20, v20
	v_max_f32_e32 v16, v16, v16
	v_min_f32_e32 v52, v16, v20
	v_max_f32_e32 v16, v16, v20
	v_cndmask_b32_e32 v20, v16, v52, vcc
	v_and_b32_e32 v16, 0x7f800000, v20
	v_cmp_ne_u32_e64 s[24:25], s69, v16
                                        ; implicit-def: $vgpr16
	s_and_saveexec_b64 s[40:41], s[24:25]
	s_xor_b64 s[24:25], exec, s[40:41]
; %bb.873:                              ;   in Loop: Header=BB27_804 Depth=3
	v_bfe_u32 v16, v20, 16, 1
	v_add3_u32 v16, v20, v16, s70
                                        ; implicit-def: $vgpr20
; %bb.874:                              ;   in Loop: Header=BB27_804 Depth=3
	s_andn2_saveexec_b64 s[40:41], s[24:25]
; %bb.875:                              ;   in Loop: Header=BB27_804 Depth=3
	v_or_b32_e32 v16, 0x10000, v20
	v_cmp_eq_u32_sdwa s[24:25], v20, v3 src0_sel:WORD_0 src1_sel:DWORD
	s_nop 1
	v_cndmask_b32_e64 v16, v16, v20, s[24:25]
; %bb.876:                              ;   in Loop: Header=BB27_804 Depth=3
	s_or_b64 exec, exec, s[40:41]
	v_lshlrev_b32_e32 v20, 16, v17
	v_lshlrev_b32_e32 v52, 16, v21
	v_max_f32_e32 v52, v52, v52
	v_max_f32_e32 v20, v20, v20
	v_min_f32_e32 v53, v20, v52
	v_max_f32_e32 v20, v20, v52
	v_cndmask_b32_e32 v52, v20, v53, vcc
	v_and_b32_e32 v20, 0x7f800000, v52
	v_cmp_ne_u32_e64 s[24:25], s69, v20
                                        ; implicit-def: $vgpr20
	s_and_saveexec_b64 s[40:41], s[24:25]
	s_xor_b64 s[24:25], exec, s[40:41]
; %bb.877:                              ;   in Loop: Header=BB27_804 Depth=3
	v_bfe_u32 v20, v52, 16, 1
	v_add3_u32 v20, v52, v20, s70
                                        ; implicit-def: $vgpr52
; %bb.878:                              ;   in Loop: Header=BB27_804 Depth=3
	s_andn2_saveexec_b64 s[40:41], s[24:25]
; %bb.879:                              ;   in Loop: Header=BB27_804 Depth=3
	v_or_b32_e32 v20, 0x10000, v52
	v_cmp_eq_u32_sdwa s[24:25], v52, v3 src0_sel:WORD_0 src1_sel:DWORD
	s_nop 1
	v_cndmask_b32_e64 v20, v20, v52, s[24:25]
; %bb.880:                              ;   in Loop: Header=BB27_804 Depth=3
	s_or_b64 exec, exec, s[40:41]
	v_and_b32_e32 v17, 0xffff0000, v17
	v_and_b32_e32 v21, 0xffff0000, v21
	v_max_f32_e32 v21, v21, v21
	v_max_f32_e32 v17, v17, v17
	v_min_f32_e32 v52, v17, v21
	v_max_f32_e32 v17, v17, v21
	v_cndmask_b32_e32 v21, v17, v52, vcc
	v_and_b32_e32 v17, 0x7f800000, v21
	v_cmp_ne_u32_e64 s[24:25], s69, v17
                                        ; implicit-def: $vgpr17
	s_and_saveexec_b64 s[40:41], s[24:25]
	s_xor_b64 s[24:25], exec, s[40:41]
; %bb.881:                              ;   in Loop: Header=BB27_804 Depth=3
	v_bfe_u32 v17, v21, 16, 1
	v_add3_u32 v17, v21, v17, s70
                                        ; implicit-def: $vgpr21
; %bb.882:                              ;   in Loop: Header=BB27_804 Depth=3
	s_andn2_saveexec_b64 s[40:41], s[24:25]
; %bb.883:                              ;   in Loop: Header=BB27_804 Depth=3
	v_or_b32_e32 v17, 0x10000, v21
	v_cmp_eq_u32_sdwa s[24:25], v21, v3 src0_sel:WORD_0 src1_sel:DWORD
	s_nop 1
	v_cndmask_b32_e64 v17, v17, v21, s[24:25]
; %bb.884:                              ;   in Loop: Header=BB27_804 Depth=3
	s_or_b64 exec, exec, s[40:41]
	v_lshlrev_b32_e32 v21, 16, v18
	v_lshlrev_b32_e32 v52, 16, v22
	v_max_f32_e32 v52, v52, v52
	v_max_f32_e32 v21, v21, v21
	v_min_f32_e32 v53, v21, v52
	v_max_f32_e32 v21, v21, v52
	v_cndmask_b32_e32 v52, v21, v53, vcc
	v_and_b32_e32 v21, 0x7f800000, v52
	v_cmp_ne_u32_e64 s[24:25], s69, v21
                                        ; implicit-def: $vgpr21
	s_and_saveexec_b64 s[40:41], s[24:25]
	s_xor_b64 s[24:25], exec, s[40:41]
; %bb.885:                              ;   in Loop: Header=BB27_804 Depth=3
	v_bfe_u32 v21, v52, 16, 1
	v_add3_u32 v21, v52, v21, s70
                                        ; implicit-def: $vgpr52
; %bb.886:                              ;   in Loop: Header=BB27_804 Depth=3
	s_andn2_saveexec_b64 s[40:41], s[24:25]
; %bb.887:                              ;   in Loop: Header=BB27_804 Depth=3
	v_or_b32_e32 v21, 0x10000, v52
	v_cmp_eq_u32_sdwa s[24:25], v52, v3 src0_sel:WORD_0 src1_sel:DWORD
	s_nop 1
	v_cndmask_b32_e64 v21, v21, v52, s[24:25]
; %bb.888:                              ;   in Loop: Header=BB27_804 Depth=3
	s_or_b64 exec, exec, s[40:41]
	v_and_b32_e32 v18, 0xffff0000, v18
	v_and_b32_e32 v22, 0xffff0000, v22
	v_max_f32_e32 v22, v22, v22
	v_max_f32_e32 v18, v18, v18
	v_min_f32_e32 v52, v18, v22
	v_max_f32_e32 v18, v18, v22
	v_cndmask_b32_e32 v22, v18, v52, vcc
	v_and_b32_e32 v18, 0x7f800000, v22
	v_cmp_ne_u32_e64 s[24:25], s69, v18
                                        ; implicit-def: $vgpr18
	s_and_saveexec_b64 s[40:41], s[24:25]
	s_xor_b64 s[24:25], exec, s[40:41]
; %bb.889:                              ;   in Loop: Header=BB27_804 Depth=3
	v_bfe_u32 v18, v22, 16, 1
	v_add3_u32 v18, v22, v18, s70
                                        ; implicit-def: $vgpr22
; %bb.890:                              ;   in Loop: Header=BB27_804 Depth=3
	s_andn2_saveexec_b64 s[40:41], s[24:25]
; %bb.891:                              ;   in Loop: Header=BB27_804 Depth=3
	v_or_b32_e32 v18, 0x10000, v22
	v_cmp_eq_u32_sdwa s[24:25], v22, v3 src0_sel:WORD_0 src1_sel:DWORD
	s_nop 1
	v_cndmask_b32_e64 v18, v18, v22, s[24:25]
; %bb.892:                              ;   in Loop: Header=BB27_804 Depth=3
	s_or_b64 exec, exec, s[40:41]
	v_lshlrev_b32_e32 v22, 16, v19
	v_lshlrev_b32_e32 v52, 16, v23
	v_max_f32_e32 v52, v52, v52
	v_max_f32_e32 v22, v22, v22
	v_min_f32_e32 v53, v22, v52
	v_max_f32_e32 v22, v22, v52
	v_cndmask_b32_e32 v52, v22, v53, vcc
	v_and_b32_e32 v22, 0x7f800000, v52
	v_cmp_ne_u32_e64 s[24:25], s69, v22
                                        ; implicit-def: $vgpr22
	s_and_saveexec_b64 s[40:41], s[24:25]
	s_xor_b64 s[24:25], exec, s[40:41]
; %bb.893:                              ;   in Loop: Header=BB27_804 Depth=3
	v_bfe_u32 v22, v52, 16, 1
	v_add3_u32 v22, v52, v22, s70
                                        ; implicit-def: $vgpr52
; %bb.894:                              ;   in Loop: Header=BB27_804 Depth=3
	s_andn2_saveexec_b64 s[40:41], s[24:25]
; %bb.895:                              ;   in Loop: Header=BB27_804 Depth=3
	v_or_b32_e32 v22, 0x10000, v52
	v_cmp_eq_u32_sdwa s[24:25], v52, v3 src0_sel:WORD_0 src1_sel:DWORD
	s_nop 1
	v_cndmask_b32_e64 v22, v22, v52, s[24:25]
; %bb.896:                              ;   in Loop: Header=BB27_804 Depth=3
	s_or_b64 exec, exec, s[40:41]
	v_and_b32_e32 v19, 0xffff0000, v19
	v_and_b32_e32 v23, 0xffff0000, v23
	v_max_f32_e32 v23, v23, v23
	v_max_f32_e32 v19, v19, v19
	v_min_f32_e32 v52, v19, v23
	v_max_f32_e32 v19, v19, v23
	v_cndmask_b32_e32 v23, v19, v52, vcc
	v_and_b32_e32 v19, 0x7f800000, v23
	v_cmp_ne_u32_e64 s[24:25], s69, v19
                                        ; implicit-def: $vgpr19
	s_and_saveexec_b64 s[40:41], s[24:25]
	s_xor_b64 s[24:25], exec, s[40:41]
; %bb.897:                              ;   in Loop: Header=BB27_804 Depth=3
	v_bfe_u32 v19, v23, 16, 1
	v_add3_u32 v19, v23, v19, s70
                                        ; implicit-def: $vgpr23
; %bb.898:                              ;   in Loop: Header=BB27_804 Depth=3
	s_andn2_saveexec_b64 s[40:41], s[24:25]
; %bb.899:                              ;   in Loop: Header=BB27_804 Depth=3
	v_or_b32_e32 v19, 0x10000, v23
	v_cmp_eq_u32_sdwa s[24:25], v23, v3 src0_sel:WORD_0 src1_sel:DWORD
	s_nop 1
	v_cndmask_b32_e64 v19, v19, v23, s[24:25]
; %bb.900:                              ;   in Loop: Header=BB27_804 Depth=3
	s_or_b64 exec, exec, s[40:41]
	v_lshlrev_b32_e32 v23, 16, v8
	v_lshlrev_b32_e32 v52, 16, v12
	v_max_f32_e32 v52, v52, v52
	v_max_f32_e32 v23, v23, v23
	v_min_f32_e32 v53, v23, v52
	v_max_f32_e32 v23, v23, v52
	v_cndmask_b32_e32 v52, v23, v53, vcc
	v_and_b32_e32 v23, 0x7f800000, v52
	v_cmp_ne_u32_e64 s[24:25], s69, v23
                                        ; implicit-def: $vgpr23
	s_and_saveexec_b64 s[40:41], s[24:25]
	s_xor_b64 s[24:25], exec, s[40:41]
; %bb.901:                              ;   in Loop: Header=BB27_804 Depth=3
	v_bfe_u32 v23, v52, 16, 1
	v_add3_u32 v23, v52, v23, s70
                                        ; implicit-def: $vgpr52
; %bb.902:                              ;   in Loop: Header=BB27_804 Depth=3
	s_andn2_saveexec_b64 s[40:41], s[24:25]
; %bb.903:                              ;   in Loop: Header=BB27_804 Depth=3
	v_or_b32_e32 v23, 0x10000, v52
	v_cmp_eq_u32_sdwa s[24:25], v52, v3 src0_sel:WORD_0 src1_sel:DWORD
	s_nop 1
	v_cndmask_b32_e64 v23, v23, v52, s[24:25]
; %bb.904:                              ;   in Loop: Header=BB27_804 Depth=3
	s_or_b64 exec, exec, s[40:41]
	v_and_b32_e32 v8, 0xffff0000, v8
	v_and_b32_e32 v12, 0xffff0000, v12
	v_max_f32_e32 v12, v12, v12
	v_max_f32_e32 v8, v8, v8
	v_min_f32_e32 v52, v8, v12
	v_max_f32_e32 v8, v8, v12
	v_cndmask_b32_e32 v12, v8, v52, vcc
	v_and_b32_e32 v8, 0x7f800000, v12
	v_cmp_ne_u32_e64 s[24:25], s69, v8
                                        ; implicit-def: $vgpr8
	s_and_saveexec_b64 s[40:41], s[24:25]
	s_xor_b64 s[24:25], exec, s[40:41]
; %bb.905:                              ;   in Loop: Header=BB27_804 Depth=3
	v_bfe_u32 v8, v12, 16, 1
	v_add3_u32 v8, v12, v8, s70
                                        ; implicit-def: $vgpr12
; %bb.906:                              ;   in Loop: Header=BB27_804 Depth=3
	s_andn2_saveexec_b64 s[40:41], s[24:25]
; %bb.907:                              ;   in Loop: Header=BB27_804 Depth=3
	v_or_b32_e32 v8, 0x10000, v12
	v_cmp_eq_u32_sdwa s[24:25], v12, v3 src0_sel:WORD_0 src1_sel:DWORD
	s_nop 1
	v_cndmask_b32_e64 v8, v8, v12, s[24:25]
; %bb.908:                              ;   in Loop: Header=BB27_804 Depth=3
	s_or_b64 exec, exec, s[40:41]
	v_lshlrev_b32_e32 v12, 16, v9
	v_lshlrev_b32_e32 v52, 16, v13
	v_max_f32_e32 v52, v52, v52
	v_max_f32_e32 v12, v12, v12
	v_min_f32_e32 v53, v12, v52
	v_max_f32_e32 v12, v12, v52
	v_cndmask_b32_e32 v52, v12, v53, vcc
	v_and_b32_e32 v12, 0x7f800000, v52
	v_cmp_ne_u32_e64 s[24:25], s69, v12
                                        ; implicit-def: $vgpr12
	s_and_saveexec_b64 s[40:41], s[24:25]
	s_xor_b64 s[24:25], exec, s[40:41]
; %bb.909:                              ;   in Loop: Header=BB27_804 Depth=3
	v_bfe_u32 v12, v52, 16, 1
	v_add3_u32 v12, v52, v12, s70
                                        ; implicit-def: $vgpr52
; %bb.910:                              ;   in Loop: Header=BB27_804 Depth=3
	s_andn2_saveexec_b64 s[40:41], s[24:25]
; %bb.911:                              ;   in Loop: Header=BB27_804 Depth=3
	v_or_b32_e32 v12, 0x10000, v52
	v_cmp_eq_u32_sdwa s[24:25], v52, v3 src0_sel:WORD_0 src1_sel:DWORD
	s_nop 1
	v_cndmask_b32_e64 v12, v12, v52, s[24:25]
; %bb.912:                              ;   in Loop: Header=BB27_804 Depth=3
	s_or_b64 exec, exec, s[40:41]
	v_and_b32_e32 v9, 0xffff0000, v9
	v_and_b32_e32 v13, 0xffff0000, v13
	v_max_f32_e32 v13, v13, v13
	v_max_f32_e32 v9, v9, v9
	v_min_f32_e32 v52, v9, v13
	v_max_f32_e32 v9, v9, v13
	v_cndmask_b32_e32 v13, v9, v52, vcc
	v_and_b32_e32 v9, 0x7f800000, v13
	v_cmp_ne_u32_e64 s[24:25], s69, v9
                                        ; implicit-def: $vgpr9
	s_and_saveexec_b64 s[40:41], s[24:25]
	s_xor_b64 s[24:25], exec, s[40:41]
; %bb.913:                              ;   in Loop: Header=BB27_804 Depth=3
	v_bfe_u32 v9, v13, 16, 1
	v_add3_u32 v9, v13, v9, s70
                                        ; implicit-def: $vgpr13
; %bb.914:                              ;   in Loop: Header=BB27_804 Depth=3
	s_andn2_saveexec_b64 s[40:41], s[24:25]
; %bb.915:                              ;   in Loop: Header=BB27_804 Depth=3
	v_or_b32_e32 v9, 0x10000, v13
	v_cmp_eq_u32_sdwa s[24:25], v13, v3 src0_sel:WORD_0 src1_sel:DWORD
	s_nop 1
	v_cndmask_b32_e64 v9, v9, v13, s[24:25]
; %bb.916:                              ;   in Loop: Header=BB27_804 Depth=3
	s_or_b64 exec, exec, s[40:41]
	v_lshlrev_b32_e32 v13, 16, v10
	v_lshlrev_b32_e32 v52, 16, v14
	v_max_f32_e32 v52, v52, v52
	v_max_f32_e32 v13, v13, v13
	v_min_f32_e32 v53, v13, v52
	v_max_f32_e32 v13, v13, v52
	v_cndmask_b32_e32 v52, v13, v53, vcc
	v_and_b32_e32 v13, 0x7f800000, v52
	v_cmp_ne_u32_e64 s[24:25], s69, v13
                                        ; implicit-def: $vgpr13
	s_and_saveexec_b64 s[40:41], s[24:25]
	s_xor_b64 s[24:25], exec, s[40:41]
; %bb.917:                              ;   in Loop: Header=BB27_804 Depth=3
	v_bfe_u32 v13, v52, 16, 1
	v_add3_u32 v13, v52, v13, s70
                                        ; implicit-def: $vgpr52
; %bb.918:                              ;   in Loop: Header=BB27_804 Depth=3
	s_andn2_saveexec_b64 s[40:41], s[24:25]
; %bb.919:                              ;   in Loop: Header=BB27_804 Depth=3
	v_or_b32_e32 v13, 0x10000, v52
	v_cmp_eq_u32_sdwa s[24:25], v52, v3 src0_sel:WORD_0 src1_sel:DWORD
	s_nop 1
	v_cndmask_b32_e64 v13, v13, v52, s[24:25]
; %bb.920:                              ;   in Loop: Header=BB27_804 Depth=3
	s_or_b64 exec, exec, s[40:41]
	v_and_b32_e32 v10, 0xffff0000, v10
	v_and_b32_e32 v14, 0xffff0000, v14
	v_max_f32_e32 v14, v14, v14
	v_max_f32_e32 v10, v10, v10
	v_min_f32_e32 v52, v10, v14
	v_max_f32_e32 v10, v10, v14
	v_cndmask_b32_e32 v14, v10, v52, vcc
	v_and_b32_e32 v10, 0x7f800000, v14
	v_cmp_ne_u32_e64 s[24:25], s69, v10
                                        ; implicit-def: $vgpr10
	s_and_saveexec_b64 s[40:41], s[24:25]
	s_xor_b64 s[24:25], exec, s[40:41]
; %bb.921:                              ;   in Loop: Header=BB27_804 Depth=3
	v_bfe_u32 v10, v14, 16, 1
	v_add3_u32 v10, v14, v10, s70
                                        ; implicit-def: $vgpr14
; %bb.922:                              ;   in Loop: Header=BB27_804 Depth=3
	s_andn2_saveexec_b64 s[40:41], s[24:25]
; %bb.923:                              ;   in Loop: Header=BB27_804 Depth=3
	v_or_b32_e32 v10, 0x10000, v14
	v_cmp_eq_u32_sdwa s[24:25], v14, v3 src0_sel:WORD_0 src1_sel:DWORD
	s_nop 1
	v_cndmask_b32_e64 v10, v10, v14, s[24:25]
; %bb.924:                              ;   in Loop: Header=BB27_804 Depth=3
	s_or_b64 exec, exec, s[40:41]
	v_lshlrev_b32_e32 v14, 16, v11
	v_lshlrev_b32_e32 v52, 16, v15
	v_max_f32_e32 v52, v52, v52
	v_max_f32_e32 v14, v14, v14
	v_min_f32_e32 v53, v14, v52
	v_max_f32_e32 v14, v14, v52
	v_cndmask_b32_e32 v52, v14, v53, vcc
	v_and_b32_e32 v14, 0x7f800000, v52
	v_cmp_ne_u32_e64 s[24:25], s69, v14
                                        ; implicit-def: $vgpr14
	s_and_saveexec_b64 s[40:41], s[24:25]
	s_xor_b64 s[24:25], exec, s[40:41]
; %bb.925:                              ;   in Loop: Header=BB27_804 Depth=3
	v_bfe_u32 v14, v52, 16, 1
	v_add3_u32 v14, v52, v14, s70
                                        ; implicit-def: $vgpr52
; %bb.926:                              ;   in Loop: Header=BB27_804 Depth=3
	s_andn2_saveexec_b64 s[40:41], s[24:25]
; %bb.927:                              ;   in Loop: Header=BB27_804 Depth=3
	v_or_b32_e32 v14, 0x10000, v52
	v_cmp_eq_u32_sdwa s[24:25], v52, v3 src0_sel:WORD_0 src1_sel:DWORD
	s_nop 1
	v_cndmask_b32_e64 v14, v14, v52, s[24:25]
; %bb.928:                              ;   in Loop: Header=BB27_804 Depth=3
	s_or_b64 exec, exec, s[40:41]
	v_and_b32_e32 v11, 0xffff0000, v11
	v_and_b32_e32 v15, 0xffff0000, v15
	v_max_f32_e32 v15, v15, v15
	v_max_f32_e32 v11, v11, v11
	v_min_f32_e32 v52, v11, v15
	v_max_f32_e32 v11, v11, v15
	v_cndmask_b32_e32 v15, v11, v52, vcc
	v_and_b32_e32 v11, 0x7f800000, v15
	v_cmp_ne_u32_e64 s[24:25], s69, v11
                                        ; implicit-def: $vgpr11
	s_and_saveexec_b64 s[40:41], s[24:25]
	s_xor_b64 s[24:25], exec, s[40:41]
; %bb.929:                              ;   in Loop: Header=BB27_804 Depth=3
	v_bfe_u32 v11, v15, 16, 1
	v_add3_u32 v11, v15, v11, s70
                                        ; implicit-def: $vgpr15
; %bb.930:                              ;   in Loop: Header=BB27_804 Depth=3
	s_andn2_saveexec_b64 s[40:41], s[24:25]
	s_cbranch_execz .LBB27_803
; %bb.931:                              ;   in Loop: Header=BB27_804 Depth=3
	v_or_b32_e32 v11, 0x10000, v15
	v_cmp_eq_u32_sdwa s[24:25], v15, v3 src0_sel:WORD_0 src1_sel:DWORD
	s_nop 1
	v_cndmask_b32_e64 v11, v11, v15, s[24:25]
	s_branch .LBB27_803
.LBB27_932:                             ;   in Loop: Header=BB27_719 Depth=2
	s_or_b64 exec, exec, s[28:29]
.LBB27_933:                             ;   in Loop: Header=BB27_719 Depth=2
	s_or_b64 exec, exec, s[26:27]
	v_lshlrev_b32_e32 v24, 12, v125
	v_cmp_ne_u32_e32 vcc, v73, v24
	s_mov_b64 s[24:25], 0
	v_mov_b32_e32 v16, 0
                                        ; implicit-def: $vgpr17
                                        ; implicit-def: $vgpr18
	s_and_saveexec_b64 s[30:31], vcc
	s_cbranch_execz .LBB27_973
; %bb.934:                              ;   in Loop: Header=BB27_719 Depth=2
	v_lshlrev_b32_e32 v8, 6, v75
	v_sub_u32_e32 v8, v109, v8
	v_ashrrev_i32_e32 v10, 31, v8
	v_lshrrev_b32_e32 v10, 26, v10
	v_add_u32_e32 v10, v8, v10
	v_sub_u32_e32 v9, v73, v24
	v_ashrrev_i32_e32 v11, 6, v10
	v_and_b32_e32 v10, 0xffffffc0, v10
	v_sub_u32_e32 v25, v8, v10
	v_ashrrev_i32_e32 v10, 31, v9
	v_lshrrev_b32_e32 v10, 22, v10
	v_add_u32_e32 v10, v9, v10
	v_and_b32_e32 v26, 0xfffffc00, v10
	v_lshlrev_b32_e32 v8, 4, v25
	v_sub_u32_e32 v27, v9, v26
	v_lshl_add_u32 v8, v11, 10, v8
	v_ashrrev_i32_e32 v12, 10, v10
	v_cmp_lt_i32_e64 s[24:25], 15, v27
	v_sub_u32_e32 v33, v9, v8
	s_nop 0
	v_addc_co_u32_e64 v9, vcc, 0, v12, s[24:25]
	v_sub_u32_e32 v32, v9, v11
	v_cmp_lt_i32_e32 vcc, 15, v33
	s_and_saveexec_b64 s[34:35], vcc
	s_cbranch_execz .LBB27_972
; %bb.935:                              ;   in Loop: Header=BB27_719 Depth=2
	s_trap 2
	ds_read_b64 v[10:11], v0
	v_add_u32_e32 v8, v8, v24
	s_and_b32 s46, s50, 1
	v_ashrrev_i32_e32 v9, 31, v8
	s_cmp_eq_u64 s[46:47], 0
	v_lshl_add_u64 v[16:17], v[8:9], 0, v[88:89]
	v_lshl_add_u64 v[18:19], v[8:9], 0, v[90:91]
	;; [unrolled: 1-line block ×3, first 2 shown]
	s_waitcnt lgkmcnt(0)
	v_lshl_add_u64 v[22:23], v[10:11], 0, v[8:9]
	s_mov_b64 s[36:37], 0
	s_cselect_b64 s[26:27], -1, 0
.LBB27_936:                             ;   Parent Loop BB27_47 Depth=1
                                        ;     Parent Loop BB27_719 Depth=2
                                        ; =>    This Loop Header: Depth=3
                                        ;         Child Loop BB27_969 Depth 4
	global_load_dwordx4 v[8:11], v[22:23], off nt
	global_load_dwordx4 v[12:15], v[20:21], off nt
	s_waitcnt vmcnt(0)
	v_lshlrev_b32_e32 v34, 16, v8
	v_lshlrev_b32_e32 v35, 16, v12
	v_max_f32_e32 v34, v34, v34
	v_max_f32_e32 v35, v35, v35
	v_min_f32_e32 v36, v35, v34
	v_max_f32_e32 v34, v35, v34
	v_cndmask_b32_e64 v35, v34, v36, s[26:27]
	v_and_b32_e32 v34, 0x7f800000, v35
	v_cmp_ne_u32_e32 vcc, s69, v34
                                        ; implicit-def: $vgpr34
	s_and_saveexec_b64 s[28:29], vcc
	s_xor_b64 s[28:29], exec, s[28:29]
; %bb.937:                              ;   in Loop: Header=BB27_936 Depth=3
	v_bfe_u32 v34, v35, 16, 1
	v_add3_u32 v34, v35, v34, s70
                                        ; implicit-def: $vgpr35
; %bb.938:                              ;   in Loop: Header=BB27_936 Depth=3
	s_andn2_saveexec_b64 s[28:29], s[28:29]
; %bb.939:                              ;   in Loop: Header=BB27_936 Depth=3
	v_or_b32_e32 v34, 0x10000, v35
	v_cmp_eq_u32_sdwa vcc, v35, v3 src0_sel:WORD_0 src1_sel:DWORD
	s_nop 1
	v_cndmask_b32_e32 v34, v34, v35, vcc
; %bb.940:                              ;   in Loop: Header=BB27_936 Depth=3
	s_or_b64 exec, exec, s[28:29]
	v_and_b32_e32 v8, 0xffff0000, v8
	v_and_b32_e32 v12, 0xffff0000, v12
	v_max_f32_e32 v8, v8, v8
	v_max_f32_e32 v12, v12, v12
	v_min_f32_e32 v35, v12, v8
	v_max_f32_e32 v8, v12, v8
	v_cndmask_b32_e64 v12, v8, v35, s[26:27]
	v_and_b32_e32 v8, 0x7f800000, v12
	v_cmp_ne_u32_e32 vcc, s69, v8
                                        ; implicit-def: $vgpr8
	s_and_saveexec_b64 s[28:29], vcc
	s_xor_b64 s[28:29], exec, s[28:29]
; %bb.941:                              ;   in Loop: Header=BB27_936 Depth=3
	v_bfe_u32 v8, v12, 16, 1
	v_add3_u32 v8, v12, v8, s70
                                        ; implicit-def: $vgpr12
; %bb.942:                              ;   in Loop: Header=BB27_936 Depth=3
	s_andn2_saveexec_b64 s[28:29], s[28:29]
; %bb.943:                              ;   in Loop: Header=BB27_936 Depth=3
	v_or_b32_e32 v8, 0x10000, v12
	v_cmp_eq_u32_sdwa vcc, v12, v3 src0_sel:WORD_0 src1_sel:DWORD
	s_nop 1
	v_cndmask_b32_e32 v8, v8, v12, vcc
; %bb.944:                              ;   in Loop: Header=BB27_936 Depth=3
	s_or_b64 exec, exec, s[28:29]
	v_lshlrev_b32_e32 v12, 16, v9
	v_lshlrev_b32_e32 v35, 16, v13
	v_max_f32_e32 v12, v12, v12
	v_max_f32_e32 v35, v35, v35
	v_min_f32_e32 v36, v35, v12
	v_max_f32_e32 v12, v35, v12
	v_cndmask_b32_e64 v35, v12, v36, s[26:27]
	v_and_b32_e32 v12, 0x7f800000, v35
	v_cmp_ne_u32_e32 vcc, s69, v12
                                        ; implicit-def: $vgpr12
	s_and_saveexec_b64 s[28:29], vcc
	s_xor_b64 s[28:29], exec, s[28:29]
; %bb.945:                              ;   in Loop: Header=BB27_936 Depth=3
	v_bfe_u32 v12, v35, 16, 1
	v_add3_u32 v12, v35, v12, s70
                                        ; implicit-def: $vgpr35
; %bb.946:                              ;   in Loop: Header=BB27_936 Depth=3
	s_andn2_saveexec_b64 s[28:29], s[28:29]
; %bb.947:                              ;   in Loop: Header=BB27_936 Depth=3
	v_or_b32_e32 v12, 0x10000, v35
	v_cmp_eq_u32_sdwa vcc, v35, v3 src0_sel:WORD_0 src1_sel:DWORD
	s_nop 1
	v_cndmask_b32_e32 v12, v12, v35, vcc
; %bb.948:                              ;   in Loop: Header=BB27_936 Depth=3
	s_or_b64 exec, exec, s[28:29]
	v_and_b32_e32 v13, 0xffff0000, v13
	v_and_b32_e32 v9, 0xffff0000, v9
	v_max_f32_e32 v9, v9, v9
	v_max_f32_e32 v13, v13, v13
	v_min_f32_e32 v35, v13, v9
	v_max_f32_e32 v9, v13, v9
	v_cndmask_b32_e64 v13, v9, v35, s[26:27]
	v_and_b32_e32 v9, 0x7f800000, v13
	v_cmp_ne_u32_e32 vcc, s69, v9
                                        ; implicit-def: $vgpr9
	s_and_saveexec_b64 s[28:29], vcc
	s_xor_b64 s[28:29], exec, s[28:29]
; %bb.949:                              ;   in Loop: Header=BB27_936 Depth=3
	v_bfe_u32 v9, v13, 16, 1
	v_add3_u32 v9, v13, v9, s70
                                        ; implicit-def: $vgpr13
; %bb.950:                              ;   in Loop: Header=BB27_936 Depth=3
	s_andn2_saveexec_b64 s[28:29], s[28:29]
; %bb.951:                              ;   in Loop: Header=BB27_936 Depth=3
	v_or_b32_e32 v9, 0x10000, v13
	v_cmp_eq_u32_sdwa vcc, v13, v3 src0_sel:WORD_0 src1_sel:DWORD
	s_nop 1
	v_cndmask_b32_e32 v9, v9, v13, vcc
; %bb.952:                              ;   in Loop: Header=BB27_936 Depth=3
	s_or_b64 exec, exec, s[28:29]
	v_lshlrev_b32_e32 v13, 16, v10
	v_lshlrev_b32_e32 v35, 16, v14
	v_max_f32_e32 v13, v13, v13
	v_max_f32_e32 v35, v35, v35
	v_min_f32_e32 v36, v35, v13
	v_max_f32_e32 v13, v35, v13
	v_cndmask_b32_e64 v35, v13, v36, s[26:27]
	v_and_b32_e32 v13, 0x7f800000, v35
	v_cmp_ne_u32_e32 vcc, s69, v13
                                        ; implicit-def: $vgpr13
	s_and_saveexec_b64 s[28:29], vcc
	s_xor_b64 s[28:29], exec, s[28:29]
; %bb.953:                              ;   in Loop: Header=BB27_936 Depth=3
	v_bfe_u32 v13, v35, 16, 1
	v_add3_u32 v13, v35, v13, s70
                                        ; implicit-def: $vgpr35
; %bb.954:                              ;   in Loop: Header=BB27_936 Depth=3
	s_andn2_saveexec_b64 s[28:29], s[28:29]
; %bb.955:                              ;   in Loop: Header=BB27_936 Depth=3
	v_or_b32_e32 v13, 0x10000, v35
	v_cmp_eq_u32_sdwa vcc, v35, v3 src0_sel:WORD_0 src1_sel:DWORD
	s_nop 1
	v_cndmask_b32_e32 v13, v13, v35, vcc
; %bb.956:                              ;   in Loop: Header=BB27_936 Depth=3
	s_or_b64 exec, exec, s[28:29]
	v_and_b32_e32 v14, 0xffff0000, v14
	v_and_b32_e32 v10, 0xffff0000, v10
	v_max_f32_e32 v10, v10, v10
	v_max_f32_e32 v14, v14, v14
	v_min_f32_e32 v35, v14, v10
	v_max_f32_e32 v10, v14, v10
	v_cndmask_b32_e64 v14, v10, v35, s[26:27]
	v_and_b32_e32 v10, 0x7f800000, v14
	v_cmp_ne_u32_e32 vcc, s69, v10
                                        ; implicit-def: $vgpr10
	s_and_saveexec_b64 s[28:29], vcc
	s_xor_b64 s[28:29], exec, s[28:29]
; %bb.957:                              ;   in Loop: Header=BB27_936 Depth=3
	v_bfe_u32 v10, v14, 16, 1
	v_add3_u32 v10, v14, v10, s70
                                        ; implicit-def: $vgpr14
; %bb.958:                              ;   in Loop: Header=BB27_936 Depth=3
	s_andn2_saveexec_b64 s[28:29], s[28:29]
; %bb.959:                              ;   in Loop: Header=BB27_936 Depth=3
	v_or_b32_e32 v10, 0x10000, v14
	v_cmp_eq_u32_sdwa vcc, v14, v3 src0_sel:WORD_0 src1_sel:DWORD
	s_nop 1
	v_cndmask_b32_e32 v10, v10, v14, vcc
; %bb.960:                              ;   in Loop: Header=BB27_936 Depth=3
	s_or_b64 exec, exec, s[28:29]
	v_lshlrev_b32_e32 v14, 16, v11
	v_lshlrev_b32_e32 v35, 16, v15
	v_max_f32_e32 v14, v14, v14
	v_max_f32_e32 v35, v35, v35
	v_min_f32_e32 v36, v35, v14
	v_max_f32_e32 v14, v35, v14
	v_cndmask_b32_e64 v35, v14, v36, s[26:27]
	v_and_b32_e32 v14, 0x7f800000, v35
	v_cmp_ne_u32_e32 vcc, s69, v14
                                        ; implicit-def: $vgpr14
	s_and_saveexec_b64 s[28:29], vcc
	s_xor_b64 s[28:29], exec, s[28:29]
; %bb.961:                              ;   in Loop: Header=BB27_936 Depth=3
	v_bfe_u32 v14, v35, 16, 1
	v_add3_u32 v14, v35, v14, s70
                                        ; implicit-def: $vgpr35
; %bb.962:                              ;   in Loop: Header=BB27_936 Depth=3
	s_andn2_saveexec_b64 s[28:29], s[28:29]
; %bb.963:                              ;   in Loop: Header=BB27_936 Depth=3
	v_or_b32_e32 v14, 0x10000, v35
	v_cmp_eq_u32_sdwa vcc, v35, v3 src0_sel:WORD_0 src1_sel:DWORD
	s_nop 1
	v_cndmask_b32_e32 v14, v14, v35, vcc
; %bb.964:                              ;   in Loop: Header=BB27_936 Depth=3
	s_or_b64 exec, exec, s[28:29]
	v_and_b32_e32 v15, 0xffff0000, v15
	v_and_b32_e32 v11, 0xffff0000, v11
	v_max_f32_e32 v11, v11, v11
	v_max_f32_e32 v15, v15, v15
	v_min_f32_e32 v35, v15, v11
	v_max_f32_e32 v11, v15, v11
	v_cndmask_b32_e64 v15, v11, v35, s[26:27]
	v_and_b32_e32 v11, 0x7f800000, v15
	v_cmp_ne_u32_e32 vcc, s69, v11
                                        ; implicit-def: $vgpr11
	s_and_saveexec_b64 s[28:29], vcc
	s_xor_b64 s[28:29], exec, s[28:29]
; %bb.965:                              ;   in Loop: Header=BB27_936 Depth=3
	v_bfe_u32 v11, v15, 16, 1
	v_add3_u32 v11, v15, v11, s70
                                        ; implicit-def: $vgpr15
; %bb.966:                              ;   in Loop: Header=BB27_936 Depth=3
	s_andn2_saveexec_b64 s[28:29], s[28:29]
; %bb.967:                              ;   in Loop: Header=BB27_936 Depth=3
	v_or_b32_e32 v11, 0x10000, v15
	v_cmp_eq_u32_sdwa vcc, v15, v3 src0_sel:WORD_0 src1_sel:DWORD
	s_nop 1
	v_cndmask_b32_e32 v11, v11, v15, vcc
; %bb.968:                              ;   in Loop: Header=BB27_936 Depth=3
	s_or_b64 exec, exec, s[28:29]
	v_lshrrev_b32_e32 v12, 16, v12
	v_and_or_b32 v9, v9, s86, v12
	v_lshrrev_b32_e32 v12, 16, v34
	v_and_or_b32 v8, v8, s86, v12
	;; [unrolled: 2-line block ×4, first 2 shown]
	s_mov_b64 s[48:49], 0
	s_mov_b64 s[38:39], -1
.LBB27_969:                             ;   Parent Loop BB27_47 Depth=1
                                        ;     Parent Loop BB27_719 Depth=2
                                        ;       Parent Loop BB27_936 Depth=3
                                        ; =>      This Inner Loop Header: Depth=4
	s_cmp_eq_u32 s48, 1
	s_cselect_b64 vcc, -1, 0
	v_cndmask_b32_e32 v13, v17, v19, vcc
	s_cmp_eq_u32 s48, 0
	v_cndmask_b32_e32 v12, v16, v18, vcc
	global_store_dwordx4 v[12:13], v[8:11], off
	v_lshl_add_u64 v[12:13], v[12:13], 0, s[60:61]
	s_cselect_b64 s[28:29], -1, 0
	s_and_b64 s[40:41], exec, s[38:39]
	s_mov_b64 s[48:49], 1
	s_mov_b64 s[38:39], 0
	v_cndmask_b32_e32 v19, v19, v13, vcc
	v_cndmask_b32_e32 v18, v18, v12, vcc
	v_cndmask_b32_e64 v17, v17, v13, s[28:29]
	v_cndmask_b32_e64 v16, v16, v12, s[28:29]
	s_mov_b64 vcc, s[40:41]
	s_cbranch_vccnz .LBB27_969
; %bb.970:                              ;   in Loop: Header=BB27_936 Depth=3
	v_sub_u32_e32 v33, v33, v100
	v_cmp_gt_i32_e32 vcc, 16, v33
	v_lshl_add_u64 v[20:21], v[20:21], 0, v[44:45]
	v_lshl_add_u64 v[22:23], v[22:23], 0, v[44:45]
	;; [unrolled: 1-line block ×4, first 2 shown]
	s_or_b64 s[36:37], vcc, s[36:37]
	v_sub_u32_e32 v32, v32, v84
	s_andn2_b64 exec, exec, s[36:37]
	s_cbranch_execnz .LBB27_936
; %bb.971:                              ;   in Loop: Header=BB27_719 Depth=2
	s_or_b64 exec, exec, s[36:37]
.LBB27_972:                             ;   in Loop: Header=BB27_719 Depth=2
	s_or_b64 exec, exec, s[34:35]
	v_and_b32_e32 v8, 14, v73
	v_cmp_lt_i32_e32 vcc, 0, v32
	v_sub_u32_e32 v9, v27, v8
	v_cndmask_b32_e64 v17, v27, v8, s[24:25]
	v_cndmask_b32_e32 v8, 0, v84, vcc
	v_cndmask_b32_e64 v9, 0, v9, s[24:25]
	v_sub_u32_e32 v8, v8, v32
	v_cmp_ne_u32_e32 vcc, 0, v17
	v_add3_u32 v16, v26, v24, v9
	v_lshl_add_u32 v18, v8, 6, v25
	s_and_b64 s[24:25], vcc, exec
.LBB27_973:                             ;   in Loop: Header=BB27_719 Depth=2
	s_or_b64 exec, exec, s[30:31]
	s_and_saveexec_b64 s[40:41], s[24:25]
	s_cbranch_execz .LBB27_1052
.LBB27_974:                             ;   in Loop: Header=BB27_719 Depth=2
	v_ashrrev_i32_e32 v8, 31, v18
	v_ashrrev_i32_e32 v9, 31, v17
	v_lshrrev_b32_e32 v8, 26, v8
	v_lshrrev_b32_e32 v9, 21, v9
	v_add_u32_e32 v8, v18, v8
	v_add_u32_e32 v9, v17, v9
	v_ashrrev_i32_e32 v19, 6, v8
	v_ashrrev_i32_e32 v21, 11, v9
	v_sub_u32_e32 v20, v21, v19
	v_cmp_lt_i32_e32 vcc, 0, v20
	s_and_saveexec_b64 s[26:27], vcc
	s_cbranch_execz .LBB27_1042
; %bb.975:                              ;   in Loop: Header=BB27_719 Depth=2
	v_and_b32_e32 v8, 0x7fffffc0, v8
	s_trap 2
	ds_read_b64 v[22:23], v0
	v_sub_u32_e32 v8, v18, v8
	v_lshlrev_b32_e32 v8, 1, v8
	v_lshlrev_b32_e32 v9, 11, v19
	v_add3_u32 v14, v8, v16, v9
	s_and_b32 s46, s50, 1
	v_ashrrev_i32_e32 v15, 31, v14
	s_cmp_eq_u64 s[46:47], 0
	v_lshl_add_u64 v[8:9], v[14:15], 0, v[88:89]
	v_lshl_add_u64 v[10:11], v[14:15], 0, v[90:91]
	;; [unrolled: 1-line block ×3, first 2 shown]
	s_waitcnt lgkmcnt(0)
	v_lshl_add_u64 v[14:15], v[22:23], 0, v[14:15]
	s_mov_b64 s[28:29], 0
	s_cselect_b64 vcc, -1, 0
	s_branch .LBB27_977
.LBB27_976:                             ;   in Loop: Header=BB27_977 Depth=3
	s_or_b64 exec, exec, s[30:31]
	v_sub_u32_e32 v20, v20, v84
	v_lshrrev_b32_e32 v23, 16, v23
	v_cmp_gt_i32_e64 s[24:25], 1, v20
	v_lshrrev_b32_e32 v24, 16, v24
	v_lshrrev_b32_e32 v25, 16, v27
	;; [unrolled: 1-line block ×15, first 2 shown]
	flat_store_short v[8:9], v23 nt
	flat_store_short v[8:9], v26 offset:128 nt
	flat_store_short v[8:9], v33 offset:256 nt
	;; [unrolled: 1-line block ×15, first 2 shown]
	flat_store_short v[10:11], v23 nt
	flat_store_short v[10:11], v26 offset:128 nt
	flat_store_short v[10:11], v33 offset:256 nt
	;; [unrolled: 1-line block ×15, first 2 shown]
	v_lshl_add_u64 v[12:13], v[12:13], 0, v[102:103]
	v_lshl_add_u64 v[14:15], v[14:15], 0, v[102:103]
	;; [unrolled: 1-line block ×3, first 2 shown]
	s_or_b64 s[28:29], s[24:25], s[28:29]
	v_lshl_add_u64 v[10:11], v[10:11], 0, v[102:103]
	s_andn2_b64 exec, exec, s[28:29]
	s_cbranch_execz .LBB27_1041
.LBB27_977:                             ;   Parent Loop BB27_47 Depth=1
                                        ;     Parent Loop BB27_719 Depth=2
                                        ; =>    This Inner Loop Header: Depth=3
	flat_load_ushort v93, v[12:13] offset:1024 nt
	flat_load_ushort v51, v[12:13] offset:1152 nt
	;; [unrolled: 1-line block ×15, first 2 shown]
	flat_load_ushort v23, v[12:13] nt
	flat_load_ushort v53, v[14:15] offset:128 nt
	flat_load_ushort v52, v[14:15] offset:256 nt
	;; [unrolled: 1-line block ×7, first 2 shown]
	flat_load_ushort v82, v[14:15] nt
	flat_load_ushort v104, v[14:15] offset:1024 nt
	flat_load_ushort v94, v[14:15] offset:1152 nt
	;; [unrolled: 1-line block ×8, first 2 shown]
	s_waitcnt vmcnt(0) lgkmcnt(0)
	v_lshlrev_b32_e32 v23, 16, v23
	v_max_f32_e32 v23, v23, v23
	v_lshlrev_b32_e32 v82, 16, v82
	v_max_f32_e32 v82, v82, v82
	v_min_f32_e32 v28, v23, v82
	v_max_f32_e32 v23, v23, v82
	v_cndmask_b32_e32 v82, v23, v28, vcc
	v_and_b32_e32 v23, 0x7f800000, v82
	v_cmp_ne_u32_e64 s[24:25], s69, v23
                                        ; implicit-def: $vgpr23
	s_and_saveexec_b64 s[30:31], s[24:25]
	s_xor_b64 s[24:25], exec, s[30:31]
; %bb.978:                              ;   in Loop: Header=BB27_977 Depth=3
	v_bfe_u32 v23, v82, 16, 1
	v_add3_u32 v23, v82, v23, s70
                                        ; implicit-def: $vgpr82
; %bb.979:                              ;   in Loop: Header=BB27_977 Depth=3
	s_andn2_saveexec_b64 s[30:31], s[24:25]
; %bb.980:                              ;   in Loop: Header=BB27_977 Depth=3
	v_or_b32_e32 v23, 0x10000, v82
	v_cmp_eq_u32_sdwa s[24:25], v82, v3 src0_sel:WORD_0 src1_sel:DWORD
	s_nop 1
	v_cndmask_b32_e64 v23, v23, v82, s[24:25]
; %bb.981:                              ;   in Loop: Header=BB27_977 Depth=3
	s_or_b64 exec, exec, s[30:31]
	v_lshlrev_b32_e32 v26, 16, v26
	v_lshlrev_b32_e32 v28, 16, v53
	v_max_f32_e32 v28, v28, v28
	v_max_f32_e32 v26, v26, v26
	v_min_f32_e32 v29, v26, v28
	v_max_f32_e32 v26, v26, v28
	v_cndmask_b32_e32 v53, v26, v29, vcc
	v_and_b32_e32 v26, 0x7f800000, v53
	v_cmp_ne_u32_e64 s[24:25], s69, v26
                                        ; implicit-def: $vgpr26
	s_and_saveexec_b64 s[30:31], s[24:25]
	s_xor_b64 s[24:25], exec, s[30:31]
; %bb.982:                              ;   in Loop: Header=BB27_977 Depth=3
	v_bfe_u32 v26, v53, 16, 1
	v_add3_u32 v26, v53, v26, s70
                                        ; implicit-def: $vgpr53
; %bb.983:                              ;   in Loop: Header=BB27_977 Depth=3
	s_andn2_saveexec_b64 s[30:31], s[24:25]
; %bb.984:                              ;   in Loop: Header=BB27_977 Depth=3
	v_or_b32_e32 v26, 0x10000, v53
	v_cmp_eq_u32_sdwa s[24:25], v53, v3 src0_sel:WORD_0 src1_sel:DWORD
	s_nop 1
	v_cndmask_b32_e64 v26, v26, v53, s[24:25]
; %bb.985:                              ;   in Loop: Header=BB27_977 Depth=3
	s_or_b64 exec, exec, s[30:31]
	v_lshlrev_b32_e32 v28, 16, v33
	v_lshlrev_b32_e32 v29, 16, v52
	v_max_f32_e32 v29, v29, v29
	v_max_f32_e32 v28, v28, v28
	v_min_f32_e32 v33, v28, v29
	v_max_f32_e32 v28, v28, v29
	v_cndmask_b32_e32 v52, v28, v33, vcc
	v_and_b32_e32 v28, 0x7f800000, v52
	v_cmp_ne_u32_e64 s[24:25], s69, v28
                                        ; implicit-def: $vgpr33
	s_and_saveexec_b64 s[30:31], s[24:25]
	s_xor_b64 s[24:25], exec, s[30:31]
; %bb.986:                              ;   in Loop: Header=BB27_977 Depth=3
	v_bfe_u32 v28, v52, 16, 1
	v_add3_u32 v33, v52, v28, s70
                                        ; implicit-def: $vgpr52
; %bb.987:                              ;   in Loop: Header=BB27_977 Depth=3
	s_andn2_saveexec_b64 s[30:31], s[24:25]
; %bb.988:                              ;   in Loop: Header=BB27_977 Depth=3
	v_or_b32_e32 v28, 0x10000, v52
	v_cmp_eq_u32_sdwa s[24:25], v52, v3 src0_sel:WORD_0 src1_sel:DWORD
	s_nop 1
	v_cndmask_b32_e64 v33, v28, v52, s[24:25]
; %bb.989:                              ;   in Loop: Header=BB27_977 Depth=3
	s_or_b64 exec, exec, s[30:31]
	v_lshlrev_b32_e32 v28, 16, v36
	v_lshlrev_b32_e32 v29, 16, v126
	v_max_f32_e32 v29, v29, v29
	v_max_f32_e32 v28, v28, v28
	v_min_f32_e32 v36, v28, v29
	v_max_f32_e32 v28, v28, v29
	v_cndmask_b32_e32 v52, v28, v36, vcc
	v_and_b32_e32 v28, 0x7f800000, v52
	v_cmp_ne_u32_e64 s[24:25], s69, v28
                                        ; implicit-def: $vgpr36
	s_and_saveexec_b64 s[30:31], s[24:25]
	s_xor_b64 s[24:25], exec, s[30:31]
; %bb.990:                              ;   in Loop: Header=BB27_977 Depth=3
	v_bfe_u32 v28, v52, 16, 1
	v_add3_u32 v36, v52, v28, s70
                                        ; implicit-def: $vgpr52
; %bb.991:                              ;   in Loop: Header=BB27_977 Depth=3
	s_andn2_saveexec_b64 s[30:31], s[24:25]
; %bb.992:                              ;   in Loop: Header=BB27_977 Depth=3
	v_or_b32_e32 v28, 0x10000, v52
	v_cmp_eq_u32_sdwa s[24:25], v52, v3 src0_sel:WORD_0 src1_sel:DWORD
	s_nop 1
	v_cndmask_b32_e64 v36, v28, v52, s[24:25]
; %bb.993:                              ;   in Loop: Header=BB27_977 Depth=3
	s_or_b64 exec, exec, s[30:31]
	v_lshlrev_b32_e32 v28, 16, v39
	v_lshlrev_b32_e32 v29, 16, v125
	v_max_f32_e32 v29, v29, v29
	v_max_f32_e32 v28, v28, v28
	v_min_f32_e32 v39, v28, v29
	v_max_f32_e32 v28, v28, v29
	v_cndmask_b32_e32 v52, v28, v39, vcc
	v_and_b32_e32 v28, 0x7f800000, v52
	v_cmp_ne_u32_e64 s[24:25], s69, v28
                                        ; implicit-def: $vgpr39
	s_and_saveexec_b64 s[30:31], s[24:25]
	s_xor_b64 s[24:25], exec, s[30:31]
; %bb.994:                              ;   in Loop: Header=BB27_977 Depth=3
	v_bfe_u32 v28, v52, 16, 1
	v_add3_u32 v39, v52, v28, s70
                                        ; implicit-def: $vgpr52
; %bb.995:                              ;   in Loop: Header=BB27_977 Depth=3
	s_andn2_saveexec_b64 s[30:31], s[24:25]
; %bb.996:                              ;   in Loop: Header=BB27_977 Depth=3
	v_or_b32_e32 v28, 0x10000, v52
	v_cmp_eq_u32_sdwa s[24:25], v52, v3 src0_sel:WORD_0 src1_sel:DWORD
	s_nop 1
	v_cndmask_b32_e64 v39, v28, v52, s[24:25]
; %bb.997:                              ;   in Loop: Header=BB27_977 Depth=3
	s_or_b64 exec, exec, s[30:31]
	v_lshlrev_b32_e32 v28, 16, v50
	v_lshlrev_b32_e32 v29, 16, v107
	v_max_f32_e32 v29, v29, v29
	v_max_f32_e32 v28, v28, v28
	v_min_f32_e32 v50, v28, v29
	v_max_f32_e32 v28, v28, v29
	v_cndmask_b32_e32 v52, v28, v50, vcc
	v_and_b32_e32 v28, 0x7f800000, v52
	v_cmp_ne_u32_e64 s[24:25], s69, v28
                                        ; implicit-def: $vgpr50
	s_and_saveexec_b64 s[30:31], s[24:25]
	s_xor_b64 s[24:25], exec, s[30:31]
; %bb.998:                              ;   in Loop: Header=BB27_977 Depth=3
	v_bfe_u32 v28, v52, 16, 1
	v_add3_u32 v50, v52, v28, s70
                                        ; implicit-def: $vgpr52
; %bb.999:                              ;   in Loop: Header=BB27_977 Depth=3
	s_andn2_saveexec_b64 s[30:31], s[24:25]
; %bb.1000:                             ;   in Loop: Header=BB27_977 Depth=3
	v_or_b32_e32 v28, 0x10000, v52
	v_cmp_eq_u32_sdwa s[24:25], v52, v3 src0_sel:WORD_0 src1_sel:DWORD
	s_nop 1
	v_cndmask_b32_e64 v50, v28, v52, s[24:25]
; %bb.1001:                             ;   in Loop: Header=BB27_977 Depth=3
	s_or_b64 exec, exec, s[30:31]
	v_lshlrev_b32_e32 v28, 16, v92
	v_lshlrev_b32_e32 v29, 16, v106
	v_max_f32_e32 v29, v29, v29
	v_max_f32_e32 v28, v28, v28
	v_min_f32_e32 v52, v28, v29
	v_max_f32_e32 v28, v28, v29
	v_cndmask_b32_e32 v52, v28, v52, vcc
	v_and_b32_e32 v28, 0x7f800000, v52
	v_cmp_ne_u32_e64 s[24:25], s69, v28
                                        ; implicit-def: $vgpr92
	s_and_saveexec_b64 s[30:31], s[24:25]
	s_xor_b64 s[24:25], exec, s[30:31]
; %bb.1002:                             ;   in Loop: Header=BB27_977 Depth=3
	v_bfe_u32 v28, v52, 16, 1
	v_add3_u32 v92, v52, v28, s70
                                        ; implicit-def: $vgpr52
; %bb.1003:                             ;   in Loop: Header=BB27_977 Depth=3
	s_andn2_saveexec_b64 s[30:31], s[24:25]
; %bb.1004:                             ;   in Loop: Header=BB27_977 Depth=3
	v_or_b32_e32 v28, 0x10000, v52
	v_cmp_eq_u32_sdwa s[24:25], v52, v3 src0_sel:WORD_0 src1_sel:DWORD
	s_nop 1
	v_cndmask_b32_e64 v92, v28, v52, s[24:25]
; %bb.1005:                             ;   in Loop: Header=BB27_977 Depth=3
	s_or_b64 exec, exec, s[30:31]
	v_lshlrev_b32_e32 v28, 16, v95
	v_lshlrev_b32_e32 v29, 16, v105
	v_max_f32_e32 v29, v29, v29
	v_max_f32_e32 v28, v28, v28
	v_min_f32_e32 v52, v28, v29
	v_max_f32_e32 v28, v28, v29
	v_cndmask_b32_e32 v52, v28, v52, vcc
	v_and_b32_e32 v28, 0x7f800000, v52
	v_cmp_ne_u32_e64 s[24:25], s69, v28
                                        ; implicit-def: $vgpr95
	s_and_saveexec_b64 s[30:31], s[24:25]
	s_xor_b64 s[24:25], exec, s[30:31]
; %bb.1006:                             ;   in Loop: Header=BB27_977 Depth=3
	v_bfe_u32 v28, v52, 16, 1
	v_add3_u32 v95, v52, v28, s70
                                        ; implicit-def: $vgpr52
; %bb.1007:                             ;   in Loop: Header=BB27_977 Depth=3
	s_andn2_saveexec_b64 s[30:31], s[24:25]
; %bb.1008:                             ;   in Loop: Header=BB27_977 Depth=3
	v_or_b32_e32 v28, 0x10000, v52
	v_cmp_eq_u32_sdwa s[24:25], v52, v3 src0_sel:WORD_0 src1_sel:DWORD
	s_nop 1
	v_cndmask_b32_e64 v95, v28, v52, s[24:25]
; %bb.1009:                             ;   in Loop: Header=BB27_977 Depth=3
	s_or_b64 exec, exec, s[30:31]
	v_lshlrev_b32_e32 v28, 16, v93
	v_lshlrev_b32_e32 v29, 16, v104
	v_max_f32_e32 v29, v29, v29
	v_max_f32_e32 v28, v28, v28
	v_min_f32_e32 v52, v28, v29
	v_max_f32_e32 v28, v28, v29
	v_cndmask_b32_e32 v52, v28, v52, vcc
	v_and_b32_e32 v28, 0x7f800000, v52
	v_cmp_ne_u32_e64 s[24:25], s69, v28
                                        ; implicit-def: $vgpr93
	s_and_saveexec_b64 s[30:31], s[24:25]
	s_xor_b64 s[24:25], exec, s[30:31]
; %bb.1010:                             ;   in Loop: Header=BB27_977 Depth=3
	v_bfe_u32 v28, v52, 16, 1
	v_add3_u32 v93, v52, v28, s70
                                        ; implicit-def: $vgpr52
; %bb.1011:                             ;   in Loop: Header=BB27_977 Depth=3
	s_andn2_saveexec_b64 s[30:31], s[24:25]
; %bb.1012:                             ;   in Loop: Header=BB27_977 Depth=3
	v_or_b32_e32 v28, 0x10000, v52
	v_cmp_eq_u32_sdwa s[24:25], v52, v3 src0_sel:WORD_0 src1_sel:DWORD
	s_nop 1
	v_cndmask_b32_e64 v93, v28, v52, s[24:25]
; %bb.1013:                             ;   in Loop: Header=BB27_977 Depth=3
	s_or_b64 exec, exec, s[30:31]
	v_lshlrev_b32_e32 v28, 16, v51
	v_lshlrev_b32_e32 v29, 16, v94
	v_max_f32_e32 v29, v29, v29
	v_max_f32_e32 v28, v28, v28
	v_min_f32_e32 v51, v28, v29
	v_max_f32_e32 v28, v28, v29
	v_cndmask_b32_e32 v52, v28, v51, vcc
	v_and_b32_e32 v28, 0x7f800000, v52
	v_cmp_ne_u32_e64 s[24:25], s69, v28
                                        ; implicit-def: $vgpr51
	s_and_saveexec_b64 s[30:31], s[24:25]
	s_xor_b64 s[24:25], exec, s[30:31]
; %bb.1014:                             ;   in Loop: Header=BB27_977 Depth=3
	v_bfe_u32 v28, v52, 16, 1
	v_add3_u32 v51, v52, v28, s70
                                        ; implicit-def: $vgpr52
; %bb.1015:                             ;   in Loop: Header=BB27_977 Depth=3
	s_andn2_saveexec_b64 s[30:31], s[24:25]
; %bb.1016:                             ;   in Loop: Header=BB27_977 Depth=3
	v_or_b32_e32 v28, 0x10000, v52
	v_cmp_eq_u32_sdwa s[24:25], v52, v3 src0_sel:WORD_0 src1_sel:DWORD
	s_nop 1
	v_cndmask_b32_e64 v51, v28, v52, s[24:25]
; %bb.1017:                             ;   in Loop: Header=BB27_977 Depth=3
	s_or_b64 exec, exec, s[30:31]
	v_lshlrev_b32_e32 v28, 16, v48
	v_lshlrev_b32_e32 v29, 16, v75
	v_max_f32_e32 v29, v29, v29
	v_max_f32_e32 v28, v28, v28
	v_min_f32_e32 v48, v28, v29
	v_max_f32_e32 v28, v28, v29
	v_cndmask_b32_e32 v52, v28, v48, vcc
	v_and_b32_e32 v28, 0x7f800000, v52
	v_cmp_ne_u32_e64 s[24:25], s69, v28
                                        ; implicit-def: $vgpr48
	s_and_saveexec_b64 s[30:31], s[24:25]
	s_xor_b64 s[24:25], exec, s[30:31]
; %bb.1018:                             ;   in Loop: Header=BB27_977 Depth=3
	v_bfe_u32 v28, v52, 16, 1
	v_add3_u32 v48, v52, v28, s70
                                        ; implicit-def: $vgpr52
; %bb.1019:                             ;   in Loop: Header=BB27_977 Depth=3
	s_andn2_saveexec_b64 s[30:31], s[24:25]
; %bb.1020:                             ;   in Loop: Header=BB27_977 Depth=3
	v_or_b32_e32 v28, 0x10000, v52
	v_cmp_eq_u32_sdwa s[24:25], v52, v3 src0_sel:WORD_0 src1_sel:DWORD
	s_nop 1
	v_cndmask_b32_e64 v48, v28, v52, s[24:25]
; %bb.1021:                             ;   in Loop: Header=BB27_977 Depth=3
	s_or_b64 exec, exec, s[30:31]
	v_lshlrev_b32_e32 v28, 16, v37
	v_lshlrev_b32_e32 v29, 16, v49
	v_max_f32_e32 v29, v29, v29
	v_max_f32_e32 v28, v28, v28
	v_min_f32_e32 v37, v28, v29
	v_max_f32_e32 v28, v28, v29
	v_cndmask_b32_e32 v49, v28, v37, vcc
	v_and_b32_e32 v28, 0x7f800000, v49
	v_cmp_ne_u32_e64 s[24:25], s69, v28
                                        ; implicit-def: $vgpr37
	s_and_saveexec_b64 s[30:31], s[24:25]
	s_xor_b64 s[24:25], exec, s[30:31]
; %bb.1022:                             ;   in Loop: Header=BB27_977 Depth=3
	v_bfe_u32 v28, v49, 16, 1
	v_add3_u32 v37, v49, v28, s70
                                        ; implicit-def: $vgpr49
; %bb.1023:                             ;   in Loop: Header=BB27_977 Depth=3
	s_andn2_saveexec_b64 s[30:31], s[24:25]
; %bb.1024:                             ;   in Loop: Header=BB27_977 Depth=3
	v_or_b32_e32 v28, 0x10000, v49
	v_cmp_eq_u32_sdwa s[24:25], v49, v3 src0_sel:WORD_0 src1_sel:DWORD
	s_nop 1
	v_cndmask_b32_e64 v37, v28, v49, s[24:25]
; %bb.1025:                             ;   in Loop: Header=BB27_977 Depth=3
	s_or_b64 exec, exec, s[30:31]
	v_lshlrev_b32_e32 v28, 16, v34
	v_lshlrev_b32_e32 v29, 16, v38
	v_max_f32_e32 v29, v29, v29
	v_max_f32_e32 v28, v28, v28
	v_min_f32_e32 v34, v28, v29
	v_max_f32_e32 v28, v28, v29
	v_cndmask_b32_e32 v38, v28, v34, vcc
	v_and_b32_e32 v28, 0x7f800000, v38
	v_cmp_ne_u32_e64 s[24:25], s69, v28
                                        ; implicit-def: $vgpr34
	s_and_saveexec_b64 s[30:31], s[24:25]
	s_xor_b64 s[24:25], exec, s[30:31]
; %bb.1026:                             ;   in Loop: Header=BB27_977 Depth=3
	v_bfe_u32 v28, v38, 16, 1
	v_add3_u32 v34, v38, v28, s70
                                        ; implicit-def: $vgpr38
; %bb.1027:                             ;   in Loop: Header=BB27_977 Depth=3
	s_andn2_saveexec_b64 s[30:31], s[24:25]
; %bb.1028:                             ;   in Loop: Header=BB27_977 Depth=3
	v_or_b32_e32 v28, 0x10000, v38
	v_cmp_eq_u32_sdwa s[24:25], v38, v3 src0_sel:WORD_0 src1_sel:DWORD
	s_nop 1
	v_cndmask_b32_e64 v34, v28, v38, s[24:25]
; %bb.1029:                             ;   in Loop: Header=BB27_977 Depth=3
	s_or_b64 exec, exec, s[30:31]
	v_lshlrev_b32_e32 v27, 16, v27
	v_lshlrev_b32_e32 v28, 16, v35
	v_max_f32_e32 v28, v28, v28
	v_max_f32_e32 v27, v27, v27
	v_min_f32_e32 v29, v27, v28
	v_max_f32_e32 v27, v27, v28
	v_cndmask_b32_e32 v35, v27, v29, vcc
	v_and_b32_e32 v27, 0x7f800000, v35
	v_cmp_ne_u32_e64 s[24:25], s69, v27
                                        ; implicit-def: $vgpr27
	s_and_saveexec_b64 s[30:31], s[24:25]
	s_xor_b64 s[24:25], exec, s[30:31]
; %bb.1030:                             ;   in Loop: Header=BB27_977 Depth=3
	v_bfe_u32 v27, v35, 16, 1
	v_add3_u32 v27, v35, v27, s70
                                        ; implicit-def: $vgpr35
; %bb.1031:                             ;   in Loop: Header=BB27_977 Depth=3
	s_andn2_saveexec_b64 s[30:31], s[24:25]
; %bb.1032:                             ;   in Loop: Header=BB27_977 Depth=3
	v_or_b32_e32 v27, 0x10000, v35
	v_cmp_eq_u32_sdwa s[24:25], v35, v3 src0_sel:WORD_0 src1_sel:DWORD
	s_nop 1
	v_cndmask_b32_e64 v27, v27, v35, s[24:25]
; %bb.1033:                             ;   in Loop: Header=BB27_977 Depth=3
	s_or_b64 exec, exec, s[30:31]
	v_lshlrev_b32_e32 v24, 16, v24
	v_lshlrev_b32_e32 v28, 16, v32
	v_max_f32_e32 v28, v28, v28
	v_max_f32_e32 v24, v24, v24
	v_min_f32_e32 v29, v24, v28
	v_max_f32_e32 v24, v24, v28
	v_cndmask_b32_e32 v32, v24, v29, vcc
	v_and_b32_e32 v24, 0x7f800000, v32
	v_cmp_ne_u32_e64 s[24:25], s69, v24
                                        ; implicit-def: $vgpr24
	s_and_saveexec_b64 s[30:31], s[24:25]
	s_xor_b64 s[24:25], exec, s[30:31]
; %bb.1034:                             ;   in Loop: Header=BB27_977 Depth=3
	v_bfe_u32 v24, v32, 16, 1
	v_add3_u32 v24, v32, v24, s70
                                        ; implicit-def: $vgpr32
; %bb.1035:                             ;   in Loop: Header=BB27_977 Depth=3
	s_andn2_saveexec_b64 s[30:31], s[24:25]
; %bb.1036:                             ;   in Loop: Header=BB27_977 Depth=3
	v_or_b32_e32 v24, 0x10000, v32
	v_cmp_eq_u32_sdwa s[24:25], v32, v3 src0_sel:WORD_0 src1_sel:DWORD
	s_nop 1
	v_cndmask_b32_e64 v24, v24, v32, s[24:25]
; %bb.1037:                             ;   in Loop: Header=BB27_977 Depth=3
	s_or_b64 exec, exec, s[30:31]
	v_lshlrev_b32_e32 v22, 16, v22
	v_lshlrev_b32_e32 v25, 16, v25
	v_max_f32_e32 v25, v25, v25
	v_max_f32_e32 v22, v22, v22
	v_min_f32_e32 v28, v22, v25
	v_max_f32_e32 v22, v22, v25
	v_cndmask_b32_e32 v25, v22, v28, vcc
	v_and_b32_e32 v22, 0x7f800000, v25
	v_cmp_ne_u32_e64 s[24:25], s69, v22
                                        ; implicit-def: $vgpr22
	s_and_saveexec_b64 s[30:31], s[24:25]
	s_xor_b64 s[24:25], exec, s[30:31]
; %bb.1038:                             ;   in Loop: Header=BB27_977 Depth=3
	v_bfe_u32 v22, v25, 16, 1
	v_add3_u32 v22, v25, v22, s70
                                        ; implicit-def: $vgpr25
; %bb.1039:                             ;   in Loop: Header=BB27_977 Depth=3
	s_andn2_saveexec_b64 s[30:31], s[24:25]
	s_cbranch_execz .LBB27_976
; %bb.1040:                             ;   in Loop: Header=BB27_977 Depth=3
	v_or_b32_e32 v22, 0x10000, v25
	v_cmp_eq_u32_sdwa s[24:25], v25, v3 src0_sel:WORD_0 src1_sel:DWORD
	s_nop 1
	v_cndmask_b32_e64 v22, v22, v25, s[24:25]
	s_branch .LBB27_976
.LBB27_1041:                            ;   in Loop: Header=BB27_719 Depth=2
	s_or_b64 exec, exec, s[28:29]
.LBB27_1042:                            ;   in Loop: Header=BB27_719 Depth=2
	s_or_b64 exec, exec, s[26:27]
	v_lshlrev_b32_e32 v8, 11, v21
	v_cmp_ne_u32_e32 vcc, v17, v8
	s_and_b64 exec, exec, vcc
	s_cbranch_execz .LBB27_1052
; %bb.1043:                             ;   in Loop: Header=BB27_719 Depth=2
	v_lshlrev_b32_e32 v9, 6, v19
	v_sub_u32_e32 v9, v18, v9
	v_lshlrev_b32_e32 v10, 6, v20
	v_sub_u32_e32 v9, v9, v10
	v_ashrrev_i32_e32 v10, 31, v9
	v_lshrrev_b32_e32 v10, 26, v10
	v_add_u32_e32 v10, v9, v10
	v_and_b32_e32 v11, 0x7fffffc0, v10
	v_sub_u32_e32 v9, v9, v11
	v_lshlrev_b32_e32 v10, 1, v10
	v_and_b32_e32 v10, 0xffffff80, v10
	v_lshlrev_b32_e32 v9, 1, v9
	v_add3_u32 v8, v10, v9, v8
	v_sub_u32_e32 v17, v17, v8
	v_cmp_lt_i32_e32 vcc, 1, v17
	s_and_b64 exec, exec, vcc
	s_cbranch_execz .LBB27_1052
; %bb.1044:                             ;   in Loop: Header=BB27_719 Depth=2
	s_trap 2
	ds_read_b64 v[18:19], v0
	v_add_u32_e32 v14, v8, v16
	s_and_b32 s46, s50, 1
	v_ashrrev_i32_e32 v15, 31, v14
	s_cmp_eq_u64 s[46:47], 0
	v_lshl_add_u64 v[8:9], v[14:15], 0, v[88:89]
	v_lshl_add_u64 v[10:11], v[14:15], 0, v[90:91]
	;; [unrolled: 1-line block ×3, first 2 shown]
	s_waitcnt lgkmcnt(0)
	v_lshl_add_u64 v[14:15], v[18:19], 0, v[14:15]
	s_mov_b64 s[30:31], 0
	s_cselect_b64 s[24:25], -1, 0
.LBB27_1045:                            ;   Parent Loop BB27_47 Depth=1
                                        ;     Parent Loop BB27_719 Depth=2
                                        ; =>    This Loop Header: Depth=3
                                        ;         Child Loop BB27_1050 Depth 4
	flat_load_ushort v16, v[14:15] nt
	flat_load_ushort v18, v[12:13] nt
	s_waitcnt vmcnt(0) lgkmcnt(0)
	v_lshlrev_b32_e32 v16, 16, v16
	v_lshlrev_b32_e32 v18, 16, v18
	v_max_f32_e32 v16, v16, v16
	v_max_f32_e32 v18, v18, v18
	v_min_f32_e32 v19, v18, v16
	v_max_f32_e32 v16, v18, v16
	v_cndmask_b32_e64 v16, v16, v19, s[24:25]
	v_and_b32_e32 v18, 0x7f800000, v16
	v_cmp_ne_u32_e32 vcc, s69, v18
                                        ; implicit-def: $vgpr18
	s_and_saveexec_b64 s[26:27], vcc
	s_xor_b64 s[26:27], exec, s[26:27]
; %bb.1046:                             ;   in Loop: Header=BB27_1045 Depth=3
	v_bfe_u32 v18, v16, 16, 1
	v_add3_u32 v18, v16, v18, s70
                                        ; implicit-def: $vgpr16
; %bb.1047:                             ;   in Loop: Header=BB27_1045 Depth=3
	s_andn2_saveexec_b64 s[26:27], s[26:27]
; %bb.1048:                             ;   in Loop: Header=BB27_1045 Depth=3
	v_or_b32_e32 v18, 0x10000, v16
	v_cmp_eq_u32_sdwa vcc, v16, v3 src0_sel:WORD_0 src1_sel:DWORD
	s_nop 1
	v_cndmask_b32_e32 v18, v18, v16, vcc
; %bb.1049:                             ;   in Loop: Header=BB27_1045 Depth=3
	s_or_b64 exec, exec, s[26:27]
	v_lshrrev_b32_e32 v16, 16, v18
	s_mov_b64 s[36:37], 0
	s_mov_b64 s[34:35], -1
.LBB27_1050:                            ;   Parent Loop BB27_47 Depth=1
                                        ;     Parent Loop BB27_719 Depth=2
                                        ;       Parent Loop BB27_1045 Depth=3
                                        ; =>      This Inner Loop Header: Depth=4
	s_cmp_eq_u32 s36, 1
	s_cselect_b64 vcc, -1, 0
	v_cndmask_b32_e32 v19, v9, v11, vcc
	s_cmp_eq_u32 s36, 0
	v_cndmask_b32_e32 v18, v8, v10, vcc
	flat_store_short v[18:19], v16 nt
	v_lshl_add_u64 v[18:19], v[18:19], 0, s[62:63]
	s_cselect_b64 s[26:27], -1, 0
	s_and_b64 s[28:29], exec, s[34:35]
	s_mov_b64 s[36:37], 1
	s_mov_b64 s[34:35], 0
	v_cndmask_b32_e32 v11, v11, v19, vcc
	v_cndmask_b32_e32 v10, v10, v18, vcc
	v_cndmask_b32_e64 v9, v9, v19, s[26:27]
	v_cndmask_b32_e64 v8, v8, v18, s[26:27]
	s_mov_b64 vcc, s[28:29]
	s_cbranch_vccnz .LBB27_1050
; %bb.1051:                             ;   in Loop: Header=BB27_1045 Depth=3
	v_sub_u32_e32 v17, v17, v112
	v_cmp_gt_i32_e32 vcc, 2, v17
	v_lshl_add_u64 v[12:13], v[12:13], 0, v[46:47]
	v_lshl_add_u64 v[14:15], v[14:15], 0, v[46:47]
	;; [unrolled: 1-line block ×3, first 2 shown]
	s_or_b64 s[30:31], vcc, s[30:31]
	v_lshl_add_u64 v[10:11], v[10:11], 0, v[42:43]
	s_andn2_b64 exec, exec, s[30:31]
	s_cbranch_execnz .LBB27_1045
.LBB27_1052:                            ;   in Loop: Header=BB27_719 Depth=2
	s_or_b64 exec, exec, s[40:41]
	s_branch .LBB27_800
.LBB27_1053:                            ;   in Loop: Header=BB27_719 Depth=2
	s_mov_b64 s[26:27], -1
	s_and_saveexec_b64 s[24:25], s[18:19]
	s_cbranch_execz .LBB27_1055
; %bb.1054:                             ;   in Loop: Header=BB27_719 Depth=2
	ds_read_b32 v8, v0 offset:720
	s_waitcnt lgkmcnt(0)
	v_and_b32_e32 v8, 15, v8
	v_cmp_eq_u32_e32 vcc, 0, v8
	s_orn2_b64 s[26:27], vcc, exec
.LBB27_1055:                            ;   in Loop: Header=BB27_719 Depth=2
	s_or_b64 exec, exec, s[24:25]
	s_and_saveexec_b64 s[24:25], s[14:15]
	s_cbranch_execz .LBB27_1057
; %bb.1056:                             ;   in Loop: Header=BB27_719 Depth=2
	ds_read_b32 v8, v0 offset:784
	s_waitcnt lgkmcnt(0)
	v_and_b32_e32 v8, 15, v8
	v_cmp_eq_u32_e32 vcc, 0, v8
	s_and_b64 s[28:29], s[26:27], vcc
	s_andn2_b64 s[26:27], s[26:27], exec
	s_and_b64 s[28:29], s[28:29], exec
	s_or_b64 s[26:27], s[26:27], s[28:29]
.LBB27_1057:                            ;   in Loop: Header=BB27_719 Depth=2
	s_or_b64 exec, exec, s[24:25]
	s_xor_b64 s[26:27], s[26:27], -1
	v_cndmask_b32_e64 v8, 0, 1, s[26:27]
	s_mov_b64 s[24:25], -1
	v_mov_b32_e32 v14, 0
	v_cmp_ne_u32_e32 vcc, 0, v8
	s_cbranch_vccz .LBB27_1059
; %bb.1058:                             ;   in Loop: Header=BB27_719 Depth=2
	v_mov_b32_e32 v15, v0
	s_and_saveexec_b64 s[26:27], s[24:25]
	s_cbranch_execnz .LBB27_1230
	s_branch .LBB27_1306
.LBB27_1059:                            ;   in Loop: Header=BB27_719 Depth=2
	v_ashrrev_i32_e32 v8, 31, v73
	v_lshrrev_b32_e32 v8, 20, v8
	v_add_u32_e32 v8, v73, v8
	v_ashrrev_i32_e32 v104, 12, v8
	v_sub_u32_e32 v75, v104, v110
	v_cmp_lt_i32_e32 vcc, 0, v75
	s_and_saveexec_b64 s[26:27], vcc
	s_cbranch_execz .LBB27_1191
; %bb.1060:                             ;   in Loop: Header=BB27_719 Depth=2
	s_trap 2
	ds_read_b64 v[8:9], v0
	s_and_b32 s46, s50, 1
	s_cmp_eq_u64 s[46:47], 0
	v_lshl_add_u64 v[90:91], v[78:79], 0, v[114:115]
	v_lshl_add_u64 v[92:93], v[88:89], 0, v[114:115]
	s_waitcnt lgkmcnt(0)
	v_lshl_add_u64 v[94:95], v[8:9], 0, v[114:115]
	s_mov_b64 s[28:29], 0
	s_cselect_b64 vcc, -1, 0
	s_branch .LBB27_1062
.LBB27_1061:                            ;   in Loop: Header=BB27_1062 Depth=3
	s_or_b64 exec, exec, s[40:41]
	v_lshrrev_b32_e32 v15, 16, v20
	v_and_or_b32 v17, v17, s86, v15
	v_lshrrev_b32_e32 v15, 16, v35
	v_and_or_b32 v16, v16, s86, v15
	;; [unrolled: 2-line block ×9, first 2 shown]
	v_lshrrev_b32_e32 v15, 16, v105
	v_lshrrev_b32_e32 v12, 16, v12
	v_and_or_b32 v32, v36, s86, v15
	v_lshrrev_b32_e32 v15, 16, v49
	v_and_or_b32 v9, v9, s86, v12
	;; [unrolled: 2-line block ×4, first 2 shown]
	v_lshrrev_b32_e32 v12, 16, v13
	v_sub_u32_e32 v75, v75, v84
	v_and_or_b32 v35, v39, s86, v15
	v_and_or_b32 v10, v10, s86, v12
	v_lshrrev_b32_e32 v12, 16, v14
	v_cmp_gt_i32_e64 s[24:25], 1, v75
	v_and_or_b32 v11, v11, s86, v12
	global_store_dwordx4 v[92:93], v[32:35], off
	global_store_dwordx4 v[92:93], v[24:27], off offset:1024
	global_store_dwordx4 v[92:93], v[16:19], off offset:2048
	;; [unrolled: 1-line block ×3, first 2 shown]
	v_lshl_add_u64 v[90:91], v[90:91], 0, v[116:117]
	v_lshl_add_u64 v[94:95], v[94:95], 0, v[116:117]
	s_or_b64 s[28:29], s[24:25], s[28:29]
	v_lshl_add_u64 v[92:93], v[92:93], 0, v[116:117]
	s_andn2_b64 exec, exec, s[28:29]
	s_cbranch_execz .LBB27_1190
.LBB27_1062:                            ;   Parent Loop BB27_47 Depth=1
                                        ;     Parent Loop BB27_719 Depth=2
                                        ; =>    This Inner Loop Header: Depth=3
	global_load_dwordx4 v[36:39], v[90:91], off nt
	global_load_dwordx4 v[48:51], v[94:95], off nt
	global_load_dwordx4 v[24:27], v[90:91], off offset:1024 nt
	global_load_dwordx4 v[16:19], v[90:91], off offset:2048 nt
	;; [unrolled: 1-line block ×6, first 2 shown]
                                        ; implicit-def: $vgpr105
	s_waitcnt vmcnt(0)
	v_lshlrev_b32_e32 v52, 16, v36
	v_lshlrev_b32_e32 v53, 16, v48
	v_max_f32_e32 v53, v53, v53
	v_max_f32_e32 v52, v52, v52
	v_min_f32_e32 v82, v52, v53
	v_max_f32_e32 v52, v52, v53
	v_cndmask_b32_e32 v52, v52, v82, vcc
	v_and_b32_e32 v53, 0x7f800000, v52
	v_cmp_ne_u32_e64 s[24:25], s69, v53
	s_and_saveexec_b64 s[40:41], s[24:25]
	s_xor_b64 s[24:25], exec, s[40:41]
; %bb.1063:                             ;   in Loop: Header=BB27_1062 Depth=3
	v_bfe_u32 v53, v52, 16, 1
	v_add3_u32 v105, v52, v53, s70
                                        ; implicit-def: $vgpr52
; %bb.1064:                             ;   in Loop: Header=BB27_1062 Depth=3
	s_andn2_saveexec_b64 s[40:41], s[24:25]
; %bb.1065:                             ;   in Loop: Header=BB27_1062 Depth=3
	v_or_b32_e32 v53, 0x10000, v52
	v_cmp_eq_u32_sdwa s[24:25], v52, v3 src0_sel:WORD_0 src1_sel:DWORD
	s_nop 1
	v_cndmask_b32_e64 v105, v53, v52, s[24:25]
; %bb.1066:                             ;   in Loop: Header=BB27_1062 Depth=3
	s_or_b64 exec, exec, s[40:41]
	v_and_b32_e32 v36, 0xffff0000, v36
	v_and_b32_e32 v48, 0xffff0000, v48
	v_max_f32_e32 v48, v48, v48
	v_max_f32_e32 v36, v36, v36
	v_min_f32_e32 v52, v36, v48
	v_max_f32_e32 v36, v36, v48
	v_cndmask_b32_e32 v48, v36, v52, vcc
	v_and_b32_e32 v36, 0x7f800000, v48
	v_cmp_ne_u32_e64 s[24:25], s69, v36
                                        ; implicit-def: $vgpr36
	s_and_saveexec_b64 s[40:41], s[24:25]
	s_xor_b64 s[24:25], exec, s[40:41]
; %bb.1067:                             ;   in Loop: Header=BB27_1062 Depth=3
	v_bfe_u32 v36, v48, 16, 1
	v_add3_u32 v36, v48, v36, s70
                                        ; implicit-def: $vgpr48
; %bb.1068:                             ;   in Loop: Header=BB27_1062 Depth=3
	s_andn2_saveexec_b64 s[40:41], s[24:25]
; %bb.1069:                             ;   in Loop: Header=BB27_1062 Depth=3
	v_or_b32_e32 v36, 0x10000, v48
	v_cmp_eq_u32_sdwa s[24:25], v48, v3 src0_sel:WORD_0 src1_sel:DWORD
	s_nop 1
	v_cndmask_b32_e64 v36, v36, v48, s[24:25]
; %bb.1070:                             ;   in Loop: Header=BB27_1062 Depth=3
	s_or_b64 exec, exec, s[40:41]
	v_lshlrev_b32_e32 v48, 16, v37
	v_lshlrev_b32_e32 v52, 16, v49
	v_max_f32_e32 v52, v52, v52
	v_max_f32_e32 v48, v48, v48
	v_min_f32_e32 v53, v48, v52
	v_max_f32_e32 v48, v48, v52
	v_cndmask_b32_e32 v52, v48, v53, vcc
	v_and_b32_e32 v48, 0x7f800000, v52
	v_cmp_ne_u32_e64 s[24:25], s69, v48
                                        ; implicit-def: $vgpr48
	s_and_saveexec_b64 s[40:41], s[24:25]
	s_xor_b64 s[24:25], exec, s[40:41]
; %bb.1071:                             ;   in Loop: Header=BB27_1062 Depth=3
	v_bfe_u32 v48, v52, 16, 1
	v_add3_u32 v48, v52, v48, s70
                                        ; implicit-def: $vgpr52
; %bb.1072:                             ;   in Loop: Header=BB27_1062 Depth=3
	s_andn2_saveexec_b64 s[40:41], s[24:25]
; %bb.1073:                             ;   in Loop: Header=BB27_1062 Depth=3
	v_or_b32_e32 v48, 0x10000, v52
	v_cmp_eq_u32_sdwa s[24:25], v52, v3 src0_sel:WORD_0 src1_sel:DWORD
	s_nop 1
	v_cndmask_b32_e64 v48, v48, v52, s[24:25]
; %bb.1074:                             ;   in Loop: Header=BB27_1062 Depth=3
	s_or_b64 exec, exec, s[40:41]
	v_and_b32_e32 v37, 0xffff0000, v37
	v_and_b32_e32 v49, 0xffff0000, v49
	v_max_f32_e32 v49, v49, v49
	v_max_f32_e32 v37, v37, v37
	v_min_f32_e32 v52, v37, v49
	v_max_f32_e32 v37, v37, v49
	v_cndmask_b32_e32 v49, v37, v52, vcc
	v_and_b32_e32 v37, 0x7f800000, v49
	v_cmp_ne_u32_e64 s[24:25], s69, v37
                                        ; implicit-def: $vgpr37
	s_and_saveexec_b64 s[40:41], s[24:25]
	s_xor_b64 s[24:25], exec, s[40:41]
; %bb.1075:                             ;   in Loop: Header=BB27_1062 Depth=3
	v_bfe_u32 v37, v49, 16, 1
	v_add3_u32 v37, v49, v37, s70
                                        ; implicit-def: $vgpr49
; %bb.1076:                             ;   in Loop: Header=BB27_1062 Depth=3
	s_andn2_saveexec_b64 s[40:41], s[24:25]
; %bb.1077:                             ;   in Loop: Header=BB27_1062 Depth=3
	v_or_b32_e32 v37, 0x10000, v49
	v_cmp_eq_u32_sdwa s[24:25], v49, v3 src0_sel:WORD_0 src1_sel:DWORD
	s_nop 1
	v_cndmask_b32_e64 v37, v37, v49, s[24:25]
; %bb.1078:                             ;   in Loop: Header=BB27_1062 Depth=3
	s_or_b64 exec, exec, s[40:41]
	v_lshlrev_b32_e32 v49, 16, v38
	v_lshlrev_b32_e32 v52, 16, v50
	v_max_f32_e32 v52, v52, v52
	v_max_f32_e32 v49, v49, v49
	v_min_f32_e32 v53, v49, v52
	v_max_f32_e32 v49, v49, v52
	v_cndmask_b32_e32 v52, v49, v53, vcc
	v_and_b32_e32 v49, 0x7f800000, v52
	v_cmp_ne_u32_e64 s[24:25], s69, v49
                                        ; implicit-def: $vgpr49
	s_and_saveexec_b64 s[40:41], s[24:25]
	s_xor_b64 s[24:25], exec, s[40:41]
; %bb.1079:                             ;   in Loop: Header=BB27_1062 Depth=3
	v_bfe_u32 v49, v52, 16, 1
	v_add3_u32 v49, v52, v49, s70
                                        ; implicit-def: $vgpr52
; %bb.1080:                             ;   in Loop: Header=BB27_1062 Depth=3
	s_andn2_saveexec_b64 s[40:41], s[24:25]
; %bb.1081:                             ;   in Loop: Header=BB27_1062 Depth=3
	v_or_b32_e32 v49, 0x10000, v52
	v_cmp_eq_u32_sdwa s[24:25], v52, v3 src0_sel:WORD_0 src1_sel:DWORD
	s_nop 1
	v_cndmask_b32_e64 v49, v49, v52, s[24:25]
; %bb.1082:                             ;   in Loop: Header=BB27_1062 Depth=3
	s_or_b64 exec, exec, s[40:41]
	v_and_b32_e32 v38, 0xffff0000, v38
	v_and_b32_e32 v50, 0xffff0000, v50
	v_max_f32_e32 v50, v50, v50
	v_max_f32_e32 v38, v38, v38
	v_min_f32_e32 v52, v38, v50
	v_max_f32_e32 v38, v38, v50
	v_cndmask_b32_e32 v50, v38, v52, vcc
	v_and_b32_e32 v38, 0x7f800000, v50
	v_cmp_ne_u32_e64 s[24:25], s69, v38
                                        ; implicit-def: $vgpr38
	s_and_saveexec_b64 s[40:41], s[24:25]
	s_xor_b64 s[24:25], exec, s[40:41]
; %bb.1083:                             ;   in Loop: Header=BB27_1062 Depth=3
	v_bfe_u32 v38, v50, 16, 1
	v_add3_u32 v38, v50, v38, s70
                                        ; implicit-def: $vgpr50
; %bb.1084:                             ;   in Loop: Header=BB27_1062 Depth=3
	s_andn2_saveexec_b64 s[40:41], s[24:25]
; %bb.1085:                             ;   in Loop: Header=BB27_1062 Depth=3
	v_or_b32_e32 v38, 0x10000, v50
	v_cmp_eq_u32_sdwa s[24:25], v50, v3 src0_sel:WORD_0 src1_sel:DWORD
	s_nop 1
	v_cndmask_b32_e64 v38, v38, v50, s[24:25]
; %bb.1086:                             ;   in Loop: Header=BB27_1062 Depth=3
	s_or_b64 exec, exec, s[40:41]
	v_lshlrev_b32_e32 v50, 16, v39
	v_lshlrev_b32_e32 v52, 16, v51
	v_max_f32_e32 v52, v52, v52
	v_max_f32_e32 v50, v50, v50
	v_min_f32_e32 v53, v50, v52
	v_max_f32_e32 v50, v50, v52
	v_cndmask_b32_e32 v52, v50, v53, vcc
	v_and_b32_e32 v50, 0x7f800000, v52
	v_cmp_ne_u32_e64 s[24:25], s69, v50
                                        ; implicit-def: $vgpr50
	s_and_saveexec_b64 s[40:41], s[24:25]
	s_xor_b64 s[24:25], exec, s[40:41]
; %bb.1087:                             ;   in Loop: Header=BB27_1062 Depth=3
	v_bfe_u32 v50, v52, 16, 1
	v_add3_u32 v50, v52, v50, s70
                                        ; implicit-def: $vgpr52
; %bb.1088:                             ;   in Loop: Header=BB27_1062 Depth=3
	s_andn2_saveexec_b64 s[40:41], s[24:25]
; %bb.1089:                             ;   in Loop: Header=BB27_1062 Depth=3
	v_or_b32_e32 v50, 0x10000, v52
	v_cmp_eq_u32_sdwa s[24:25], v52, v3 src0_sel:WORD_0 src1_sel:DWORD
	s_nop 1
	v_cndmask_b32_e64 v50, v50, v52, s[24:25]
; %bb.1090:                             ;   in Loop: Header=BB27_1062 Depth=3
	s_or_b64 exec, exec, s[40:41]
	v_and_b32_e32 v39, 0xffff0000, v39
	v_and_b32_e32 v51, 0xffff0000, v51
	v_max_f32_e32 v51, v51, v51
	v_max_f32_e32 v39, v39, v39
	v_min_f32_e32 v52, v39, v51
	v_max_f32_e32 v39, v39, v51
	v_cndmask_b32_e32 v51, v39, v52, vcc
	v_and_b32_e32 v39, 0x7f800000, v51
	v_cmp_ne_u32_e64 s[24:25], s69, v39
                                        ; implicit-def: $vgpr39
	s_and_saveexec_b64 s[40:41], s[24:25]
	s_xor_b64 s[24:25], exec, s[40:41]
; %bb.1091:                             ;   in Loop: Header=BB27_1062 Depth=3
	v_bfe_u32 v39, v51, 16, 1
	v_add3_u32 v39, v51, v39, s70
                                        ; implicit-def: $vgpr51
; %bb.1092:                             ;   in Loop: Header=BB27_1062 Depth=3
	s_andn2_saveexec_b64 s[40:41], s[24:25]
; %bb.1093:                             ;   in Loop: Header=BB27_1062 Depth=3
	v_or_b32_e32 v39, 0x10000, v51
	v_cmp_eq_u32_sdwa s[24:25], v51, v3 src0_sel:WORD_0 src1_sel:DWORD
	s_nop 1
	v_cndmask_b32_e64 v39, v39, v51, s[24:25]
; %bb.1094:                             ;   in Loop: Header=BB27_1062 Depth=3
	s_or_b64 exec, exec, s[40:41]
	v_lshlrev_b32_e32 v51, 16, v24
	v_lshlrev_b32_e32 v52, 16, v32
	v_max_f32_e32 v52, v52, v52
	v_max_f32_e32 v51, v51, v51
	v_min_f32_e32 v53, v51, v52
	v_max_f32_e32 v51, v51, v52
	v_cndmask_b32_e32 v52, v51, v53, vcc
	v_and_b32_e32 v51, 0x7f800000, v52
	v_cmp_ne_u32_e64 s[24:25], s69, v51
                                        ; implicit-def: $vgpr51
	s_and_saveexec_b64 s[40:41], s[24:25]
	s_xor_b64 s[24:25], exec, s[40:41]
; %bb.1095:                             ;   in Loop: Header=BB27_1062 Depth=3
	v_bfe_u32 v51, v52, 16, 1
	v_add3_u32 v51, v52, v51, s70
                                        ; implicit-def: $vgpr52
; %bb.1096:                             ;   in Loop: Header=BB27_1062 Depth=3
	s_andn2_saveexec_b64 s[40:41], s[24:25]
; %bb.1097:                             ;   in Loop: Header=BB27_1062 Depth=3
	v_or_b32_e32 v51, 0x10000, v52
	v_cmp_eq_u32_sdwa s[24:25], v52, v3 src0_sel:WORD_0 src1_sel:DWORD
	s_nop 1
	v_cndmask_b32_e64 v51, v51, v52, s[24:25]
; %bb.1098:                             ;   in Loop: Header=BB27_1062 Depth=3
	s_or_b64 exec, exec, s[40:41]
	v_and_b32_e32 v24, 0xffff0000, v24
	v_and_b32_e32 v32, 0xffff0000, v32
	v_max_f32_e32 v32, v32, v32
	v_max_f32_e32 v24, v24, v24
	v_min_f32_e32 v52, v24, v32
	v_max_f32_e32 v24, v24, v32
	v_cndmask_b32_e32 v32, v24, v52, vcc
	v_and_b32_e32 v24, 0x7f800000, v32
	v_cmp_ne_u32_e64 s[24:25], s69, v24
                                        ; implicit-def: $vgpr24
	s_and_saveexec_b64 s[40:41], s[24:25]
	s_xor_b64 s[24:25], exec, s[40:41]
; %bb.1099:                             ;   in Loop: Header=BB27_1062 Depth=3
	v_bfe_u32 v24, v32, 16, 1
	v_add3_u32 v24, v32, v24, s70
                                        ; implicit-def: $vgpr32
; %bb.1100:                             ;   in Loop: Header=BB27_1062 Depth=3
	s_andn2_saveexec_b64 s[40:41], s[24:25]
; %bb.1101:                             ;   in Loop: Header=BB27_1062 Depth=3
	v_or_b32_e32 v24, 0x10000, v32
	v_cmp_eq_u32_sdwa s[24:25], v32, v3 src0_sel:WORD_0 src1_sel:DWORD
	s_nop 1
	v_cndmask_b32_e64 v24, v24, v32, s[24:25]
; %bb.1102:                             ;   in Loop: Header=BB27_1062 Depth=3
	s_or_b64 exec, exec, s[40:41]
	v_lshlrev_b32_e32 v32, 16, v25
	v_lshlrev_b32_e32 v52, 16, v33
	v_max_f32_e32 v52, v52, v52
	v_max_f32_e32 v32, v32, v32
	v_min_f32_e32 v53, v32, v52
	v_max_f32_e32 v32, v32, v52
	v_cndmask_b32_e32 v52, v32, v53, vcc
	v_and_b32_e32 v32, 0x7f800000, v52
	v_cmp_ne_u32_e64 s[24:25], s69, v32
                                        ; implicit-def: $vgpr32
	s_and_saveexec_b64 s[40:41], s[24:25]
	s_xor_b64 s[24:25], exec, s[40:41]
; %bb.1103:                             ;   in Loop: Header=BB27_1062 Depth=3
	v_bfe_u32 v32, v52, 16, 1
	v_add3_u32 v32, v52, v32, s70
                                        ; implicit-def: $vgpr52
; %bb.1104:                             ;   in Loop: Header=BB27_1062 Depth=3
	s_andn2_saveexec_b64 s[40:41], s[24:25]
; %bb.1105:                             ;   in Loop: Header=BB27_1062 Depth=3
	v_or_b32_e32 v32, 0x10000, v52
	v_cmp_eq_u32_sdwa s[24:25], v52, v3 src0_sel:WORD_0 src1_sel:DWORD
	s_nop 1
	v_cndmask_b32_e64 v32, v32, v52, s[24:25]
; %bb.1106:                             ;   in Loop: Header=BB27_1062 Depth=3
	s_or_b64 exec, exec, s[40:41]
	v_and_b32_e32 v25, 0xffff0000, v25
	v_and_b32_e32 v33, 0xffff0000, v33
	v_max_f32_e32 v33, v33, v33
	v_max_f32_e32 v25, v25, v25
	v_min_f32_e32 v52, v25, v33
	v_max_f32_e32 v25, v25, v33
	v_cndmask_b32_e32 v33, v25, v52, vcc
	v_and_b32_e32 v25, 0x7f800000, v33
	v_cmp_ne_u32_e64 s[24:25], s69, v25
                                        ; implicit-def: $vgpr25
	s_and_saveexec_b64 s[40:41], s[24:25]
	s_xor_b64 s[24:25], exec, s[40:41]
; %bb.1107:                             ;   in Loop: Header=BB27_1062 Depth=3
	v_bfe_u32 v25, v33, 16, 1
	v_add3_u32 v25, v33, v25, s70
                                        ; implicit-def: $vgpr33
; %bb.1108:                             ;   in Loop: Header=BB27_1062 Depth=3
	s_andn2_saveexec_b64 s[40:41], s[24:25]
; %bb.1109:                             ;   in Loop: Header=BB27_1062 Depth=3
	v_or_b32_e32 v25, 0x10000, v33
	v_cmp_eq_u32_sdwa s[24:25], v33, v3 src0_sel:WORD_0 src1_sel:DWORD
	s_nop 1
	v_cndmask_b32_e64 v25, v25, v33, s[24:25]
; %bb.1110:                             ;   in Loop: Header=BB27_1062 Depth=3
	s_or_b64 exec, exec, s[40:41]
	v_lshlrev_b32_e32 v33, 16, v26
	v_lshlrev_b32_e32 v52, 16, v34
	v_max_f32_e32 v52, v52, v52
	v_max_f32_e32 v33, v33, v33
	v_min_f32_e32 v53, v33, v52
	v_max_f32_e32 v33, v33, v52
	v_cndmask_b32_e32 v52, v33, v53, vcc
	v_and_b32_e32 v33, 0x7f800000, v52
	v_cmp_ne_u32_e64 s[24:25], s69, v33
                                        ; implicit-def: $vgpr33
	s_and_saveexec_b64 s[40:41], s[24:25]
	s_xor_b64 s[24:25], exec, s[40:41]
; %bb.1111:                             ;   in Loop: Header=BB27_1062 Depth=3
	v_bfe_u32 v33, v52, 16, 1
	v_add3_u32 v33, v52, v33, s70
                                        ; implicit-def: $vgpr52
; %bb.1112:                             ;   in Loop: Header=BB27_1062 Depth=3
	s_andn2_saveexec_b64 s[40:41], s[24:25]
; %bb.1113:                             ;   in Loop: Header=BB27_1062 Depth=3
	v_or_b32_e32 v33, 0x10000, v52
	v_cmp_eq_u32_sdwa s[24:25], v52, v3 src0_sel:WORD_0 src1_sel:DWORD
	s_nop 1
	v_cndmask_b32_e64 v33, v33, v52, s[24:25]
; %bb.1114:                             ;   in Loop: Header=BB27_1062 Depth=3
	s_or_b64 exec, exec, s[40:41]
	v_and_b32_e32 v26, 0xffff0000, v26
	v_and_b32_e32 v34, 0xffff0000, v34
	v_max_f32_e32 v34, v34, v34
	v_max_f32_e32 v26, v26, v26
	v_min_f32_e32 v52, v26, v34
	v_max_f32_e32 v26, v26, v34
	v_cndmask_b32_e32 v34, v26, v52, vcc
	v_and_b32_e32 v26, 0x7f800000, v34
	v_cmp_ne_u32_e64 s[24:25], s69, v26
                                        ; implicit-def: $vgpr26
	s_and_saveexec_b64 s[40:41], s[24:25]
	s_xor_b64 s[24:25], exec, s[40:41]
; %bb.1115:                             ;   in Loop: Header=BB27_1062 Depth=3
	v_bfe_u32 v26, v34, 16, 1
	v_add3_u32 v26, v34, v26, s70
                                        ; implicit-def: $vgpr34
; %bb.1116:                             ;   in Loop: Header=BB27_1062 Depth=3
	s_andn2_saveexec_b64 s[40:41], s[24:25]
; %bb.1117:                             ;   in Loop: Header=BB27_1062 Depth=3
	v_or_b32_e32 v26, 0x10000, v34
	v_cmp_eq_u32_sdwa s[24:25], v34, v3 src0_sel:WORD_0 src1_sel:DWORD
	s_nop 1
	v_cndmask_b32_e64 v26, v26, v34, s[24:25]
; %bb.1118:                             ;   in Loop: Header=BB27_1062 Depth=3
	s_or_b64 exec, exec, s[40:41]
	v_lshlrev_b32_e32 v34, 16, v27
	v_lshlrev_b32_e32 v52, 16, v35
	v_max_f32_e32 v52, v52, v52
	v_max_f32_e32 v34, v34, v34
	v_min_f32_e32 v53, v34, v52
	v_max_f32_e32 v34, v34, v52
	v_cndmask_b32_e32 v52, v34, v53, vcc
	v_and_b32_e32 v34, 0x7f800000, v52
	v_cmp_ne_u32_e64 s[24:25], s69, v34
                                        ; implicit-def: $vgpr34
	s_and_saveexec_b64 s[40:41], s[24:25]
	s_xor_b64 s[24:25], exec, s[40:41]
; %bb.1119:                             ;   in Loop: Header=BB27_1062 Depth=3
	v_bfe_u32 v34, v52, 16, 1
	v_add3_u32 v34, v52, v34, s70
                                        ; implicit-def: $vgpr52
; %bb.1120:                             ;   in Loop: Header=BB27_1062 Depth=3
	s_andn2_saveexec_b64 s[40:41], s[24:25]
; %bb.1121:                             ;   in Loop: Header=BB27_1062 Depth=3
	v_or_b32_e32 v34, 0x10000, v52
	v_cmp_eq_u32_sdwa s[24:25], v52, v3 src0_sel:WORD_0 src1_sel:DWORD
	s_nop 1
	v_cndmask_b32_e64 v34, v34, v52, s[24:25]
; %bb.1122:                             ;   in Loop: Header=BB27_1062 Depth=3
	s_or_b64 exec, exec, s[40:41]
	v_and_b32_e32 v27, 0xffff0000, v27
	v_and_b32_e32 v35, 0xffff0000, v35
	v_max_f32_e32 v35, v35, v35
	v_max_f32_e32 v27, v27, v27
	v_min_f32_e32 v52, v27, v35
	v_max_f32_e32 v27, v27, v35
	v_cndmask_b32_e32 v35, v27, v52, vcc
	v_and_b32_e32 v27, 0x7f800000, v35
	v_cmp_ne_u32_e64 s[24:25], s69, v27
                                        ; implicit-def: $vgpr27
	s_and_saveexec_b64 s[40:41], s[24:25]
	s_xor_b64 s[24:25], exec, s[40:41]
; %bb.1123:                             ;   in Loop: Header=BB27_1062 Depth=3
	v_bfe_u32 v27, v35, 16, 1
	v_add3_u32 v27, v35, v27, s70
                                        ; implicit-def: $vgpr35
; %bb.1124:                             ;   in Loop: Header=BB27_1062 Depth=3
	s_andn2_saveexec_b64 s[40:41], s[24:25]
; %bb.1125:                             ;   in Loop: Header=BB27_1062 Depth=3
	v_or_b32_e32 v27, 0x10000, v35
	v_cmp_eq_u32_sdwa s[24:25], v35, v3 src0_sel:WORD_0 src1_sel:DWORD
	s_nop 1
	v_cndmask_b32_e64 v27, v27, v35, s[24:25]
; %bb.1126:                             ;   in Loop: Header=BB27_1062 Depth=3
	s_or_b64 exec, exec, s[40:41]
	v_lshlrev_b32_e32 v35, 16, v16
	v_lshlrev_b32_e32 v52, 16, v20
	v_max_f32_e32 v52, v52, v52
	v_max_f32_e32 v35, v35, v35
	v_min_f32_e32 v53, v35, v52
	v_max_f32_e32 v35, v35, v52
	v_cndmask_b32_e32 v52, v35, v53, vcc
	v_and_b32_e32 v35, 0x7f800000, v52
	v_cmp_ne_u32_e64 s[24:25], s69, v35
                                        ; implicit-def: $vgpr35
	s_and_saveexec_b64 s[40:41], s[24:25]
	s_xor_b64 s[24:25], exec, s[40:41]
; %bb.1127:                             ;   in Loop: Header=BB27_1062 Depth=3
	v_bfe_u32 v35, v52, 16, 1
	v_add3_u32 v35, v52, v35, s70
                                        ; implicit-def: $vgpr52
; %bb.1128:                             ;   in Loop: Header=BB27_1062 Depth=3
	s_andn2_saveexec_b64 s[40:41], s[24:25]
; %bb.1129:                             ;   in Loop: Header=BB27_1062 Depth=3
	v_or_b32_e32 v35, 0x10000, v52
	v_cmp_eq_u32_sdwa s[24:25], v52, v3 src0_sel:WORD_0 src1_sel:DWORD
	s_nop 1
	v_cndmask_b32_e64 v35, v35, v52, s[24:25]
; %bb.1130:                             ;   in Loop: Header=BB27_1062 Depth=3
	s_or_b64 exec, exec, s[40:41]
	v_and_b32_e32 v16, 0xffff0000, v16
	v_and_b32_e32 v20, 0xffff0000, v20
	v_max_f32_e32 v20, v20, v20
	v_max_f32_e32 v16, v16, v16
	v_min_f32_e32 v52, v16, v20
	v_max_f32_e32 v16, v16, v20
	v_cndmask_b32_e32 v20, v16, v52, vcc
	v_and_b32_e32 v16, 0x7f800000, v20
	v_cmp_ne_u32_e64 s[24:25], s69, v16
                                        ; implicit-def: $vgpr16
	s_and_saveexec_b64 s[40:41], s[24:25]
	s_xor_b64 s[24:25], exec, s[40:41]
; %bb.1131:                             ;   in Loop: Header=BB27_1062 Depth=3
	v_bfe_u32 v16, v20, 16, 1
	v_add3_u32 v16, v20, v16, s70
                                        ; implicit-def: $vgpr20
; %bb.1132:                             ;   in Loop: Header=BB27_1062 Depth=3
	s_andn2_saveexec_b64 s[40:41], s[24:25]
; %bb.1133:                             ;   in Loop: Header=BB27_1062 Depth=3
	v_or_b32_e32 v16, 0x10000, v20
	v_cmp_eq_u32_sdwa s[24:25], v20, v3 src0_sel:WORD_0 src1_sel:DWORD
	s_nop 1
	v_cndmask_b32_e64 v16, v16, v20, s[24:25]
; %bb.1134:                             ;   in Loop: Header=BB27_1062 Depth=3
	s_or_b64 exec, exec, s[40:41]
	v_lshlrev_b32_e32 v20, 16, v17
	v_lshlrev_b32_e32 v52, 16, v21
	v_max_f32_e32 v52, v52, v52
	v_max_f32_e32 v20, v20, v20
	v_min_f32_e32 v53, v20, v52
	v_max_f32_e32 v20, v20, v52
	v_cndmask_b32_e32 v52, v20, v53, vcc
	v_and_b32_e32 v20, 0x7f800000, v52
	v_cmp_ne_u32_e64 s[24:25], s69, v20
                                        ; implicit-def: $vgpr20
	s_and_saveexec_b64 s[40:41], s[24:25]
	s_xor_b64 s[24:25], exec, s[40:41]
; %bb.1135:                             ;   in Loop: Header=BB27_1062 Depth=3
	v_bfe_u32 v20, v52, 16, 1
	v_add3_u32 v20, v52, v20, s70
                                        ; implicit-def: $vgpr52
; %bb.1136:                             ;   in Loop: Header=BB27_1062 Depth=3
	s_andn2_saveexec_b64 s[40:41], s[24:25]
; %bb.1137:                             ;   in Loop: Header=BB27_1062 Depth=3
	v_or_b32_e32 v20, 0x10000, v52
	v_cmp_eq_u32_sdwa s[24:25], v52, v3 src0_sel:WORD_0 src1_sel:DWORD
	s_nop 1
	v_cndmask_b32_e64 v20, v20, v52, s[24:25]
; %bb.1138:                             ;   in Loop: Header=BB27_1062 Depth=3
	s_or_b64 exec, exec, s[40:41]
	v_and_b32_e32 v17, 0xffff0000, v17
	v_and_b32_e32 v21, 0xffff0000, v21
	v_max_f32_e32 v21, v21, v21
	v_max_f32_e32 v17, v17, v17
	v_min_f32_e32 v52, v17, v21
	v_max_f32_e32 v17, v17, v21
	v_cndmask_b32_e32 v21, v17, v52, vcc
	v_and_b32_e32 v17, 0x7f800000, v21
	v_cmp_ne_u32_e64 s[24:25], s69, v17
                                        ; implicit-def: $vgpr17
	s_and_saveexec_b64 s[40:41], s[24:25]
	s_xor_b64 s[24:25], exec, s[40:41]
; %bb.1139:                             ;   in Loop: Header=BB27_1062 Depth=3
	v_bfe_u32 v17, v21, 16, 1
	v_add3_u32 v17, v21, v17, s70
                                        ; implicit-def: $vgpr21
; %bb.1140:                             ;   in Loop: Header=BB27_1062 Depth=3
	s_andn2_saveexec_b64 s[40:41], s[24:25]
; %bb.1141:                             ;   in Loop: Header=BB27_1062 Depth=3
	v_or_b32_e32 v17, 0x10000, v21
	v_cmp_eq_u32_sdwa s[24:25], v21, v3 src0_sel:WORD_0 src1_sel:DWORD
	s_nop 1
	v_cndmask_b32_e64 v17, v17, v21, s[24:25]
; %bb.1142:                             ;   in Loop: Header=BB27_1062 Depth=3
	s_or_b64 exec, exec, s[40:41]
	v_lshlrev_b32_e32 v21, 16, v18
	v_lshlrev_b32_e32 v52, 16, v22
	v_max_f32_e32 v52, v52, v52
	v_max_f32_e32 v21, v21, v21
	v_min_f32_e32 v53, v21, v52
	v_max_f32_e32 v21, v21, v52
	v_cndmask_b32_e32 v52, v21, v53, vcc
	v_and_b32_e32 v21, 0x7f800000, v52
	v_cmp_ne_u32_e64 s[24:25], s69, v21
                                        ; implicit-def: $vgpr21
	s_and_saveexec_b64 s[40:41], s[24:25]
	s_xor_b64 s[24:25], exec, s[40:41]
; %bb.1143:                             ;   in Loop: Header=BB27_1062 Depth=3
	v_bfe_u32 v21, v52, 16, 1
	v_add3_u32 v21, v52, v21, s70
                                        ; implicit-def: $vgpr52
; %bb.1144:                             ;   in Loop: Header=BB27_1062 Depth=3
	s_andn2_saveexec_b64 s[40:41], s[24:25]
; %bb.1145:                             ;   in Loop: Header=BB27_1062 Depth=3
	v_or_b32_e32 v21, 0x10000, v52
	v_cmp_eq_u32_sdwa s[24:25], v52, v3 src0_sel:WORD_0 src1_sel:DWORD
	s_nop 1
	v_cndmask_b32_e64 v21, v21, v52, s[24:25]
; %bb.1146:                             ;   in Loop: Header=BB27_1062 Depth=3
	s_or_b64 exec, exec, s[40:41]
	v_and_b32_e32 v18, 0xffff0000, v18
	v_and_b32_e32 v22, 0xffff0000, v22
	v_max_f32_e32 v22, v22, v22
	v_max_f32_e32 v18, v18, v18
	v_min_f32_e32 v52, v18, v22
	v_max_f32_e32 v18, v18, v22
	v_cndmask_b32_e32 v22, v18, v52, vcc
	v_and_b32_e32 v18, 0x7f800000, v22
	v_cmp_ne_u32_e64 s[24:25], s69, v18
                                        ; implicit-def: $vgpr18
	s_and_saveexec_b64 s[40:41], s[24:25]
	s_xor_b64 s[24:25], exec, s[40:41]
; %bb.1147:                             ;   in Loop: Header=BB27_1062 Depth=3
	v_bfe_u32 v18, v22, 16, 1
	v_add3_u32 v18, v22, v18, s70
                                        ; implicit-def: $vgpr22
; %bb.1148:                             ;   in Loop: Header=BB27_1062 Depth=3
	s_andn2_saveexec_b64 s[40:41], s[24:25]
; %bb.1149:                             ;   in Loop: Header=BB27_1062 Depth=3
	v_or_b32_e32 v18, 0x10000, v22
	v_cmp_eq_u32_sdwa s[24:25], v22, v3 src0_sel:WORD_0 src1_sel:DWORD
	s_nop 1
	v_cndmask_b32_e64 v18, v18, v22, s[24:25]
; %bb.1150:                             ;   in Loop: Header=BB27_1062 Depth=3
	s_or_b64 exec, exec, s[40:41]
	v_lshlrev_b32_e32 v22, 16, v19
	v_lshlrev_b32_e32 v52, 16, v23
	v_max_f32_e32 v52, v52, v52
	v_max_f32_e32 v22, v22, v22
	v_min_f32_e32 v53, v22, v52
	v_max_f32_e32 v22, v22, v52
	v_cndmask_b32_e32 v52, v22, v53, vcc
	v_and_b32_e32 v22, 0x7f800000, v52
	v_cmp_ne_u32_e64 s[24:25], s69, v22
                                        ; implicit-def: $vgpr22
	s_and_saveexec_b64 s[40:41], s[24:25]
	s_xor_b64 s[24:25], exec, s[40:41]
; %bb.1151:                             ;   in Loop: Header=BB27_1062 Depth=3
	v_bfe_u32 v22, v52, 16, 1
	v_add3_u32 v22, v52, v22, s70
                                        ; implicit-def: $vgpr52
; %bb.1152:                             ;   in Loop: Header=BB27_1062 Depth=3
	s_andn2_saveexec_b64 s[40:41], s[24:25]
; %bb.1153:                             ;   in Loop: Header=BB27_1062 Depth=3
	v_or_b32_e32 v22, 0x10000, v52
	v_cmp_eq_u32_sdwa s[24:25], v52, v3 src0_sel:WORD_0 src1_sel:DWORD
	s_nop 1
	v_cndmask_b32_e64 v22, v22, v52, s[24:25]
; %bb.1154:                             ;   in Loop: Header=BB27_1062 Depth=3
	s_or_b64 exec, exec, s[40:41]
	v_and_b32_e32 v19, 0xffff0000, v19
	v_and_b32_e32 v23, 0xffff0000, v23
	v_max_f32_e32 v23, v23, v23
	v_max_f32_e32 v19, v19, v19
	v_min_f32_e32 v52, v19, v23
	v_max_f32_e32 v19, v19, v23
	v_cndmask_b32_e32 v23, v19, v52, vcc
	v_and_b32_e32 v19, 0x7f800000, v23
	v_cmp_ne_u32_e64 s[24:25], s69, v19
                                        ; implicit-def: $vgpr19
	s_and_saveexec_b64 s[40:41], s[24:25]
	s_xor_b64 s[24:25], exec, s[40:41]
; %bb.1155:                             ;   in Loop: Header=BB27_1062 Depth=3
	v_bfe_u32 v19, v23, 16, 1
	v_add3_u32 v19, v23, v19, s70
                                        ; implicit-def: $vgpr23
; %bb.1156:                             ;   in Loop: Header=BB27_1062 Depth=3
	s_andn2_saveexec_b64 s[40:41], s[24:25]
; %bb.1157:                             ;   in Loop: Header=BB27_1062 Depth=3
	v_or_b32_e32 v19, 0x10000, v23
	v_cmp_eq_u32_sdwa s[24:25], v23, v3 src0_sel:WORD_0 src1_sel:DWORD
	s_nop 1
	v_cndmask_b32_e64 v19, v19, v23, s[24:25]
; %bb.1158:                             ;   in Loop: Header=BB27_1062 Depth=3
	s_or_b64 exec, exec, s[40:41]
	v_lshlrev_b32_e32 v23, 16, v8
	v_lshlrev_b32_e32 v52, 16, v12
	v_max_f32_e32 v52, v52, v52
	v_max_f32_e32 v23, v23, v23
	v_min_f32_e32 v53, v23, v52
	v_max_f32_e32 v23, v23, v52
	v_cndmask_b32_e32 v52, v23, v53, vcc
	v_and_b32_e32 v23, 0x7f800000, v52
	v_cmp_ne_u32_e64 s[24:25], s69, v23
                                        ; implicit-def: $vgpr23
	s_and_saveexec_b64 s[40:41], s[24:25]
	s_xor_b64 s[24:25], exec, s[40:41]
; %bb.1159:                             ;   in Loop: Header=BB27_1062 Depth=3
	v_bfe_u32 v23, v52, 16, 1
	v_add3_u32 v23, v52, v23, s70
                                        ; implicit-def: $vgpr52
; %bb.1160:                             ;   in Loop: Header=BB27_1062 Depth=3
	s_andn2_saveexec_b64 s[40:41], s[24:25]
; %bb.1161:                             ;   in Loop: Header=BB27_1062 Depth=3
	v_or_b32_e32 v23, 0x10000, v52
	v_cmp_eq_u32_sdwa s[24:25], v52, v3 src0_sel:WORD_0 src1_sel:DWORD
	s_nop 1
	v_cndmask_b32_e64 v23, v23, v52, s[24:25]
; %bb.1162:                             ;   in Loop: Header=BB27_1062 Depth=3
	s_or_b64 exec, exec, s[40:41]
	v_and_b32_e32 v8, 0xffff0000, v8
	v_and_b32_e32 v12, 0xffff0000, v12
	v_max_f32_e32 v12, v12, v12
	v_max_f32_e32 v8, v8, v8
	v_min_f32_e32 v52, v8, v12
	v_max_f32_e32 v8, v8, v12
	v_cndmask_b32_e32 v12, v8, v52, vcc
	v_and_b32_e32 v8, 0x7f800000, v12
	v_cmp_ne_u32_e64 s[24:25], s69, v8
                                        ; implicit-def: $vgpr8
	s_and_saveexec_b64 s[40:41], s[24:25]
	s_xor_b64 s[24:25], exec, s[40:41]
; %bb.1163:                             ;   in Loop: Header=BB27_1062 Depth=3
	v_bfe_u32 v8, v12, 16, 1
	v_add3_u32 v8, v12, v8, s70
                                        ; implicit-def: $vgpr12
; %bb.1164:                             ;   in Loop: Header=BB27_1062 Depth=3
	s_andn2_saveexec_b64 s[40:41], s[24:25]
; %bb.1165:                             ;   in Loop: Header=BB27_1062 Depth=3
	v_or_b32_e32 v8, 0x10000, v12
	v_cmp_eq_u32_sdwa s[24:25], v12, v3 src0_sel:WORD_0 src1_sel:DWORD
	s_nop 1
	v_cndmask_b32_e64 v8, v8, v12, s[24:25]
; %bb.1166:                             ;   in Loop: Header=BB27_1062 Depth=3
	s_or_b64 exec, exec, s[40:41]
	v_lshlrev_b32_e32 v12, 16, v9
	v_lshlrev_b32_e32 v52, 16, v13
	v_max_f32_e32 v52, v52, v52
	v_max_f32_e32 v12, v12, v12
	v_min_f32_e32 v53, v12, v52
	v_max_f32_e32 v12, v12, v52
	v_cndmask_b32_e32 v52, v12, v53, vcc
	v_and_b32_e32 v12, 0x7f800000, v52
	v_cmp_ne_u32_e64 s[24:25], s69, v12
                                        ; implicit-def: $vgpr12
	s_and_saveexec_b64 s[40:41], s[24:25]
	s_xor_b64 s[24:25], exec, s[40:41]
; %bb.1167:                             ;   in Loop: Header=BB27_1062 Depth=3
	v_bfe_u32 v12, v52, 16, 1
	v_add3_u32 v12, v52, v12, s70
                                        ; implicit-def: $vgpr52
; %bb.1168:                             ;   in Loop: Header=BB27_1062 Depth=3
	s_andn2_saveexec_b64 s[40:41], s[24:25]
; %bb.1169:                             ;   in Loop: Header=BB27_1062 Depth=3
	v_or_b32_e32 v12, 0x10000, v52
	v_cmp_eq_u32_sdwa s[24:25], v52, v3 src0_sel:WORD_0 src1_sel:DWORD
	s_nop 1
	v_cndmask_b32_e64 v12, v12, v52, s[24:25]
; %bb.1170:                             ;   in Loop: Header=BB27_1062 Depth=3
	s_or_b64 exec, exec, s[40:41]
	v_and_b32_e32 v9, 0xffff0000, v9
	v_and_b32_e32 v13, 0xffff0000, v13
	v_max_f32_e32 v13, v13, v13
	v_max_f32_e32 v9, v9, v9
	v_min_f32_e32 v52, v9, v13
	v_max_f32_e32 v9, v9, v13
	v_cndmask_b32_e32 v13, v9, v52, vcc
	v_and_b32_e32 v9, 0x7f800000, v13
	v_cmp_ne_u32_e64 s[24:25], s69, v9
                                        ; implicit-def: $vgpr9
	s_and_saveexec_b64 s[40:41], s[24:25]
	s_xor_b64 s[24:25], exec, s[40:41]
; %bb.1171:                             ;   in Loop: Header=BB27_1062 Depth=3
	v_bfe_u32 v9, v13, 16, 1
	v_add3_u32 v9, v13, v9, s70
                                        ; implicit-def: $vgpr13
; %bb.1172:                             ;   in Loop: Header=BB27_1062 Depth=3
	s_andn2_saveexec_b64 s[40:41], s[24:25]
; %bb.1173:                             ;   in Loop: Header=BB27_1062 Depth=3
	v_or_b32_e32 v9, 0x10000, v13
	v_cmp_eq_u32_sdwa s[24:25], v13, v3 src0_sel:WORD_0 src1_sel:DWORD
	s_nop 1
	v_cndmask_b32_e64 v9, v9, v13, s[24:25]
; %bb.1174:                             ;   in Loop: Header=BB27_1062 Depth=3
	s_or_b64 exec, exec, s[40:41]
	v_lshlrev_b32_e32 v13, 16, v10
	v_lshlrev_b32_e32 v52, 16, v14
	v_max_f32_e32 v52, v52, v52
	v_max_f32_e32 v13, v13, v13
	v_min_f32_e32 v53, v13, v52
	v_max_f32_e32 v13, v13, v52
	v_cndmask_b32_e32 v52, v13, v53, vcc
	v_and_b32_e32 v13, 0x7f800000, v52
	v_cmp_ne_u32_e64 s[24:25], s69, v13
                                        ; implicit-def: $vgpr13
	s_and_saveexec_b64 s[40:41], s[24:25]
	s_xor_b64 s[24:25], exec, s[40:41]
; %bb.1175:                             ;   in Loop: Header=BB27_1062 Depth=3
	v_bfe_u32 v13, v52, 16, 1
	v_add3_u32 v13, v52, v13, s70
                                        ; implicit-def: $vgpr52
; %bb.1176:                             ;   in Loop: Header=BB27_1062 Depth=3
	s_andn2_saveexec_b64 s[40:41], s[24:25]
; %bb.1177:                             ;   in Loop: Header=BB27_1062 Depth=3
	v_or_b32_e32 v13, 0x10000, v52
	v_cmp_eq_u32_sdwa s[24:25], v52, v3 src0_sel:WORD_0 src1_sel:DWORD
	s_nop 1
	v_cndmask_b32_e64 v13, v13, v52, s[24:25]
; %bb.1178:                             ;   in Loop: Header=BB27_1062 Depth=3
	s_or_b64 exec, exec, s[40:41]
	v_and_b32_e32 v10, 0xffff0000, v10
	v_and_b32_e32 v14, 0xffff0000, v14
	v_max_f32_e32 v14, v14, v14
	v_max_f32_e32 v10, v10, v10
	v_min_f32_e32 v52, v10, v14
	v_max_f32_e32 v10, v10, v14
	v_cndmask_b32_e32 v14, v10, v52, vcc
	v_and_b32_e32 v10, 0x7f800000, v14
	v_cmp_ne_u32_e64 s[24:25], s69, v10
                                        ; implicit-def: $vgpr10
	s_and_saveexec_b64 s[40:41], s[24:25]
	s_xor_b64 s[24:25], exec, s[40:41]
; %bb.1179:                             ;   in Loop: Header=BB27_1062 Depth=3
	v_bfe_u32 v10, v14, 16, 1
	v_add3_u32 v10, v14, v10, s70
                                        ; implicit-def: $vgpr14
; %bb.1180:                             ;   in Loop: Header=BB27_1062 Depth=3
	s_andn2_saveexec_b64 s[40:41], s[24:25]
; %bb.1181:                             ;   in Loop: Header=BB27_1062 Depth=3
	v_or_b32_e32 v10, 0x10000, v14
	v_cmp_eq_u32_sdwa s[24:25], v14, v3 src0_sel:WORD_0 src1_sel:DWORD
	s_nop 1
	v_cndmask_b32_e64 v10, v10, v14, s[24:25]
; %bb.1182:                             ;   in Loop: Header=BB27_1062 Depth=3
	s_or_b64 exec, exec, s[40:41]
	v_lshlrev_b32_e32 v14, 16, v11
	v_lshlrev_b32_e32 v52, 16, v15
	v_max_f32_e32 v52, v52, v52
	v_max_f32_e32 v14, v14, v14
	v_min_f32_e32 v53, v14, v52
	v_max_f32_e32 v14, v14, v52
	v_cndmask_b32_e32 v52, v14, v53, vcc
	v_and_b32_e32 v14, 0x7f800000, v52
	v_cmp_ne_u32_e64 s[24:25], s69, v14
                                        ; implicit-def: $vgpr14
	s_and_saveexec_b64 s[40:41], s[24:25]
	s_xor_b64 s[24:25], exec, s[40:41]
; %bb.1183:                             ;   in Loop: Header=BB27_1062 Depth=3
	v_bfe_u32 v14, v52, 16, 1
	v_add3_u32 v14, v52, v14, s70
                                        ; implicit-def: $vgpr52
; %bb.1184:                             ;   in Loop: Header=BB27_1062 Depth=3
	s_andn2_saveexec_b64 s[40:41], s[24:25]
; %bb.1185:                             ;   in Loop: Header=BB27_1062 Depth=3
	v_or_b32_e32 v14, 0x10000, v52
	v_cmp_eq_u32_sdwa s[24:25], v52, v3 src0_sel:WORD_0 src1_sel:DWORD
	s_nop 1
	v_cndmask_b32_e64 v14, v14, v52, s[24:25]
; %bb.1186:                             ;   in Loop: Header=BB27_1062 Depth=3
	s_or_b64 exec, exec, s[40:41]
	v_and_b32_e32 v11, 0xffff0000, v11
	v_and_b32_e32 v15, 0xffff0000, v15
	v_max_f32_e32 v15, v15, v15
	v_max_f32_e32 v11, v11, v11
	v_min_f32_e32 v52, v11, v15
	v_max_f32_e32 v11, v11, v15
	v_cndmask_b32_e32 v15, v11, v52, vcc
	v_and_b32_e32 v11, 0x7f800000, v15
	v_cmp_ne_u32_e64 s[24:25], s69, v11
                                        ; implicit-def: $vgpr11
	s_and_saveexec_b64 s[40:41], s[24:25]
	s_xor_b64 s[24:25], exec, s[40:41]
; %bb.1187:                             ;   in Loop: Header=BB27_1062 Depth=3
	v_bfe_u32 v11, v15, 16, 1
	v_add3_u32 v11, v15, v11, s70
                                        ; implicit-def: $vgpr15
; %bb.1188:                             ;   in Loop: Header=BB27_1062 Depth=3
	s_andn2_saveexec_b64 s[40:41], s[24:25]
	s_cbranch_execz .LBB27_1061
; %bb.1189:                             ;   in Loop: Header=BB27_1062 Depth=3
	v_or_b32_e32 v11, 0x10000, v15
	v_cmp_eq_u32_sdwa s[24:25], v15, v3 src0_sel:WORD_0 src1_sel:DWORD
	s_nop 1
	v_cndmask_b32_e64 v11, v11, v15, s[24:25]
	s_branch .LBB27_1061
.LBB27_1190:                            ;   in Loop: Header=BB27_719 Depth=2
	s_or_b64 exec, exec, s[28:29]
.LBB27_1191:                            ;   in Loop: Header=BB27_719 Depth=2
	s_or_b64 exec, exec, s[26:27]
	v_lshlrev_b32_e32 v22, 12, v104
	v_cmp_ne_u32_e32 vcc, v73, v22
	s_mov_b64 s[24:25], 0
	v_mov_b32_e32 v14, 0
                                        ; implicit-def: $vgpr15
	s_and_saveexec_b64 s[28:29], vcc
	s_cbranch_execz .LBB27_1229
; %bb.1192:                             ;   in Loop: Header=BB27_719 Depth=2
	v_lshlrev_b32_e32 v8, 6, v75
	v_sub_u32_e32 v8, v109, v8
	v_ashrrev_i32_e32 v10, 31, v8
	v_lshrrev_b32_e32 v10, 26, v10
	v_add_u32_e32 v10, v8, v10
	v_sub_u32_e32 v9, v73, v22
	v_ashrrev_i32_e32 v11, 6, v10
	v_and_b32_e32 v10, 0xffffffc0, v10
	v_sub_u32_e32 v23, v8, v10
	v_ashrrev_i32_e32 v10, 31, v9
	v_lshrrev_b32_e32 v10, 22, v10
	v_add_u32_e32 v10, v9, v10
	v_and_b32_e32 v24, 0xfffffc00, v10
	v_lshlrev_b32_e32 v8, 4, v23
	v_sub_u32_e32 v25, v9, v24
	v_lshl_add_u32 v8, v11, 10, v8
	v_ashrrev_i32_e32 v12, 10, v10
	v_cmp_lt_i32_e32 vcc, 15, v25
	v_sub_u32_e32 v27, v9, v8
	s_nop 0
	v_addc_co_u32_e64 v9, s[24:25], 0, v12, vcc
	v_sub_u32_e32 v26, v9, v11
	v_cmp_lt_i32_e64 s[24:25], 15, v27
	s_and_saveexec_b64 s[40:41], s[24:25]
	s_cbranch_execz .LBB27_1228
; %bb.1193:                             ;   in Loop: Header=BB27_719 Depth=2
	s_trap 2
	ds_read_b64 v[10:11], v0
	v_add_u32_e32 v8, v8, v22
	s_and_b32 s46, s50, 1
	v_ashrrev_i32_e32 v9, 31, v8
	s_cmp_eq_u64 s[46:47], 0
	v_lshl_add_u64 v[16:17], v[8:9], 0, v[78:79]
	s_waitcnt lgkmcnt(0)
	v_lshl_add_u64 v[18:19], v[10:11], 0, v[8:9]
	v_lshl_add_u64 v[20:21], v[8:9], 0, v[88:89]
	s_mov_b64 s[30:31], 0
	s_cselect_b64 s[24:25], -1, 0
	s_branch .LBB27_1195
.LBB27_1194:                            ;   in Loop: Header=BB27_1195 Depth=3
	s_or_b64 exec, exec, s[34:35]
	v_lshrrev_b32_e32 v12, 16, v12
	v_and_or_b32 v9, v9, s86, v12
	v_lshrrev_b32_e32 v12, 16, v32
	v_and_or_b32 v8, v8, s86, v12
	;; [unrolled: 2-line block ×3, first 2 shown]
	v_lshrrev_b32_e32 v12, 16, v14
	v_sub_u32_e32 v27, v27, v100
	v_and_or_b32 v11, v11, s86, v12
	v_cmp_gt_i32_e64 s[26:27], 16, v27
	global_store_dwordx4 v[20:21], v[8:11], off
	v_lshl_add_u64 v[16:17], v[16:17], 0, v[100:101]
	v_lshl_add_u64 v[18:19], v[18:19], 0, v[100:101]
	;; [unrolled: 1-line block ×3, first 2 shown]
	s_or_b64 s[30:31], s[26:27], s[30:31]
	v_sub_u32_e32 v26, v26, v84
	s_andn2_b64 exec, exec, s[30:31]
	s_cbranch_execz .LBB27_1227
.LBB27_1195:                            ;   Parent Loop BB27_47 Depth=1
                                        ;     Parent Loop BB27_719 Depth=2
                                        ; =>    This Inner Loop Header: Depth=3
	global_load_dwordx4 v[8:11], v[18:19], off nt
	global_load_dwordx4 v[12:15], v[16:17], off nt
	s_waitcnt vmcnt(0)
	v_lshlrev_b32_e32 v32, 16, v8
	v_lshlrev_b32_e32 v33, 16, v12
	v_max_f32_e32 v32, v32, v32
	v_max_f32_e32 v33, v33, v33
	v_min_f32_e32 v34, v33, v32
	v_max_f32_e32 v32, v33, v32
	v_cndmask_b32_e64 v33, v32, v34, s[24:25]
	v_and_b32_e32 v32, 0x7f800000, v33
	v_cmp_ne_u32_e64 s[26:27], s69, v32
                                        ; implicit-def: $vgpr32
	s_and_saveexec_b64 s[34:35], s[26:27]
	s_xor_b64 s[26:27], exec, s[34:35]
; %bb.1196:                             ;   in Loop: Header=BB27_1195 Depth=3
	v_bfe_u32 v32, v33, 16, 1
	v_add3_u32 v32, v33, v32, s70
                                        ; implicit-def: $vgpr33
; %bb.1197:                             ;   in Loop: Header=BB27_1195 Depth=3
	s_andn2_saveexec_b64 s[34:35], s[26:27]
; %bb.1198:                             ;   in Loop: Header=BB27_1195 Depth=3
	v_or_b32_e32 v32, 0x10000, v33
	v_cmp_eq_u32_sdwa s[26:27], v33, v3 src0_sel:WORD_0 src1_sel:DWORD
	s_nop 1
	v_cndmask_b32_e64 v32, v32, v33, s[26:27]
; %bb.1199:                             ;   in Loop: Header=BB27_1195 Depth=3
	s_or_b64 exec, exec, s[34:35]
	v_and_b32_e32 v8, 0xffff0000, v8
	v_and_b32_e32 v12, 0xffff0000, v12
	v_max_f32_e32 v8, v8, v8
	v_max_f32_e32 v12, v12, v12
	v_min_f32_e32 v33, v12, v8
	v_max_f32_e32 v8, v12, v8
	v_cndmask_b32_e64 v12, v8, v33, s[24:25]
	v_and_b32_e32 v8, 0x7f800000, v12
	v_cmp_ne_u32_e64 s[26:27], s69, v8
                                        ; implicit-def: $vgpr8
	s_and_saveexec_b64 s[34:35], s[26:27]
	s_xor_b64 s[26:27], exec, s[34:35]
; %bb.1200:                             ;   in Loop: Header=BB27_1195 Depth=3
	v_bfe_u32 v8, v12, 16, 1
	v_add3_u32 v8, v12, v8, s70
                                        ; implicit-def: $vgpr12
; %bb.1201:                             ;   in Loop: Header=BB27_1195 Depth=3
	s_andn2_saveexec_b64 s[34:35], s[26:27]
; %bb.1202:                             ;   in Loop: Header=BB27_1195 Depth=3
	v_or_b32_e32 v8, 0x10000, v12
	v_cmp_eq_u32_sdwa s[26:27], v12, v3 src0_sel:WORD_0 src1_sel:DWORD
	s_nop 1
	v_cndmask_b32_e64 v8, v8, v12, s[26:27]
; %bb.1203:                             ;   in Loop: Header=BB27_1195 Depth=3
	s_or_b64 exec, exec, s[34:35]
	v_lshlrev_b32_e32 v12, 16, v9
	v_lshlrev_b32_e32 v33, 16, v13
	v_max_f32_e32 v12, v12, v12
	v_max_f32_e32 v33, v33, v33
	v_min_f32_e32 v34, v33, v12
	v_max_f32_e32 v12, v33, v12
	v_cndmask_b32_e64 v33, v12, v34, s[24:25]
	v_and_b32_e32 v12, 0x7f800000, v33
	v_cmp_ne_u32_e64 s[26:27], s69, v12
                                        ; implicit-def: $vgpr12
	s_and_saveexec_b64 s[34:35], s[26:27]
	s_xor_b64 s[26:27], exec, s[34:35]
; %bb.1204:                             ;   in Loop: Header=BB27_1195 Depth=3
	v_bfe_u32 v12, v33, 16, 1
	v_add3_u32 v12, v33, v12, s70
                                        ; implicit-def: $vgpr33
; %bb.1205:                             ;   in Loop: Header=BB27_1195 Depth=3
	s_andn2_saveexec_b64 s[34:35], s[26:27]
; %bb.1206:                             ;   in Loop: Header=BB27_1195 Depth=3
	v_or_b32_e32 v12, 0x10000, v33
	v_cmp_eq_u32_sdwa s[26:27], v33, v3 src0_sel:WORD_0 src1_sel:DWORD
	s_nop 1
	v_cndmask_b32_e64 v12, v12, v33, s[26:27]
; %bb.1207:                             ;   in Loop: Header=BB27_1195 Depth=3
	s_or_b64 exec, exec, s[34:35]
	v_and_b32_e32 v13, 0xffff0000, v13
	v_and_b32_e32 v9, 0xffff0000, v9
	v_max_f32_e32 v9, v9, v9
	v_max_f32_e32 v13, v13, v13
	v_min_f32_e32 v33, v13, v9
	v_max_f32_e32 v9, v13, v9
	v_cndmask_b32_e64 v13, v9, v33, s[24:25]
	v_and_b32_e32 v9, 0x7f800000, v13
	v_cmp_ne_u32_e64 s[26:27], s69, v9
                                        ; implicit-def: $vgpr9
	s_and_saveexec_b64 s[34:35], s[26:27]
	s_xor_b64 s[26:27], exec, s[34:35]
; %bb.1208:                             ;   in Loop: Header=BB27_1195 Depth=3
	v_bfe_u32 v9, v13, 16, 1
	v_add3_u32 v9, v13, v9, s70
                                        ; implicit-def: $vgpr13
; %bb.1209:                             ;   in Loop: Header=BB27_1195 Depth=3
	s_andn2_saveexec_b64 s[34:35], s[26:27]
; %bb.1210:                             ;   in Loop: Header=BB27_1195 Depth=3
	v_or_b32_e32 v9, 0x10000, v13
	v_cmp_eq_u32_sdwa s[26:27], v13, v3 src0_sel:WORD_0 src1_sel:DWORD
	s_nop 1
	v_cndmask_b32_e64 v9, v9, v13, s[26:27]
; %bb.1211:                             ;   in Loop: Header=BB27_1195 Depth=3
	s_or_b64 exec, exec, s[34:35]
	v_lshlrev_b32_e32 v13, 16, v10
	v_lshlrev_b32_e32 v33, 16, v14
	v_max_f32_e32 v13, v13, v13
	v_max_f32_e32 v33, v33, v33
	v_min_f32_e32 v34, v33, v13
	v_max_f32_e32 v13, v33, v13
	v_cndmask_b32_e64 v33, v13, v34, s[24:25]
	v_and_b32_e32 v13, 0x7f800000, v33
	v_cmp_ne_u32_e64 s[26:27], s69, v13
                                        ; implicit-def: $vgpr13
	s_and_saveexec_b64 s[34:35], s[26:27]
	s_xor_b64 s[26:27], exec, s[34:35]
; %bb.1212:                             ;   in Loop: Header=BB27_1195 Depth=3
	v_bfe_u32 v13, v33, 16, 1
	v_add3_u32 v13, v33, v13, s70
                                        ; implicit-def: $vgpr33
; %bb.1213:                             ;   in Loop: Header=BB27_1195 Depth=3
	s_andn2_saveexec_b64 s[34:35], s[26:27]
; %bb.1214:                             ;   in Loop: Header=BB27_1195 Depth=3
	v_or_b32_e32 v13, 0x10000, v33
	v_cmp_eq_u32_sdwa s[26:27], v33, v3 src0_sel:WORD_0 src1_sel:DWORD
	s_nop 1
	v_cndmask_b32_e64 v13, v13, v33, s[26:27]
; %bb.1215:                             ;   in Loop: Header=BB27_1195 Depth=3
	s_or_b64 exec, exec, s[34:35]
	v_and_b32_e32 v14, 0xffff0000, v14
	v_and_b32_e32 v10, 0xffff0000, v10
	v_max_f32_e32 v10, v10, v10
	v_max_f32_e32 v14, v14, v14
	v_min_f32_e32 v33, v14, v10
	v_max_f32_e32 v10, v14, v10
	v_cndmask_b32_e64 v14, v10, v33, s[24:25]
	v_and_b32_e32 v10, 0x7f800000, v14
	v_cmp_ne_u32_e64 s[26:27], s69, v10
                                        ; implicit-def: $vgpr10
	s_and_saveexec_b64 s[34:35], s[26:27]
	s_xor_b64 s[26:27], exec, s[34:35]
; %bb.1216:                             ;   in Loop: Header=BB27_1195 Depth=3
	v_bfe_u32 v10, v14, 16, 1
	v_add3_u32 v10, v14, v10, s70
                                        ; implicit-def: $vgpr14
; %bb.1217:                             ;   in Loop: Header=BB27_1195 Depth=3
	s_andn2_saveexec_b64 s[34:35], s[26:27]
; %bb.1218:                             ;   in Loop: Header=BB27_1195 Depth=3
	v_or_b32_e32 v10, 0x10000, v14
	v_cmp_eq_u32_sdwa s[26:27], v14, v3 src0_sel:WORD_0 src1_sel:DWORD
	s_nop 1
	v_cndmask_b32_e64 v10, v10, v14, s[26:27]
; %bb.1219:                             ;   in Loop: Header=BB27_1195 Depth=3
	s_or_b64 exec, exec, s[34:35]
	v_lshlrev_b32_e32 v14, 16, v11
	v_lshlrev_b32_e32 v33, 16, v15
	v_max_f32_e32 v14, v14, v14
	v_max_f32_e32 v33, v33, v33
	v_min_f32_e32 v34, v33, v14
	v_max_f32_e32 v14, v33, v14
	v_cndmask_b32_e64 v33, v14, v34, s[24:25]
	v_and_b32_e32 v14, 0x7f800000, v33
	v_cmp_ne_u32_e64 s[26:27], s69, v14
                                        ; implicit-def: $vgpr14
	s_and_saveexec_b64 s[34:35], s[26:27]
	s_xor_b64 s[26:27], exec, s[34:35]
; %bb.1220:                             ;   in Loop: Header=BB27_1195 Depth=3
	v_bfe_u32 v14, v33, 16, 1
	v_add3_u32 v14, v33, v14, s70
                                        ; implicit-def: $vgpr33
; %bb.1221:                             ;   in Loop: Header=BB27_1195 Depth=3
	s_andn2_saveexec_b64 s[34:35], s[26:27]
; %bb.1222:                             ;   in Loop: Header=BB27_1195 Depth=3
	v_or_b32_e32 v14, 0x10000, v33
	v_cmp_eq_u32_sdwa s[26:27], v33, v3 src0_sel:WORD_0 src1_sel:DWORD
	s_nop 1
	v_cndmask_b32_e64 v14, v14, v33, s[26:27]
; %bb.1223:                             ;   in Loop: Header=BB27_1195 Depth=3
	s_or_b64 exec, exec, s[34:35]
	v_and_b32_e32 v15, 0xffff0000, v15
	v_and_b32_e32 v11, 0xffff0000, v11
	v_max_f32_e32 v11, v11, v11
	v_max_f32_e32 v15, v15, v15
	v_min_f32_e32 v33, v15, v11
	v_max_f32_e32 v11, v15, v11
	v_cndmask_b32_e64 v15, v11, v33, s[24:25]
	v_and_b32_e32 v11, 0x7f800000, v15
	v_cmp_ne_u32_e64 s[26:27], s69, v11
                                        ; implicit-def: $vgpr11
	s_and_saveexec_b64 s[34:35], s[26:27]
	s_xor_b64 s[26:27], exec, s[34:35]
; %bb.1224:                             ;   in Loop: Header=BB27_1195 Depth=3
	v_bfe_u32 v11, v15, 16, 1
	v_add3_u32 v11, v15, v11, s70
                                        ; implicit-def: $vgpr15
; %bb.1225:                             ;   in Loop: Header=BB27_1195 Depth=3
	s_andn2_saveexec_b64 s[34:35], s[26:27]
	s_cbranch_execz .LBB27_1194
; %bb.1226:                             ;   in Loop: Header=BB27_1195 Depth=3
	v_or_b32_e32 v11, 0x10000, v15
	v_cmp_eq_u32_sdwa s[26:27], v15, v3 src0_sel:WORD_0 src1_sel:DWORD
	s_nop 1
	v_cndmask_b32_e64 v11, v11, v15, s[26:27]
	s_branch .LBB27_1194
.LBB27_1227:                            ;   in Loop: Header=BB27_719 Depth=2
	s_or_b64 exec, exec, s[30:31]
.LBB27_1228:                            ;   in Loop: Header=BB27_719 Depth=2
	s_or_b64 exec, exec, s[40:41]
	v_and_b32_e32 v8, 14, v73
	v_sub_u32_e32 v9, v25, v8
	v_cndmask_b32_e32 v9, 0, v9, vcc
	v_cndmask_b32_e32 v73, v25, v8, vcc
	v_cmp_lt_i32_e32 vcc, 0, v26
	v_add3_u32 v14, v24, v22, v9
	s_nop 0
	v_cndmask_b32_e32 v8, 0, v84, vcc
	v_sub_u32_e32 v8, v8, v26
	v_cmp_ne_u32_e32 vcc, 0, v73
	v_lshl_add_u32 v15, v8, 6, v23
	s_and_b64 s[24:25], vcc, exec
.LBB27_1229:                            ;   in Loop: Header=BB27_719 Depth=2
	s_or_b64 exec, exec, s[28:29]
	s_and_saveexec_b64 s[26:27], s[24:25]
	s_cbranch_execz .LBB27_1306
.LBB27_1230:                            ;   in Loop: Header=BB27_719 Depth=2
	v_ashrrev_i32_e32 v8, 31, v15
	v_ashrrev_i32_e32 v9, 31, v73
	v_lshrrev_b32_e32 v8, 26, v8
	v_lshrrev_b32_e32 v9, 21, v9
	v_add_u32_e32 v8, v15, v8
	v_add_u32_e32 v9, v73, v9
	v_ashrrev_i32_e32 v16, 6, v8
	v_ashrrev_i32_e32 v18, 11, v9
	v_sub_u32_e32 v17, v18, v16
	v_cmp_lt_i32_e32 vcc, 0, v17
	s_and_saveexec_b64 s[28:29], vcc
	s_cbranch_execz .LBB27_1298
; %bb.1231:                             ;   in Loop: Header=BB27_719 Depth=2
	v_and_b32_e32 v8, 0x7fffffc0, v8
	s_trap 2
	ds_read_b64 v[10:11], v0
	v_sub_u32_e32 v8, v15, v8
	v_lshlrev_b32_e32 v8, 1, v8
	v_lshlrev_b32_e32 v9, 11, v16
	v_add3_u32 v12, v8, v14, v9
	s_and_b32 s46, s50, 1
	v_ashrrev_i32_e32 v13, 31, v12
	s_cmp_eq_u64 s[46:47], 0
	v_lshl_add_u64 v[20:21], v[88:89], 0, s[88:89]
	v_lshl_add_u64 v[8:9], v[12:13], 0, v[78:79]
	s_waitcnt lgkmcnt(0)
	v_lshl_add_u64 v[10:11], v[10:11], 0, v[12:13]
	s_mov_b64 s[40:41], 0
	s_cselect_b64 s[24:25], -1, 0
	v_lshl_add_u64 v[12:13], v[20:21], 0, v[12:13]
	s_branch .LBB27_1233
.LBB27_1232:                            ;   in Loop: Header=BB27_1233 Depth=3
	s_or_b64 exec, exec, s[30:31]
	v_add_co_u32_e32 v52, vcc, 0xfffff880, v12
	v_sub_u32_e32 v17, v17, v84
	s_nop 0
	v_addc_co_u32_e32 v53, vcc, -1, v13, vcc
	flat_store_short_d16_hi v[52:53], v20 nt
	v_add_co_u32_e32 v52, vcc, 0xfffff900, v12
	v_lshl_add_u64 v[8:9], v[8:9], 0, v[102:103]
	s_nop 0
	v_addc_co_u32_e32 v53, vcc, -1, v13, vcc
	v_add_co_u32_e32 v22, vcc, 0xfffff980, v12
	flat_store_short_d16_hi v[52:53], v23 nt
	s_nop 0
	v_addc_co_u32_e32 v23, vcc, -1, v13, vcc
	flat_store_short_d16_hi v[22:23], v25 nt
	v_add_co_u32_e32 v22, vcc, 0xfffffa00, v12
	v_lshl_add_u64 v[10:11], v[10:11], 0, v[102:103]
	s_nop 0
	v_addc_co_u32_e32 v23, vcc, -1, v13, vcc
	flat_store_short_d16_hi v[22:23], v27 nt
	v_add_co_u32_e32 v22, vcc, 0xfffffa80, v12
	s_nop 1
	v_addc_co_u32_e32 v23, vcc, -1, v13, vcc
	flat_store_short_d16_hi v[22:23], v34 nt
	v_add_co_u32_e32 v22, vcc, 0xfffffb00, v12
	;; [unrolled: 4-line block ×11, first 2 shown]
	s_nop 1
	v_addc_co_u32_e32 v23, vcc, -1, v13, vcc
	v_cmp_gt_i32_e32 vcc, 1, v17
	flat_store_short_d16_hi v[22:23], v21 nt
	flat_store_short_d16_hi v[12:13], v19 nt
	s_or_b64 s[40:41], vcc, s[40:41]
	v_lshl_add_u64 v[12:13], v[12:13], 0, v[102:103]
	s_andn2_b64 exec, exec, s[40:41]
	s_cbranch_execz .LBB27_1297
.LBB27_1233:                            ;   Parent Loop BB27_47 Depth=1
                                        ;     Parent Loop BB27_719 Depth=2
                                        ; =>    This Inner Loop Header: Depth=3
	flat_load_ushort v75, v[8:9] offset:1024 nt
	flat_load_ushort v49, v[8:9] offset:1152 nt
	;; [unrolled: 1-line block ×15, first 2 shown]
	flat_load_ushort v20, v[8:9] nt
	flat_load_ushort v52, v[10:11] offset:128 nt
	flat_load_ushort v105, v[10:11] offset:256 nt
	;; [unrolled: 1-line block ×7, first 2 shown]
	flat_load_ushort v53, v[10:11] nt
	flat_load_ushort v91, v[10:11] offset:1024 nt
	flat_load_ushort v90, v[10:11] offset:1152 nt
	;; [unrolled: 1-line block ×8, first 2 shown]
	s_waitcnt vmcnt(0) lgkmcnt(0)
	v_lshlrev_b32_e32 v20, 16, v20
	v_max_f32_e32 v20, v20, v20
	v_lshlrev_b32_e32 v53, 16, v53
	v_max_f32_e32 v53, v53, v53
	v_min_f32_e32 v82, v20, v53
	v_max_f32_e32 v20, v20, v53
	v_cndmask_b32_e64 v53, v20, v82, s[24:25]
	v_and_b32_e32 v20, 0x7f800000, v53
	v_cmp_ne_u32_e32 vcc, s69, v20
                                        ; implicit-def: $vgpr20
	s_and_saveexec_b64 s[30:31], vcc
	s_xor_b64 vcc, exec, s[30:31]
; %bb.1234:                             ;   in Loop: Header=BB27_1233 Depth=3
	v_bfe_u32 v20, v53, 16, 1
	v_add3_u32 v20, v53, v20, s70
                                        ; implicit-def: $vgpr53
; %bb.1235:                             ;   in Loop: Header=BB27_1233 Depth=3
	s_andn2_saveexec_b64 s[30:31], vcc
; %bb.1236:                             ;   in Loop: Header=BB27_1233 Depth=3
	v_or_b32_e32 v20, 0x10000, v53
	v_cmp_eq_u32_sdwa vcc, v53, v3 src0_sel:WORD_0 src1_sel:DWORD
	s_nop 1
	v_cndmask_b32_e32 v20, v20, v53, vcc
; %bb.1237:                             ;   in Loop: Header=BB27_1233 Depth=3
	s_or_b64 exec, exec, s[30:31]
	v_lshlrev_b32_e32 v23, 16, v23
	v_lshlrev_b32_e32 v52, 16, v52
	v_max_f32_e32 v52, v52, v52
	v_max_f32_e32 v23, v23, v23
	v_min_f32_e32 v53, v23, v52
	v_max_f32_e32 v23, v23, v52
	v_cndmask_b32_e64 v52, v23, v53, s[24:25]
	v_and_b32_e32 v23, 0x7f800000, v52
	v_cmp_ne_u32_e32 vcc, s69, v23
                                        ; implicit-def: $vgpr23
	s_and_saveexec_b64 s[30:31], vcc
	s_xor_b64 vcc, exec, s[30:31]
; %bb.1238:                             ;   in Loop: Header=BB27_1233 Depth=3
	v_bfe_u32 v23, v52, 16, 1
	v_add3_u32 v23, v52, v23, s70
                                        ; implicit-def: $vgpr52
; %bb.1239:                             ;   in Loop: Header=BB27_1233 Depth=3
	s_andn2_saveexec_b64 s[30:31], vcc
; %bb.1240:                             ;   in Loop: Header=BB27_1233 Depth=3
	v_or_b32_e32 v23, 0x10000, v52
	v_cmp_eq_u32_sdwa vcc, v52, v3 src0_sel:WORD_0 src1_sel:DWORD
	s_nop 1
	v_cndmask_b32_e32 v23, v23, v52, vcc
; %bb.1241:                             ;   in Loop: Header=BB27_1233 Depth=3
	s_or_b64 exec, exec, s[30:31]
	v_lshlrev_b32_e32 v25, 16, v25
	v_lshlrev_b32_e32 v52, 16, v105
	v_max_f32_e32 v52, v52, v52
	v_max_f32_e32 v25, v25, v25
	v_min_f32_e32 v53, v25, v52
	v_max_f32_e32 v25, v25, v52
	v_cndmask_b32_e64 v52, v25, v53, s[24:25]
	v_and_b32_e32 v25, 0x7f800000, v52
	v_cmp_ne_u32_e32 vcc, s69, v25
                                        ; implicit-def: $vgpr25
	s_and_saveexec_b64 s[30:31], vcc
	s_xor_b64 vcc, exec, s[30:31]
; %bb.1242:                             ;   in Loop: Header=BB27_1233 Depth=3
	v_bfe_u32 v25, v52, 16, 1
	v_add3_u32 v25, v52, v25, s70
                                        ; implicit-def: $vgpr52
; %bb.1243:                             ;   in Loop: Header=BB27_1233 Depth=3
	s_andn2_saveexec_b64 s[30:31], vcc
; %bb.1244:                             ;   in Loop: Header=BB27_1233 Depth=3
	v_or_b32_e32 v25, 0x10000, v52
	v_cmp_eq_u32_sdwa vcc, v52, v3 src0_sel:WORD_0 src1_sel:DWORD
	s_nop 1
	v_cndmask_b32_e32 v25, v25, v52, vcc
; %bb.1245:                             ;   in Loop: Header=BB27_1233 Depth=3
	s_or_b64 exec, exec, s[30:31]
	v_lshlrev_b32_e32 v27, 16, v27
	v_lshlrev_b32_e32 v52, 16, v104
	v_max_f32_e32 v52, v52, v52
	v_max_f32_e32 v27, v27, v27
	v_min_f32_e32 v53, v27, v52
	v_max_f32_e32 v27, v27, v52
	v_cndmask_b32_e64 v52, v27, v53, s[24:25]
	v_and_b32_e32 v27, 0x7f800000, v52
	v_cmp_ne_u32_e32 vcc, s69, v27
                                        ; implicit-def: $vgpr27
	s_and_saveexec_b64 s[30:31], vcc
	s_xor_b64 vcc, exec, s[30:31]
; %bb.1246:                             ;   in Loop: Header=BB27_1233 Depth=3
	v_bfe_u32 v27, v52, 16, 1
	v_add3_u32 v27, v52, v27, s70
                                        ; implicit-def: $vgpr52
; %bb.1247:                             ;   in Loop: Header=BB27_1233 Depth=3
	s_andn2_saveexec_b64 s[30:31], vcc
; %bb.1248:                             ;   in Loop: Header=BB27_1233 Depth=3
	v_or_b32_e32 v27, 0x10000, v52
	v_cmp_eq_u32_sdwa vcc, v52, v3 src0_sel:WORD_0 src1_sel:DWORD
	s_nop 1
	v_cndmask_b32_e32 v27, v27, v52, vcc
; %bb.1249:                             ;   in Loop: Header=BB27_1233 Depth=3
	s_or_b64 exec, exec, s[30:31]
	v_lshlrev_b32_e32 v34, 16, v34
	v_lshlrev_b32_e32 v52, 16, v95
	v_max_f32_e32 v52, v52, v52
	v_max_f32_e32 v34, v34, v34
	v_min_f32_e32 v53, v34, v52
	v_max_f32_e32 v34, v34, v52
	v_cndmask_b32_e64 v52, v34, v53, s[24:25]
	v_and_b32_e32 v34, 0x7f800000, v52
	v_cmp_ne_u32_e32 vcc, s69, v34
                                        ; implicit-def: $vgpr34
	s_and_saveexec_b64 s[30:31], vcc
	s_xor_b64 vcc, exec, s[30:31]
; %bb.1250:                             ;   in Loop: Header=BB27_1233 Depth=3
	v_bfe_u32 v34, v52, 16, 1
	v_add3_u32 v34, v52, v34, s70
                                        ; implicit-def: $vgpr52
; %bb.1251:                             ;   in Loop: Header=BB27_1233 Depth=3
	s_andn2_saveexec_b64 s[30:31], vcc
; %bb.1252:                             ;   in Loop: Header=BB27_1233 Depth=3
	v_or_b32_e32 v34, 0x10000, v52
	v_cmp_eq_u32_sdwa vcc, v52, v3 src0_sel:WORD_0 src1_sel:DWORD
	s_nop 1
	v_cndmask_b32_e32 v34, v34, v52, vcc
; %bb.1253:                             ;   in Loop: Header=BB27_1233 Depth=3
	s_or_b64 exec, exec, s[30:31]
	v_lshlrev_b32_e32 v37, 16, v37
	v_lshlrev_b32_e32 v52, 16, v94
	v_max_f32_e32 v52, v52, v52
	v_max_f32_e32 v37, v37, v37
	v_min_f32_e32 v53, v37, v52
	v_max_f32_e32 v37, v37, v52
	v_cndmask_b32_e64 v52, v37, v53, s[24:25]
	v_and_b32_e32 v37, 0x7f800000, v52
	v_cmp_ne_u32_e32 vcc, s69, v37
                                        ; implicit-def: $vgpr37
	s_and_saveexec_b64 s[30:31], vcc
	s_xor_b64 vcc, exec, s[30:31]
; %bb.1254:                             ;   in Loop: Header=BB27_1233 Depth=3
	v_bfe_u32 v37, v52, 16, 1
	v_add3_u32 v37, v52, v37, s70
                                        ; implicit-def: $vgpr52
; %bb.1255:                             ;   in Loop: Header=BB27_1233 Depth=3
	s_andn2_saveexec_b64 s[30:31], vcc
; %bb.1256:                             ;   in Loop: Header=BB27_1233 Depth=3
	v_or_b32_e32 v37, 0x10000, v52
	v_cmp_eq_u32_sdwa vcc, v52, v3 src0_sel:WORD_0 src1_sel:DWORD
	s_nop 1
	v_cndmask_b32_e32 v37, v37, v52, vcc
; %bb.1257:                             ;   in Loop: Header=BB27_1233 Depth=3
	s_or_b64 exec, exec, s[30:31]
	v_lshlrev_b32_e32 v48, 16, v48
	v_lshlrev_b32_e32 v52, 16, v93
	v_max_f32_e32 v52, v52, v52
	v_max_f32_e32 v48, v48, v48
	v_min_f32_e32 v53, v48, v52
	v_max_f32_e32 v48, v48, v52
	v_cndmask_b32_e64 v52, v48, v53, s[24:25]
	v_and_b32_e32 v48, 0x7f800000, v52
	v_cmp_ne_u32_e32 vcc, s69, v48
                                        ; implicit-def: $vgpr48
	s_and_saveexec_b64 s[30:31], vcc
	s_xor_b64 vcc, exec, s[30:31]
; %bb.1258:                             ;   in Loop: Header=BB27_1233 Depth=3
	v_bfe_u32 v48, v52, 16, 1
	v_add3_u32 v48, v52, v48, s70
                                        ; implicit-def: $vgpr52
; %bb.1259:                             ;   in Loop: Header=BB27_1233 Depth=3
	s_andn2_saveexec_b64 s[30:31], vcc
; %bb.1260:                             ;   in Loop: Header=BB27_1233 Depth=3
	v_or_b32_e32 v48, 0x10000, v52
	v_cmp_eq_u32_sdwa vcc, v52, v3 src0_sel:WORD_0 src1_sel:DWORD
	s_nop 1
	v_cndmask_b32_e32 v48, v48, v52, vcc
; %bb.1261:                             ;   in Loop: Header=BB27_1233 Depth=3
	s_or_b64 exec, exec, s[30:31]
	v_lshlrev_b32_e32 v51, 16, v51
	v_lshlrev_b32_e32 v52, 16, v92
	v_max_f32_e32 v52, v52, v52
	v_max_f32_e32 v51, v51, v51
	v_min_f32_e32 v53, v51, v52
	v_max_f32_e32 v51, v51, v52
	v_cndmask_b32_e64 v52, v51, v53, s[24:25]
	v_and_b32_e32 v51, 0x7f800000, v52
	v_cmp_ne_u32_e32 vcc, s69, v51
                                        ; implicit-def: $vgpr51
	s_and_saveexec_b64 s[30:31], vcc
	s_xor_b64 vcc, exec, s[30:31]
; %bb.1262:                             ;   in Loop: Header=BB27_1233 Depth=3
	v_bfe_u32 v51, v52, 16, 1
	v_add3_u32 v51, v52, v51, s70
                                        ; implicit-def: $vgpr52
; %bb.1263:                             ;   in Loop: Header=BB27_1233 Depth=3
	s_andn2_saveexec_b64 s[30:31], vcc
; %bb.1264:                             ;   in Loop: Header=BB27_1233 Depth=3
	v_or_b32_e32 v51, 0x10000, v52
	v_cmp_eq_u32_sdwa vcc, v52, v3 src0_sel:WORD_0 src1_sel:DWORD
	s_nop 1
	v_cndmask_b32_e32 v51, v51, v52, vcc
; %bb.1265:                             ;   in Loop: Header=BB27_1233 Depth=3
	s_or_b64 exec, exec, s[30:31]
	v_lshlrev_b32_e32 v52, 16, v75
	v_lshlrev_b32_e32 v53, 16, v91
	v_max_f32_e32 v53, v53, v53
	v_max_f32_e32 v52, v52, v52
	v_min_f32_e32 v82, v52, v53
	v_max_f32_e32 v52, v52, v53
	v_cndmask_b32_e64 v52, v52, v82, s[24:25]
	v_and_b32_e32 v53, 0x7f800000, v52
	v_cmp_ne_u32_e32 vcc, s69, v53
                                        ; implicit-def: $vgpr75
	s_and_saveexec_b64 s[30:31], vcc
	s_xor_b64 vcc, exec, s[30:31]
; %bb.1266:                             ;   in Loop: Header=BB27_1233 Depth=3
	v_bfe_u32 v53, v52, 16, 1
	v_add3_u32 v75, v52, v53, s70
                                        ; implicit-def: $vgpr52
; %bb.1267:                             ;   in Loop: Header=BB27_1233 Depth=3
	s_andn2_saveexec_b64 s[30:31], vcc
; %bb.1268:                             ;   in Loop: Header=BB27_1233 Depth=3
	v_or_b32_e32 v53, 0x10000, v52
	v_cmp_eq_u32_sdwa vcc, v52, v3 src0_sel:WORD_0 src1_sel:DWORD
	s_nop 1
	v_cndmask_b32_e32 v75, v53, v52, vcc
; %bb.1269:                             ;   in Loop: Header=BB27_1233 Depth=3
	s_or_b64 exec, exec, s[30:31]
	v_lshlrev_b32_e32 v49, 16, v49
	v_lshlrev_b32_e32 v52, 16, v90
	v_max_f32_e32 v52, v52, v52
	v_max_f32_e32 v49, v49, v49
	v_min_f32_e32 v53, v49, v52
	v_max_f32_e32 v49, v49, v52
	v_cndmask_b32_e64 v52, v49, v53, s[24:25]
	v_and_b32_e32 v49, 0x7f800000, v52
	v_cmp_ne_u32_e32 vcc, s69, v49
                                        ; implicit-def: $vgpr49
	s_and_saveexec_b64 s[30:31], vcc
	s_xor_b64 vcc, exec, s[30:31]
; %bb.1270:                             ;   in Loop: Header=BB27_1233 Depth=3
	v_bfe_u32 v49, v52, 16, 1
	v_add3_u32 v49, v52, v49, s70
                                        ; implicit-def: $vgpr52
; %bb.1271:                             ;   in Loop: Header=BB27_1233 Depth=3
	s_andn2_saveexec_b64 s[30:31], vcc
; %bb.1272:                             ;   in Loop: Header=BB27_1233 Depth=3
	v_or_b32_e32 v49, 0x10000, v52
	v_cmp_eq_u32_sdwa vcc, v52, v3 src0_sel:WORD_0 src1_sel:DWORD
	s_nop 1
	v_cndmask_b32_e32 v49, v49, v52, vcc
; %bb.1273:                             ;   in Loop: Header=BB27_1233 Depth=3
	s_or_b64 exec, exec, s[30:31]
	v_lshlrev_b32_e32 v38, 16, v38
	v_lshlrev_b32_e32 v50, 16, v50
	v_max_f32_e32 v50, v50, v50
	v_max_f32_e32 v38, v38, v38
	v_min_f32_e32 v52, v38, v50
	v_max_f32_e32 v38, v38, v50
	v_cndmask_b32_e64 v50, v38, v52, s[24:25]
	v_and_b32_e32 v38, 0x7f800000, v50
	v_cmp_ne_u32_e32 vcc, s69, v38
                                        ; implicit-def: $vgpr38
	s_and_saveexec_b64 s[30:31], vcc
	s_xor_b64 vcc, exec, s[30:31]
; %bb.1274:                             ;   in Loop: Header=BB27_1233 Depth=3
	v_bfe_u32 v38, v50, 16, 1
	v_add3_u32 v38, v50, v38, s70
                                        ; implicit-def: $vgpr50
; %bb.1275:                             ;   in Loop: Header=BB27_1233 Depth=3
	s_andn2_saveexec_b64 s[30:31], vcc
; %bb.1276:                             ;   in Loop: Header=BB27_1233 Depth=3
	v_or_b32_e32 v38, 0x10000, v50
	v_cmp_eq_u32_sdwa vcc, v50, v3 src0_sel:WORD_0 src1_sel:DWORD
	s_nop 1
	v_cndmask_b32_e32 v38, v38, v50, vcc
; %bb.1277:                             ;   in Loop: Header=BB27_1233 Depth=3
	s_or_b64 exec, exec, s[30:31]
	v_lshlrev_b32_e32 v35, 16, v35
	v_lshlrev_b32_e32 v39, 16, v39
	v_max_f32_e32 v39, v39, v39
	v_max_f32_e32 v35, v35, v35
	v_min_f32_e32 v50, v35, v39
	v_max_f32_e32 v35, v35, v39
	v_cndmask_b32_e64 v39, v35, v50, s[24:25]
	v_and_b32_e32 v35, 0x7f800000, v39
	v_cmp_ne_u32_e32 vcc, s69, v35
                                        ; implicit-def: $vgpr35
	s_and_saveexec_b64 s[30:31], vcc
	s_xor_b64 vcc, exec, s[30:31]
; %bb.1278:                             ;   in Loop: Header=BB27_1233 Depth=3
	v_bfe_u32 v35, v39, 16, 1
	v_add3_u32 v35, v39, v35, s70
                                        ; implicit-def: $vgpr39
; %bb.1279:                             ;   in Loop: Header=BB27_1233 Depth=3
	s_andn2_saveexec_b64 s[30:31], vcc
; %bb.1280:                             ;   in Loop: Header=BB27_1233 Depth=3
	v_or_b32_e32 v35, 0x10000, v39
	v_cmp_eq_u32_sdwa vcc, v39, v3 src0_sel:WORD_0 src1_sel:DWORD
	s_nop 1
	v_cndmask_b32_e32 v35, v35, v39, vcc
; %bb.1281:                             ;   in Loop: Header=BB27_1233 Depth=3
	s_or_b64 exec, exec, s[30:31]
	v_lshlrev_b32_e32 v32, 16, v32
	v_lshlrev_b32_e32 v36, 16, v36
	v_max_f32_e32 v36, v36, v36
	v_max_f32_e32 v32, v32, v32
	v_min_f32_e32 v39, v32, v36
	v_max_f32_e32 v32, v32, v36
	v_cndmask_b32_e64 v36, v32, v39, s[24:25]
	v_and_b32_e32 v32, 0x7f800000, v36
	v_cmp_ne_u32_e32 vcc, s69, v32
                                        ; implicit-def: $vgpr32
	s_and_saveexec_b64 s[30:31], vcc
	s_xor_b64 vcc, exec, s[30:31]
; %bb.1282:                             ;   in Loop: Header=BB27_1233 Depth=3
	v_bfe_u32 v32, v36, 16, 1
	v_add3_u32 v32, v36, v32, s70
                                        ; implicit-def: $vgpr36
; %bb.1283:                             ;   in Loop: Header=BB27_1233 Depth=3
	s_andn2_saveexec_b64 s[30:31], vcc
; %bb.1284:                             ;   in Loop: Header=BB27_1233 Depth=3
	v_or_b32_e32 v32, 0x10000, v36
	v_cmp_eq_u32_sdwa vcc, v36, v3 src0_sel:WORD_0 src1_sel:DWORD
	s_nop 1
	v_cndmask_b32_e32 v32, v32, v36, vcc
; %bb.1285:                             ;   in Loop: Header=BB27_1233 Depth=3
	s_or_b64 exec, exec, s[30:31]
	v_lshlrev_b32_e32 v24, 16, v24
	v_lshlrev_b32_e32 v33, 16, v33
	v_max_f32_e32 v33, v33, v33
	v_max_f32_e32 v24, v24, v24
	v_min_f32_e32 v36, v24, v33
	v_max_f32_e32 v24, v24, v33
	v_cndmask_b32_e64 v33, v24, v36, s[24:25]
	v_and_b32_e32 v24, 0x7f800000, v33
	v_cmp_ne_u32_e32 vcc, s69, v24
                                        ; implicit-def: $vgpr24
	s_and_saveexec_b64 s[30:31], vcc
	s_xor_b64 vcc, exec, s[30:31]
; %bb.1286:                             ;   in Loop: Header=BB27_1233 Depth=3
	v_bfe_u32 v24, v33, 16, 1
	v_add3_u32 v24, v33, v24, s70
                                        ; implicit-def: $vgpr33
; %bb.1287:                             ;   in Loop: Header=BB27_1233 Depth=3
	s_andn2_saveexec_b64 s[30:31], vcc
; %bb.1288:                             ;   in Loop: Header=BB27_1233 Depth=3
	v_or_b32_e32 v24, 0x10000, v33
	v_cmp_eq_u32_sdwa vcc, v33, v3 src0_sel:WORD_0 src1_sel:DWORD
	s_nop 1
	v_cndmask_b32_e32 v24, v24, v33, vcc
; %bb.1289:                             ;   in Loop: Header=BB27_1233 Depth=3
	s_or_b64 exec, exec, s[30:31]
	v_lshlrev_b32_e32 v21, 16, v21
	v_lshlrev_b32_e32 v26, 16, v26
	v_max_f32_e32 v26, v26, v26
	v_max_f32_e32 v21, v21, v21
	v_min_f32_e32 v33, v21, v26
	v_max_f32_e32 v21, v21, v26
	v_cndmask_b32_e64 v26, v21, v33, s[24:25]
	v_and_b32_e32 v21, 0x7f800000, v26
	v_cmp_ne_u32_e32 vcc, s69, v21
                                        ; implicit-def: $vgpr21
	s_and_saveexec_b64 s[30:31], vcc
	s_xor_b64 vcc, exec, s[30:31]
; %bb.1290:                             ;   in Loop: Header=BB27_1233 Depth=3
	v_bfe_u32 v21, v26, 16, 1
	v_add3_u32 v21, v26, v21, s70
                                        ; implicit-def: $vgpr26
; %bb.1291:                             ;   in Loop: Header=BB27_1233 Depth=3
	s_andn2_saveexec_b64 s[30:31], vcc
; %bb.1292:                             ;   in Loop: Header=BB27_1233 Depth=3
	v_or_b32_e32 v21, 0x10000, v26
	v_cmp_eq_u32_sdwa vcc, v26, v3 src0_sel:WORD_0 src1_sel:DWORD
	s_nop 1
	v_cndmask_b32_e32 v21, v21, v26, vcc
; %bb.1293:                             ;   in Loop: Header=BB27_1233 Depth=3
	s_or_b64 exec, exec, s[30:31]
	v_lshlrev_b32_e32 v19, 16, v19
	v_lshlrev_b32_e32 v22, 16, v22
	v_max_f32_e32 v22, v22, v22
	v_max_f32_e32 v19, v19, v19
	v_min_f32_e32 v26, v19, v22
	v_max_f32_e32 v19, v19, v22
	v_cndmask_b32_e64 v22, v19, v26, s[24:25]
	v_and_b32_e32 v19, 0x7f800000, v22
	v_cmp_ne_u32_e32 vcc, s69, v19
                                        ; implicit-def: $vgpr19
	s_and_saveexec_b64 s[30:31], vcc
	s_xor_b64 vcc, exec, s[30:31]
; %bb.1294:                             ;   in Loop: Header=BB27_1233 Depth=3
	v_bfe_u32 v19, v22, 16, 1
	v_add3_u32 v19, v22, v19, s70
                                        ; implicit-def: $vgpr22
; %bb.1295:                             ;   in Loop: Header=BB27_1233 Depth=3
	s_andn2_saveexec_b64 s[30:31], vcc
	s_cbranch_execz .LBB27_1232
; %bb.1296:                             ;   in Loop: Header=BB27_1233 Depth=3
	v_or_b32_e32 v19, 0x10000, v22
	v_cmp_eq_u32_sdwa vcc, v22, v3 src0_sel:WORD_0 src1_sel:DWORD
	s_nop 1
	v_cndmask_b32_e32 v19, v19, v22, vcc
	s_branch .LBB27_1232
.LBB27_1297:                            ;   in Loop: Header=BB27_719 Depth=2
	s_or_b64 exec, exec, s[40:41]
.LBB27_1298:                            ;   in Loop: Header=BB27_719 Depth=2
	s_or_b64 exec, exec, s[28:29]
	v_lshlrev_b32_e32 v8, 11, v18
	v_cmp_ne_u32_e32 vcc, v73, v8
	s_and_b64 exec, exec, vcc
	s_cbranch_execz .LBB27_1306
; %bb.1299:                             ;   in Loop: Header=BB27_719 Depth=2
	v_lshlrev_b32_e32 v9, 6, v16
	v_sub_u32_e32 v9, v15, v9
	v_lshlrev_b32_e32 v10, 6, v17
	v_sub_u32_e32 v9, v9, v10
	v_ashrrev_i32_e32 v10, 31, v9
	v_lshrrev_b32_e32 v10, 26, v10
	v_add_u32_e32 v10, v9, v10
	v_and_b32_e32 v11, 0x7fffffc0, v10
	v_sub_u32_e32 v9, v9, v11
	v_lshlrev_b32_e32 v10, 1, v10
	v_and_b32_e32 v10, 0xffffff80, v10
	v_lshlrev_b32_e32 v9, 1, v9
	v_add3_u32 v8, v10, v9, v8
	v_sub_u32_e32 v15, v73, v8
	v_cmp_lt_i32_e32 vcc, 1, v15
	s_and_b64 exec, exec, vcc
	s_cbranch_execz .LBB27_1306
; %bb.1300:                             ;   in Loop: Header=BB27_719 Depth=2
	s_trap 2
	ds_read_b64 v[10:11], v0
	v_add_u32_e32 v12, v8, v14
	s_and_b32 s46, s50, 1
	v_ashrrev_i32_e32 v13, 31, v12
	s_cmp_eq_u64 s[46:47], 0
	v_lshl_add_u64 v[8:9], v[12:13], 0, v[78:79]
	s_waitcnt lgkmcnt(0)
	v_lshl_add_u64 v[10:11], v[10:11], 0, v[12:13]
	v_lshl_add_u64 v[12:13], v[12:13], 0, v[88:89]
	s_mov_b64 s[28:29], 0
	s_cselect_b64 vcc, -1, 0
	s_branch .LBB27_1302
.LBB27_1301:                            ;   in Loop: Header=BB27_1302 Depth=3
	s_or_b64 exec, exec, s[40:41]
	v_sub_u32_e32 v15, v15, v112
	v_cmp_gt_i32_e64 s[24:25], 2, v15
	flat_store_short_d16_hi v[12:13], v16 nt
	v_lshl_add_u64 v[8:9], v[8:9], 0, v[112:113]
	v_lshl_add_u64 v[10:11], v[10:11], 0, v[112:113]
	s_or_b64 s[28:29], s[24:25], s[28:29]
	v_lshl_add_u64 v[12:13], v[12:13], 0, v[112:113]
	s_andn2_b64 exec, exec, s[28:29]
	s_cbranch_execz .LBB27_1306
.LBB27_1302:                            ;   Parent Loop BB27_47 Depth=1
                                        ;     Parent Loop BB27_719 Depth=2
                                        ; =>    This Inner Loop Header: Depth=3
	flat_load_ushort v14, v[10:11] nt
	flat_load_ushort v16, v[8:9] nt
	s_waitcnt vmcnt(0) lgkmcnt(0)
	v_lshlrev_b32_e32 v14, 16, v14
	v_lshlrev_b32_e32 v16, 16, v16
	v_max_f32_e32 v14, v14, v14
	v_max_f32_e32 v16, v16, v16
	v_min_f32_e32 v17, v16, v14
	v_max_f32_e32 v14, v16, v14
	v_cndmask_b32_e32 v14, v14, v17, vcc
	v_and_b32_e32 v16, 0x7f800000, v14
	v_cmp_ne_u32_e64 s[24:25], s69, v16
                                        ; implicit-def: $vgpr16
	s_and_saveexec_b64 s[40:41], s[24:25]
	s_xor_b64 s[24:25], exec, s[40:41]
; %bb.1303:                             ;   in Loop: Header=BB27_1302 Depth=3
	v_bfe_u32 v16, v14, 16, 1
	v_add3_u32 v16, v14, v16, s70
                                        ; implicit-def: $vgpr14
; %bb.1304:                             ;   in Loop: Header=BB27_1302 Depth=3
	s_andn2_saveexec_b64 s[40:41], s[24:25]
	s_cbranch_execz .LBB27_1301
; %bb.1305:                             ;   in Loop: Header=BB27_1302 Depth=3
	v_or_b32_e32 v16, 0x10000, v14
	v_cmp_eq_u32_sdwa s[24:25], v14, v3 src0_sel:WORD_0 src1_sel:DWORD
	s_nop 1
	v_cndmask_b32_e64 v16, v16, v14, s[24:25]
	s_branch .LBB27_1301
.LBB27_1306:                            ;   in Loop: Header=BB27_719 Depth=2
	s_or_b64 exec, exec, s[26:27]
	v_cmp_lt_i32_e64 s[24:25], 0, v2
	s_and_saveexec_b64 s[26:27], s[4:5]
	s_cbranch_execz .LBB27_795
.LBB27_1307:                            ;   in Loop: Header=BB27_719 Depth=2
	s_and_saveexec_b64 s[28:29], s[56:57]
	s_xor_b64 s[28:29], exec, s[28:29]
	s_cbranch_execz .LBB27_1322
; %bb.1308:                             ;   in Loop: Header=BB27_719 Depth=2
	s_and_saveexec_b64 s[40:41], s[12:13]
	s_cbranch_execz .LBB27_1321
; %bb.1309:                             ;   in Loop: Header=BB27_719 Depth=2
	s_mov_b64 s[34:35], exec
	v_mbcnt_lo_u32_b32 v2, s34, 0
	v_mbcnt_hi_u32_b32 v2, s35, v2
	v_cmp_eq_u32_e32 vcc, 0, v2
	s_waitcnt lgkmcnt(0)
	s_and_saveexec_b64 s[30:31], vcc
	s_cbranch_execz .LBB27_1311
; %bb.1310:                             ;   in Loop: Header=BB27_719 Depth=2
	s_bcnt1_i32_b64 s46, s[34:35]
	v_mov_b32_e32 v2, s46
	ds_add_u64 v0, v[2:3]
	s_trap 2
.LBB27_1311:                            ;   in Loop: Header=BB27_719 Depth=2
	s_or_b64 exec, exec, s[30:31]
	s_trap 2
	ds_read_b64 v[8:9], v0
	s_waitcnt lgkmcnt(0)
	v_lshl_add_u64 v[70:71], v[70:71], 0, v[84:85]
	v_cmp_lt_u64_e32 vcc, v[8:9], v[70:71]
	s_and_saveexec_b64 s[30:31], vcc
	s_cbranch_execz .LBB27_1320
; %bb.1312:                             ;   in Loop: Header=BB27_719 Depth=2
	s_mov_b32 s46, 0
	s_mov_b64 s[34:35], 0
                                        ; implicit-def: $sgpr36_sgpr37
                                        ; implicit-def: $sgpr38_sgpr39
	s_branch .LBB27_1314
.LBB27_1313:                            ;   in Loop: Header=BB27_1314 Depth=3
	s_or_b64 exec, exec, s[50:51]
	s_and_b64 vcc, exec, vcc
	s_or_b64 s[34:35], vcc, s[34:35]
	s_andn2_b64 vcc, s[36:37], exec
	s_and_b64 s[36:37], s[38:39], exec
	s_or_b64 s[36:37], vcc, s[36:37]
	s_andn2_b64 exec, exec, s[34:35]
	s_cbranch_execz .LBB27_1318
.LBB27_1314:                            ;   Parent Loop BB27_47 Depth=1
                                        ;     Parent Loop BB27_719 Depth=2
                                        ; =>    This Inner Loop Header: Depth=3
	s_add_i32 s46, s46, 1
	s_cmpk_lg_i32 s46, 0x2710
	s_cselect_b64 s[48:49], -1, 0
	s_and_b64 vcc, exec, s[48:49]
	s_cbranch_vccz .LBB27_1316
; %bb.1315:                             ;   in Loop: Header=BB27_1314 Depth=3
	s_mov_b64 vcc, -1
	s_or_b64 s[38:39], s[38:39], exec
	s_and_saveexec_b64 s[50:51], s[48:49]
	s_cbranch_execz .LBB27_1313
	s_branch .LBB27_1317
.LBB27_1316:                            ;   in Loop: Header=BB27_1314 Depth=3
	s_trap 2
	ds_read_b64 v[8:9], v0
	s_andn2_b64 s[48:49], s[48:49], exec
	s_mov_b32 s46, 0
	s_waitcnt vmcnt(0) lgkmcnt(0)
	flat_load_dword v2, v[8:9] sc0 sc1
	s_waitcnt vmcnt(0) lgkmcnt(0)
	buffer_inv sc0 sc1
	v_cmp_eq_u32_e32 vcc, 0, v2
	s_and_b64 vcc, vcc, exec
	s_or_b64 s[48:49], s[48:49], vcc
	s_mov_b64 vcc, -1
	s_or_b64 s[38:39], s[38:39], exec
	s_and_saveexec_b64 s[50:51], s[48:49]
	s_cbranch_execz .LBB27_1313
.LBB27_1317:                            ;   in Loop: Header=BB27_1314 Depth=3
	s_sleep 1
	s_trap 2
	ds_read_b64 v[8:9], v0
	s_waitcnt lgkmcnt(0)
	s_andn2_b64 s[38:39], s[38:39], exec
	v_cmp_ge_u64_e32 vcc, v[8:9], v[70:71]
	s_orn2_b64 vcc, vcc, exec
	s_branch .LBB27_1313
.LBB27_1318:                            ;   in Loop: Header=BB27_719 Depth=2
	s_or_b64 exec, exec, s[34:35]
	s_and_saveexec_b64 vcc, s[36:37]
	s_xor_b64 vcc, exec, vcc
	s_cbranch_execz .LBB27_1320
; %bb.1319:                             ;   in Loop: Header=BB27_719 Depth=2
	ds_write_b32 v0, v111
	s_trap 2
.LBB27_1320:                            ;   in Loop: Header=BB27_719 Depth=2
	s_or_b64 exec, exec, s[30:31]
	;;#ASMSTART
	s_wakeup
	;;#ASMEND
.LBB27_1321:                            ;   in Loop: Header=BB27_719 Depth=2
	s_or_b64 exec, exec, s[40:41]
.LBB27_1322:                            ;   in Loop: Header=BB27_719 Depth=2
	s_andn2_saveexec_b64 s[28:29], s[28:29]
	s_cbranch_execz .LBB27_1324
; %bb.1323:                             ;   in Loop: Header=BB27_719 Depth=2
	s_waitcnt lgkmcnt(0)
	s_barrier
.LBB27_1324:                            ;   in Loop: Header=BB27_719 Depth=2
	s_or_b64 exec, exec, s[28:29]
	s_or_b64 exec, exec, s[26:27]
                                        ; implicit-def: $vgpr2
	s_and_saveexec_b64 s[26:27], s[20:21]
	s_xor_b64 s[26:27], exec, s[26:27]
	s_cbranch_execnz .LBB27_796
.LBB27_1325:                            ;   in Loop: Header=BB27_719 Depth=2
	s_andn2_saveexec_b64 s[24:25], s[26:27]
	s_cbranch_execz .LBB27_1344
.LBB27_1326:                            ;   in Loop: Header=BB27_719 Depth=2
	s_and_saveexec_b64 s[26:27], s[56:57]
	s_xor_b64 s[26:27], exec, s[26:27]
	s_cbranch_execz .LBB27_1341
; %bb.1327:                             ;   in Loop: Header=BB27_719 Depth=2
	s_and_saveexec_b64 s[28:29], s[12:13]
	s_cbranch_execz .LBB27_1340
; %bb.1328:                             ;   in Loop: Header=BB27_719 Depth=2
	s_mov_b64 s[30:31], exec
	v_mbcnt_lo_u32_b32 v2, s30, 0
	v_mbcnt_hi_u32_b32 v2, s31, v2
	v_cmp_eq_u32_e32 vcc, 0, v2
	;;#ASMSTART
	s_waitcnt lgkmcnt(0) vmcnt(0)
	;;#ASMEND
	s_and_saveexec_b64 s[40:41], vcc
	s_cbranch_execz .LBB27_1330
; %bb.1329:                             ;   in Loop: Header=BB27_719 Depth=2
	s_bcnt1_i32_b64 s46, s[30:31]
	v_mov_b32_e32 v2, s46
	s_waitcnt lgkmcnt(0)
	ds_add_u64 v0, v[2:3]
	s_trap 2
.LBB27_1330:                            ;   in Loop: Header=BB27_719 Depth=2
	s_or_b64 exec, exec, s[40:41]
	s_trap 2
	ds_read_b64 v[8:9], v0
	s_waitcnt lgkmcnt(0)
	v_lshl_add_u64 v[70:71], v[70:71], 0, v[84:85]
	v_cmp_lt_u64_e32 vcc, v[8:9], v[70:71]
	s_and_saveexec_b64 s[40:41], vcc
	s_cbranch_execz .LBB27_1339
; %bb.1331:                             ;   in Loop: Header=BB27_719 Depth=2
	s_mov_b32 s46, 0
	s_mov_b64 s[30:31], 0
                                        ; implicit-def: $sgpr34_sgpr35
                                        ; implicit-def: $sgpr36_sgpr37
	s_branch .LBB27_1333
.LBB27_1332:                            ;   in Loop: Header=BB27_1333 Depth=3
	s_or_b64 exec, exec, s[48:49]
	s_and_b64 vcc, exec, vcc
	s_or_b64 s[30:31], vcc, s[30:31]
	s_andn2_b64 vcc, s[34:35], exec
	s_and_b64 s[34:35], s[36:37], exec
	s_or_b64 s[34:35], vcc, s[34:35]
	s_andn2_b64 exec, exec, s[30:31]
	s_cbranch_execz .LBB27_1337
.LBB27_1333:                            ;   Parent Loop BB27_47 Depth=1
                                        ;     Parent Loop BB27_719 Depth=2
                                        ; =>    This Inner Loop Header: Depth=3
	s_add_i32 s46, s46, 1
	s_cmpk_lg_i32 s46, 0x2710
	s_cselect_b64 s[38:39], -1, 0
	s_and_b64 vcc, exec, s[38:39]
	s_cbranch_vccz .LBB27_1335
; %bb.1334:                             ;   in Loop: Header=BB27_1333 Depth=3
	s_mov_b64 vcc, -1
	s_or_b64 s[36:37], s[36:37], exec
	s_and_saveexec_b64 s[48:49], s[38:39]
	s_cbranch_execz .LBB27_1332
	s_branch .LBB27_1336
.LBB27_1335:                            ;   in Loop: Header=BB27_1333 Depth=3
	s_trap 2
	ds_read_b64 v[8:9], v0
	s_andn2_b64 s[38:39], s[38:39], exec
	s_mov_b32 s46, 0
	s_waitcnt vmcnt(0) lgkmcnt(0)
	flat_load_dword v2, v[8:9] sc0 sc1
	s_waitcnt vmcnt(0) lgkmcnt(0)
	buffer_inv sc0 sc1
	v_cmp_eq_u32_e32 vcc, 0, v2
	s_and_b64 vcc, vcc, exec
	s_or_b64 s[38:39], s[38:39], vcc
	s_mov_b64 vcc, -1
	s_or_b64 s[36:37], s[36:37], exec
	s_and_saveexec_b64 s[48:49], s[38:39]
	s_cbranch_execz .LBB27_1332
.LBB27_1336:                            ;   in Loop: Header=BB27_1333 Depth=3
	s_sleep 1
	s_trap 2
	ds_read_b64 v[8:9], v0
	s_waitcnt lgkmcnt(0)
	s_andn2_b64 s[36:37], s[36:37], exec
	v_cmp_ge_u64_e32 vcc, v[8:9], v[70:71]
	s_orn2_b64 vcc, vcc, exec
	s_branch .LBB27_1332
.LBB27_1337:                            ;   in Loop: Header=BB27_719 Depth=2
	s_or_b64 exec, exec, s[30:31]
	s_and_saveexec_b64 vcc, s[34:35]
	s_xor_b64 vcc, exec, vcc
	s_cbranch_execz .LBB27_1339
; %bb.1338:                             ;   in Loop: Header=BB27_719 Depth=2
	ds_write_b32 v0, v111
	s_trap 2
.LBB27_1339:                            ;   in Loop: Header=BB27_719 Depth=2
	s_or_b64 exec, exec, s[40:41]
	;;#ASMSTART
	s_wakeup
	;;#ASMEND
.LBB27_1340:                            ;   in Loop: Header=BB27_719 Depth=2
	s_or_b64 exec, exec, s[28:29]
.LBB27_1341:                            ;   in Loop: Header=BB27_719 Depth=2
	s_andn2_saveexec_b64 s[26:27], s[26:27]
	s_cbranch_execz .LBB27_1343
; %bb.1342:                             ;   in Loop: Header=BB27_719 Depth=2
	;;#ASMSTART
	s_waitcnt lgkmcnt(0) vmcnt(0)
	;;#ASMEND
	s_barrier
.LBB27_1343:                            ;   in Loop: Header=BB27_719 Depth=2
	s_or_b64 exec, exec, s[26:27]
	v_and_b32_e32 v2, 16, v108
.LBB27_1344:                            ;   in Loop: Header=BB27_719 Depth=2
	s_or_b64 exec, exec, s[24:25]
	v_cmp_ne_u32_e32 vcc, 0, v2
	s_xor_b64 s[24:25], s[6:7], -1
	s_and_b64 s[26:27], vcc, s[24:25]
	s_and_saveexec_b64 s[24:25], s[26:27]
	s_cbranch_execz .LBB27_1346
; %bb.1345:                             ;   in Loop: Header=BB27_719 Depth=2
	flat_store_dword v[68:69], v111 sc0 sc1
.LBB27_1346:                            ;   in Loop: Header=BB27_719 Depth=2
	s_or_b64 exec, exec, s[24:25]
	v_and_b32_e32 v2, 48, v108
	v_cmp_ne_u32_e32 vcc, 0, v2
	s_and_saveexec_b64 s[24:25], vcc
	s_cbranch_execz .LBB27_718
; %bb.1347:                             ;   in Loop: Header=BB27_719 Depth=2
	v_lshl_add_u64 v[58:59], v[58:59], 0, 2
	flat_store_dwordx2 v[64:65], v[58:59] sc0 sc1
	s_branch .LBB27_718
.LBB27_1348:                            ;   in Loop: Header=BB27_47 Depth=1
	s_or_b64 exec, exec, s[90:91]
	v_cmp_gt_i32_e32 vcc, 2, v2
	s_and_saveexec_b64 s[26:27], vcc
	s_cbranch_execz .LBB27_1424
.LBB27_1349:                            ;   in Loop: Header=BB27_47 Depth=1
	v_cmp_eq_u32_e64 s[40:41], 0, v2
	s_mov_b64 s[28:29], 0
	s_branch .LBB27_1351
.LBB27_1350:                            ;   in Loop: Header=BB27_1351 Depth=2
	s_or_b64 exec, exec, s[24:25]
	v_add_u32_e32 v74, v72, v74
	s_mov_b64 s[40:41], 0
	s_andn2_b64 exec, exec, s[28:29]
	s_cbranch_execz .LBB27_1425
.LBB27_1351:                            ;   Parent Loop BB27_47 Depth=1
                                        ; =>  This Loop Header: Depth=2
                                        ;       Child Loop BB27_1357 Depth 3
                                        ;       Child Loop BB27_1385 Depth 3
	;; [unrolled: 1-line block ×3, first 2 shown]
	v_sub_u32_e32 v2, v124, v74
	v_min_i32_e32 v72, v72, v2
	v_and_b32_e32 v2, 12, v108
	v_cmp_ne_u32_e32 vcc, 0, v2
	s_and_saveexec_b64 s[90:91], vcc
	s_cbranch_execz .LBB27_1377
; %bb.1352:                             ;   in Loop: Header=BB27_1351 Depth=2
	v_and_b32_e32 v2, 8, v108
	s_waitcnt vmcnt(0) lgkmcnt(0)
	v_lshl_add_u64 v[10:11], v[80:81], 0, v[2:3]
	v_lshl_add_u64 v[8:9], v[58:59], 0, 2
	v_cmp_lt_u64_e32 vcc, v[10:11], v[8:9]
	s_and_saveexec_b64 s[92:93], vcc
	s_cbranch_execz .LBB27_1364
; %bb.1353:                             ;   in Loop: Header=BB27_1351 Depth=2
	v_and_b32_e32 v10, 64, v108
	s_mov_b32 s46, 0
	v_cmp_eq_u32_e32 vcc, 0, v10
	s_mov_b64 s[94:95], 0
                                        ; implicit-def: $sgpr30_sgpr31
                                        ; implicit-def: $sgpr34_sgpr35
                                        ; implicit-def: $sgpr36_sgpr37
	s_branch .LBB27_1357
.LBB27_1354:                            ;   in Loop: Header=BB27_1357 Depth=3
	s_waitcnt vmcnt(0) lgkmcnt(0)
	v_lshl_add_u64 v[12:13], v[80:81], 0, v[2:3]
	v_cmp_ge_u64_e64 s[24:25], v[12:13], v[8:9]
	s_or_b64 s[50:51], s[50:51], exec
	s_orn2_b64 s[48:49], s[24:25], exec
.LBB27_1355:                            ;   in Loop: Header=BB27_1357 Depth=3
	s_or_b64 exec, exec, s[54:55]
	s_andn2_b64 s[24:25], s[36:37], exec
	s_and_b64 s[36:37], s[50:51], exec
	s_or_b64 s[36:37], s[24:25], s[36:37]
	s_andn2_b64 s[24:25], s[34:35], exec
	s_and_b64 s[34:35], s[48:49], exec
	s_or_b64 s[34:35], s[24:25], s[34:35]
.LBB27_1356:                            ;   in Loop: Header=BB27_1357 Depth=3
	s_or_b64 exec, exec, s[38:39]
	s_and_b64 s[24:25], exec, s[34:35]
	s_or_b64 s[94:95], s[24:25], s[94:95]
	s_andn2_b64 s[24:25], s[30:31], exec
	s_and_b64 s[30:31], s[36:37], exec
	s_or_b64 s[30:31], s[24:25], s[30:31]
	s_andn2_b64 exec, exec, s[94:95]
	s_cbranch_execz .LBB27_1361
.LBB27_1357:                            ;   Parent Loop BB27_47 Depth=1
                                        ;     Parent Loop BB27_1351 Depth=2
                                        ; =>    This Inner Loop Header: Depth=3
	s_sleep 1
	s_waitcnt vmcnt(0) lgkmcnt(0)
	flat_load_dwordx2 v[80:81], v[64:65] sc0 sc1
	s_or_b64 s[36:37], s[36:37], exec
	s_or_b64 s[34:35], s[34:35], exec
                                        ; implicit-def: $vgpr10
	s_and_saveexec_b64 s[38:39], vcc
	s_cbranch_execz .LBB27_1356
; %bb.1358:                             ;   in Loop: Header=BB27_1357 Depth=3
	s_cmpk_lt_i32 s46, 0x270f
	s_cselect_b64 s[52:53], -1, 0
	s_cmpk_gt_i32 s46, 0x270e
	s_mov_b64 s[48:49], -1
	s_cbranch_scc0 .LBB27_1360
; %bb.1359:                             ;   in Loop: Header=BB27_1357 Depth=3
	s_trap 2
	ds_read_b64 v[10:11], v0
	s_andn2_b64 s[52:53], s[52:53], exec
	s_mov_b32 s46, 0
	s_mov_b64 s[50:51], 0
	s_waitcnt vmcnt(0) lgkmcnt(0)
	flat_load_dword v10, v[10:11] sc0 sc1
	s_waitcnt vmcnt(0) lgkmcnt(0)
	buffer_inv sc0 sc1
	v_cmp_eq_u32_e64 s[24:25], 0, v10
	s_and_b64 s[24:25], s[24:25], exec
	s_or_b64 s[52:53], s[52:53], s[24:25]
	s_and_saveexec_b64 s[54:55], s[52:53]
	s_cbranch_execz .LBB27_1355
	s_branch .LBB27_1354
.LBB27_1360:                            ;   in Loop: Header=BB27_1357 Depth=3
	s_add_i32 s46, s46, 1
	s_mov_b64 s[50:51], -1
                                        ; implicit-def: $vgpr10
	s_and_saveexec_b64 s[54:55], s[52:53]
	s_cbranch_execz .LBB27_1355
	s_branch .LBB27_1354
.LBB27_1361:                            ;   in Loop: Header=BB27_1351 Depth=2
	s_or_b64 exec, exec, s[94:95]
	s_xor_b64 s[24:25], s[30:31], -1
	s_and_saveexec_b64 s[94:95], s[24:25]
	s_xor_b64 s[24:25], exec, s[94:95]
	s_cbranch_execz .LBB27_1363
; %bb.1362:                             ;   in Loop: Header=BB27_1351 Depth=2
	v_or_b32_e32 v108, 64, v108
	s_waitcnt lgkmcnt(0)
	ds_write_b32 v0, v10
	s_trap 2
.LBB27_1363:                            ;   in Loop: Header=BB27_1351 Depth=2
	s_or_b64 exec, exec, s[24:25]
.LBB27_1364:                            ;   in Loop: Header=BB27_1351 Depth=2
	s_or_b64 exec, exec, s[92:93]
	v_and_b32_e32 v10, 0x108, v108
	v_cmp_ne_u32_e32 vcc, s68, v10
	;;#ASMSTART
	s_wakeup
	;;#ASMEND
                                        ; implicit-def: $vgpr10_vgpr11
	s_and_saveexec_b64 s[24:25], vcc
	s_xor_b64 s[24:25], exec, s[24:25]
; %bb.1365:                             ;   in Loop: Header=BB27_1351 Depth=2
	v_and_b32_e32 v10, 7, v58
	v_mov_b32_e32 v11, v3
                                        ; implicit-def: $vgpr58_vgpr59
; %bb.1366:                             ;   in Loop: Header=BB27_1351 Depth=2
	s_andn2_saveexec_b64 s[24:25], s[24:25]
	s_cbranch_execz .LBB27_1368
; %bb.1367:                             ;   in Loop: Header=BB27_1351 Depth=2
	v_and_b32_e32 v10, 7, v58
	v_ashrrev_i32_e32 v73, 31, v72
	v_mov_b32_e32 v11, v3
	v_mad_u64_u32 v[12:13], s[92:93], v10, 24, v[6:7]
	v_lshlrev_b64 v[14:15], 1, v[72:73]
	flat_store_dwordx2 v[12:13], v[14:15] offset:8
.LBB27_1368:                            ;   in Loop: Header=BB27_1351 Depth=2
	s_or_b64 exec, exec, s[24:25]
	v_and_b32_e32 v12, 0x100, v108
	v_cmp_ne_u32_e32 vcc, 0, v12
	s_mov_b64 s[24:25], -1
                                        ; implicit-def: $vgpr12_vgpr13
	s_and_saveexec_b64 s[92:93], vcc
	s_cbranch_execz .LBB27_1372
; %bb.1369:                             ;   in Loop: Header=BB27_1351 Depth=2
	v_mad_u64_u32 v[14:15], s[24:25], v10, 24, v[6:7]
	v_mov_b32_e32 v12, v15
	v_mad_u64_u32 v[12:13], s[24:25], v11, 24, v[12:13]
	v_mov_b32_e32 v15, v12
	flat_load_dword v12, v[14:15]
	s_waitcnt vmcnt(0) lgkmcnt(0)
	v_cmp_ne_u32_e32 vcc, 1, v12
	v_cmp_eq_u32_e64 s[24:25], 1, v12
                                        ; implicit-def: $vgpr12_vgpr13
	s_and_saveexec_b64 s[94:95], s[24:25]
	s_cbranch_execz .LBB27_1371
; %bb.1370:                             ;   in Loop: Header=BB27_1351 Depth=2
	flat_load_dword v12, v[14:15] offset:4 sc0 sc1
	s_waitcnt vmcnt(0) lgkmcnt(0)
	v_ashrrev_i32_e32 v13, 31, v12
	v_lshrrev_b64 v[12:13], 1, v[12:13]
.LBB27_1371:                            ;   in Loop: Header=BB27_1351 Depth=2
	s_or_b64 exec, exec, s[94:95]
	s_orn2_b64 s[24:25], vcc, exec
.LBB27_1372:                            ;   in Loop: Header=BB27_1351 Depth=2
	s_or_b64 exec, exec, s[92:93]
	s_and_saveexec_b64 s[92:93], s[24:25]
; %bb.1373:                             ;   in Loop: Header=BB27_1351 Depth=2
	v_mul_lo_u32 v11, v11, v30
	v_mul_lo_u32 v14, v10, v83
	v_mad_u64_u32 v[12:13], s[24:25], v10, v30, 0
	v_add3_u32 v13, v13, v14, v11
; %bb.1374:                             ;   in Loop: Header=BB27_1351 Depth=2
	s_or_b64 exec, exec, s[92:93]
	v_cmp_eq_u32_e32 vcc, 0, v2
	v_lshl_add_u64 v[10:11], v[12:13], 1, v[66:67]
	s_nop 0
	v_cndmask_b32_e32 v2, v122, v121, vcc
	v_add_u32_e32 v2, v0, v2
	ds_write_b64 v2, v[10:11] offset:584
	v_and_b32_e32 v2, 0x2000, v108
	v_cmp_ne_u32_e32 vcc, 0, v2
	s_and_saveexec_b64 s[24:25], vcc
	s_cbranch_execz .LBB27_1376
; %bb.1375:                             ;   in Loop: Header=BB27_1351 Depth=2
	ds_read_b64 v[10:11], v0 offset:872
	s_waitcnt lgkmcnt(0)
	v_lshl_add_u64 v[10:11], v[10:11], 0, 1
	ds_write_b64 v0, v[10:11] offset:872
.LBB27_1376:                            ;   in Loop: Header=BB27_1351 Depth=2
	s_or_b64 exec, exec, s[24:25]
	v_mov_b64_e32 v[58:59], v[8:9]
.LBB27_1377:                            ;   in Loop: Header=BB27_1351 Depth=2
	s_or_b64 exec, exec, s[90:91]
	s_xor_b64 s[24:25], s[40:41], -1
	s_and_b64 s[24:25], exec, s[24:25]
	s_or_b64 s[28:29], s[24:25], s[28:29]
	s_and_saveexec_b64 s[24:25], s[4:5]
	s_cbranch_execz .LBB27_1396
; %bb.1378:                             ;   in Loop: Header=BB27_1351 Depth=2
	s_and_saveexec_b64 s[40:41], s[56:57]
	s_xor_b64 s[40:41], exec, s[40:41]
	s_cbranch_execz .LBB27_1393
; %bb.1379:                             ;   in Loop: Header=BB27_1351 Depth=2
	s_and_saveexec_b64 s[90:91], s[12:13]
	s_cbranch_execz .LBB27_1392
; %bb.1380:                             ;   in Loop: Header=BB27_1351 Depth=2
	s_mov_b64 s[94:95], exec
	v_mbcnt_lo_u32_b32 v2, s94, 0
	v_mbcnt_hi_u32_b32 v2, s95, v2
	v_cmp_eq_u32_e32 vcc, 0, v2
	s_waitcnt lgkmcnt(0)
	s_and_saveexec_b64 s[92:93], vcc
	s_cbranch_execz .LBB27_1382
; %bb.1381:                             ;   in Loop: Header=BB27_1351 Depth=2
	s_bcnt1_i32_b64 s46, s[94:95]
	v_mov_b32_e32 v2, s46
	ds_add_u64 v0, v[2:3]
	s_trap 2
.LBB27_1382:                            ;   in Loop: Header=BB27_1351 Depth=2
	s_or_b64 exec, exec, s[92:93]
	s_trap 2
	ds_read_b64 v[8:9], v0
	s_waitcnt lgkmcnt(0)
	v_lshl_add_u64 v[70:71], v[70:71], 0, v[84:85]
	v_cmp_lt_u64_e32 vcc, v[8:9], v[70:71]
	s_and_saveexec_b64 s[92:93], vcc
	s_cbranch_execz .LBB27_1391
; %bb.1383:                             ;   in Loop: Header=BB27_1351 Depth=2
	s_mov_b32 s46, 0
	s_mov_b64 s[94:95], 0
                                        ; implicit-def: $sgpr30_sgpr31
                                        ; implicit-def: $sgpr34_sgpr35
	s_branch .LBB27_1385
.LBB27_1384:                            ;   in Loop: Header=BB27_1385 Depth=3
	s_or_b64 exec, exec, s[38:39]
	s_and_b64 vcc, exec, vcc
	s_or_b64 s[94:95], vcc, s[94:95]
	s_andn2_b64 vcc, s[30:31], exec
	s_and_b64 s[30:31], s[34:35], exec
	s_or_b64 s[30:31], vcc, s[30:31]
	s_andn2_b64 exec, exec, s[94:95]
	s_cbranch_execz .LBB27_1389
.LBB27_1385:                            ;   Parent Loop BB27_47 Depth=1
                                        ;     Parent Loop BB27_1351 Depth=2
                                        ; =>    This Inner Loop Header: Depth=3
	s_add_i32 s46, s46, 1
	s_cmpk_lg_i32 s46, 0x2710
	s_cselect_b64 s[36:37], -1, 0
	s_and_b64 vcc, exec, s[36:37]
	s_cbranch_vccz .LBB27_1387
; %bb.1386:                             ;   in Loop: Header=BB27_1385 Depth=3
	s_mov_b64 vcc, -1
	s_or_b64 s[34:35], s[34:35], exec
	s_and_saveexec_b64 s[38:39], s[36:37]
	s_cbranch_execz .LBB27_1384
	s_branch .LBB27_1388
.LBB27_1387:                            ;   in Loop: Header=BB27_1385 Depth=3
	s_trap 2
	ds_read_b64 v[8:9], v0
	s_andn2_b64 s[36:37], s[36:37], exec
	s_mov_b32 s46, 0
	s_waitcnt vmcnt(0) lgkmcnt(0)
	flat_load_dword v2, v[8:9] sc0 sc1
	s_waitcnt vmcnt(0) lgkmcnt(0)
	buffer_inv sc0 sc1
	v_cmp_eq_u32_e32 vcc, 0, v2
	s_and_b64 vcc, vcc, exec
	s_or_b64 s[36:37], s[36:37], vcc
	s_mov_b64 vcc, -1
	s_or_b64 s[34:35], s[34:35], exec
	s_and_saveexec_b64 s[38:39], s[36:37]
	s_cbranch_execz .LBB27_1384
.LBB27_1388:                            ;   in Loop: Header=BB27_1385 Depth=3
	s_sleep 1
	s_trap 2
	ds_read_b64 v[8:9], v0
	s_waitcnt lgkmcnt(0)
	s_andn2_b64 s[34:35], s[34:35], exec
	v_cmp_ge_u64_e32 vcc, v[8:9], v[70:71]
	s_orn2_b64 vcc, vcc, exec
	s_branch .LBB27_1384
.LBB27_1389:                            ;   in Loop: Header=BB27_1351 Depth=2
	s_or_b64 exec, exec, s[94:95]
	s_and_saveexec_b64 s[94:95], s[30:31]
	s_xor_b64 s[94:95], exec, s[94:95]
	s_cbranch_execz .LBB27_1391
; %bb.1390:                             ;   in Loop: Header=BB27_1351 Depth=2
	ds_write_b32 v0, v111
	s_trap 2
.LBB27_1391:                            ;   in Loop: Header=BB27_1351 Depth=2
	s_or_b64 exec, exec, s[92:93]
	;;#ASMSTART
	s_wakeup
	;;#ASMEND
.LBB27_1392:                            ;   in Loop: Header=BB27_1351 Depth=2
	s_or_b64 exec, exec, s[90:91]
.LBB27_1393:                            ;   in Loop: Header=BB27_1351 Depth=2
	s_andn2_saveexec_b64 s[40:41], s[40:41]
	s_cbranch_execz .LBB27_1395
; %bb.1394:                             ;   in Loop: Header=BB27_1351 Depth=2
	s_waitcnt lgkmcnt(0)
	s_barrier
.LBB27_1395:                            ;   in Loop: Header=BB27_1351 Depth=2
	s_or_b64 exec, exec, s[40:41]
.LBB27_1396:                            ;   in Loop: Header=BB27_1351 Depth=2
	s_or_b64 exec, exec, s[24:25]
                                        ; implicit-def: $vgpr2
	s_and_saveexec_b64 s[24:25], s[20:21]
	s_xor_b64 s[24:25], exec, s[24:25]
	s_cbranch_execz .LBB27_1400
; %bb.1397:                             ;   in Loop: Header=BB27_1351 Depth=2
	s_trap 2
	ds_read_b32 v8, v0
	v_cmp_lt_i32_e32 vcc, 0, v72
	v_and_b32_e32 v9, 16, v108
	v_and_b32_e32 v2, 16, v108
	s_waitcnt lgkmcnt(0)
	v_readfirstlane_b32 s40, v8
	s_cmp_eq_u32 s40, 0
	s_cselect_b64 s[40:41], -1, 0
	s_and_b64 s[40:41], vcc, s[40:41]
	v_cmp_ne_u32_e32 vcc, 0, v9
	s_and_b64 s[90:91], vcc, s[40:41]
	s_and_saveexec_b64 s[40:41], s[90:91]
	s_cbranch_execz .LBB27_1399
; %bb.1398:                             ;   in Loop: Header=BB27_1351 Depth=2
	v_mov_b32_e32 v2, 1
	buffer_wbl2 sc1
	s_waitcnt vmcnt(0)
	buffer_inv sc1
.LBB27_1399:                            ;   in Loop: Header=BB27_1351 Depth=2
	s_or_b64 exec, exec, s[40:41]
	s_andn2_saveexec_b64 s[24:25], s[24:25]
	s_cbranch_execz .LBB27_1419
	s_branch .LBB27_1401
.LBB27_1400:                            ;   in Loop: Header=BB27_1351 Depth=2
	s_andn2_saveexec_b64 s[24:25], s[24:25]
	s_cbranch_execz .LBB27_1419
.LBB27_1401:                            ;   in Loop: Header=BB27_1351 Depth=2
	s_and_saveexec_b64 s[40:41], s[56:57]
	s_xor_b64 s[40:41], exec, s[40:41]
	s_cbranch_execz .LBB27_1416
; %bb.1402:                             ;   in Loop: Header=BB27_1351 Depth=2
	s_and_saveexec_b64 s[90:91], s[12:13]
	s_cbranch_execz .LBB27_1415
; %bb.1403:                             ;   in Loop: Header=BB27_1351 Depth=2
	s_mov_b64 s[94:95], exec
	v_mbcnt_lo_u32_b32 v2, s94, 0
	v_mbcnt_hi_u32_b32 v2, s95, v2
	v_cmp_eq_u32_e32 vcc, 0, v2
	;;#ASMSTART
	s_waitcnt lgkmcnt(0) vmcnt(0)
	;;#ASMEND
	s_and_saveexec_b64 s[92:93], vcc
	s_cbranch_execz .LBB27_1405
; %bb.1404:                             ;   in Loop: Header=BB27_1351 Depth=2
	s_bcnt1_i32_b64 s46, s[94:95]
	v_mov_b32_e32 v2, s46
	s_waitcnt lgkmcnt(0)
	ds_add_u64 v0, v[2:3]
	s_trap 2
.LBB27_1405:                            ;   in Loop: Header=BB27_1351 Depth=2
	s_or_b64 exec, exec, s[92:93]
	s_trap 2
	ds_read_b64 v[8:9], v0
	s_waitcnt lgkmcnt(0)
	v_lshl_add_u64 v[70:71], v[70:71], 0, v[84:85]
	v_cmp_lt_u64_e32 vcc, v[8:9], v[70:71]
	s_and_saveexec_b64 s[92:93], vcc
	s_cbranch_execz .LBB27_1414
; %bb.1406:                             ;   in Loop: Header=BB27_1351 Depth=2
	s_mov_b32 s46, 0
	s_mov_b64 s[94:95], 0
                                        ; implicit-def: $sgpr30_sgpr31
                                        ; implicit-def: $sgpr34_sgpr35
	s_branch .LBB27_1408
.LBB27_1407:                            ;   in Loop: Header=BB27_1408 Depth=3
	s_or_b64 exec, exec, s[38:39]
	s_and_b64 vcc, exec, vcc
	s_or_b64 s[94:95], vcc, s[94:95]
	s_andn2_b64 vcc, s[30:31], exec
	s_and_b64 s[30:31], s[34:35], exec
	s_or_b64 s[30:31], vcc, s[30:31]
	s_andn2_b64 exec, exec, s[94:95]
	s_cbranch_execz .LBB27_1412
.LBB27_1408:                            ;   Parent Loop BB27_47 Depth=1
                                        ;     Parent Loop BB27_1351 Depth=2
                                        ; =>    This Inner Loop Header: Depth=3
	s_add_i32 s46, s46, 1
	s_cmpk_lg_i32 s46, 0x2710
	s_cselect_b64 s[36:37], -1, 0
	s_and_b64 vcc, exec, s[36:37]
	s_cbranch_vccz .LBB27_1410
; %bb.1409:                             ;   in Loop: Header=BB27_1408 Depth=3
	s_mov_b64 vcc, -1
	s_or_b64 s[34:35], s[34:35], exec
	s_and_saveexec_b64 s[38:39], s[36:37]
	s_cbranch_execz .LBB27_1407
	s_branch .LBB27_1411
.LBB27_1410:                            ;   in Loop: Header=BB27_1408 Depth=3
	s_trap 2
	ds_read_b64 v[8:9], v0
	s_andn2_b64 s[36:37], s[36:37], exec
	s_mov_b32 s46, 0
	s_waitcnt vmcnt(0) lgkmcnt(0)
	flat_load_dword v2, v[8:9] sc0 sc1
	s_waitcnt vmcnt(0) lgkmcnt(0)
	buffer_inv sc0 sc1
	v_cmp_eq_u32_e32 vcc, 0, v2
	s_and_b64 vcc, vcc, exec
	s_or_b64 s[36:37], s[36:37], vcc
	s_mov_b64 vcc, -1
	s_or_b64 s[34:35], s[34:35], exec
	s_and_saveexec_b64 s[38:39], s[36:37]
	s_cbranch_execz .LBB27_1407
.LBB27_1411:                            ;   in Loop: Header=BB27_1408 Depth=3
	s_sleep 1
	s_trap 2
	ds_read_b64 v[8:9], v0
	s_waitcnt lgkmcnt(0)
	s_andn2_b64 s[34:35], s[34:35], exec
	v_cmp_ge_u64_e32 vcc, v[8:9], v[70:71]
	s_orn2_b64 vcc, vcc, exec
	s_branch .LBB27_1407
.LBB27_1412:                            ;   in Loop: Header=BB27_1351 Depth=2
	s_or_b64 exec, exec, s[94:95]
	s_and_saveexec_b64 s[94:95], s[30:31]
	s_xor_b64 s[94:95], exec, s[94:95]
	s_cbranch_execz .LBB27_1414
; %bb.1413:                             ;   in Loop: Header=BB27_1351 Depth=2
	ds_write_b32 v0, v111
	s_trap 2
.LBB27_1414:                            ;   in Loop: Header=BB27_1351 Depth=2
	s_or_b64 exec, exec, s[92:93]
	;;#ASMSTART
	s_wakeup
	;;#ASMEND
.LBB27_1415:                            ;   in Loop: Header=BB27_1351 Depth=2
	s_or_b64 exec, exec, s[90:91]
.LBB27_1416:                            ;   in Loop: Header=BB27_1351 Depth=2
	s_andn2_saveexec_b64 s[40:41], s[40:41]
	s_cbranch_execz .LBB27_1418
; %bb.1417:                             ;   in Loop: Header=BB27_1351 Depth=2
	;;#ASMSTART
	s_waitcnt lgkmcnt(0) vmcnt(0)
	;;#ASMEND
	s_barrier
.LBB27_1418:                            ;   in Loop: Header=BB27_1351 Depth=2
	s_or_b64 exec, exec, s[40:41]
	v_and_b32_e32 v2, 16, v108
.LBB27_1419:                            ;   in Loop: Header=BB27_1351 Depth=2
	s_or_b64 exec, exec, s[24:25]
	v_cmp_ne_u32_e32 vcc, 0, v2
	s_xor_b64 s[24:25], s[6:7], -1
	s_and_b64 s[40:41], vcc, s[24:25]
	s_and_saveexec_b64 s[24:25], s[40:41]
	s_cbranch_execz .LBB27_1421
; %bb.1420:                             ;   in Loop: Header=BB27_1351 Depth=2
	flat_store_dword v[68:69], v111 sc0 sc1
.LBB27_1421:                            ;   in Loop: Header=BB27_1351 Depth=2
	s_or_b64 exec, exec, s[24:25]
	v_and_b32_e32 v2, 48, v108
	v_cmp_ne_u32_e32 vcc, 0, v2
	s_and_saveexec_b64 s[24:25], vcc
	s_cbranch_execz .LBB27_1350
; %bb.1422:                             ;   in Loop: Header=BB27_1351 Depth=2
	v_lshl_add_u64 v[58:59], v[58:59], 0, 2
	flat_store_dwordx2 v[64:65], v[58:59] sc0 sc1
	s_branch .LBB27_1350
.LBB27_1423:                            ;   in Loop: Header=BB27_47 Depth=1
	s_or_b64 exec, exec, s[92:93]
	s_or_b64 exec, exec, s[90:91]
	v_cmp_gt_i32_e32 vcc, 2, v2
	s_and_saveexec_b64 s[26:27], vcc
	s_cbranch_execnz .LBB27_1349
.LBB27_1424:                            ;   in Loop: Header=BB27_47 Depth=1
	s_or_b64 exec, exec, s[26:27]
	s_and_b64 vcc, exec, s[22:23]
	s_cbranch_vccz .LBB27_1426
	s_branch .LBB27_1682
.LBB27_1425:                            ;   in Loop: Header=BB27_47 Depth=1
	s_or_b64 exec, exec, s[28:29]
	s_or_b64 exec, exec, s[26:27]
	s_and_b64 vcc, exec, s[22:23]
	s_cbranch_vccnz .LBB27_1682
.LBB27_1426:                            ;   in Loop: Header=BB27_47 Depth=1
	s_mov_b32 s46, 1
.LBB27_1427:                            ;   Parent Loop BB27_47 Depth=1
                                        ; =>  This Loop Header: Depth=2
                                        ;       Child Loop BB27_1430 Depth 3
                                        ;         Child Loop BB27_1438 Depth 4
                                        ;         Child Loop BB27_1466 Depth 4
	;; [unrolled: 1-line block ×9, first 2 shown]
                                        ;           Child Loop BB27_1520 Depth 5
                                        ;         Child Loop BB27_1527 Depth 4
                                        ;         Child Loop BB27_1532 Depth 4
                                        ;           Child Loop BB27_1533 Depth 5
                                        ;         Child Loop BB27_1569 Depth 4
                                        ;         Child Loop BB27_1588 Depth 4
                                        ;       Child Loop BB27_1606 Depth 3
                                        ;         Child Loop BB27_1612 Depth 4
                                        ;         Child Loop BB27_1640 Depth 4
	;; [unrolled: 1-line block ×3, first 2 shown]
	s_sub_i32 s22, s71, s46
	s_cmp_ge_i32 s22, s64
	s_cselect_b32 s23, s64, 0
	s_sub_i32 s22, s22, s23
	s_ashr_i32 s23, s22, 31
	v_mul_lo_u32 v2, v56, s23
	v_mul_lo_u32 v10, v57, s22
	v_mad_u64_u32 v[8:9], s[22:23], v56, s22, 0
	v_add3_u32 v9, v9, v2, v10
	v_sub_co_u32_e32 v10, vcc, v60, v8
	v_mov_b32_e32 v14, 0
	s_nop 0
	v_subb_co_u32_e32 v11, vcc, v61, v9, vcc
	v_cmp_lt_i64_e32 vcc, v[56:57], v[10:11]
	s_nop 1
	v_cndmask_b32_e32 v2, v10, v56, vcc
	v_max_i32_e32 v34, 0, v2
	v_add_u32_e32 v10, 31, v34
	v_ashrrev_i32_e32 v11, 31, v10
	v_lshrrev_b32_e32 v11, 27, v11
	v_add_u32_e32 v10, v10, v11
	v_ashrrev_i32_e32 v10, 5, v10
	v_lshlrev_b32_e32 v10, 4, v10
	v_cmp_lt_i32_e32 vcc, 0, v2
	v_max_i32_e32 v12, s82, v10
	s_and_b64 s[22:23], s[78:79], vcc
	v_mov_b32_e32 v2, 0
	s_and_saveexec_b64 s[28:29], s[22:23]
	s_cbranch_execz .LBB27_1603
; %bb.1428:                             ;   in Loop: Header=BB27_1427 Depth=2
	v_lshl_add_u64 v[8:9], v[8:9], 0, v[62:63]
	s_mov_b32 s54, 1
	s_mov_b64 s[90:91], -1
	v_mov_b32_e32 v14, 0
	s_mov_b64 s[40:41], 0
	v_lshlrev_b64 v[16:17], 1, v[8:9]
	s_branch .LBB27_1430
.LBB27_1429:                            ;   in Loop: Header=BB27_1430 Depth=3
	s_or_b64 exec, exec, s[22:23]
	v_add_u32_e32 v14, v12, v14
	v_cmp_ge_i32_e32 vcc, v14, v34
	s_xor_b64 s[22:23], s[90:91], -1
	s_or_b64 s[22:23], s[22:23], vcc
	s_and_b64 s[22:23], exec, s[22:23]
	s_or_b64 s[40:41], s[22:23], s[40:41]
	s_mov_b64 s[90:91], 0
	v_mov_b32_e32 v2, s54
	s_mov_b32 s54, 2
	s_andn2_b64 exec, exec, s[40:41]
	s_cbranch_execz .LBB27_1678
.LBB27_1430:                            ;   Parent Loop BB27_47 Depth=1
                                        ;     Parent Loop BB27_1427 Depth=2
                                        ; =>    This Loop Header: Depth=3
                                        ;         Child Loop BB27_1438 Depth 4
                                        ;         Child Loop BB27_1466 Depth 4
	;; [unrolled: 1-line block ×9, first 2 shown]
                                        ;           Child Loop BB27_1520 Depth 5
                                        ;         Child Loop BB27_1527 Depth 4
                                        ;         Child Loop BB27_1532 Depth 4
                                        ;           Child Loop BB27_1533 Depth 5
                                        ;         Child Loop BB27_1569 Depth 4
                                        ;         Child Loop BB27_1588 Depth 4
	s_and_saveexec_b64 s[22:23], s[0:1]
	s_cbranch_execz .LBB27_1432
; %bb.1431:                             ;   in Loop: Header=BB27_1430 Depth=3
	s_trap 2
	ds_read_b128 v[8:11], v0
	v_ashrrev_i32_e32 v15, 31, v14
	v_lshlrev_b64 v[18:19], 1, v[14:15]
	s_waitcnt lgkmcnt(0)
	v_lshl_add_u64 v[8:9], v[8:9], 0, v[16:17]
	v_lshl_add_u64 v[20:21], v[10:11], 0, v[16:17]
	;; [unrolled: 1-line block ×3, first 2 shown]
	ds_write_b64 v0, v[8:9]
	v_lshl_add_u64 v[8:9], v[20:21], 0, v[18:19]
	v_cmp_ne_u64_e32 vcc, 0, v[10:11]
	s_nop 1
	v_cndmask_b32_e32 v9, 0, v9, vcc
	v_cndmask_b32_e32 v8, 0, v8, vcc
	ds_write_b64 v0, v[8:9]
.LBB27_1432:                            ;   in Loop: Header=BB27_1430 Depth=3
	s_or_b64 exec, exec, s[22:23]
	v_sub_u32_e32 v2, v34, v14
	v_min_i32_e32 v12, v12, v2
	v_and_b32_e32 v2, 12, v108
	v_cmp_ne_u32_e32 vcc, 0, v2
	s_and_saveexec_b64 s[24:25], vcc
	s_cbranch_execz .LBB27_1458
; %bb.1433:                             ;   in Loop: Header=BB27_1430 Depth=3
	v_and_b32_e32 v2, 8, v108
	s_waitcnt vmcnt(0) lgkmcnt(0)
	v_lshl_add_u64 v[10:11], v[80:81], 0, v[2:3]
	v_lshl_add_u64 v[8:9], v[58:59], 0, 2
	v_cmp_lt_u64_e32 vcc, v[10:11], v[8:9]
	s_and_saveexec_b64 s[26:27], vcc
	s_cbranch_execz .LBB27_1445
; %bb.1434:                             ;   in Loop: Header=BB27_1430 Depth=3
	v_and_b32_e32 v10, 64, v108
	s_mov_b32 s55, 0
	v_cmp_eq_u32_e32 vcc, 0, v10
	s_mov_b64 s[92:93], 0
                                        ; implicit-def: $sgpr94_sgpr95
                                        ; implicit-def: $sgpr30_sgpr31
                                        ; implicit-def: $sgpr34_sgpr35
	s_branch .LBB27_1438
.LBB27_1435:                            ;   in Loop: Header=BB27_1438 Depth=4
	s_waitcnt vmcnt(0) lgkmcnt(0)
	v_lshl_add_u64 v[18:19], v[80:81], 0, v[2:3]
	v_cmp_ge_u64_e64 s[22:23], v[18:19], v[8:9]
	s_or_b64 s[48:49], s[48:49], exec
	s_orn2_b64 s[38:39], s[22:23], exec
.LBB27_1436:                            ;   in Loop: Header=BB27_1438 Depth=4
	s_or_b64 exec, exec, s[52:53]
	s_andn2_b64 s[22:23], s[34:35], exec
	s_and_b64 s[34:35], s[48:49], exec
	s_or_b64 s[34:35], s[22:23], s[34:35]
	s_andn2_b64 s[22:23], s[30:31], exec
	s_and_b64 s[30:31], s[38:39], exec
	s_or_b64 s[30:31], s[22:23], s[30:31]
.LBB27_1437:                            ;   in Loop: Header=BB27_1438 Depth=4
	s_or_b64 exec, exec, s[36:37]
	s_and_b64 s[22:23], exec, s[30:31]
	s_or_b64 s[92:93], s[22:23], s[92:93]
	s_andn2_b64 s[22:23], s[94:95], exec
	s_and_b64 s[94:95], s[34:35], exec
	s_or_b64 s[94:95], s[22:23], s[94:95]
	s_andn2_b64 exec, exec, s[92:93]
	s_cbranch_execz .LBB27_1442
.LBB27_1438:                            ;   Parent Loop BB27_47 Depth=1
                                        ;     Parent Loop BB27_1427 Depth=2
                                        ;       Parent Loop BB27_1430 Depth=3
                                        ; =>      This Inner Loop Header: Depth=4
	s_sleep 1
	s_waitcnt vmcnt(0) lgkmcnt(0)
	flat_load_dwordx2 v[80:81], v[64:65] sc0 sc1
	s_or_b64 s[34:35], s[34:35], exec
	s_or_b64 s[30:31], s[30:31], exec
                                        ; implicit-def: $vgpr10
	s_and_saveexec_b64 s[36:37], vcc
	s_cbranch_execz .LBB27_1437
; %bb.1439:                             ;   in Loop: Header=BB27_1438 Depth=4
	s_cmpk_lt_i32 s55, 0x270f
	s_cselect_b64 s[50:51], -1, 0
	s_cmpk_gt_i32 s55, 0x270e
	s_mov_b64 s[38:39], -1
	s_cbranch_scc0 .LBB27_1441
; %bb.1440:                             ;   in Loop: Header=BB27_1438 Depth=4
	s_trap 2
	ds_read_b64 v[10:11], v0
	s_andn2_b64 s[50:51], s[50:51], exec
	s_mov_b32 s55, 0
	s_mov_b64 s[48:49], 0
	s_waitcnt vmcnt(0) lgkmcnt(0)
	flat_load_dword v10, v[10:11] sc0 sc1
	s_waitcnt vmcnt(0) lgkmcnt(0)
	buffer_inv sc0 sc1
	v_cmp_eq_u32_e64 s[22:23], 0, v10
	s_and_b64 s[22:23], s[22:23], exec
	s_or_b64 s[50:51], s[50:51], s[22:23]
	s_and_saveexec_b64 s[52:53], s[50:51]
	s_cbranch_execz .LBB27_1436
	s_branch .LBB27_1435
.LBB27_1441:                            ;   in Loop: Header=BB27_1438 Depth=4
	s_add_i32 s55, s55, 1
	s_mov_b64 s[48:49], -1
                                        ; implicit-def: $vgpr10
	s_and_saveexec_b64 s[52:53], s[50:51]
	s_cbranch_execz .LBB27_1436
	s_branch .LBB27_1435
.LBB27_1442:                            ;   in Loop: Header=BB27_1430 Depth=3
	s_or_b64 exec, exec, s[92:93]
	s_xor_b64 s[22:23], s[94:95], -1
	s_and_saveexec_b64 s[92:93], s[22:23]
	s_xor_b64 s[22:23], exec, s[92:93]
	s_cbranch_execz .LBB27_1444
; %bb.1443:                             ;   in Loop: Header=BB27_1430 Depth=3
	v_or_b32_e32 v108, 64, v108
	s_waitcnt lgkmcnt(0)
	ds_write_b32 v0, v10
	s_trap 2
.LBB27_1444:                            ;   in Loop: Header=BB27_1430 Depth=3
	s_or_b64 exec, exec, s[22:23]
.LBB27_1445:                            ;   in Loop: Header=BB27_1430 Depth=3
	s_or_b64 exec, exec, s[26:27]
	v_and_b32_e32 v10, 0x108, v108
	v_cmp_ne_u32_e32 vcc, s68, v10
	;;#ASMSTART
	s_wakeup
	;;#ASMEND
                                        ; implicit-def: $vgpr10_vgpr11
	s_and_saveexec_b64 s[22:23], vcc
	s_xor_b64 s[22:23], exec, s[22:23]
; %bb.1446:                             ;   in Loop: Header=BB27_1430 Depth=3
	v_and_b32_e32 v10, 7, v58
	v_mov_b32_e32 v11, v3
                                        ; implicit-def: $vgpr58_vgpr59
; %bb.1447:                             ;   in Loop: Header=BB27_1430 Depth=3
	s_andn2_saveexec_b64 s[22:23], s[22:23]
	s_cbranch_execz .LBB27_1449
; %bb.1448:                             ;   in Loop: Header=BB27_1430 Depth=3
	v_and_b32_e32 v10, 7, v58
	v_ashrrev_i32_e32 v13, 31, v12
	v_mov_b32_e32 v11, v3
	v_mad_u64_u32 v[18:19], s[26:27], v10, 24, v[6:7]
	v_lshlrev_b64 v[20:21], 1, v[12:13]
	flat_store_dwordx2 v[18:19], v[20:21] offset:8
.LBB27_1449:                            ;   in Loop: Header=BB27_1430 Depth=3
	s_or_b64 exec, exec, s[22:23]
	v_and_b32_e32 v13, 0x100, v108
	v_cmp_ne_u32_e32 vcc, 0, v13
	s_mov_b64 s[22:23], -1
                                        ; implicit-def: $vgpr18_vgpr19
	s_and_saveexec_b64 s[26:27], vcc
	s_cbranch_execz .LBB27_1453
; %bb.1450:                             ;   in Loop: Header=BB27_1430 Depth=3
	v_mad_u64_u32 v[20:21], s[22:23], v10, 24, v[6:7]
	v_mov_b32_e32 v18, v21
	v_mad_u64_u32 v[18:19], s[22:23], v11, 24, v[18:19]
	v_mov_b32_e32 v21, v18
	flat_load_dword v13, v[20:21]
                                        ; implicit-def: $vgpr18_vgpr19
	s_waitcnt vmcnt(0) lgkmcnt(0)
	v_cmp_ne_u32_e32 vcc, 1, v13
	v_cmp_eq_u32_e64 s[22:23], 1, v13
	s_and_saveexec_b64 s[92:93], s[22:23]
	s_cbranch_execz .LBB27_1452
; %bb.1451:                             ;   in Loop: Header=BB27_1430 Depth=3
	flat_load_dword v18, v[20:21] offset:4 sc0 sc1
	s_waitcnt vmcnt(0) lgkmcnt(0)
	v_ashrrev_i32_e32 v19, 31, v18
	v_lshrrev_b64 v[18:19], 1, v[18:19]
.LBB27_1452:                            ;   in Loop: Header=BB27_1430 Depth=3
	s_or_b64 exec, exec, s[92:93]
	s_orn2_b64 s[22:23], vcc, exec
.LBB27_1453:                            ;   in Loop: Header=BB27_1430 Depth=3
	s_or_b64 exec, exec, s[26:27]
	s_and_saveexec_b64 s[26:27], s[22:23]
; %bb.1454:                             ;   in Loop: Header=BB27_1430 Depth=3
	v_mul_lo_u32 v11, v11, v30
	v_mul_lo_u32 v13, v10, v83
	v_mad_u64_u32 v[18:19], s[22:23], v10, v30, 0
	v_add3_u32 v19, v19, v13, v11
; %bb.1455:                             ;   in Loop: Header=BB27_1430 Depth=3
	s_or_b64 exec, exec, s[26:27]
	v_cmp_eq_u32_e32 vcc, 0, v2
	v_lshl_add_u64 v[10:11], v[18:19], 1, v[66:67]
	s_nop 0
	v_cndmask_b32_e32 v2, v122, v123, vcc
	v_add_u32_e32 v2, v0, v2
	ds_write_b64 v2, v[10:11] offset:584
	v_and_b32_e32 v2, 0x2000, v108
	v_cmp_ne_u32_e32 vcc, 0, v2
	s_and_saveexec_b64 s[22:23], vcc
	s_cbranch_execz .LBB27_1457
; %bb.1456:                             ;   in Loop: Header=BB27_1430 Depth=3
	ds_read_b64 v[10:11], v0 offset:872
	s_waitcnt lgkmcnt(0)
	v_lshl_add_u64 v[10:11], v[10:11], 0, 1
	ds_write_b64 v0, v[10:11] offset:872
.LBB27_1457:                            ;   in Loop: Header=BB27_1430 Depth=3
	s_or_b64 exec, exec, s[22:23]
	v_mov_b64_e32 v[58:59], v[8:9]
.LBB27_1458:                            ;   in Loop: Header=BB27_1430 Depth=3
	s_or_b64 exec, exec, s[24:25]
	s_and_saveexec_b64 s[22:23], s[4:5]
	s_cbranch_execz .LBB27_1477
; %bb.1459:                             ;   in Loop: Header=BB27_1430 Depth=3
	s_and_saveexec_b64 s[24:25], s[56:57]
	s_xor_b64 s[24:25], exec, s[24:25]
	s_cbranch_execz .LBB27_1474
; %bb.1460:                             ;   in Loop: Header=BB27_1430 Depth=3
	s_and_saveexec_b64 s[26:27], s[12:13]
	s_cbranch_execz .LBB27_1473
; %bb.1461:                             ;   in Loop: Header=BB27_1430 Depth=3
	s_mov_b64 s[94:95], exec
	v_mbcnt_lo_u32_b32 v2, s94, 0
	v_mbcnt_hi_u32_b32 v2, s95, v2
	v_cmp_eq_u32_e32 vcc, 0, v2
	s_waitcnt lgkmcnt(0)
	s_and_saveexec_b64 s[92:93], vcc
	s_cbranch_execz .LBB27_1463
; %bb.1462:                             ;   in Loop: Header=BB27_1430 Depth=3
	s_bcnt1_i32_b64 s94, s[94:95]
	v_mov_b32_e32 v2, s94
	ds_add_u64 v0, v[2:3]
	s_trap 2
.LBB27_1463:                            ;   in Loop: Header=BB27_1430 Depth=3
	s_or_b64 exec, exec, s[92:93]
	s_trap 2
	ds_read_b64 v[8:9], v0
	s_waitcnt lgkmcnt(0)
	v_lshl_add_u64 v[70:71], v[70:71], 0, v[84:85]
	v_cmp_lt_u64_e32 vcc, v[8:9], v[70:71]
	s_and_saveexec_b64 s[92:93], vcc
	s_cbranch_execz .LBB27_1472
; %bb.1464:                             ;   in Loop: Header=BB27_1430 Depth=3
	s_mov_b32 s48, 0
	s_mov_b64 s[94:95], 0
                                        ; implicit-def: $sgpr30_sgpr31
                                        ; implicit-def: $sgpr34_sgpr35
	s_branch .LBB27_1466
.LBB27_1465:                            ;   in Loop: Header=BB27_1466 Depth=4
	s_or_b64 exec, exec, s[38:39]
	s_and_b64 vcc, exec, vcc
	s_or_b64 s[94:95], vcc, s[94:95]
	s_andn2_b64 vcc, s[30:31], exec
	s_and_b64 s[30:31], s[34:35], exec
	s_or_b64 s[30:31], vcc, s[30:31]
	s_andn2_b64 exec, exec, s[94:95]
	s_cbranch_execz .LBB27_1470
.LBB27_1466:                            ;   Parent Loop BB27_47 Depth=1
                                        ;     Parent Loop BB27_1427 Depth=2
                                        ;       Parent Loop BB27_1430 Depth=3
                                        ; =>      This Inner Loop Header: Depth=4
	s_add_i32 s48, s48, 1
	s_cmpk_lg_i32 s48, 0x2710
	s_cselect_b64 s[36:37], -1, 0
	s_and_b64 vcc, exec, s[36:37]
	s_cbranch_vccz .LBB27_1468
; %bb.1467:                             ;   in Loop: Header=BB27_1466 Depth=4
	s_mov_b64 vcc, -1
	s_or_b64 s[34:35], s[34:35], exec
	s_and_saveexec_b64 s[38:39], s[36:37]
	s_cbranch_execz .LBB27_1465
	s_branch .LBB27_1469
.LBB27_1468:                            ;   in Loop: Header=BB27_1466 Depth=4
	s_trap 2
	ds_read_b64 v[8:9], v0
	s_andn2_b64 s[36:37], s[36:37], exec
	s_mov_b32 s48, 0
	s_waitcnt vmcnt(0) lgkmcnt(0)
	flat_load_dword v2, v[8:9] sc0 sc1
	s_waitcnt vmcnt(0) lgkmcnt(0)
	buffer_inv sc0 sc1
	v_cmp_eq_u32_e32 vcc, 0, v2
	s_and_b64 vcc, vcc, exec
	s_or_b64 s[36:37], s[36:37], vcc
	s_mov_b64 vcc, -1
	s_or_b64 s[34:35], s[34:35], exec
	s_and_saveexec_b64 s[38:39], s[36:37]
	s_cbranch_execz .LBB27_1465
.LBB27_1469:                            ;   in Loop: Header=BB27_1466 Depth=4
	s_sleep 1
	s_trap 2
	ds_read_b64 v[8:9], v0
	s_waitcnt lgkmcnt(0)
	s_andn2_b64 s[34:35], s[34:35], exec
	v_cmp_ge_u64_e32 vcc, v[8:9], v[70:71]
	s_orn2_b64 vcc, vcc, exec
	s_branch .LBB27_1465
.LBB27_1470:                            ;   in Loop: Header=BB27_1430 Depth=3
	s_or_b64 exec, exec, s[94:95]
	s_and_saveexec_b64 s[94:95], s[30:31]
	s_xor_b64 s[94:95], exec, s[94:95]
	s_cbranch_execz .LBB27_1472
; %bb.1471:                             ;   in Loop: Header=BB27_1430 Depth=3
	ds_write_b32 v0, v111
	s_trap 2
.LBB27_1472:                            ;   in Loop: Header=BB27_1430 Depth=3
	s_or_b64 exec, exec, s[92:93]
	;;#ASMSTART
	s_wakeup
	;;#ASMEND
.LBB27_1473:                            ;   in Loop: Header=BB27_1430 Depth=3
	s_or_b64 exec, exec, s[26:27]
.LBB27_1474:                            ;   in Loop: Header=BB27_1430 Depth=3
	s_andn2_saveexec_b64 s[24:25], s[24:25]
	s_cbranch_execz .LBB27_1476
; %bb.1475:                             ;   in Loop: Header=BB27_1430 Depth=3
	s_waitcnt lgkmcnt(0)
	s_barrier
.LBB27_1476:                            ;   in Loop: Header=BB27_1430 Depth=3
	s_or_b64 exec, exec, s[24:25]
.LBB27_1477:                            ;   in Loop: Header=BB27_1430 Depth=3
	s_or_b64 exec, exec, s[22:23]
	s_trap 2
	ds_read_b32 v8, v0
	v_and_b32_e32 v2, 0x4000, v108
	v_cmp_ne_u32_e32 vcc, 0, v2
	s_xor_b64 s[22:23], s[2:3], -1
	s_and_b64 s[24:25], s[22:23], vcc
	s_and_saveexec_b64 s[22:23], s[24:25]
	s_cbranch_execz .LBB27_1496
; %bb.1478:                             ;   in Loop: Header=BB27_1430 Depth=3
	s_and_saveexec_b64 s[24:25], s[56:57]
	s_xor_b64 s[24:25], exec, s[24:25]
	s_cbranch_execz .LBB27_1493
; %bb.1479:                             ;   in Loop: Header=BB27_1430 Depth=3
	s_and_saveexec_b64 s[26:27], s[12:13]
	s_cbranch_execz .LBB27_1492
; %bb.1480:                             ;   in Loop: Header=BB27_1430 Depth=3
	s_mov_b64 s[94:95], exec
	v_mbcnt_lo_u32_b32 v2, s94, 0
	v_mbcnt_hi_u32_b32 v2, s95, v2
	v_cmp_eq_u32_e32 vcc, 0, v2
	s_waitcnt lgkmcnt(0)
	s_and_saveexec_b64 s[92:93], vcc
	s_cbranch_execz .LBB27_1482
; %bb.1481:                             ;   in Loop: Header=BB27_1430 Depth=3
	s_bcnt1_i32_b64 s94, s[94:95]
	v_mov_b32_e32 v2, s94
	ds_add_u64 v0, v[2:3]
	s_trap 2
.LBB27_1482:                            ;   in Loop: Header=BB27_1430 Depth=3
	s_or_b64 exec, exec, s[92:93]
	s_trap 2
	ds_read_b64 v[10:11], v0
	s_waitcnt lgkmcnt(0)
	v_lshl_add_u64 v[70:71], v[70:71], 0, v[84:85]
	v_cmp_lt_u64_e32 vcc, v[10:11], v[70:71]
	s_and_saveexec_b64 s[92:93], vcc
	s_cbranch_execz .LBB27_1491
; %bb.1483:                             ;   in Loop: Header=BB27_1430 Depth=3
	s_mov_b32 s48, 0
	s_mov_b64 s[94:95], 0
                                        ; implicit-def: $sgpr30_sgpr31
                                        ; implicit-def: $sgpr34_sgpr35
	s_branch .LBB27_1485
.LBB27_1484:                            ;   in Loop: Header=BB27_1485 Depth=4
	s_or_b64 exec, exec, s[38:39]
	s_and_b64 vcc, exec, vcc
	s_or_b64 s[94:95], vcc, s[94:95]
	s_andn2_b64 vcc, s[30:31], exec
	s_and_b64 s[30:31], s[34:35], exec
	s_or_b64 s[30:31], vcc, s[30:31]
	s_andn2_b64 exec, exec, s[94:95]
	s_cbranch_execz .LBB27_1489
.LBB27_1485:                            ;   Parent Loop BB27_47 Depth=1
                                        ;     Parent Loop BB27_1427 Depth=2
                                        ;       Parent Loop BB27_1430 Depth=3
                                        ; =>      This Inner Loop Header: Depth=4
	s_add_i32 s48, s48, 1
	s_cmpk_lg_i32 s48, 0x2710
	s_cselect_b64 s[36:37], -1, 0
	s_and_b64 vcc, exec, s[36:37]
	s_cbranch_vccz .LBB27_1487
; %bb.1486:                             ;   in Loop: Header=BB27_1485 Depth=4
	s_mov_b64 vcc, -1
	s_or_b64 s[34:35], s[34:35], exec
	s_and_saveexec_b64 s[38:39], s[36:37]
	s_cbranch_execz .LBB27_1484
	s_branch .LBB27_1488
.LBB27_1487:                            ;   in Loop: Header=BB27_1485 Depth=4
	s_trap 2
	ds_read_b64 v[10:11], v0
	s_andn2_b64 s[36:37], s[36:37], exec
	s_mov_b32 s48, 0
	s_waitcnt vmcnt(0) lgkmcnt(0)
	flat_load_dword v2, v[10:11] sc0 sc1
	s_waitcnt vmcnt(0) lgkmcnt(0)
	buffer_inv sc0 sc1
	v_cmp_eq_u32_e32 vcc, 0, v2
	s_and_b64 vcc, vcc, exec
	s_or_b64 s[36:37], s[36:37], vcc
	s_mov_b64 vcc, -1
	s_or_b64 s[34:35], s[34:35], exec
	s_and_saveexec_b64 s[38:39], s[36:37]
	s_cbranch_execz .LBB27_1484
.LBB27_1488:                            ;   in Loop: Header=BB27_1485 Depth=4
	s_sleep 1
	s_trap 2
	ds_read_b64 v[10:11], v0
	s_waitcnt lgkmcnt(0)
	s_andn2_b64 s[34:35], s[34:35], exec
	v_cmp_ge_u64_e32 vcc, v[10:11], v[70:71]
	s_orn2_b64 vcc, vcc, exec
	s_branch .LBB27_1484
.LBB27_1489:                            ;   in Loop: Header=BB27_1430 Depth=3
	s_or_b64 exec, exec, s[94:95]
	s_and_saveexec_b64 s[94:95], s[30:31]
	s_xor_b64 s[94:95], exec, s[94:95]
	s_cbranch_execz .LBB27_1491
; %bb.1490:                             ;   in Loop: Header=BB27_1430 Depth=3
	ds_write_b32 v0, v111
	s_trap 2
.LBB27_1491:                            ;   in Loop: Header=BB27_1430 Depth=3
	s_or_b64 exec, exec, s[92:93]
	;;#ASMSTART
	s_wakeup
	;;#ASMEND
.LBB27_1492:                            ;   in Loop: Header=BB27_1430 Depth=3
	s_or_b64 exec, exec, s[26:27]
.LBB27_1493:                            ;   in Loop: Header=BB27_1430 Depth=3
	s_andn2_saveexec_b64 s[24:25], s[24:25]
	s_cbranch_execz .LBB27_1495
; %bb.1494:                             ;   in Loop: Header=BB27_1430 Depth=3
	s_waitcnt lgkmcnt(0)
	s_barrier
.LBB27_1495:                            ;   in Loop: Header=BB27_1430 Depth=3
	s_or_b64 exec, exec, s[24:25]
.LBB27_1496:                            ;   in Loop: Header=BB27_1430 Depth=3
	s_or_b64 exec, exec, s[22:23]
	s_trap 2
	ds_read_b64 v[18:19], v0
	s_waitcnt lgkmcnt(0)
	v_cmp_eq_u64_e32 vcc, 0, v[18:19]
	s_cbranch_vccnz .LBB27_1505
; %bb.1497:                             ;   in Loop: Header=BB27_1430 Depth=3
	s_trap 2
	ds_read_b64 v[20:21], v0
	s_waitcnt lgkmcnt(0)
	v_cmp_eq_u64_e32 vcc, 0, v[20:21]
	s_cbranch_vccnz .LBB27_1505
; %bb.1498:                             ;   in Loop: Header=BB27_1430 Depth=3
	s_trap 2
	ds_read_b64 v[22:23], v0
	v_cmp_eq_u32_e32 vcc, 0, v8
	s_nop 1
	v_cndmask_b32_e32 v2, 0, v12, vcc
	s_waitcnt lgkmcnt(0)
	v_cmp_ne_u64_e32 vcc, 0, v[22:23]
	v_lshlrev_b32_e32 v13, 1, v2
	s_cbranch_vccz .LBB27_1510
; %bb.1499:                             ;   in Loop: Header=BB27_1430 Depth=3
	s_mov_b64 s[24:25], -1
	s_and_saveexec_b64 s[22:23], s[16:17]
	s_cbranch_execz .LBB27_1501
; %bb.1500:                             ;   in Loop: Header=BB27_1430 Depth=3
	ds_read_b32 v8, v0 offset:720
	s_waitcnt lgkmcnt(0)
	v_and_b32_e32 v8, 15, v8
	v_cmp_eq_u32_e32 vcc, 0, v8
	s_orn2_b64 s[24:25], vcc, exec
.LBB27_1501:                            ;   in Loop: Header=BB27_1430 Depth=3
	s_or_b64 exec, exec, s[22:23]
	s_and_saveexec_b64 s[22:23], s[18:19]
	s_cbranch_execz .LBB27_1503
; %bb.1502:                             ;   in Loop: Header=BB27_1430 Depth=3
	ds_read_b32 v8, v0 offset:784
	s_waitcnt lgkmcnt(0)
	v_and_b32_e32 v8, 15, v8
	v_cmp_eq_u32_e32 vcc, 0, v8
	s_and_b64 s[26:27], s[24:25], vcc
	s_andn2_b64 s[24:25], s[24:25], exec
	s_and_b64 s[26:27], s[26:27], exec
	s_or_b64 s[24:25], s[24:25], s[26:27]
.LBB27_1503:                            ;   in Loop: Header=BB27_1430 Depth=3
	s_or_b64 exec, exec, s[22:23]
	s_xor_b64 s[24:25], s[24:25], -1
	v_cndmask_b32_e64 v8, 0, 1, s[24:25]
	s_mov_b64 s[22:23], -1
	v_mov_b32_e32 v15, 0
	v_cmp_ne_u32_e32 vcc, 0, v8
	v_mov_b32_e32 v26, v13
	v_mov_b32_e32 v27, v0
	s_cbranch_vccz .LBB27_1512
; %bb.1504:                             ;   in Loop: Header=BB27_1430 Depth=3
	s_and_saveexec_b64 s[26:27], s[22:23]
	s_cbranch_execnz .LBB27_1525
	s_branch .LBB27_1535
.LBB27_1505:                            ;   in Loop: Header=BB27_1430 Depth=3
	s_mov_b64 s[22:23], 0
	s_and_saveexec_b64 s[24:25], s[4:5]
	s_cbranch_execnz .LBB27_1562
.LBB27_1506:                            ;   in Loop: Header=BB27_1430 Depth=3
	s_or_b64 exec, exec, s[24:25]
                                        ; implicit-def: $vgpr2
	s_and_saveexec_b64 s[24:25], s[20:21]
	s_xor_b64 s[24:25], exec, s[24:25]
	s_cbranch_execz .LBB27_1580
.LBB27_1507:                            ;   in Loop: Header=BB27_1430 Depth=3
	v_and_b32_e32 v8, 16, v108
	v_cmp_ne_u32_e32 vcc, 0, v8
	v_and_b32_e32 v2, 16, v108
	s_and_b64 s[26:27], vcc, s[22:23]
	s_and_saveexec_b64 s[22:23], s[26:27]
	s_cbranch_execz .LBB27_1509
; %bb.1508:                             ;   in Loop: Header=BB27_1430 Depth=3
	v_mov_b32_e32 v2, 1
	buffer_wbl2 sc1
	s_waitcnt vmcnt(0) lgkmcnt(0)
	buffer_inv sc1
.LBB27_1509:                            ;   in Loop: Header=BB27_1430 Depth=3
	s_or_b64 exec, exec, s[22:23]
	s_andn2_saveexec_b64 s[22:23], s[24:25]
	s_cbranch_execz .LBB27_1599
	s_branch .LBB27_1581
.LBB27_1510:                            ;   in Loop: Header=BB27_1430 Depth=3
	s_cbranch_execnz .LBB27_1536
.LBB27_1511:                            ;   in Loop: Header=BB27_1430 Depth=3
	v_cmp_lt_i32_e64 s[22:23], 0, v2
	s_and_saveexec_b64 s[24:25], s[4:5]
	s_cbranch_execnz .LBB27_1562
	s_branch .LBB27_1506
.LBB27_1512:                            ;   in Loop: Header=BB27_1430 Depth=3
	v_ashrrev_i32_e32 v8, 31, v13
	v_lshrrev_b32_e32 v8, 20, v8
	v_add_u32_e32 v8, v13, v8
	v_ashrrev_i32_e32 v15, 12, v8
	v_sub_u32_e32 v32, v15, v110
	v_cmp_lt_i32_e32 vcc, 0, v32
	s_and_saveexec_b64 s[22:23], vcc
	s_cbranch_execz .LBB27_1516
; %bb.1513:                             ;   in Loop: Header=BB27_1430 Depth=3
	v_lshl_add_u64 v[8:9], v[18:19], 0, v[114:115]
	v_lshl_add_u64 v[10:11], v[20:21], 0, v[114:115]
	;; [unrolled: 1-line block ×3, first 2 shown]
	s_mov_b64 s[24:25], 0
.LBB27_1514:                            ;   Parent Loop BB27_47 Depth=1
                                        ;     Parent Loop BB27_1427 Depth=2
                                        ;       Parent Loop BB27_1430 Depth=3
                                        ; =>      This Inner Loop Header: Depth=4
	global_load_dwordx4 v[36:39], v[8:9], off nt
	global_load_dwordx4 v[48:51], v[8:9], off offset:1024 nt
	global_load_dwordx4 v[72:75], v[8:9], off offset:2048 nt
	;; [unrolled: 1-line block ×3, first 2 shown]
	v_sub_u32_e32 v32, v32, v84
	v_cmp_gt_i32_e32 vcc, 1, v32
	v_lshl_add_u64 v[8:9], v[8:9], 0, v[116:117]
	s_or_b64 s[24:25], vcc, s[24:25]
	s_waitcnt vmcnt(0)
	global_store_dwordx4 v[10:11], v[36:39], off
	global_store_dwordx4 v[10:11], v[48:51], off offset:1024
	global_store_dwordx4 v[10:11], v[72:75], off offset:2048
	;; [unrolled: 1-line block ×3, first 2 shown]
	global_store_dwordx4 v[24:25], v[36:39], off
	global_store_dwordx4 v[24:25], v[48:51], off offset:1024
	global_store_dwordx4 v[24:25], v[72:75], off offset:2048
	;; [unrolled: 1-line block ×3, first 2 shown]
	v_lshl_add_u64 v[10:11], v[10:11], 0, v[116:117]
	v_lshl_add_u64 v[24:25], v[24:25], 0, v[116:117]
	s_andn2_b64 exec, exec, s[24:25]
	s_cbranch_execnz .LBB27_1514
; %bb.1515:                             ;   in Loop: Header=BB27_1430 Depth=3
	s_or_b64 exec, exec, s[24:25]
.LBB27_1516:                            ;   in Loop: Header=BB27_1430 Depth=3
	s_or_b64 exec, exec, s[22:23]
	v_lshlrev_b32_e32 v35, 12, v15
	v_cmp_ne_u32_e32 vcc, v13, v35
	s_mov_b64 s[22:23], 0
	v_mov_b32_e32 v15, 0
                                        ; implicit-def: $vgpr26
                                        ; implicit-def: $vgpr27
	s_and_saveexec_b64 s[92:93], vcc
	s_cbranch_execz .LBB27_1524
; %bb.1517:                             ;   in Loop: Header=BB27_1430 Depth=3
	v_lshlrev_b32_e32 v8, 6, v32
	v_sub_u32_e32 v8, v109, v8
	v_ashrrev_i32_e32 v10, 31, v8
	v_lshrrev_b32_e32 v10, 26, v10
	v_add_u32_e32 v10, v8, v10
	v_sub_u32_e32 v9, v13, v35
	v_ashrrev_i32_e32 v11, 6, v10
	v_and_b32_e32 v10, 0xffffffc0, v10
	v_sub_u32_e32 v36, v8, v10
	v_ashrrev_i32_e32 v10, 31, v9
	v_lshrrev_b32_e32 v10, 22, v10
	v_add_u32_e32 v10, v9, v10
	v_and_b32_e32 v15, 0xfffffc00, v10
	v_lshlrev_b32_e32 v8, 4, v36
	v_sub_u32_e32 v37, v9, v15
	v_lshl_add_u32 v8, v11, 10, v8
	v_ashrrev_i32_e32 v24, 10, v10
	v_cmp_lt_i32_e64 s[22:23], 15, v37
	v_sub_u32_e32 v39, v9, v8
	s_nop 0
	v_addc_co_u32_e64 v9, vcc, 0, v24, s[22:23]
	v_sub_u32_e32 v38, v9, v11
	v_cmp_lt_i32_e32 vcc, 15, v39
	s_and_saveexec_b64 s[94:95], vcc
	s_cbranch_execz .LBB27_1523
; %bb.1518:                             ;   in Loop: Header=BB27_1430 Depth=3
	v_add_u32_e32 v8, v8, v35
	v_ashrrev_i32_e32 v9, 31, v8
	v_lshl_add_u64 v[24:25], v[8:9], 0, v[18:19]
	v_lshl_add_u64 v[26:27], v[8:9], 0, v[20:21]
	;; [unrolled: 1-line block ×3, first 2 shown]
	s_mov_b64 s[30:31], 0
.LBB27_1519:                            ;   Parent Loop BB27_47 Depth=1
                                        ;     Parent Loop BB27_1427 Depth=2
                                        ;       Parent Loop BB27_1430 Depth=3
                                        ; =>      This Loop Header: Depth=4
                                        ;           Child Loop BB27_1520 Depth 5
	global_load_dwordx4 v[8:11], v[24:25], off nt
	s_mov_b64 s[34:35], -1
	s_mov_b64 s[36:37], 0
	s_waitcnt vmcnt(0)
.LBB27_1520:                            ;   Parent Loop BB27_47 Depth=1
                                        ;     Parent Loop BB27_1427 Depth=2
                                        ;       Parent Loop BB27_1430 Depth=3
                                        ;         Parent Loop BB27_1519 Depth=4
                                        ; =>        This Inner Loop Header: Depth=5
	s_cmp_eq_u32 s36, 1
	s_cselect_b64 vcc, -1, 0
	v_cndmask_b32_e32 v49, v27, v33, vcc
	s_cmp_eq_u32 s36, 0
	v_cndmask_b32_e32 v48, v26, v32, vcc
	global_store_dwordx4 v[48:49], v[8:11], off
	v_lshl_add_u64 v[48:49], v[48:49], 0, s[60:61]
	s_cselect_b64 s[24:25], -1, 0
	s_and_b64 s[26:27], exec, s[34:35]
	s_mov_b64 s[36:37], 1
	s_mov_b64 s[34:35], 0
	v_cndmask_b32_e32 v33, v33, v49, vcc
	v_cndmask_b32_e32 v32, v32, v48, vcc
	v_cndmask_b32_e64 v27, v27, v49, s[24:25]
	v_cndmask_b32_e64 v26, v26, v48, s[24:25]
	s_mov_b64 vcc, s[26:27]
	s_cbranch_vccnz .LBB27_1520
; %bb.1521:                             ;   in Loop: Header=BB27_1519 Depth=4
	v_sub_u32_e32 v39, v39, v100
	v_cmp_gt_i32_e32 vcc, 16, v39
	v_lshl_add_u64 v[26:27], v[26:27], 0, v[40:41]
	v_lshl_add_u64 v[32:33], v[32:33], 0, v[40:41]
	;; [unrolled: 1-line block ×3, first 2 shown]
	s_or_b64 s[30:31], vcc, s[30:31]
	v_sub_u32_e32 v38, v38, v84
	s_andn2_b64 exec, exec, s[30:31]
	s_cbranch_execnz .LBB27_1519
; %bb.1522:                             ;   in Loop: Header=BB27_1430 Depth=3
	s_or_b64 exec, exec, s[30:31]
.LBB27_1523:                            ;   in Loop: Header=BB27_1430 Depth=3
	s_or_b64 exec, exec, s[94:95]
	v_and_b32_e32 v8, 14, v13
	v_cmp_lt_i32_e32 vcc, 0, v38
	v_sub_u32_e32 v9, v37, v8
	v_cndmask_b32_e64 v26, v37, v8, s[22:23]
	v_cndmask_b32_e32 v8, 0, v84, vcc
	v_cndmask_b32_e64 v9, 0, v9, s[22:23]
	v_sub_u32_e32 v8, v8, v38
	v_cmp_ne_u32_e32 vcc, 0, v26
	v_add3_u32 v15, v15, v35, v9
	v_lshl_add_u32 v27, v8, 6, v36
	s_and_b64 s[22:23], vcc, exec
.LBB27_1524:                            ;   in Loop: Header=BB27_1430 Depth=3
	s_or_b64 exec, exec, s[92:93]
	s_and_saveexec_b64 s[26:27], s[22:23]
	s_cbranch_execz .LBB27_1535
.LBB27_1525:                            ;   in Loop: Header=BB27_1430 Depth=3
	v_ashrrev_i32_e32 v8, 31, v27
	v_ashrrev_i32_e32 v9, 31, v26
	v_lshrrev_b32_e32 v8, 26, v8
	v_lshrrev_b32_e32 v9, 21, v9
	v_add_u32_e32 v8, v27, v8
	v_add_u32_e32 v9, v26, v9
	v_ashrrev_i32_e32 v32, 6, v8
	v_ashrrev_i32_e32 v35, 11, v9
	v_sub_u32_e32 v33, v35, v32
	v_cmp_lt_i32_e32 vcc, 0, v33
	s_and_saveexec_b64 s[22:23], vcc
	s_cbranch_execz .LBB27_1529
; %bb.1526:                             ;   in Loop: Header=BB27_1430 Depth=3
	v_and_b32_e32 v8, 0x7fffffc0, v8
	v_sub_u32_e32 v8, v27, v8
	v_lshlrev_b32_e32 v8, 1, v8
	v_lshlrev_b32_e32 v9, 11, v32
	v_add3_u32 v24, v8, v15, v9
	v_ashrrev_i32_e32 v25, 31, v24
	v_lshl_add_u64 v[36:37], v[18:19], 0, s[88:89]
	v_lshl_add_u64 v[8:9], v[24:25], 0, v[20:21]
	;; [unrolled: 1-line block ×4, first 2 shown]
	s_mov_b64 s[24:25], 0
.LBB27_1527:                            ;   Parent Loop BB27_47 Depth=1
                                        ;     Parent Loop BB27_1427 Depth=2
                                        ;       Parent Loop BB27_1430 Depth=3
                                        ; =>      This Inner Loop Header: Depth=4
	v_add_co_u32_e32 v36, vcc, 0xfffff880, v24
	flat_load_ushort v28, v[24:25] nt
	s_nop 0
	v_addc_co_u32_e32 v37, vcc, -1, v25, vcc
	v_add_co_u32_e32 v38, vcc, 0xfffff900, v24
	flat_load_ushort v29, v[36:37] nt
	s_nop 0
	v_addc_co_u32_e32 v39, vcc, -1, v25, vcc
	;; [unrolled: 4-line block ×15, first 2 shown]
	flat_load_ushort v36, v[36:37] nt
	v_sub_u32_e32 v33, v33, v84
	v_cmp_gt_i32_e32 vcc, 1, v33
	s_or_b64 s[24:25], vcc, s[24:25]
	v_lshl_add_u64 v[24:25], v[24:25], 0, v[102:103]
	s_waitcnt vmcnt(0) lgkmcnt(0)
	flat_store_short v[8:9], v28 offset:1920 nt
	flat_store_short v[8:9], v29 nt
	flat_store_short v[8:9], v48 offset:128 nt
	flat_store_short v[8:9], v49 offset:256 nt
	;; [unrolled: 1-line block ×14, first 2 shown]
	flat_store_short v[10:11], v29 nt
	flat_store_short v[10:11], v48 offset:128 nt
	flat_store_short v[10:11], v49 offset:256 nt
	;; [unrolled: 1-line block ×15, first 2 shown]
	v_lshl_add_u64 v[8:9], v[8:9], 0, v[102:103]
	v_lshl_add_u64 v[10:11], v[10:11], 0, v[102:103]
	s_andn2_b64 exec, exec, s[24:25]
	s_cbranch_execnz .LBB27_1527
; %bb.1528:                             ;   in Loop: Header=BB27_1430 Depth=3
	s_or_b64 exec, exec, s[24:25]
.LBB27_1529:                            ;   in Loop: Header=BB27_1430 Depth=3
	s_or_b64 exec, exec, s[22:23]
	v_lshlrev_b32_e32 v8, 11, v35
	v_cmp_ne_u32_e32 vcc, v26, v8
	s_and_b64 exec, exec, vcc
	s_cbranch_execz .LBB27_1535
; %bb.1530:                             ;   in Loop: Header=BB27_1430 Depth=3
	v_lshlrev_b32_e32 v9, 6, v32
	v_sub_u32_e32 v9, v27, v9
	v_lshlrev_b32_e32 v10, 6, v33
	v_sub_u32_e32 v9, v9, v10
	v_ashrrev_i32_e32 v10, 31, v9
	v_lshrrev_b32_e32 v10, 26, v10
	v_add_u32_e32 v10, v9, v10
	v_and_b32_e32 v11, 0x7fffffc0, v10
	v_sub_u32_e32 v9, v9, v11
	v_lshlrev_b32_e32 v10, 1, v10
	v_and_b32_e32 v10, 0xffffff80, v10
	v_lshlrev_b32_e32 v9, 1, v9
	v_add3_u32 v8, v10, v9, v8
	v_sub_u32_e32 v24, v26, v8
	v_cmp_lt_i32_e32 vcc, 1, v24
	s_and_b64 exec, exec, vcc
	s_cbranch_execz .LBB27_1535
; %bb.1531:                             ;   in Loop: Header=BB27_1430 Depth=3
	v_add_u32_e32 v26, v8, v15
	v_ashrrev_i32_e32 v27, 31, v26
	v_lshl_add_u64 v[8:9], v[26:27], 0, v[18:19]
	v_lshl_add_u64 v[10:11], v[26:27], 0, v[20:21]
	;; [unrolled: 1-line block ×3, first 2 shown]
	s_mov_b64 s[92:93], 0
.LBB27_1532:                            ;   Parent Loop BB27_47 Depth=1
                                        ;     Parent Loop BB27_1427 Depth=2
                                        ;       Parent Loop BB27_1430 Depth=3
                                        ; =>      This Loop Header: Depth=4
                                        ;           Child Loop BB27_1533 Depth 5
	flat_load_ushort v15, v[8:9] nt
	s_mov_b64 s[94:95], -1
	s_mov_b64 s[30:31], 0
	s_waitcnt vmcnt(0)
.LBB27_1533:                            ;   Parent Loop BB27_47 Depth=1
                                        ;     Parent Loop BB27_1427 Depth=2
                                        ;       Parent Loop BB27_1430 Depth=3
                                        ;         Parent Loop BB27_1532 Depth=4
                                        ; =>        This Inner Loop Header: Depth=5
	s_cmp_eq_u32 s30, 1
	s_cselect_b64 vcc, -1, 0
	v_cndmask_b32_e32 v27, v11, v23, vcc
	s_cmp_eq_u32 s30, 0
	v_cndmask_b32_e32 v26, v10, v22, vcc
	s_waitcnt lgkmcnt(0)
	flat_store_short v[26:27], v15 nt
	v_lshl_add_u64 v[26:27], v[26:27], 0, s[62:63]
	s_cselect_b64 s[22:23], -1, 0
	s_and_b64 s[24:25], exec, s[94:95]
	s_mov_b64 s[30:31], 1
	s_mov_b64 s[94:95], 0
	v_cndmask_b32_e32 v23, v23, v27, vcc
	v_cndmask_b32_e32 v22, v22, v26, vcc
	v_cndmask_b32_e64 v11, v11, v27, s[22:23]
	v_cndmask_b32_e64 v10, v10, v26, s[22:23]
	s_mov_b64 vcc, s[24:25]
	s_cbranch_vccnz .LBB27_1533
; %bb.1534:                             ;   in Loop: Header=BB27_1532 Depth=4
	v_sub_u32_e32 v24, v24, v112
	v_cmp_gt_i32_e32 vcc, 2, v24
	v_lshl_add_u64 v[10:11], v[10:11], 0, v[42:43]
	v_lshl_add_u64 v[22:23], v[22:23], 0, v[42:43]
	s_or_b64 s[92:93], vcc, s[92:93]
	v_lshl_add_u64 v[8:9], v[46:47], 0, v[8:9]
	s_andn2_b64 exec, exec, s[92:93]
	s_cbranch_execnz .LBB27_1532
.LBB27_1535:                            ;   in Loop: Header=BB27_1430 Depth=3
	s_or_b64 exec, exec, s[26:27]
	s_branch .LBB27_1511
.LBB27_1536:                            ;   in Loop: Header=BB27_1430 Depth=3
	s_mov_b64 s[22:23], -1
	s_and_saveexec_b64 s[24:25], s[16:17]
	s_cbranch_execz .LBB27_1538
; %bb.1537:                             ;   in Loop: Header=BB27_1430 Depth=3
	ds_read_b32 v8, v0 offset:720
	s_waitcnt lgkmcnt(0)
	v_and_b32_e32 v8, 15, v8
	v_cmp_eq_u32_e32 vcc, 0, v8
	s_orn2_b64 s[22:23], vcc, exec
.LBB27_1538:                            ;   in Loop: Header=BB27_1430 Depth=3
	s_or_b64 exec, exec, s[24:25]
	s_and_saveexec_b64 s[24:25], s[14:15]
	s_cbranch_execz .LBB27_1540
; %bb.1539:                             ;   in Loop: Header=BB27_1430 Depth=3
	ds_read_b32 v8, v0 offset:784
	s_waitcnt lgkmcnt(0)
	v_and_b32_e32 v8, 15, v8
	v_cmp_eq_u32_e32 vcc, 0, v8
	s_and_b64 s[26:27], s[22:23], vcc
	s_andn2_b64 s[22:23], s[22:23], exec
	s_and_b64 s[26:27], s[26:27], exec
	s_or_b64 s[22:23], s[22:23], s[26:27]
.LBB27_1540:                            ;   in Loop: Header=BB27_1430 Depth=3
	s_or_b64 exec, exec, s[24:25]
	s_xor_b64 s[22:23], s[22:23], -1
	v_cndmask_b32_e64 v8, 0, 1, s[22:23]
	s_mov_b64 s[26:27], -1
	v_mov_b32_e32 v15, 0
	v_cmp_ne_u32_e32 vcc, 0, v8
	s_cbranch_vccz .LBB27_1542
; %bb.1541:                             ;   in Loop: Header=BB27_1430 Depth=3
	v_mov_b32_e32 v24, v0
	s_and_saveexec_b64 s[22:23], s[26:27]
	s_cbranch_execnz .LBB27_1553
	s_branch .LBB27_1561
.LBB27_1542:                            ;   in Loop: Header=BB27_1430 Depth=3
	v_ashrrev_i32_e32 v8, 31, v13
	v_lshrrev_b32_e32 v8, 19, v8
	v_add_u32_e32 v8, v13, v8
	v_ashrrev_i32_e32 v15, 13, v8
	v_sub_u32_e32 v22, v15, v110
	v_cmp_lt_i32_e32 vcc, 0, v22
	s_and_saveexec_b64 s[24:25], vcc
	s_cbranch_execz .LBB27_1546
; %bb.1543:                             ;   in Loop: Header=BB27_1430 Depth=3
	s_mov_b64 s[26:27], 0
	v_mov_b64_e32 v[8:9], v[20:21]
	v_mov_b64_e32 v[10:11], v[18:19]
.LBB27_1544:                            ;   Parent Loop BB27_47 Depth=1
                                        ;     Parent Loop BB27_1427 Depth=2
                                        ;       Parent Loop BB27_1430 Depth=3
                                        ; =>      This Inner Loop Header: Depth=4
	v_lshl_add_u64 v[32:33], v[118:119], 0, v[10:11]
	global_load_dwordx4 v[24:27], v[32:33], off nt
	global_load_dwordx4 v[36:39], v[32:33], off offset:1024 nt
	global_load_dwordx4 v[48:51], v[32:33], off offset:2048 nt
	;; [unrolled: 1-line block ×3, first 2 shown]
	v_add_co_u32_e32 v32, vcc, 0x1000, v32
	v_sub_u32_e32 v22, v22, v84
	s_nop 0
	v_addc_co_u32_e32 v33, vcc, 0, v33, vcc
	global_load_dwordx4 v[76:79], v[32:33], off nt
	global_load_dwordx4 v[88:91], v[32:33], off offset:1024 nt
	global_load_dwordx4 v[92:95], v[32:33], off offset:2048 nt
	;; [unrolled: 1-line block ×3, first 2 shown]
	v_lshl_add_u64 v[32:33], v[118:119], 0, v[8:9]
	v_cmp_gt_i32_e64 s[22:23], 1, v22
	v_lshl_add_u64 v[10:11], v[10:11], 0, v[98:99]
	v_lshl_add_u64 v[8:9], v[8:9], 0, v[98:99]
	v_add_co_u32_e32 v52, vcc, 0x1000, v32
	s_or_b64 s[26:27], s[22:23], s[26:27]
	s_nop 0
	v_addc_co_u32_e32 v53, vcc, 0, v33, vcc
	s_waitcnt vmcnt(0)
	global_store_dwordx4 v[32:33], v[24:27], off
	global_store_dwordx4 v[32:33], v[36:39], off offset:1024
	global_store_dwordx4 v[32:33], v[48:51], off offset:2048
	;; [unrolled: 1-line block ×3, first 2 shown]
	global_store_dwordx4 v[52:53], v[76:79], off
	global_store_dwordx4 v[52:53], v[88:91], off offset:1024
	global_store_dwordx4 v[52:53], v[92:95], off offset:2048
	;; [unrolled: 1-line block ×3, first 2 shown]
	s_andn2_b64 exec, exec, s[26:27]
	s_cbranch_execnz .LBB27_1544
; %bb.1545:                             ;   in Loop: Header=BB27_1430 Depth=3
	s_or_b64 exec, exec, s[26:27]
.LBB27_1546:                            ;   in Loop: Header=BB27_1430 Depth=3
	s_or_b64 exec, exec, s[24:25]
	v_lshlrev_b32_e32 v10, 13, v15
	v_cmp_ne_u32_e32 vcc, v13, v10
	s_mov_b64 s[26:27], 0
	v_mov_b32_e32 v15, 0
                                        ; implicit-def: $vgpr24
	s_and_saveexec_b64 s[24:25], vcc
	s_cbranch_execz .LBB27_1552
; %bb.1547:                             ;   in Loop: Header=BB27_1430 Depth=3
	v_lshlrev_b32_e32 v8, 6, v22
	v_sub_u32_e32 v8, v109, v8
	v_sub_u32_e32 v9, v13, v10
	v_ashrrev_i32_e32 v11, 31, v8
	v_lshrrev_b32_e32 v11, 26, v11
	v_ashrrev_i32_e32 v15, 31, v9
	v_add_u32_e32 v11, v8, v11
	v_lshrrev_b32_e32 v15, 22, v15
	v_ashrrev_i32_e32 v23, 6, v11
	v_and_b32_e32 v11, 0xffffffc0, v11
	v_add_u32_e32 v15, v9, v15
	v_sub_u32_e32 v11, v8, v11
	v_ashrrev_i32_e32 v25, 10, v15
	v_and_b32_e32 v15, 0xfffffc00, v15
	v_lshlrev_b32_e32 v8, 4, v11
	v_sub_u32_e32 v22, v9, v15
	v_lshl_add_u32 v8, v23, 10, v8
	v_cmp_lt_i32_e32 vcc, 15, v22
	v_sub_u32_e32 v24, v9, v8
	s_nop 0
	v_addc_co_u32_e64 v9, s[22:23], 0, v25, vcc
	v_sub_u32_e32 v23, v9, v23
	v_cmp_lt_i32_e64 s[22:23], 15, v24
	s_and_saveexec_b64 s[26:27], s[22:23]
	s_cbranch_execz .LBB27_1551
; %bb.1548:                             ;   in Loop: Header=BB27_1430 Depth=3
	v_add_u32_e32 v8, v8, v10
	v_ashrrev_i32_e32 v9, 31, v8
	s_mov_b64 s[92:93], 0
.LBB27_1549:                            ;   Parent Loop BB27_47 Depth=1
                                        ;     Parent Loop BB27_1427 Depth=2
                                        ;       Parent Loop BB27_1430 Depth=3
                                        ; =>      This Inner Loop Header: Depth=4
	v_lshl_add_u64 v[26:27], v[18:19], 0, v[8:9]
	global_load_dwordx4 v[36:39], v[26:27], off nt
	v_sub_u32_e32 v24, v24, v100
	v_cmp_gt_i32_e64 s[22:23], 16, v24
	v_lshl_add_u64 v[26:27], v[20:21], 0, v[8:9]
	v_sub_u32_e32 v23, v23, v84
	v_lshl_add_u64 v[8:9], v[8:9], 0, v[100:101]
	s_or_b64 s[92:93], s[22:23], s[92:93]
	s_waitcnt vmcnt(0)
	global_store_dwordx4 v[26:27], v[36:39], off
	s_andn2_b64 exec, exec, s[92:93]
	s_cbranch_execnz .LBB27_1549
; %bb.1550:                             ;   in Loop: Header=BB27_1430 Depth=3
	s_or_b64 exec, exec, s[92:93]
.LBB27_1551:                            ;   in Loop: Header=BB27_1430 Depth=3
	s_or_b64 exec, exec, s[26:27]
	v_and_b32_e32 v8, 14, v13
	v_sub_u32_e32 v9, v22, v8
	v_cndmask_b32_e32 v9, 0, v9, vcc
	v_cndmask_b32_e32 v13, v22, v8, vcc
	v_cmp_lt_i32_e32 vcc, 0, v23
	v_add3_u32 v15, v15, v10, v9
	s_nop 0
	v_cndmask_b32_e32 v8, 0, v84, vcc
	v_sub_u32_e32 v8, v8, v23
	v_cmp_ne_u32_e32 vcc, 0, v13
	v_lshl_add_u32 v24, v8, 6, v11
	s_and_b64 s[26:27], vcc, exec
.LBB27_1552:                            ;   in Loop: Header=BB27_1430 Depth=3
	s_or_b64 exec, exec, s[24:25]
	s_and_saveexec_b64 s[22:23], s[26:27]
	s_cbranch_execz .LBB27_1561
.LBB27_1553:                            ;   in Loop: Header=BB27_1430 Depth=3
	v_ashrrev_i32_e32 v8, 31, v24
	v_ashrrev_i32_e32 v9, 31, v13
	v_lshrrev_b32_e32 v8, 26, v8
	v_lshrrev_b32_e32 v9, 21, v9
	v_add_u32_e32 v8, v24, v8
	v_add_u32_e32 v9, v13, v9
	v_ashrrev_i32_e32 v25, 6, v8
	v_ashrrev_i32_e32 v27, 11, v9
	v_sub_u32_e32 v26, v27, v25
	v_cmp_lt_i32_e32 vcc, 0, v26
	s_and_saveexec_b64 s[24:25], vcc
	s_cbranch_execz .LBB27_1557
; %bb.1554:                             ;   in Loop: Header=BB27_1430 Depth=3
	v_and_b32_e32 v8, 0x7fffffc0, v8
	v_sub_u32_e32 v8, v24, v8
	v_lshlrev_b32_e32 v8, 1, v8
	v_lshlrev_b32_e32 v9, 11, v25
	v_add3_u32 v8, v8, v15, v9
	v_ashrrev_i32_e32 v9, 31, v8
	s_mov_b64 s[26:27], 0
	v_mov_b64_e32 v[10:11], v[20:21]
	v_mov_b64_e32 v[22:23], v[18:19]
.LBB27_1555:                            ;   Parent Loop BB27_47 Depth=1
                                        ;     Parent Loop BB27_1427 Depth=2
                                        ;       Parent Loop BB27_1430 Depth=3
                                        ; =>      This Inner Loop Header: Depth=4
	v_lshl_add_u64 v[32:33], v[8:9], 0, v[22:23]
	flat_load_ushort v28, v[32:33] nt
	flat_load_ushort v29, v[32:33] offset:128 nt
	flat_load_ushort v35, v[32:33] offset:256 nt
	flat_load_ushort v36, v[32:33] offset:384 nt
	flat_load_ushort v37, v[32:33] offset:512 nt
	flat_load_ushort v38, v[32:33] offset:640 nt
	flat_load_ushort v39, v[32:33] offset:768 nt
	flat_load_ushort v48, v[32:33] offset:896 nt
	flat_load_ushort v49, v[32:33] offset:1024 nt
	flat_load_ushort v50, v[32:33] offset:1152 nt
	flat_load_ushort v51, v[32:33] offset:1280 nt
	flat_load_ushort v52, v[32:33] offset:1408 nt
	flat_load_ushort v53, v[32:33] offset:1536 nt
	flat_load_ushort v82, v[32:33] offset:1664 nt
	flat_load_ushort v72, v[32:33] offset:1792 nt
	flat_load_ushort v73, v[32:33] offset:1920 nt
	v_sub_u32_e32 v26, v26, v84
	v_cmp_gt_i32_e32 vcc, 1, v26
	v_lshl_add_u64 v[32:33], v[8:9], 0, v[10:11]
	v_lshl_add_u64 v[22:23], v[22:23], 0, v[102:103]
	;; [unrolled: 1-line block ×3, first 2 shown]
	s_or_b64 s[26:27], vcc, s[26:27]
	s_waitcnt vmcnt(0) lgkmcnt(0)
	flat_store_short v[32:33], v28 nt
	flat_store_short v[32:33], v29 offset:128 nt
	flat_store_short v[32:33], v35 offset:256 nt
	;; [unrolled: 1-line block ×15, first 2 shown]
	s_andn2_b64 exec, exec, s[26:27]
	s_cbranch_execnz .LBB27_1555
; %bb.1556:                             ;   in Loop: Header=BB27_1430 Depth=3
	s_or_b64 exec, exec, s[26:27]
.LBB27_1557:                            ;   in Loop: Header=BB27_1430 Depth=3
	s_or_b64 exec, exec, s[24:25]
	v_lshlrev_b32_e32 v8, 11, v27
	v_cmp_ne_u32_e32 vcc, v13, v8
	s_and_b64 exec, exec, vcc
	s_cbranch_execz .LBB27_1561
; %bb.1558:                             ;   in Loop: Header=BB27_1430 Depth=3
	v_lshlrev_b32_e32 v9, 6, v25
	v_sub_u32_e32 v9, v24, v9
	v_lshlrev_b32_e32 v10, 6, v26
	v_sub_u32_e32 v9, v9, v10
	v_ashrrev_i32_e32 v10, 31, v9
	v_lshrrev_b32_e32 v10, 26, v10
	v_add_u32_e32 v10, v9, v10
	v_and_b32_e32 v11, 0x7fffffc0, v10
	v_sub_u32_e32 v9, v9, v11
	v_lshlrev_b32_e32 v10, 1, v10
	v_and_b32_e32 v10, 0xffffff80, v10
	v_lshlrev_b32_e32 v9, 1, v9
	v_add3_u32 v8, v10, v9, v8
	v_sub_u32_e32 v10, v13, v8
	v_cmp_lt_i32_e32 vcc, 1, v10
	s_and_b64 exec, exec, vcc
	s_cbranch_execz .LBB27_1561
; %bb.1559:                             ;   in Loop: Header=BB27_1430 Depth=3
	v_add_u32_e32 v8, v8, v15
	v_ashrrev_i32_e32 v9, 31, v8
	s_mov_b64 s[24:25], 0
.LBB27_1560:                            ;   Parent Loop BB27_47 Depth=1
                                        ;     Parent Loop BB27_1427 Depth=2
                                        ;       Parent Loop BB27_1430 Depth=3
                                        ; =>      This Inner Loop Header: Depth=4
	v_lshl_add_u64 v[22:23], v[18:19], 0, v[8:9]
	flat_load_ushort v11, v[22:23] nt
	v_sub_u32_e32 v10, v10, v112
	v_cmp_gt_i32_e32 vcc, 2, v10
	v_lshl_add_u64 v[22:23], v[20:21], 0, v[8:9]
	v_lshl_add_u64 v[8:9], v[8:9], 0, v[112:113]
	s_or_b64 s[24:25], vcc, s[24:25]
	s_waitcnt vmcnt(0) lgkmcnt(0)
	flat_store_short v[22:23], v11 nt
	s_andn2_b64 exec, exec, s[24:25]
	s_cbranch_execnz .LBB27_1560
.LBB27_1561:                            ;   in Loop: Header=BB27_1430 Depth=3
	s_or_b64 exec, exec, s[22:23]
	v_cmp_lt_i32_e64 s[22:23], 0, v2
	s_and_saveexec_b64 s[24:25], s[4:5]
	s_cbranch_execz .LBB27_1506
.LBB27_1562:                            ;   in Loop: Header=BB27_1430 Depth=3
	s_and_saveexec_b64 s[26:27], s[56:57]
	s_xor_b64 s[26:27], exec, s[26:27]
	s_cbranch_execz .LBB27_1577
; %bb.1563:                             ;   in Loop: Header=BB27_1430 Depth=3
	s_and_saveexec_b64 s[92:93], s[12:13]
	s_cbranch_execz .LBB27_1576
; %bb.1564:                             ;   in Loop: Header=BB27_1430 Depth=3
	s_mov_b64 s[30:31], exec
	v_mbcnt_lo_u32_b32 v2, s30, 0
	v_mbcnt_hi_u32_b32 v2, s31, v2
	v_cmp_eq_u32_e32 vcc, 0, v2
	s_waitcnt lgkmcnt(0)
	s_and_saveexec_b64 s[94:95], vcc
	s_cbranch_execz .LBB27_1566
; %bb.1565:                             ;   in Loop: Header=BB27_1430 Depth=3
	s_bcnt1_i32_b64 vcc_lo, s[30:31]
	v_mov_b32_e32 v2, vcc_lo
	ds_add_u64 v0, v[2:3]
	s_trap 2
.LBB27_1566:                            ;   in Loop: Header=BB27_1430 Depth=3
	s_or_b64 exec, exec, s[94:95]
	s_trap 2
	ds_read_b64 v[8:9], v0
	s_waitcnt lgkmcnt(0)
	v_lshl_add_u64 v[70:71], v[70:71], 0, v[84:85]
	v_cmp_lt_u64_e32 vcc, v[8:9], v[70:71]
	s_and_saveexec_b64 s[94:95], vcc
	s_cbranch_execz .LBB27_1575
; %bb.1567:                             ;   in Loop: Header=BB27_1430 Depth=3
	s_mov_b32 s50, 0
	s_mov_b64 s[30:31], 0
                                        ; implicit-def: $sgpr34_sgpr35
                                        ; implicit-def: $sgpr36_sgpr37
	s_branch .LBB27_1569
.LBB27_1568:                            ;   in Loop: Header=BB27_1569 Depth=4
	s_or_b64 exec, exec, s[48:49]
	s_and_b64 vcc, exec, vcc
	s_or_b64 s[30:31], vcc, s[30:31]
	s_andn2_b64 vcc, s[34:35], exec
	s_and_b64 s[34:35], s[36:37], exec
	s_or_b64 s[34:35], vcc, s[34:35]
	s_andn2_b64 exec, exec, s[30:31]
	s_cbranch_execz .LBB27_1573
.LBB27_1569:                            ;   Parent Loop BB27_47 Depth=1
                                        ;     Parent Loop BB27_1427 Depth=2
                                        ;       Parent Loop BB27_1430 Depth=3
                                        ; =>      This Inner Loop Header: Depth=4
	s_add_i32 s50, s50, 1
	s_cmpk_lg_i32 s50, 0x2710
	s_cselect_b64 s[38:39], -1, 0
	s_and_b64 vcc, exec, s[38:39]
	s_cbranch_vccz .LBB27_1571
; %bb.1570:                             ;   in Loop: Header=BB27_1569 Depth=4
	s_mov_b64 vcc, -1
	s_or_b64 s[36:37], s[36:37], exec
	s_and_saveexec_b64 s[48:49], s[38:39]
	s_cbranch_execz .LBB27_1568
	s_branch .LBB27_1572
.LBB27_1571:                            ;   in Loop: Header=BB27_1569 Depth=4
	s_trap 2
	ds_read_b64 v[8:9], v0
	s_andn2_b64 s[38:39], s[38:39], exec
	s_mov_b32 s50, 0
	s_waitcnt vmcnt(0) lgkmcnt(0)
	flat_load_dword v2, v[8:9] sc0 sc1
	s_waitcnt vmcnt(0) lgkmcnt(0)
	buffer_inv sc0 sc1
	v_cmp_eq_u32_e32 vcc, 0, v2
	s_and_b64 vcc, vcc, exec
	s_or_b64 s[38:39], s[38:39], vcc
	s_mov_b64 vcc, -1
	s_or_b64 s[36:37], s[36:37], exec
	s_and_saveexec_b64 s[48:49], s[38:39]
	s_cbranch_execz .LBB27_1568
.LBB27_1572:                            ;   in Loop: Header=BB27_1569 Depth=4
	s_sleep 1
	s_trap 2
	ds_read_b64 v[8:9], v0
	s_waitcnt lgkmcnt(0)
	s_andn2_b64 s[36:37], s[36:37], exec
	v_cmp_ge_u64_e32 vcc, v[8:9], v[70:71]
	s_orn2_b64 vcc, vcc, exec
	s_branch .LBB27_1568
.LBB27_1573:                            ;   in Loop: Header=BB27_1430 Depth=3
	s_or_b64 exec, exec, s[30:31]
	s_and_saveexec_b64 vcc, s[34:35]
	s_xor_b64 vcc, exec, vcc
	s_cbranch_execz .LBB27_1575
; %bb.1574:                             ;   in Loop: Header=BB27_1430 Depth=3
	ds_write_b32 v0, v111
	s_trap 2
.LBB27_1575:                            ;   in Loop: Header=BB27_1430 Depth=3
	s_or_b64 exec, exec, s[94:95]
	;;#ASMSTART
	s_wakeup
	;;#ASMEND
.LBB27_1576:                            ;   in Loop: Header=BB27_1430 Depth=3
	s_or_b64 exec, exec, s[92:93]
.LBB27_1577:                            ;   in Loop: Header=BB27_1430 Depth=3
	s_andn2_saveexec_b64 s[26:27], s[26:27]
	s_cbranch_execz .LBB27_1579
; %bb.1578:                             ;   in Loop: Header=BB27_1430 Depth=3
	s_waitcnt lgkmcnt(0)
	s_barrier
.LBB27_1579:                            ;   in Loop: Header=BB27_1430 Depth=3
	s_or_b64 exec, exec, s[26:27]
	s_or_b64 exec, exec, s[24:25]
                                        ; implicit-def: $vgpr2
	s_and_saveexec_b64 s[24:25], s[20:21]
	s_xor_b64 s[24:25], exec, s[24:25]
	s_cbranch_execnz .LBB27_1507
.LBB27_1580:                            ;   in Loop: Header=BB27_1430 Depth=3
	s_andn2_saveexec_b64 s[22:23], s[24:25]
	s_cbranch_execz .LBB27_1599
.LBB27_1581:                            ;   in Loop: Header=BB27_1430 Depth=3
	s_and_saveexec_b64 s[24:25], s[56:57]
	s_xor_b64 s[24:25], exec, s[24:25]
	s_cbranch_execz .LBB27_1596
; %bb.1582:                             ;   in Loop: Header=BB27_1430 Depth=3
	s_and_saveexec_b64 s[26:27], s[12:13]
	s_cbranch_execz .LBB27_1595
; %bb.1583:                             ;   in Loop: Header=BB27_1430 Depth=3
	s_mov_b64 s[94:95], exec
	v_mbcnt_lo_u32_b32 v2, s94, 0
	v_mbcnt_hi_u32_b32 v2, s95, v2
	v_cmp_eq_u32_e32 vcc, 0, v2
	;;#ASMSTART
	s_waitcnt lgkmcnt(0) vmcnt(0)
	;;#ASMEND
	s_and_saveexec_b64 s[92:93], vcc
	s_cbranch_execz .LBB27_1585
; %bb.1584:                             ;   in Loop: Header=BB27_1430 Depth=3
	s_bcnt1_i32_b64 s94, s[94:95]
	v_mov_b32_e32 v2, s94
	s_waitcnt lgkmcnt(0)
	ds_add_u64 v0, v[2:3]
	s_trap 2
.LBB27_1585:                            ;   in Loop: Header=BB27_1430 Depth=3
	s_or_b64 exec, exec, s[92:93]
	s_trap 2
	ds_read_b64 v[8:9], v0
	s_waitcnt lgkmcnt(0)
	v_lshl_add_u64 v[70:71], v[70:71], 0, v[84:85]
	v_cmp_lt_u64_e32 vcc, v[8:9], v[70:71]
	s_and_saveexec_b64 s[92:93], vcc
	s_cbranch_execz .LBB27_1594
; %bb.1586:                             ;   in Loop: Header=BB27_1430 Depth=3
	s_mov_b32 s48, 0
	s_mov_b64 s[94:95], 0
                                        ; implicit-def: $sgpr30_sgpr31
                                        ; implicit-def: $sgpr34_sgpr35
	s_branch .LBB27_1588
.LBB27_1587:                            ;   in Loop: Header=BB27_1588 Depth=4
	s_or_b64 exec, exec, s[38:39]
	s_and_b64 vcc, exec, vcc
	s_or_b64 s[94:95], vcc, s[94:95]
	s_andn2_b64 vcc, s[30:31], exec
	s_and_b64 s[30:31], s[34:35], exec
	s_or_b64 s[30:31], vcc, s[30:31]
	s_andn2_b64 exec, exec, s[94:95]
	s_cbranch_execz .LBB27_1592
.LBB27_1588:                            ;   Parent Loop BB27_47 Depth=1
                                        ;     Parent Loop BB27_1427 Depth=2
                                        ;       Parent Loop BB27_1430 Depth=3
                                        ; =>      This Inner Loop Header: Depth=4
	s_add_i32 s48, s48, 1
	s_cmpk_lg_i32 s48, 0x2710
	s_cselect_b64 s[36:37], -1, 0
	s_and_b64 vcc, exec, s[36:37]
	s_cbranch_vccz .LBB27_1590
; %bb.1589:                             ;   in Loop: Header=BB27_1588 Depth=4
	s_mov_b64 vcc, -1
	s_or_b64 s[34:35], s[34:35], exec
	s_and_saveexec_b64 s[38:39], s[36:37]
	s_cbranch_execz .LBB27_1587
	s_branch .LBB27_1591
.LBB27_1590:                            ;   in Loop: Header=BB27_1588 Depth=4
	s_trap 2
	ds_read_b64 v[8:9], v0
	s_andn2_b64 s[36:37], s[36:37], exec
	s_mov_b32 s48, 0
	s_waitcnt vmcnt(0) lgkmcnt(0)
	flat_load_dword v2, v[8:9] sc0 sc1
	s_waitcnt vmcnt(0) lgkmcnt(0)
	buffer_inv sc0 sc1
	v_cmp_eq_u32_e32 vcc, 0, v2
	s_and_b64 vcc, vcc, exec
	s_or_b64 s[36:37], s[36:37], vcc
	s_mov_b64 vcc, -1
	s_or_b64 s[34:35], s[34:35], exec
	s_and_saveexec_b64 s[38:39], s[36:37]
	s_cbranch_execz .LBB27_1587
.LBB27_1591:                            ;   in Loop: Header=BB27_1588 Depth=4
	s_sleep 1
	s_trap 2
	ds_read_b64 v[8:9], v0
	s_waitcnt lgkmcnt(0)
	s_andn2_b64 s[34:35], s[34:35], exec
	v_cmp_ge_u64_e32 vcc, v[8:9], v[70:71]
	s_orn2_b64 vcc, vcc, exec
	s_branch .LBB27_1587
.LBB27_1592:                            ;   in Loop: Header=BB27_1430 Depth=3
	s_or_b64 exec, exec, s[94:95]
	s_and_saveexec_b64 s[94:95], s[30:31]
	s_xor_b64 s[94:95], exec, s[94:95]
	s_cbranch_execz .LBB27_1594
; %bb.1593:                             ;   in Loop: Header=BB27_1430 Depth=3
	ds_write_b32 v0, v111
	s_trap 2
.LBB27_1594:                            ;   in Loop: Header=BB27_1430 Depth=3
	s_or_b64 exec, exec, s[92:93]
	;;#ASMSTART
	s_wakeup
	;;#ASMEND
.LBB27_1595:                            ;   in Loop: Header=BB27_1430 Depth=3
	s_or_b64 exec, exec, s[26:27]
.LBB27_1596:                            ;   in Loop: Header=BB27_1430 Depth=3
	s_andn2_saveexec_b64 s[24:25], s[24:25]
	s_cbranch_execz .LBB27_1598
; %bb.1597:                             ;   in Loop: Header=BB27_1430 Depth=3
	;;#ASMSTART
	s_waitcnt lgkmcnt(0) vmcnt(0)
	;;#ASMEND
	s_barrier
.LBB27_1598:                            ;   in Loop: Header=BB27_1430 Depth=3
	s_or_b64 exec, exec, s[24:25]
	v_and_b32_e32 v2, 16, v108
.LBB27_1599:                            ;   in Loop: Header=BB27_1430 Depth=3
	s_or_b64 exec, exec, s[22:23]
	v_cmp_ne_u32_e32 vcc, 0, v2
	s_xor_b64 s[22:23], s[6:7], -1
	s_and_b64 s[24:25], vcc, s[22:23]
	s_and_saveexec_b64 s[22:23], s[24:25]
	s_cbranch_execz .LBB27_1601
; %bb.1600:                             ;   in Loop: Header=BB27_1430 Depth=3
	flat_store_dword v[68:69], v111 sc0 sc1
.LBB27_1601:                            ;   in Loop: Header=BB27_1430 Depth=3
	s_or_b64 exec, exec, s[22:23]
	v_and_b32_e32 v2, 48, v108
	v_cmp_ne_u32_e32 vcc, 0, v2
	s_and_saveexec_b64 s[22:23], vcc
	s_cbranch_execz .LBB27_1429
; %bb.1602:                             ;   in Loop: Header=BB27_1430 Depth=3
	v_lshl_add_u64 v[58:59], v[58:59], 0, 2
	flat_store_dwordx2 v[64:65], v[58:59] sc0 sc1
	s_branch .LBB27_1429
.LBB27_1603:                            ;   in Loop: Header=BB27_1427 Depth=2
	s_or_b64 exec, exec, s[28:29]
	v_cmp_gt_i32_e32 vcc, 2, v2
	s_and_saveexec_b64 s[24:25], vcc
	s_cbranch_execz .LBB27_1679
.LBB27_1604:                            ;   in Loop: Header=BB27_1427 Depth=2
	v_cmp_eq_u32_e64 s[28:29], 0, v2
	s_mov_b64 s[26:27], 0
	s_branch .LBB27_1606
.LBB27_1605:                            ;   in Loop: Header=BB27_1606 Depth=3
	s_or_b64 exec, exec, s[22:23]
	v_add_u32_e32 v14, v12, v14
	s_mov_b64 s[28:29], 0
	s_andn2_b64 exec, exec, s[26:27]
	s_cbranch_execz .LBB27_1680
.LBB27_1606:                            ;   Parent Loop BB27_47 Depth=1
                                        ;     Parent Loop BB27_1427 Depth=2
                                        ; =>    This Loop Header: Depth=3
                                        ;         Child Loop BB27_1612 Depth 4
                                        ;         Child Loop BB27_1640 Depth 4
	;; [unrolled: 1-line block ×3, first 2 shown]
	v_sub_u32_e32 v2, v34, v14
	v_min_i32_e32 v12, v12, v2
	v_and_b32_e32 v2, 12, v108
	v_cmp_ne_u32_e32 vcc, 0, v2
	s_and_saveexec_b64 s[40:41], vcc
	s_cbranch_execz .LBB27_1632
; %bb.1607:                             ;   in Loop: Header=BB27_1606 Depth=3
	v_and_b32_e32 v2, 8, v108
	s_waitcnt vmcnt(0) lgkmcnt(0)
	v_lshl_add_u64 v[10:11], v[80:81], 0, v[2:3]
	v_lshl_add_u64 v[8:9], v[58:59], 0, 2
	v_cmp_lt_u64_e32 vcc, v[10:11], v[8:9]
	s_and_saveexec_b64 s[90:91], vcc
	s_cbranch_execz .LBB27_1619
; %bb.1608:                             ;   in Loop: Header=BB27_1606 Depth=3
	v_and_b32_e32 v10, 64, v108
	s_mov_b32 s54, 0
	v_cmp_eq_u32_e32 vcc, 0, v10
	s_mov_b64 s[92:93], 0
                                        ; implicit-def: $sgpr94_sgpr95
                                        ; implicit-def: $sgpr30_sgpr31
                                        ; implicit-def: $sgpr34_sgpr35
	s_branch .LBB27_1612
.LBB27_1609:                            ;   in Loop: Header=BB27_1612 Depth=4
	s_waitcnt vmcnt(0) lgkmcnt(0)
	v_lshl_add_u64 v[16:17], v[80:81], 0, v[2:3]
	v_cmp_ge_u64_e64 s[22:23], v[16:17], v[8:9]
	s_or_b64 s[48:49], s[48:49], exec
	s_orn2_b64 s[38:39], s[22:23], exec
.LBB27_1610:                            ;   in Loop: Header=BB27_1612 Depth=4
	s_or_b64 exec, exec, s[52:53]
	s_andn2_b64 s[22:23], s[34:35], exec
	s_and_b64 s[34:35], s[48:49], exec
	s_or_b64 s[34:35], s[22:23], s[34:35]
	s_andn2_b64 s[22:23], s[30:31], exec
	s_and_b64 s[30:31], s[38:39], exec
	s_or_b64 s[30:31], s[22:23], s[30:31]
.LBB27_1611:                            ;   in Loop: Header=BB27_1612 Depth=4
	s_or_b64 exec, exec, s[36:37]
	s_and_b64 s[22:23], exec, s[30:31]
	s_or_b64 s[92:93], s[22:23], s[92:93]
	s_andn2_b64 s[22:23], s[94:95], exec
	s_and_b64 s[94:95], s[34:35], exec
	s_or_b64 s[94:95], s[22:23], s[94:95]
	s_andn2_b64 exec, exec, s[92:93]
	s_cbranch_execz .LBB27_1616
.LBB27_1612:                            ;   Parent Loop BB27_47 Depth=1
                                        ;     Parent Loop BB27_1427 Depth=2
                                        ;       Parent Loop BB27_1606 Depth=3
                                        ; =>      This Inner Loop Header: Depth=4
	s_sleep 1
	s_waitcnt vmcnt(0) lgkmcnt(0)
	flat_load_dwordx2 v[80:81], v[64:65] sc0 sc1
	s_or_b64 s[34:35], s[34:35], exec
	s_or_b64 s[30:31], s[30:31], exec
                                        ; implicit-def: $vgpr10
	s_and_saveexec_b64 s[36:37], vcc
	s_cbranch_execz .LBB27_1611
; %bb.1613:                             ;   in Loop: Header=BB27_1612 Depth=4
	s_cmpk_lt_i32 s54, 0x270f
	s_cselect_b64 s[50:51], -1, 0
	s_cmpk_gt_i32 s54, 0x270e
	s_mov_b64 s[38:39], -1
	s_cbranch_scc0 .LBB27_1615
; %bb.1614:                             ;   in Loop: Header=BB27_1612 Depth=4
	s_trap 2
	ds_read_b64 v[10:11], v0
	s_andn2_b64 s[50:51], s[50:51], exec
	s_mov_b32 s54, 0
	s_mov_b64 s[48:49], 0
	s_waitcnt vmcnt(0) lgkmcnt(0)
	flat_load_dword v10, v[10:11] sc0 sc1
	s_waitcnt vmcnt(0) lgkmcnt(0)
	buffer_inv sc0 sc1
	v_cmp_eq_u32_e64 s[22:23], 0, v10
	s_and_b64 s[22:23], s[22:23], exec
	s_or_b64 s[50:51], s[50:51], s[22:23]
	s_and_saveexec_b64 s[52:53], s[50:51]
	s_cbranch_execz .LBB27_1610
	s_branch .LBB27_1609
.LBB27_1615:                            ;   in Loop: Header=BB27_1612 Depth=4
	s_add_i32 s54, s54, 1
	s_mov_b64 s[48:49], -1
                                        ; implicit-def: $vgpr10
	s_and_saveexec_b64 s[52:53], s[50:51]
	s_cbranch_execz .LBB27_1610
	s_branch .LBB27_1609
.LBB27_1616:                            ;   in Loop: Header=BB27_1606 Depth=3
	s_or_b64 exec, exec, s[92:93]
	s_xor_b64 s[22:23], s[94:95], -1
	s_and_saveexec_b64 s[92:93], s[22:23]
	s_xor_b64 s[22:23], exec, s[92:93]
	s_cbranch_execz .LBB27_1618
; %bb.1617:                             ;   in Loop: Header=BB27_1606 Depth=3
	v_or_b32_e32 v108, 64, v108
	s_waitcnt lgkmcnt(0)
	ds_write_b32 v0, v10
	s_trap 2
.LBB27_1618:                            ;   in Loop: Header=BB27_1606 Depth=3
	s_or_b64 exec, exec, s[22:23]
.LBB27_1619:                            ;   in Loop: Header=BB27_1606 Depth=3
	s_or_b64 exec, exec, s[90:91]
	v_and_b32_e32 v10, 0x108, v108
	v_cmp_ne_u32_e32 vcc, s68, v10
	;;#ASMSTART
	s_wakeup
	;;#ASMEND
                                        ; implicit-def: $vgpr10_vgpr11
	s_and_saveexec_b64 s[22:23], vcc
	s_xor_b64 s[22:23], exec, s[22:23]
; %bb.1620:                             ;   in Loop: Header=BB27_1606 Depth=3
	v_and_b32_e32 v10, 7, v58
	v_mov_b32_e32 v11, v3
                                        ; implicit-def: $vgpr58_vgpr59
; %bb.1621:                             ;   in Loop: Header=BB27_1606 Depth=3
	s_andn2_saveexec_b64 s[22:23], s[22:23]
	s_cbranch_execz .LBB27_1623
; %bb.1622:                             ;   in Loop: Header=BB27_1606 Depth=3
	v_and_b32_e32 v10, 7, v58
	v_ashrrev_i32_e32 v13, 31, v12
	v_mov_b32_e32 v11, v3
	v_mad_u64_u32 v[16:17], s[90:91], v10, 24, v[6:7]
	v_lshlrev_b64 v[18:19], 1, v[12:13]
	flat_store_dwordx2 v[16:17], v[18:19] offset:8
.LBB27_1623:                            ;   in Loop: Header=BB27_1606 Depth=3
	s_or_b64 exec, exec, s[22:23]
	v_and_b32_e32 v13, 0x100, v108
	v_cmp_ne_u32_e32 vcc, 0, v13
	s_mov_b64 s[22:23], -1
                                        ; implicit-def: $vgpr16_vgpr17
	s_and_saveexec_b64 s[90:91], vcc
	s_cbranch_execz .LBB27_1627
; %bb.1624:                             ;   in Loop: Header=BB27_1606 Depth=3
	v_mad_u64_u32 v[18:19], s[22:23], v10, 24, v[6:7]
	v_mov_b32_e32 v16, v19
	v_mad_u64_u32 v[16:17], s[22:23], v11, 24, v[16:17]
	v_mov_b32_e32 v19, v16
	flat_load_dword v13, v[18:19]
                                        ; implicit-def: $vgpr16_vgpr17
	s_waitcnt vmcnt(0) lgkmcnt(0)
	v_cmp_ne_u32_e32 vcc, 1, v13
	v_cmp_eq_u32_e64 s[22:23], 1, v13
	s_and_saveexec_b64 s[92:93], s[22:23]
	s_cbranch_execz .LBB27_1626
; %bb.1625:                             ;   in Loop: Header=BB27_1606 Depth=3
	flat_load_dword v16, v[18:19] offset:4 sc0 sc1
	s_waitcnt vmcnt(0) lgkmcnt(0)
	v_ashrrev_i32_e32 v17, 31, v16
	v_lshrrev_b64 v[16:17], 1, v[16:17]
.LBB27_1626:                            ;   in Loop: Header=BB27_1606 Depth=3
	s_or_b64 exec, exec, s[92:93]
	s_orn2_b64 s[22:23], vcc, exec
.LBB27_1627:                            ;   in Loop: Header=BB27_1606 Depth=3
	s_or_b64 exec, exec, s[90:91]
	s_and_saveexec_b64 s[90:91], s[22:23]
; %bb.1628:                             ;   in Loop: Header=BB27_1606 Depth=3
	v_mul_lo_u32 v11, v11, v30
	v_mul_lo_u32 v13, v10, v83
	v_mad_u64_u32 v[16:17], s[22:23], v10, v30, 0
	v_add3_u32 v17, v17, v13, v11
; %bb.1629:                             ;   in Loop: Header=BB27_1606 Depth=3
	s_or_b64 exec, exec, s[90:91]
	v_cmp_eq_u32_e32 vcc, 0, v2
	v_lshl_add_u64 v[10:11], v[16:17], 1, v[66:67]
	s_nop 0
	v_cndmask_b32_e32 v2, v122, v123, vcc
	v_add_u32_e32 v2, v0, v2
	ds_write_b64 v2, v[10:11] offset:584
	v_and_b32_e32 v2, 0x2000, v108
	v_cmp_ne_u32_e32 vcc, 0, v2
	s_and_saveexec_b64 s[22:23], vcc
	s_cbranch_execz .LBB27_1631
; %bb.1630:                             ;   in Loop: Header=BB27_1606 Depth=3
	ds_read_b64 v[10:11], v0 offset:872
	s_waitcnt lgkmcnt(0)
	v_lshl_add_u64 v[10:11], v[10:11], 0, 1
	ds_write_b64 v0, v[10:11] offset:872
.LBB27_1631:                            ;   in Loop: Header=BB27_1606 Depth=3
	s_or_b64 exec, exec, s[22:23]
	v_mov_b64_e32 v[58:59], v[8:9]
.LBB27_1632:                            ;   in Loop: Header=BB27_1606 Depth=3
	s_or_b64 exec, exec, s[40:41]
	s_xor_b64 s[22:23], s[28:29], -1
	s_and_b64 s[22:23], exec, s[22:23]
	s_or_b64 s[26:27], s[22:23], s[26:27]
	s_and_saveexec_b64 s[22:23], s[4:5]
	s_cbranch_execz .LBB27_1651
; %bb.1633:                             ;   in Loop: Header=BB27_1606 Depth=3
	s_and_saveexec_b64 s[28:29], s[56:57]
	s_xor_b64 s[28:29], exec, s[28:29]
	s_cbranch_execz .LBB27_1648
; %bb.1634:                             ;   in Loop: Header=BB27_1606 Depth=3
	s_and_saveexec_b64 s[40:41], s[12:13]
	s_cbranch_execz .LBB27_1647
; %bb.1635:                             ;   in Loop: Header=BB27_1606 Depth=3
	s_mov_b64 s[92:93], exec
	v_mbcnt_lo_u32_b32 v2, s92, 0
	v_mbcnt_hi_u32_b32 v2, s93, v2
	v_cmp_eq_u32_e32 vcc, 0, v2
	s_waitcnt lgkmcnt(0)
	s_and_saveexec_b64 s[90:91], vcc
	s_cbranch_execz .LBB27_1637
; %bb.1636:                             ;   in Loop: Header=BB27_1606 Depth=3
	s_bcnt1_i32_b64 s92, s[92:93]
	v_mov_b32_e32 v2, s92
	ds_add_u64 v0, v[2:3]
	s_trap 2
.LBB27_1637:                            ;   in Loop: Header=BB27_1606 Depth=3
	s_or_b64 exec, exec, s[90:91]
	s_trap 2
	ds_read_b64 v[8:9], v0
	s_waitcnt lgkmcnt(0)
	v_lshl_add_u64 v[70:71], v[70:71], 0, v[84:85]
	v_cmp_lt_u64_e32 vcc, v[8:9], v[70:71]
	s_and_saveexec_b64 s[90:91], vcc
	s_cbranch_execz .LBB27_1646
; %bb.1638:                             ;   in Loop: Header=BB27_1606 Depth=3
	s_mov_b32 s38, 0
	s_mov_b64 s[92:93], 0
                                        ; implicit-def: $sgpr94_sgpr95
                                        ; implicit-def: $sgpr30_sgpr31
	s_branch .LBB27_1640
.LBB27_1639:                            ;   in Loop: Header=BB27_1640 Depth=4
	s_or_b64 exec, exec, s[36:37]
	s_and_b64 vcc, exec, vcc
	s_or_b64 s[92:93], vcc, s[92:93]
	s_andn2_b64 s[94:95], s[94:95], exec
	s_and_b64 vcc, s[30:31], exec
	s_or_b64 s[94:95], s[94:95], vcc
	s_andn2_b64 exec, exec, s[92:93]
	s_cbranch_execz .LBB27_1644
.LBB27_1640:                            ;   Parent Loop BB27_47 Depth=1
                                        ;     Parent Loop BB27_1427 Depth=2
                                        ;       Parent Loop BB27_1606 Depth=3
                                        ; =>      This Inner Loop Header: Depth=4
	s_add_i32 s38, s38, 1
	s_cmpk_lg_i32 s38, 0x2710
	s_cselect_b64 s[34:35], -1, 0
	s_and_b64 vcc, exec, s[34:35]
	s_cbranch_vccz .LBB27_1642
; %bb.1641:                             ;   in Loop: Header=BB27_1640 Depth=4
	s_mov_b64 vcc, -1
	s_or_b64 s[30:31], s[30:31], exec
	s_and_saveexec_b64 s[36:37], s[34:35]
	s_cbranch_execz .LBB27_1639
	s_branch .LBB27_1643
.LBB27_1642:                            ;   in Loop: Header=BB27_1640 Depth=4
	s_trap 2
	ds_read_b64 v[8:9], v0
	s_andn2_b64 s[34:35], s[34:35], exec
	s_mov_b32 s38, 0
	s_waitcnt vmcnt(0) lgkmcnt(0)
	flat_load_dword v2, v[8:9] sc0 sc1
	s_waitcnt vmcnt(0) lgkmcnt(0)
	buffer_inv sc0 sc1
	v_cmp_eq_u32_e32 vcc, 0, v2
	s_and_b64 vcc, vcc, exec
	s_or_b64 s[34:35], s[34:35], vcc
	s_mov_b64 vcc, -1
	s_or_b64 s[30:31], s[30:31], exec
	s_and_saveexec_b64 s[36:37], s[34:35]
	s_cbranch_execz .LBB27_1639
.LBB27_1643:                            ;   in Loop: Header=BB27_1640 Depth=4
	s_sleep 1
	s_trap 2
	ds_read_b64 v[8:9], v0
	s_waitcnt lgkmcnt(0)
	s_andn2_b64 s[30:31], s[30:31], exec
	v_cmp_ge_u64_e32 vcc, v[8:9], v[70:71]
	s_orn2_b64 vcc, vcc, exec
	s_branch .LBB27_1639
.LBB27_1644:                            ;   in Loop: Header=BB27_1606 Depth=3
	s_or_b64 exec, exec, s[92:93]
	s_and_saveexec_b64 s[92:93], s[94:95]
	s_xor_b64 s[92:93], exec, s[92:93]
	s_cbranch_execz .LBB27_1646
; %bb.1645:                             ;   in Loop: Header=BB27_1606 Depth=3
	ds_write_b32 v0, v111
	s_trap 2
.LBB27_1646:                            ;   in Loop: Header=BB27_1606 Depth=3
	s_or_b64 exec, exec, s[90:91]
	;;#ASMSTART
	s_wakeup
	;;#ASMEND
.LBB27_1647:                            ;   in Loop: Header=BB27_1606 Depth=3
	s_or_b64 exec, exec, s[40:41]
.LBB27_1648:                            ;   in Loop: Header=BB27_1606 Depth=3
	s_andn2_saveexec_b64 s[28:29], s[28:29]
	s_cbranch_execz .LBB27_1650
; %bb.1649:                             ;   in Loop: Header=BB27_1606 Depth=3
	s_waitcnt lgkmcnt(0)
	s_barrier
.LBB27_1650:                            ;   in Loop: Header=BB27_1606 Depth=3
	s_or_b64 exec, exec, s[28:29]
.LBB27_1651:                            ;   in Loop: Header=BB27_1606 Depth=3
	s_or_b64 exec, exec, s[22:23]
                                        ; implicit-def: $vgpr2
	s_and_saveexec_b64 s[22:23], s[20:21]
	s_xor_b64 s[22:23], exec, s[22:23]
	s_cbranch_execz .LBB27_1655
; %bb.1652:                             ;   in Loop: Header=BB27_1606 Depth=3
	s_trap 2
	ds_read_b32 v8, v0
	v_cmp_lt_i32_e32 vcc, 0, v12
	v_and_b32_e32 v9, 16, v108
	v_and_b32_e32 v2, 16, v108
	s_waitcnt lgkmcnt(0)
	v_readfirstlane_b32 s28, v8
	s_cmp_eq_u32 s28, 0
	s_cselect_b64 s[28:29], -1, 0
	s_and_b64 s[28:29], vcc, s[28:29]
	v_cmp_ne_u32_e32 vcc, 0, v9
	s_and_b64 s[40:41], vcc, s[28:29]
	s_and_saveexec_b64 s[28:29], s[40:41]
	s_cbranch_execz .LBB27_1654
; %bb.1653:                             ;   in Loop: Header=BB27_1606 Depth=3
	v_mov_b32_e32 v2, 1
	buffer_wbl2 sc1
	s_waitcnt vmcnt(0)
	buffer_inv sc1
.LBB27_1654:                            ;   in Loop: Header=BB27_1606 Depth=3
	s_or_b64 exec, exec, s[28:29]
	s_andn2_saveexec_b64 s[22:23], s[22:23]
	s_cbranch_execz .LBB27_1674
	s_branch .LBB27_1656
.LBB27_1655:                            ;   in Loop: Header=BB27_1606 Depth=3
	s_andn2_saveexec_b64 s[22:23], s[22:23]
	s_cbranch_execz .LBB27_1674
.LBB27_1656:                            ;   in Loop: Header=BB27_1606 Depth=3
	s_and_saveexec_b64 s[28:29], s[56:57]
	s_xor_b64 s[28:29], exec, s[28:29]
	s_cbranch_execz .LBB27_1671
; %bb.1657:                             ;   in Loop: Header=BB27_1606 Depth=3
	s_and_saveexec_b64 s[40:41], s[12:13]
	s_cbranch_execz .LBB27_1670
; %bb.1658:                             ;   in Loop: Header=BB27_1606 Depth=3
	s_mov_b64 s[92:93], exec
	v_mbcnt_lo_u32_b32 v2, s92, 0
	v_mbcnt_hi_u32_b32 v2, s93, v2
	v_cmp_eq_u32_e32 vcc, 0, v2
	;;#ASMSTART
	s_waitcnt lgkmcnt(0) vmcnt(0)
	;;#ASMEND
	s_and_saveexec_b64 s[90:91], vcc
	s_cbranch_execz .LBB27_1660
; %bb.1659:                             ;   in Loop: Header=BB27_1606 Depth=3
	s_bcnt1_i32_b64 s92, s[92:93]
	v_mov_b32_e32 v2, s92
	s_waitcnt lgkmcnt(0)
	ds_add_u64 v0, v[2:3]
	s_trap 2
.LBB27_1660:                            ;   in Loop: Header=BB27_1606 Depth=3
	s_or_b64 exec, exec, s[90:91]
	s_trap 2
	ds_read_b64 v[8:9], v0
	s_waitcnt lgkmcnt(0)
	v_lshl_add_u64 v[70:71], v[70:71], 0, v[84:85]
	v_cmp_lt_u64_e32 vcc, v[8:9], v[70:71]
	s_and_saveexec_b64 s[90:91], vcc
	s_cbranch_execz .LBB27_1669
; %bb.1661:                             ;   in Loop: Header=BB27_1606 Depth=3
	s_mov_b32 s38, 0
	s_mov_b64 s[92:93], 0
                                        ; implicit-def: $sgpr94_sgpr95
                                        ; implicit-def: $sgpr30_sgpr31
	s_branch .LBB27_1663
.LBB27_1662:                            ;   in Loop: Header=BB27_1663 Depth=4
	s_or_b64 exec, exec, s[36:37]
	s_and_b64 vcc, exec, vcc
	s_or_b64 s[92:93], vcc, s[92:93]
	s_andn2_b64 s[94:95], s[94:95], exec
	s_and_b64 vcc, s[30:31], exec
	s_or_b64 s[94:95], s[94:95], vcc
	s_andn2_b64 exec, exec, s[92:93]
	s_cbranch_execz .LBB27_1667
.LBB27_1663:                            ;   Parent Loop BB27_47 Depth=1
                                        ;     Parent Loop BB27_1427 Depth=2
                                        ;       Parent Loop BB27_1606 Depth=3
                                        ; =>      This Inner Loop Header: Depth=4
	s_add_i32 s38, s38, 1
	s_cmpk_lg_i32 s38, 0x2710
	s_cselect_b64 s[34:35], -1, 0
	s_and_b64 vcc, exec, s[34:35]
	s_cbranch_vccz .LBB27_1665
; %bb.1664:                             ;   in Loop: Header=BB27_1663 Depth=4
	s_mov_b64 vcc, -1
	s_or_b64 s[30:31], s[30:31], exec
	s_and_saveexec_b64 s[36:37], s[34:35]
	s_cbranch_execz .LBB27_1662
	s_branch .LBB27_1666
.LBB27_1665:                            ;   in Loop: Header=BB27_1663 Depth=4
	s_trap 2
	ds_read_b64 v[8:9], v0
	s_andn2_b64 s[34:35], s[34:35], exec
	s_mov_b32 s38, 0
	s_waitcnt vmcnt(0) lgkmcnt(0)
	flat_load_dword v2, v[8:9] sc0 sc1
	s_waitcnt vmcnt(0) lgkmcnt(0)
	buffer_inv sc0 sc1
	v_cmp_eq_u32_e32 vcc, 0, v2
	s_and_b64 vcc, vcc, exec
	s_or_b64 s[34:35], s[34:35], vcc
	s_mov_b64 vcc, -1
	s_or_b64 s[30:31], s[30:31], exec
	s_and_saveexec_b64 s[36:37], s[34:35]
	s_cbranch_execz .LBB27_1662
.LBB27_1666:                            ;   in Loop: Header=BB27_1663 Depth=4
	s_sleep 1
	s_trap 2
	ds_read_b64 v[8:9], v0
	s_waitcnt lgkmcnt(0)
	s_andn2_b64 s[30:31], s[30:31], exec
	v_cmp_ge_u64_e32 vcc, v[8:9], v[70:71]
	s_orn2_b64 vcc, vcc, exec
	s_branch .LBB27_1662
.LBB27_1667:                            ;   in Loop: Header=BB27_1606 Depth=3
	s_or_b64 exec, exec, s[92:93]
	s_and_saveexec_b64 s[92:93], s[94:95]
	s_xor_b64 s[92:93], exec, s[92:93]
	s_cbranch_execz .LBB27_1669
; %bb.1668:                             ;   in Loop: Header=BB27_1606 Depth=3
	ds_write_b32 v0, v111
	s_trap 2
.LBB27_1669:                            ;   in Loop: Header=BB27_1606 Depth=3
	s_or_b64 exec, exec, s[90:91]
	;;#ASMSTART
	s_wakeup
	;;#ASMEND
.LBB27_1670:                            ;   in Loop: Header=BB27_1606 Depth=3
	s_or_b64 exec, exec, s[40:41]
.LBB27_1671:                            ;   in Loop: Header=BB27_1606 Depth=3
	s_andn2_saveexec_b64 s[28:29], s[28:29]
	s_cbranch_execz .LBB27_1673
; %bb.1672:                             ;   in Loop: Header=BB27_1606 Depth=3
	;;#ASMSTART
	s_waitcnt lgkmcnt(0) vmcnt(0)
	;;#ASMEND
	s_barrier
.LBB27_1673:                            ;   in Loop: Header=BB27_1606 Depth=3
	s_or_b64 exec, exec, s[28:29]
	v_and_b32_e32 v2, 16, v108
.LBB27_1674:                            ;   in Loop: Header=BB27_1606 Depth=3
	s_or_b64 exec, exec, s[22:23]
	v_cmp_ne_u32_e32 vcc, 0, v2
	s_xor_b64 s[22:23], s[6:7], -1
	s_and_b64 s[28:29], vcc, s[22:23]
	s_and_saveexec_b64 s[22:23], s[28:29]
	s_cbranch_execz .LBB27_1676
; %bb.1675:                             ;   in Loop: Header=BB27_1606 Depth=3
	flat_store_dword v[68:69], v111 sc0 sc1
.LBB27_1676:                            ;   in Loop: Header=BB27_1606 Depth=3
	s_or_b64 exec, exec, s[22:23]
	v_and_b32_e32 v2, 48, v108
	v_cmp_ne_u32_e32 vcc, 0, v2
	s_and_saveexec_b64 s[22:23], vcc
	s_cbranch_execz .LBB27_1605
; %bb.1677:                             ;   in Loop: Header=BB27_1606 Depth=3
	v_lshl_add_u64 v[58:59], v[58:59], 0, 2
	flat_store_dwordx2 v[64:65], v[58:59] sc0 sc1
	s_branch .LBB27_1605
.LBB27_1678:                            ;   in Loop: Header=BB27_1427 Depth=2
	s_or_b64 exec, exec, s[40:41]
	s_or_b64 exec, exec, s[28:29]
	v_cmp_gt_i32_e32 vcc, 2, v2
	s_and_saveexec_b64 s[24:25], vcc
	s_cbranch_execnz .LBB27_1604
.LBB27_1679:                            ;   in Loop: Header=BB27_1427 Depth=2
	s_or_b64 exec, exec, s[24:25]
	s_add_i32 s22, s46, 1
	s_cmp_eq_u32 s46, s83
	s_cbranch_scc0 .LBB27_1681
	s_branch .LBB27_1682
.LBB27_1680:                            ;   in Loop: Header=BB27_1427 Depth=2
	s_or_b64 exec, exec, s[26:27]
	s_or_b64 exec, exec, s[24:25]
	s_add_i32 s22, s46, 1
	s_cmp_eq_u32 s46, s83
	s_cbranch_scc1 .LBB27_1682
.LBB27_1681:                            ;   in Loop: Header=BB27_1427 Depth=2
	s_mov_b32 s46, s22
	s_branch .LBB27_1427
.LBB27_1682:                            ;   in Loop: Header=BB27_47 Depth=1
	v_mul_lo_u32 v2, v57, s84
	v_mul_lo_u32 v8, v56, s85
	v_mad_u64_u32 v[10:11], s[22:23], v56, s84, 0
	v_add3_u32 v11, v11, v8, v2
	v_sub_co_u32_e32 v8, vcc, v60, v10
	v_mov_b32_e32 v2, 0
	s_nop 0
	v_subb_co_u32_e32 v9, vcc, v61, v11, vcc
	v_cmp_lt_i64_e32 vcc, v[56:57], v[8:9]
	s_nop 1
	v_cndmask_b32_e32 v8, v8, v56, vcc
	v_max_i32_e32 v22, 0, v8
	v_add_u32_e32 v9, 31, v22
	v_ashrrev_i32_e32 v12, 31, v9
	v_lshrrev_b32_e32 v12, 27, v12
	v_add_u32_e32 v9, v9, v12
	v_ashrrev_i32_e32 v9, 5, v9
	v_lshlrev_b32_e32 v9, 4, v9
	v_cmp_lt_i32_e32 vcc, 0, v8
	v_max_i32_e32 v23, s82, v9
	s_and_b64 s[22:23], s[78:79], vcc
	v_mov_b32_e32 v8, 0
	s_and_saveexec_b64 s[24:25], s[22:23]
	s_cbranch_execz .LBB27_1820
; %bb.1683:                             ;   in Loop: Header=BB27_47 Depth=1
	v_lshl_add_u64 v[10:11], v[10:11], 0, v[62:63]
	s_mov_b32 s46, 1
	s_mov_b64 s[28:29], -1
	v_mov_b32_e32 v8, 0
	s_mov_b64 s[26:27], 0
	v_lshlrev_b64 v[10:11], 1, v[10:11]
	s_branch .LBB27_1685
.LBB27_1684:                            ;   in Loop: Header=BB27_1685 Depth=2
	s_or_b64 exec, exec, s[22:23]
	v_add_u32_e32 v8, v23, v8
	v_cmp_ge_i32_e32 vcc, v8, v22
	s_xor_b64 s[22:23], s[28:29], -1
	s_or_b64 s[22:23], s[22:23], vcc
	s_and_b64 s[22:23], exec, s[22:23]
	s_or_b64 s[26:27], s[22:23], s[26:27]
	s_mov_b64 s[28:29], 0
	v_mov_b32_e32 v2, s46
	s_mov_b32 s46, 2
	s_andn2_b64 exec, exec, s[26:27]
	s_cbranch_execz .LBB27_1819
.LBB27_1685:                            ;   Parent Loop BB27_47 Depth=1
                                        ; =>  This Loop Header: Depth=2
                                        ;       Child Loop BB27_1693 Depth 3
                                        ;       Child Loop BB27_1717 Depth 3
	;; [unrolled: 1-line block ×9, first 2 shown]
	s_and_saveexec_b64 s[22:23], s[0:1]
	s_cbranch_execz .LBB27_1687
; %bb.1686:                             ;   in Loop: Header=BB27_1685 Depth=2
	s_trap 2
	ds_read_b128 v[12:15], v0
	v_ashrrev_i32_e32 v9, 31, v8
	v_lshlrev_b64 v[16:17], 1, v[8:9]
	s_waitcnt lgkmcnt(0)
	v_lshl_add_u64 v[12:13], v[12:13], 0, v[10:11]
	v_lshl_add_u64 v[18:19], v[14:15], 0, v[10:11]
	;; [unrolled: 1-line block ×3, first 2 shown]
	ds_write_b64 v0, v[12:13]
	v_lshl_add_u64 v[12:13], v[18:19], 0, v[16:17]
	v_cmp_ne_u64_e32 vcc, 0, v[14:15]
	s_nop 1
	v_cndmask_b32_e32 v13, 0, v13, vcc
	v_cndmask_b32_e32 v12, 0, v12, vcc
	ds_write_b64 v0, v[12:13]
.LBB27_1687:                            ;   in Loop: Header=BB27_1685 Depth=2
	s_or_b64 exec, exec, s[22:23]
	v_and_b32_e32 v2, 4, v108
	v_cmp_ne_u32_e32 vcc, 0, v2
	s_and_saveexec_b64 s[40:41], vcc
	s_cbranch_execz .LBB27_1709
; %bb.1688:                             ;   in Loop: Header=BB27_1685 Depth=2
	v_lshl_add_u64 v[12:13], v[58:59], 0, 2
	s_waitcnt vmcnt(0) lgkmcnt(0)
	v_cmp_lt_u64_e32 vcc, v[80:81], v[12:13]
	s_and_saveexec_b64 s[90:91], vcc
	s_cbranch_execz .LBB27_1700
; %bb.1689:                             ;   in Loop: Header=BB27_1685 Depth=2
	v_and_b32_e32 v2, 64, v108
	s_mov_b32 s54, 0
	v_cmp_eq_u32_e32 vcc, 0, v2
	s_mov_b64 s[92:93], 0
                                        ; implicit-def: $sgpr94_sgpr95
                                        ; implicit-def: $sgpr30_sgpr31
                                        ; implicit-def: $sgpr34_sgpr35
	s_branch .LBB27_1693
.LBB27_1690:                            ;   in Loop: Header=BB27_1693 Depth=3
	s_waitcnt vmcnt(0) lgkmcnt(0)
	v_cmp_ge_u64_e64 s[22:23], v[80:81], v[12:13]
	s_or_b64 s[48:49], s[48:49], exec
	s_orn2_b64 s[38:39], s[22:23], exec
.LBB27_1691:                            ;   in Loop: Header=BB27_1693 Depth=3
	s_or_b64 exec, exec, s[52:53]
	s_andn2_b64 s[22:23], s[34:35], exec
	s_and_b64 s[34:35], s[48:49], exec
	s_or_b64 s[34:35], s[22:23], s[34:35]
	s_andn2_b64 s[22:23], s[30:31], exec
	s_and_b64 s[30:31], s[38:39], exec
	s_or_b64 s[30:31], s[22:23], s[30:31]
.LBB27_1692:                            ;   in Loop: Header=BB27_1693 Depth=3
	s_or_b64 exec, exec, s[36:37]
	s_and_b64 s[22:23], exec, s[30:31]
	s_or_b64 s[92:93], s[22:23], s[92:93]
	s_andn2_b64 s[22:23], s[94:95], exec
	s_and_b64 s[94:95], s[34:35], exec
	s_or_b64 s[94:95], s[22:23], s[94:95]
	s_andn2_b64 exec, exec, s[92:93]
	s_cbranch_execz .LBB27_1697
.LBB27_1693:                            ;   Parent Loop BB27_47 Depth=1
                                        ;     Parent Loop BB27_1685 Depth=2
                                        ; =>    This Inner Loop Header: Depth=3
	s_sleep 1
	s_waitcnt vmcnt(0) lgkmcnt(0)
	flat_load_dwordx2 v[80:81], v[64:65] sc0 sc1
	s_or_b64 s[34:35], s[34:35], exec
	s_or_b64 s[30:31], s[30:31], exec
                                        ; implicit-def: $vgpr2
	s_and_saveexec_b64 s[36:37], vcc
	s_cbranch_execz .LBB27_1692
; %bb.1694:                             ;   in Loop: Header=BB27_1693 Depth=3
	s_cmpk_lt_i32 s54, 0x270f
	s_cselect_b64 s[50:51], -1, 0
	s_cmpk_gt_i32 s54, 0x270e
	s_mov_b64 s[38:39], -1
	s_cbranch_scc0 .LBB27_1696
; %bb.1695:                             ;   in Loop: Header=BB27_1693 Depth=3
	s_trap 2
	ds_read_b64 v[14:15], v0
	s_andn2_b64 s[50:51], s[50:51], exec
	s_mov_b32 s54, 0
	s_mov_b64 s[48:49], 0
	s_waitcnt vmcnt(0) lgkmcnt(0)
	flat_load_dword v2, v[14:15] sc0 sc1
	s_waitcnt vmcnt(0) lgkmcnt(0)
	buffer_inv sc0 sc1
	v_cmp_eq_u32_e64 s[22:23], 0, v2
	s_and_b64 s[22:23], s[22:23], exec
	s_or_b64 s[50:51], s[50:51], s[22:23]
	s_and_saveexec_b64 s[52:53], s[50:51]
	s_cbranch_execz .LBB27_1691
	s_branch .LBB27_1690
.LBB27_1696:                            ;   in Loop: Header=BB27_1693 Depth=3
	s_add_i32 s54, s54, 1
	s_mov_b64 s[48:49], -1
                                        ; implicit-def: $vgpr2
	s_and_saveexec_b64 s[52:53], s[50:51]
	s_cbranch_execz .LBB27_1691
	s_branch .LBB27_1690
.LBB27_1697:                            ;   in Loop: Header=BB27_1685 Depth=2
	s_or_b64 exec, exec, s[92:93]
	s_xor_b64 s[22:23], s[94:95], -1
	s_and_saveexec_b64 s[92:93], s[22:23]
	s_xor_b64 s[22:23], exec, s[92:93]
	s_cbranch_execz .LBB27_1699
; %bb.1698:                             ;   in Loop: Header=BB27_1685 Depth=2
	v_or_b32_e32 v108, 64, v108
	s_waitcnt lgkmcnt(0)
	ds_write_b32 v0, v2
	s_trap 2
.LBB27_1699:                            ;   in Loop: Header=BB27_1685 Depth=2
	s_or_b64 exec, exec, s[22:23]
.LBB27_1700:                            ;   in Loop: Header=BB27_1685 Depth=2
	s_or_b64 exec, exec, s[90:91]
	v_and_b32_e32 v2, 0x100, v108
	v_cmp_ne_u32_e32 vcc, 0, v2
	v_and_b32_e32 v2, 7, v58
	s_mov_b64 s[22:23], -1
	;;#ASMSTART
	s_wakeup
	;;#ASMEND
                                        ; implicit-def: $vgpr14_vgpr15
	s_and_saveexec_b64 s[90:91], vcc
	s_cbranch_execz .LBB27_1704
; %bb.1701:                             ;   in Loop: Header=BB27_1685 Depth=2
	v_mad_u64_u32 v[16:17], s[22:23], v2, 24, v[6:7]
	flat_load_dword v9, v[16:17]
                                        ; implicit-def: $vgpr14_vgpr15
	s_waitcnt vmcnt(0) lgkmcnt(0)
	v_cmp_ne_u32_e32 vcc, 1, v9
	v_cmp_eq_u32_e64 s[22:23], 1, v9
	s_and_saveexec_b64 s[92:93], s[22:23]
	s_cbranch_execz .LBB27_1703
; %bb.1702:                             ;   in Loop: Header=BB27_1685 Depth=2
	flat_load_dword v14, v[16:17] offset:4 sc0 sc1
	s_waitcnt vmcnt(0) lgkmcnt(0)
	v_ashrrev_i32_e32 v15, 31, v14
	v_lshrrev_b64 v[14:15], 1, v[14:15]
.LBB27_1703:                            ;   in Loop: Header=BB27_1685 Depth=2
	s_or_b64 exec, exec, s[92:93]
	s_orn2_b64 s[22:23], vcc, exec
.LBB27_1704:                            ;   in Loop: Header=BB27_1685 Depth=2
	s_or_b64 exec, exec, s[90:91]
	s_and_saveexec_b64 s[90:91], s[22:23]
; %bb.1705:                             ;   in Loop: Header=BB27_1685 Depth=2
	v_mad_i64_i32 v[14:15], s[22:23], v2, v30, 0
; %bb.1706:                             ;   in Loop: Header=BB27_1685 Depth=2
	s_or_b64 exec, exec, s[90:91]
	v_and_b32_e32 v2, 0x2000, v108
	v_lshl_add_u64 v[14:15], v[14:15], 1, v[66:67]
	v_cmp_ne_u32_e32 vcc, 0, v2
	ds_write_b64 v0, v[14:15] offset:720
	s_and_saveexec_b64 s[22:23], vcc
	s_cbranch_execz .LBB27_1708
; %bb.1707:                             ;   in Loop: Header=BB27_1685 Depth=2
	ds_read_b64 v[14:15], v0 offset:872
	s_waitcnt lgkmcnt(0)
	v_lshl_add_u64 v[14:15], v[14:15], 0, 1
	ds_write_b64 v0, v[14:15] offset:872
.LBB27_1708:                            ;   in Loop: Header=BB27_1685 Depth=2
	s_or_b64 exec, exec, s[22:23]
	v_mov_b64_e32 v[58:59], v[12:13]
.LBB27_1709:                            ;   in Loop: Header=BB27_1685 Depth=2
	s_or_b64 exec, exec, s[40:41]
	s_and_saveexec_b64 s[22:23], s[4:5]
	s_cbranch_execz .LBB27_1728
; %bb.1710:                             ;   in Loop: Header=BB27_1685 Depth=2
	s_and_saveexec_b64 s[40:41], s[56:57]
	s_xor_b64 s[40:41], exec, s[40:41]
	s_cbranch_execz .LBB27_1725
; %bb.1711:                             ;   in Loop: Header=BB27_1685 Depth=2
	s_and_saveexec_b64 s[90:91], s[12:13]
	s_cbranch_execz .LBB27_1724
; %bb.1712:                             ;   in Loop: Header=BB27_1685 Depth=2
	s_mov_b64 s[94:95], exec
	v_mbcnt_lo_u32_b32 v2, s94, 0
	v_mbcnt_hi_u32_b32 v2, s95, v2
	v_cmp_eq_u32_e32 vcc, 0, v2
	s_waitcnt lgkmcnt(0)
	s_and_saveexec_b64 s[92:93], vcc
	s_cbranch_execz .LBB27_1714
; %bb.1713:                             ;   in Loop: Header=BB27_1685 Depth=2
	s_bcnt1_i32_b64 s94, s[94:95]
	v_mov_b32_e32 v2, s94
	ds_add_u64 v0, v[2:3]
	s_trap 2
.LBB27_1714:                            ;   in Loop: Header=BB27_1685 Depth=2
	s_or_b64 exec, exec, s[92:93]
	s_trap 2
	ds_read_b64 v[12:13], v0
	s_waitcnt lgkmcnt(0)
	v_lshl_add_u64 v[70:71], v[70:71], 0, v[84:85]
	v_cmp_lt_u64_e32 vcc, v[12:13], v[70:71]
	s_and_saveexec_b64 s[92:93], vcc
	s_cbranch_execz .LBB27_1723
; %bb.1715:                             ;   in Loop: Header=BB27_1685 Depth=2
	s_mov_b32 s48, 0
	s_mov_b64 s[94:95], 0
                                        ; implicit-def: $sgpr30_sgpr31
                                        ; implicit-def: $sgpr34_sgpr35
	s_branch .LBB27_1717
.LBB27_1716:                            ;   in Loop: Header=BB27_1717 Depth=3
	s_or_b64 exec, exec, s[38:39]
	s_and_b64 vcc, exec, vcc
	s_or_b64 s[94:95], vcc, s[94:95]
	s_andn2_b64 vcc, s[30:31], exec
	s_and_b64 s[30:31], s[34:35], exec
	s_or_b64 s[30:31], vcc, s[30:31]
	s_andn2_b64 exec, exec, s[94:95]
	s_cbranch_execz .LBB27_1721
.LBB27_1717:                            ;   Parent Loop BB27_47 Depth=1
                                        ;     Parent Loop BB27_1685 Depth=2
                                        ; =>    This Inner Loop Header: Depth=3
	s_add_i32 s48, s48, 1
	s_cmpk_lg_i32 s48, 0x2710
	s_cselect_b64 s[36:37], -1, 0
	s_and_b64 vcc, exec, s[36:37]
	s_cbranch_vccz .LBB27_1719
; %bb.1718:                             ;   in Loop: Header=BB27_1717 Depth=3
	s_mov_b64 vcc, -1
	s_or_b64 s[34:35], s[34:35], exec
	s_and_saveexec_b64 s[38:39], s[36:37]
	s_cbranch_execz .LBB27_1716
	s_branch .LBB27_1720
.LBB27_1719:                            ;   in Loop: Header=BB27_1717 Depth=3
	s_trap 2
	ds_read_b64 v[12:13], v0
	s_andn2_b64 s[36:37], s[36:37], exec
	s_mov_b32 s48, 0
	s_waitcnt vmcnt(0) lgkmcnt(0)
	flat_load_dword v2, v[12:13] sc0 sc1
	s_waitcnt vmcnt(0) lgkmcnt(0)
	buffer_inv sc0 sc1
	v_cmp_eq_u32_e32 vcc, 0, v2
	s_and_b64 vcc, vcc, exec
	s_or_b64 s[36:37], s[36:37], vcc
	s_mov_b64 vcc, -1
	s_or_b64 s[34:35], s[34:35], exec
	s_and_saveexec_b64 s[38:39], s[36:37]
	s_cbranch_execz .LBB27_1716
.LBB27_1720:                            ;   in Loop: Header=BB27_1717 Depth=3
	s_sleep 1
	s_trap 2
	ds_read_b64 v[12:13], v0
	s_waitcnt lgkmcnt(0)
	s_andn2_b64 s[34:35], s[34:35], exec
	v_cmp_ge_u64_e32 vcc, v[12:13], v[70:71]
	s_orn2_b64 vcc, vcc, exec
	s_branch .LBB27_1716
.LBB27_1721:                            ;   in Loop: Header=BB27_1685 Depth=2
	s_or_b64 exec, exec, s[94:95]
	s_and_saveexec_b64 s[94:95], s[30:31]
	s_xor_b64 s[94:95], exec, s[94:95]
	s_cbranch_execz .LBB27_1723
; %bb.1722:                             ;   in Loop: Header=BB27_1685 Depth=2
	ds_write_b32 v0, v111
	s_trap 2
.LBB27_1723:                            ;   in Loop: Header=BB27_1685 Depth=2
	s_or_b64 exec, exec, s[92:93]
	;;#ASMSTART
	s_wakeup
	;;#ASMEND
.LBB27_1724:                            ;   in Loop: Header=BB27_1685 Depth=2
	s_or_b64 exec, exec, s[90:91]
.LBB27_1725:                            ;   in Loop: Header=BB27_1685 Depth=2
	s_andn2_saveexec_b64 s[40:41], s[40:41]
	s_cbranch_execz .LBB27_1727
; %bb.1726:                             ;   in Loop: Header=BB27_1685 Depth=2
	s_waitcnt lgkmcnt(0)
	s_barrier
.LBB27_1727:                            ;   in Loop: Header=BB27_1685 Depth=2
	s_or_b64 exec, exec, s[40:41]
.LBB27_1728:                            ;   in Loop: Header=BB27_1685 Depth=2
	s_or_b64 exec, exec, s[22:23]
	s_trap 2
	ds_read_b32 v9, v0
	v_and_b32_e32 v2, 0x4000, v108
	v_cmp_ne_u32_e32 vcc, 0, v2
	s_xor_b64 s[22:23], s[2:3], -1
	s_and_b64 s[40:41], s[22:23], vcc
	s_and_saveexec_b64 s[22:23], s[40:41]
	s_cbranch_execz .LBB27_1747
; %bb.1729:                             ;   in Loop: Header=BB27_1685 Depth=2
	s_and_saveexec_b64 s[40:41], s[56:57]
	s_xor_b64 s[40:41], exec, s[40:41]
	s_cbranch_execz .LBB27_1744
; %bb.1730:                             ;   in Loop: Header=BB27_1685 Depth=2
	s_and_saveexec_b64 s[90:91], s[12:13]
	s_cbranch_execz .LBB27_1743
; %bb.1731:                             ;   in Loop: Header=BB27_1685 Depth=2
	s_mov_b64 s[94:95], exec
	v_mbcnt_lo_u32_b32 v2, s94, 0
	v_mbcnt_hi_u32_b32 v2, s95, v2
	v_cmp_eq_u32_e32 vcc, 0, v2
	s_waitcnt lgkmcnt(0)
	s_and_saveexec_b64 s[92:93], vcc
	s_cbranch_execz .LBB27_1733
; %bb.1732:                             ;   in Loop: Header=BB27_1685 Depth=2
	s_bcnt1_i32_b64 s94, s[94:95]
	v_mov_b32_e32 v2, s94
	ds_add_u64 v0, v[2:3]
	s_trap 2
.LBB27_1733:                            ;   in Loop: Header=BB27_1685 Depth=2
	s_or_b64 exec, exec, s[92:93]
	s_trap 2
	ds_read_b64 v[12:13], v0
	s_waitcnt lgkmcnt(0)
	v_lshl_add_u64 v[70:71], v[70:71], 0, v[84:85]
	v_cmp_lt_u64_e32 vcc, v[12:13], v[70:71]
	s_and_saveexec_b64 s[92:93], vcc
	s_cbranch_execz .LBB27_1742
; %bb.1734:                             ;   in Loop: Header=BB27_1685 Depth=2
	s_mov_b32 s48, 0
	s_mov_b64 s[94:95], 0
                                        ; implicit-def: $sgpr30_sgpr31
                                        ; implicit-def: $sgpr34_sgpr35
	s_branch .LBB27_1736
.LBB27_1735:                            ;   in Loop: Header=BB27_1736 Depth=3
	s_or_b64 exec, exec, s[38:39]
	s_and_b64 vcc, exec, vcc
	s_or_b64 s[94:95], vcc, s[94:95]
	s_andn2_b64 vcc, s[30:31], exec
	s_and_b64 s[30:31], s[34:35], exec
	s_or_b64 s[30:31], vcc, s[30:31]
	s_andn2_b64 exec, exec, s[94:95]
	s_cbranch_execz .LBB27_1740
.LBB27_1736:                            ;   Parent Loop BB27_47 Depth=1
                                        ;     Parent Loop BB27_1685 Depth=2
                                        ; =>    This Inner Loop Header: Depth=3
	s_add_i32 s48, s48, 1
	s_cmpk_lg_i32 s48, 0x2710
	s_cselect_b64 s[36:37], -1, 0
	s_and_b64 vcc, exec, s[36:37]
	s_cbranch_vccz .LBB27_1738
; %bb.1737:                             ;   in Loop: Header=BB27_1736 Depth=3
	s_mov_b64 vcc, -1
	s_or_b64 s[34:35], s[34:35], exec
	s_and_saveexec_b64 s[38:39], s[36:37]
	s_cbranch_execz .LBB27_1735
	s_branch .LBB27_1739
.LBB27_1738:                            ;   in Loop: Header=BB27_1736 Depth=3
	s_trap 2
	ds_read_b64 v[12:13], v0
	s_andn2_b64 s[36:37], s[36:37], exec
	s_mov_b32 s48, 0
	s_waitcnt vmcnt(0) lgkmcnt(0)
	flat_load_dword v2, v[12:13] sc0 sc1
	s_waitcnt vmcnt(0) lgkmcnt(0)
	buffer_inv sc0 sc1
	v_cmp_eq_u32_e32 vcc, 0, v2
	s_and_b64 vcc, vcc, exec
	s_or_b64 s[36:37], s[36:37], vcc
	s_mov_b64 vcc, -1
	s_or_b64 s[34:35], s[34:35], exec
	s_and_saveexec_b64 s[38:39], s[36:37]
	s_cbranch_execz .LBB27_1735
.LBB27_1739:                            ;   in Loop: Header=BB27_1736 Depth=3
	s_sleep 1
	s_trap 2
	ds_read_b64 v[12:13], v0
	s_waitcnt lgkmcnt(0)
	s_andn2_b64 s[34:35], s[34:35], exec
	v_cmp_ge_u64_e32 vcc, v[12:13], v[70:71]
	s_orn2_b64 vcc, vcc, exec
	s_branch .LBB27_1735
.LBB27_1740:                            ;   in Loop: Header=BB27_1685 Depth=2
	s_or_b64 exec, exec, s[94:95]
	s_and_saveexec_b64 s[94:95], s[30:31]
	s_xor_b64 s[94:95], exec, s[94:95]
	s_cbranch_execz .LBB27_1742
; %bb.1741:                             ;   in Loop: Header=BB27_1685 Depth=2
	ds_write_b32 v0, v111
	s_trap 2
.LBB27_1742:                            ;   in Loop: Header=BB27_1685 Depth=2
	s_or_b64 exec, exec, s[92:93]
	;;#ASMSTART
	s_wakeup
	;;#ASMEND
.LBB27_1743:                            ;   in Loop: Header=BB27_1685 Depth=2
	s_or_b64 exec, exec, s[90:91]
.LBB27_1744:                            ;   in Loop: Header=BB27_1685 Depth=2
	s_andn2_saveexec_b64 s[40:41], s[40:41]
	s_cbranch_execz .LBB27_1746
; %bb.1745:                             ;   in Loop: Header=BB27_1685 Depth=2
	s_waitcnt lgkmcnt(0)
	s_barrier
.LBB27_1746:                            ;   in Loop: Header=BB27_1685 Depth=2
	s_or_b64 exec, exec, s[40:41]
.LBB27_1747:                            ;   in Loop: Header=BB27_1685 Depth=2
	s_or_b64 exec, exec, s[22:23]
	s_trap 2
	ds_read_b64 v[12:13], v0
	v_sub_u32_e32 v2, v22, v8
	v_min_i32_e32 v23, v23, v2
	s_waitcnt lgkmcnt(0)
	v_cmp_eq_u64_e32 vcc, 0, v[12:13]
	s_cbranch_vccnz .LBB27_1755
; %bb.1748:                             ;   in Loop: Header=BB27_1685 Depth=2
	s_trap 2
	ds_read_b64 v[14:15], v0
	s_waitcnt lgkmcnt(0)
	v_cmp_eq_u64_e32 vcc, 0, v[14:15]
	s_cbranch_vccnz .LBB27_1755
; %bb.1749:                             ;   in Loop: Header=BB27_1685 Depth=2
	s_mov_b64 s[22:23], -1
	s_and_saveexec_b64 s[40:41], s[16:17]
	s_cbranch_execz .LBB27_1751
; %bb.1750:                             ;   in Loop: Header=BB27_1685 Depth=2
	ds_read_b32 v2, v0 offset:720
	s_waitcnt lgkmcnt(0)
	v_and_b32_e32 v2, 15, v2
	v_cmp_eq_u32_e32 vcc, 0, v2
	s_orn2_b64 s[22:23], vcc, exec
.LBB27_1751:                            ;   in Loop: Header=BB27_1685 Depth=2
	s_or_b64 exec, exec, s[40:41]
	s_and_saveexec_b64 s[40:41], s[14:15]
	s_cbranch_execz .LBB27_1753
; %bb.1752:                             ;   in Loop: Header=BB27_1685 Depth=2
	ds_read_b32 v2, v0 offset:784
	s_waitcnt lgkmcnt(0)
	v_and_b32_e32 v2, 15, v2
	v_cmp_eq_u32_e32 vcc, 0, v2
	s_and_b64 s[90:91], s[22:23], vcc
	s_andn2_b64 s[22:23], s[22:23], exec
	s_and_b64 s[90:91], s[90:91], exec
	s_or_b64 s[22:23], s[22:23], s[90:91]
.LBB27_1753:                            ;   in Loop: Header=BB27_1685 Depth=2
	s_or_b64 exec, exec, s[40:41]
	v_cmp_eq_u32_e32 vcc, 0, v9
	s_xor_b64 s[22:23], s[22:23], -1
	v_cndmask_b32_e64 v16, 0, 1, s[22:23]
	v_cndmask_b32_e32 v2, 0, v23, vcc
	v_lshlrev_b32_e32 v9, 1, v2
	s_mov_b64 s[90:91], -1
	v_cmp_ne_u32_e32 vcc, 0, v16
	v_mov_b32_e32 v24, 0
	s_cbranch_vccz .LBB27_1760
; %bb.1754:                             ;   in Loop: Header=BB27_1685 Depth=2
	v_mov_b32_e32 v25, v0
	s_and_saveexec_b64 s[22:23], s[90:91]
	s_cbranch_execnz .LBB27_1771
	s_branch .LBB27_1779
.LBB27_1755:                            ;   in Loop: Header=BB27_1685 Depth=2
	s_mov_b64 s[22:23], 0
	s_and_saveexec_b64 s[40:41], s[4:5]
	s_cbranch_execnz .LBB27_1780
.LBB27_1756:                            ;   in Loop: Header=BB27_1685 Depth=2
	s_or_b64 exec, exec, s[40:41]
	s_and_saveexec_b64 s[40:41], s[20:21]
	s_xor_b64 s[40:41], exec, s[40:41]
	s_cbranch_execz .LBB27_1798
.LBB27_1757:                            ;   in Loop: Header=BB27_1685 Depth=2
	v_and_b32_e32 v2, 16, v108
	v_cmp_ne_u32_e32 vcc, 0, v2
	s_and_b64 s[90:91], vcc, s[22:23]
	s_and_saveexec_b64 s[22:23], s[90:91]
	s_cbranch_execz .LBB27_1759
; %bb.1758:                             ;   in Loop: Header=BB27_1685 Depth=2
	buffer_wbl2 sc1
	s_waitcnt vmcnt(0) lgkmcnt(0)
	buffer_inv sc1
.LBB27_1759:                            ;   in Loop: Header=BB27_1685 Depth=2
	s_or_b64 exec, exec, s[22:23]
	s_andn2_saveexec_b64 s[22:23], s[40:41]
	s_cbranch_execz .LBB27_1817
	s_branch .LBB27_1799
.LBB27_1760:                            ;   in Loop: Header=BB27_1685 Depth=2
	v_ashrrev_i32_e32 v16, 31, v9
	v_lshrrev_b32_e32 v16, 19, v16
	v_add_u32_e32 v16, v9, v16
	v_ashrrev_i32_e32 v21, 13, v16
	v_sub_u32_e32 v20, v21, v110
	v_cmp_lt_i32_e32 vcc, 0, v20
	s_and_saveexec_b64 s[40:41], vcc
	s_cbranch_execz .LBB27_1764
; %bb.1761:                             ;   in Loop: Header=BB27_1685 Depth=2
	s_mov_b64 s[90:91], 0
	v_mov_b64_e32 v[16:17], v[14:15]
	v_mov_b64_e32 v[18:19], v[12:13]
.LBB27_1762:                            ;   Parent Loop BB27_47 Depth=1
                                        ;     Parent Loop BB27_1685 Depth=2
                                        ; =>    This Inner Loop Header: Depth=3
	v_lshl_add_u64 v[52:53], v[118:119], 0, v[18:19]
	global_load_dwordx4 v[24:27], v[52:53], off nt
	global_load_dwordx4 v[32:35], v[52:53], off offset:1024 nt
	global_load_dwordx4 v[36:39], v[52:53], off offset:2048 nt
	;; [unrolled: 1-line block ×3, first 2 shown]
	v_add_co_u32_e32 v52, vcc, 0x1000, v52
	v_sub_u32_e32 v20, v20, v84
	s_nop 0
	v_addc_co_u32_e32 v53, vcc, 0, v53, vcc
	global_load_dwordx4 v[60:63], v[52:53], off nt
	global_load_dwordx4 v[72:75], v[52:53], off offset:1024 nt
	global_load_dwordx4 v[76:79], v[52:53], off offset:2048 nt
	;; [unrolled: 1-line block ×3, first 2 shown]
	v_lshl_add_u64 v[52:53], v[118:119], 0, v[16:17]
	v_cmp_gt_i32_e64 s[22:23], 1, v20
	v_lshl_add_u64 v[18:19], v[18:19], 0, v[98:99]
	v_lshl_add_u64 v[16:17], v[16:17], 0, v[98:99]
	v_add_co_u32_e32 v92, vcc, 0x1000, v52
	s_or_b64 s[90:91], s[22:23], s[90:91]
	s_nop 0
	v_addc_co_u32_e32 v93, vcc, 0, v53, vcc
	s_waitcnt vmcnt(0)
	global_store_dwordx4 v[52:53], v[24:27], off
	global_store_dwordx4 v[52:53], v[32:35], off offset:1024
	global_store_dwordx4 v[52:53], v[36:39], off offset:2048
	;; [unrolled: 1-line block ×3, first 2 shown]
	global_store_dwordx4 v[92:93], v[60:63], off
	global_store_dwordx4 v[92:93], v[72:75], off offset:1024
	global_store_dwordx4 v[92:93], v[76:79], off offset:2048
	;; [unrolled: 1-line block ×3, first 2 shown]
	s_andn2_b64 exec, exec, s[90:91]
	s_cbranch_execnz .LBB27_1762
; %bb.1763:                             ;   in Loop: Header=BB27_1685 Depth=2
	s_or_b64 exec, exec, s[90:91]
.LBB27_1764:                            ;   in Loop: Header=BB27_1685 Depth=2
	s_or_b64 exec, exec, s[40:41]
	v_lshlrev_b32_e32 v18, 13, v21
	v_cmp_ne_u32_e32 vcc, v9, v18
	s_mov_b64 s[90:91], 0
	v_mov_b32_e32 v24, 0
                                        ; implicit-def: $vgpr25
	s_and_saveexec_b64 s[40:41], vcc
	s_cbranch_execz .LBB27_1770
; %bb.1765:                             ;   in Loop: Header=BB27_1685 Depth=2
	v_lshlrev_b32_e32 v16, 6, v20
	v_sub_u32_e32 v16, v109, v16
	v_sub_u32_e32 v17, v9, v18
	v_ashrrev_i32_e32 v19, 31, v16
	v_lshrrev_b32_e32 v19, 26, v19
	v_ashrrev_i32_e32 v20, 31, v17
	v_add_u32_e32 v19, v16, v19
	v_lshrrev_b32_e32 v20, 22, v20
	v_ashrrev_i32_e32 v25, 6, v19
	v_and_b32_e32 v19, 0xffffffc0, v19
	v_add_u32_e32 v20, v17, v20
	v_sub_u32_e32 v19, v16, v19
	v_ashrrev_i32_e32 v26, 10, v20
	v_and_b32_e32 v20, 0xfffffc00, v20
	v_lshlrev_b32_e32 v16, 4, v19
	v_sub_u32_e32 v21, v17, v20
	v_lshl_add_u32 v16, v25, 10, v16
	v_cmp_lt_i32_e32 vcc, 15, v21
	v_sub_u32_e32 v24, v17, v16
	s_nop 0
	v_addc_co_u32_e64 v17, s[22:23], 0, v26, vcc
	v_sub_u32_e32 v25, v17, v25
	v_cmp_lt_i32_e64 s[22:23], 15, v24
	s_and_saveexec_b64 s[90:91], s[22:23]
	s_cbranch_execz .LBB27_1769
; %bb.1766:                             ;   in Loop: Header=BB27_1685 Depth=2
	v_add_u32_e32 v16, v16, v18
	v_ashrrev_i32_e32 v17, 31, v16
	s_mov_b64 s[92:93], 0
.LBB27_1767:                            ;   Parent Loop BB27_47 Depth=1
                                        ;     Parent Loop BB27_1685 Depth=2
                                        ; =>    This Inner Loop Header: Depth=3
	v_lshl_add_u64 v[26:27], v[12:13], 0, v[16:17]
	global_load_dwordx4 v[32:35], v[26:27], off nt
	v_sub_u32_e32 v24, v24, v100
	v_cmp_gt_i32_e64 s[22:23], 16, v24
	v_lshl_add_u64 v[26:27], v[14:15], 0, v[16:17]
	v_sub_u32_e32 v25, v25, v84
	v_lshl_add_u64 v[16:17], v[16:17], 0, v[100:101]
	s_or_b64 s[92:93], s[22:23], s[92:93]
	s_waitcnt vmcnt(0)
	global_store_dwordx4 v[26:27], v[32:35], off
	s_andn2_b64 exec, exec, s[92:93]
	s_cbranch_execnz .LBB27_1767
; %bb.1768:                             ;   in Loop: Header=BB27_1685 Depth=2
	s_or_b64 exec, exec, s[92:93]
.LBB27_1769:                            ;   in Loop: Header=BB27_1685 Depth=2
	s_or_b64 exec, exec, s[90:91]
	v_and_b32_e32 v9, 14, v9
	v_sub_u32_e32 v16, v21, v9
	v_cndmask_b32_e32 v16, 0, v16, vcc
	v_cndmask_b32_e32 v9, v21, v9, vcc
	v_cmp_lt_i32_e32 vcc, 0, v25
	v_add3_u32 v24, v20, v18, v16
	s_nop 0
	v_cndmask_b32_e32 v16, 0, v84, vcc
	v_sub_u32_e32 v16, v16, v25
	v_cmp_ne_u32_e32 vcc, 0, v9
	v_lshl_add_u32 v25, v16, 6, v19
	s_and_b64 s[90:91], vcc, exec
.LBB27_1770:                            ;   in Loop: Header=BB27_1685 Depth=2
	s_or_b64 exec, exec, s[40:41]
	s_and_saveexec_b64 s[22:23], s[90:91]
	s_cbranch_execz .LBB27_1779
.LBB27_1771:                            ;   in Loop: Header=BB27_1685 Depth=2
	v_ashrrev_i32_e32 v16, 31, v25
	v_ashrrev_i32_e32 v17, 31, v9
	v_lshrrev_b32_e32 v16, 26, v16
	v_lshrrev_b32_e32 v17, 21, v17
	v_add_u32_e32 v16, v25, v16
	v_add_u32_e32 v17, v9, v17
	v_ashrrev_i32_e32 v26, 6, v16
	v_ashrrev_i32_e32 v32, 11, v17
	v_sub_u32_e32 v27, v32, v26
	v_cmp_lt_i32_e32 vcc, 0, v27
	s_and_saveexec_b64 s[40:41], vcc
	s_cbranch_execz .LBB27_1775
; %bb.1772:                             ;   in Loop: Header=BB27_1685 Depth=2
	v_and_b32_e32 v16, 0x7fffffc0, v16
	v_sub_u32_e32 v16, v25, v16
	v_lshlrev_b32_e32 v16, 1, v16
	v_lshlrev_b32_e32 v17, 11, v26
	v_add3_u32 v16, v16, v24, v17
	v_ashrrev_i32_e32 v17, 31, v16
	s_mov_b64 s[90:91], 0
	v_mov_b64_e32 v[18:19], v[14:15]
	v_mov_b64_e32 v[20:21], v[12:13]
.LBB27_1773:                            ;   Parent Loop BB27_47 Depth=1
                                        ;     Parent Loop BB27_1685 Depth=2
                                        ; =>    This Inner Loop Header: Depth=3
	v_lshl_add_u64 v[34:35], v[16:17], 0, v[20:21]
	flat_load_ushort v28, v[34:35] nt
	flat_load_ushort v29, v[34:35] offset:128 nt
	flat_load_ushort v33, v[34:35] offset:256 nt
	;; [unrolled: 1-line block ×15, first 2 shown]
	v_sub_u32_e32 v27, v27, v84
	v_cmp_gt_i32_e32 vcc, 1, v27
	v_lshl_add_u64 v[34:35], v[16:17], 0, v[18:19]
	v_lshl_add_u64 v[20:21], v[20:21], 0, v[102:103]
	;; [unrolled: 1-line block ×3, first 2 shown]
	s_or_b64 s[90:91], vcc, s[90:91]
	s_waitcnt vmcnt(0) lgkmcnt(0)
	flat_store_short v[34:35], v28 nt
	flat_store_short v[34:35], v29 offset:128 nt
	flat_store_short v[34:35], v33 offset:256 nt
	;; [unrolled: 1-line block ×15, first 2 shown]
	s_andn2_b64 exec, exec, s[90:91]
	s_cbranch_execnz .LBB27_1773
; %bb.1774:                             ;   in Loop: Header=BB27_1685 Depth=2
	s_or_b64 exec, exec, s[90:91]
.LBB27_1775:                            ;   in Loop: Header=BB27_1685 Depth=2
	s_or_b64 exec, exec, s[40:41]
	v_lshlrev_b32_e32 v16, 11, v32
	v_cmp_ne_u32_e32 vcc, v9, v16
	s_and_b64 exec, exec, vcc
	s_cbranch_execz .LBB27_1779
; %bb.1776:                             ;   in Loop: Header=BB27_1685 Depth=2
	v_lshlrev_b32_e32 v17, 6, v26
	v_sub_u32_e32 v17, v25, v17
	v_lshlrev_b32_e32 v18, 6, v27
	v_sub_u32_e32 v17, v17, v18
	v_ashrrev_i32_e32 v18, 31, v17
	v_lshrrev_b32_e32 v18, 26, v18
	v_add_u32_e32 v18, v17, v18
	v_and_b32_e32 v19, 0x7fffffc0, v18
	v_sub_u32_e32 v17, v17, v19
	v_lshlrev_b32_e32 v18, 1, v18
	v_and_b32_e32 v18, 0xffffff80, v18
	v_lshlrev_b32_e32 v17, 1, v17
	v_add3_u32 v16, v18, v17, v16
	v_sub_u32_e32 v9, v9, v16
	v_cmp_lt_i32_e32 vcc, 1, v9
	s_and_b64 exec, exec, vcc
	s_cbranch_execz .LBB27_1779
; %bb.1777:                             ;   in Loop: Header=BB27_1685 Depth=2
	v_add_u32_e32 v16, v16, v24
	v_ashrrev_i32_e32 v17, 31, v16
	s_mov_b64 s[40:41], 0
.LBB27_1778:                            ;   Parent Loop BB27_47 Depth=1
                                        ;     Parent Loop BB27_1685 Depth=2
                                        ; =>    This Inner Loop Header: Depth=3
	v_lshl_add_u64 v[18:19], v[12:13], 0, v[16:17]
	flat_load_ushort v20, v[18:19] nt
	v_sub_u32_e32 v9, v9, v112
	v_cmp_gt_i32_e32 vcc, 2, v9
	v_lshl_add_u64 v[18:19], v[14:15], 0, v[16:17]
	v_lshl_add_u64 v[16:17], v[16:17], 0, v[112:113]
	s_or_b64 s[40:41], vcc, s[40:41]
	s_waitcnt vmcnt(0) lgkmcnt(0)
	flat_store_short v[18:19], v20 nt
	s_andn2_b64 exec, exec, s[40:41]
	s_cbranch_execnz .LBB27_1778
.LBB27_1779:                            ;   in Loop: Header=BB27_1685 Depth=2
	s_or_b64 exec, exec, s[22:23]
	v_cmp_lt_i32_e64 s[22:23], 0, v2
	s_and_saveexec_b64 s[40:41], s[4:5]
	s_cbranch_execz .LBB27_1756
.LBB27_1780:                            ;   in Loop: Header=BB27_1685 Depth=2
	s_and_saveexec_b64 s[90:91], s[56:57]
	s_xor_b64 s[90:91], exec, s[90:91]
	s_cbranch_execz .LBB27_1795
; %bb.1781:                             ;   in Loop: Header=BB27_1685 Depth=2
	s_and_saveexec_b64 s[92:93], s[12:13]
	s_cbranch_execz .LBB27_1794
; %bb.1782:                             ;   in Loop: Header=BB27_1685 Depth=2
	s_mov_b64 s[30:31], exec
	v_mbcnt_lo_u32_b32 v2, s30, 0
	v_mbcnt_hi_u32_b32 v2, s31, v2
	v_cmp_eq_u32_e32 vcc, 0, v2
	s_waitcnt lgkmcnt(0)
	s_and_saveexec_b64 s[94:95], vcc
	s_cbranch_execz .LBB27_1784
; %bb.1783:                             ;   in Loop: Header=BB27_1685 Depth=2
	s_bcnt1_i32_b64 vcc_lo, s[30:31]
	v_mov_b32_e32 v2, vcc_lo
	ds_add_u64 v0, v[2:3]
	s_trap 2
.LBB27_1784:                            ;   in Loop: Header=BB27_1685 Depth=2
	s_or_b64 exec, exec, s[94:95]
	s_trap 2
	ds_read_b64 v[12:13], v0
	s_waitcnt lgkmcnt(0)
	v_lshl_add_u64 v[70:71], v[70:71], 0, v[84:85]
	v_cmp_lt_u64_e32 vcc, v[12:13], v[70:71]
	s_and_saveexec_b64 s[94:95], vcc
	s_cbranch_execz .LBB27_1793
; %bb.1785:                             ;   in Loop: Header=BB27_1685 Depth=2
	s_mov_b32 s50, 0
	s_mov_b64 s[30:31], 0
                                        ; implicit-def: $sgpr34_sgpr35
                                        ; implicit-def: $sgpr36_sgpr37
	s_branch .LBB27_1787
.LBB27_1786:                            ;   in Loop: Header=BB27_1787 Depth=3
	s_or_b64 exec, exec, s[48:49]
	s_and_b64 vcc, exec, vcc
	s_or_b64 s[30:31], vcc, s[30:31]
	s_andn2_b64 vcc, s[34:35], exec
	s_and_b64 s[34:35], s[36:37], exec
	s_or_b64 s[34:35], vcc, s[34:35]
	s_andn2_b64 exec, exec, s[30:31]
	s_cbranch_execz .LBB27_1791
.LBB27_1787:                            ;   Parent Loop BB27_47 Depth=1
                                        ;     Parent Loop BB27_1685 Depth=2
                                        ; =>    This Inner Loop Header: Depth=3
	s_add_i32 s50, s50, 1
	s_cmpk_lg_i32 s50, 0x2710
	s_cselect_b64 s[38:39], -1, 0
	s_and_b64 vcc, exec, s[38:39]
	s_cbranch_vccz .LBB27_1789
; %bb.1788:                             ;   in Loop: Header=BB27_1787 Depth=3
	s_mov_b64 vcc, -1
	s_or_b64 s[36:37], s[36:37], exec
	s_and_saveexec_b64 s[48:49], s[38:39]
	s_cbranch_execz .LBB27_1786
	s_branch .LBB27_1790
.LBB27_1789:                            ;   in Loop: Header=BB27_1787 Depth=3
	s_trap 2
	ds_read_b64 v[12:13], v0
	s_andn2_b64 s[38:39], s[38:39], exec
	s_mov_b32 s50, 0
	s_waitcnt vmcnt(0) lgkmcnt(0)
	flat_load_dword v2, v[12:13] sc0 sc1
	s_waitcnt vmcnt(0) lgkmcnt(0)
	buffer_inv sc0 sc1
	v_cmp_eq_u32_e32 vcc, 0, v2
	s_and_b64 vcc, vcc, exec
	s_or_b64 s[38:39], s[38:39], vcc
	s_mov_b64 vcc, -1
	s_or_b64 s[36:37], s[36:37], exec
	s_and_saveexec_b64 s[48:49], s[38:39]
	s_cbranch_execz .LBB27_1786
.LBB27_1790:                            ;   in Loop: Header=BB27_1787 Depth=3
	s_sleep 1
	s_trap 2
	ds_read_b64 v[12:13], v0
	s_waitcnt lgkmcnt(0)
	s_andn2_b64 s[36:37], s[36:37], exec
	v_cmp_ge_u64_e32 vcc, v[12:13], v[70:71]
	s_orn2_b64 vcc, vcc, exec
	s_branch .LBB27_1786
.LBB27_1791:                            ;   in Loop: Header=BB27_1685 Depth=2
	s_or_b64 exec, exec, s[30:31]
	s_and_saveexec_b64 vcc, s[34:35]
	s_xor_b64 vcc, exec, vcc
	s_cbranch_execz .LBB27_1793
; %bb.1792:                             ;   in Loop: Header=BB27_1685 Depth=2
	ds_write_b32 v0, v111
	s_trap 2
.LBB27_1793:                            ;   in Loop: Header=BB27_1685 Depth=2
	s_or_b64 exec, exec, s[94:95]
	;;#ASMSTART
	s_wakeup
	;;#ASMEND
.LBB27_1794:                            ;   in Loop: Header=BB27_1685 Depth=2
	s_or_b64 exec, exec, s[92:93]
.LBB27_1795:                            ;   in Loop: Header=BB27_1685 Depth=2
	s_andn2_saveexec_b64 s[90:91], s[90:91]
	s_cbranch_execz .LBB27_1797
; %bb.1796:                             ;   in Loop: Header=BB27_1685 Depth=2
	s_waitcnt lgkmcnt(0)
	s_barrier
.LBB27_1797:                            ;   in Loop: Header=BB27_1685 Depth=2
	s_or_b64 exec, exec, s[90:91]
	s_or_b64 exec, exec, s[40:41]
	s_and_saveexec_b64 s[40:41], s[20:21]
	s_xor_b64 s[40:41], exec, s[40:41]
	s_cbranch_execnz .LBB27_1757
.LBB27_1798:                            ;   in Loop: Header=BB27_1685 Depth=2
	s_andn2_saveexec_b64 s[22:23], s[40:41]
	s_cbranch_execz .LBB27_1817
.LBB27_1799:                            ;   in Loop: Header=BB27_1685 Depth=2
	s_and_saveexec_b64 s[40:41], s[56:57]
	s_xor_b64 s[40:41], exec, s[40:41]
	s_cbranch_execz .LBB27_1814
; %bb.1800:                             ;   in Loop: Header=BB27_1685 Depth=2
	s_and_saveexec_b64 s[90:91], s[12:13]
	s_cbranch_execz .LBB27_1813
; %bb.1801:                             ;   in Loop: Header=BB27_1685 Depth=2
	s_mov_b64 s[94:95], exec
	v_mbcnt_lo_u32_b32 v2, s94, 0
	v_mbcnt_hi_u32_b32 v2, s95, v2
	v_cmp_eq_u32_e32 vcc, 0, v2
	;;#ASMSTART
	s_waitcnt lgkmcnt(0) vmcnt(0)
	;;#ASMEND
	s_and_saveexec_b64 s[92:93], vcc
	s_cbranch_execz .LBB27_1803
; %bb.1802:                             ;   in Loop: Header=BB27_1685 Depth=2
	s_bcnt1_i32_b64 s94, s[94:95]
	v_mov_b32_e32 v2, s94
	s_waitcnt lgkmcnt(0)
	ds_add_u64 v0, v[2:3]
	s_trap 2
.LBB27_1803:                            ;   in Loop: Header=BB27_1685 Depth=2
	s_or_b64 exec, exec, s[92:93]
	s_trap 2
	ds_read_b64 v[12:13], v0
	s_waitcnt lgkmcnt(0)
	v_lshl_add_u64 v[70:71], v[70:71], 0, v[84:85]
	v_cmp_lt_u64_e32 vcc, v[12:13], v[70:71]
	s_and_saveexec_b64 s[92:93], vcc
	s_cbranch_execz .LBB27_1812
; %bb.1804:                             ;   in Loop: Header=BB27_1685 Depth=2
	s_mov_b32 s48, 0
	s_mov_b64 s[94:95], 0
                                        ; implicit-def: $sgpr30_sgpr31
                                        ; implicit-def: $sgpr34_sgpr35
	s_branch .LBB27_1806
.LBB27_1805:                            ;   in Loop: Header=BB27_1806 Depth=3
	s_or_b64 exec, exec, s[38:39]
	s_and_b64 vcc, exec, vcc
	s_or_b64 s[94:95], vcc, s[94:95]
	s_andn2_b64 vcc, s[30:31], exec
	s_and_b64 s[30:31], s[34:35], exec
	s_or_b64 s[30:31], vcc, s[30:31]
	s_andn2_b64 exec, exec, s[94:95]
	s_cbranch_execz .LBB27_1810
.LBB27_1806:                            ;   Parent Loop BB27_47 Depth=1
                                        ;     Parent Loop BB27_1685 Depth=2
                                        ; =>    This Inner Loop Header: Depth=3
	s_add_i32 s48, s48, 1
	s_cmpk_lg_i32 s48, 0x2710
	s_cselect_b64 s[36:37], -1, 0
	s_and_b64 vcc, exec, s[36:37]
	s_cbranch_vccz .LBB27_1808
; %bb.1807:                             ;   in Loop: Header=BB27_1806 Depth=3
	s_mov_b64 vcc, -1
	s_or_b64 s[34:35], s[34:35], exec
	s_and_saveexec_b64 s[38:39], s[36:37]
	s_cbranch_execz .LBB27_1805
	s_branch .LBB27_1809
.LBB27_1808:                            ;   in Loop: Header=BB27_1806 Depth=3
	s_trap 2
	ds_read_b64 v[12:13], v0
	s_andn2_b64 s[36:37], s[36:37], exec
	s_mov_b32 s48, 0
	s_waitcnt vmcnt(0) lgkmcnt(0)
	flat_load_dword v2, v[12:13] sc0 sc1
	s_waitcnt vmcnt(0) lgkmcnt(0)
	buffer_inv sc0 sc1
	v_cmp_eq_u32_e32 vcc, 0, v2
	s_and_b64 vcc, vcc, exec
	s_or_b64 s[36:37], s[36:37], vcc
	s_mov_b64 vcc, -1
	s_or_b64 s[34:35], s[34:35], exec
	s_and_saveexec_b64 s[38:39], s[36:37]
	s_cbranch_execz .LBB27_1805
.LBB27_1809:                            ;   in Loop: Header=BB27_1806 Depth=3
	s_sleep 1
	s_trap 2
	ds_read_b64 v[12:13], v0
	s_waitcnt lgkmcnt(0)
	s_andn2_b64 s[34:35], s[34:35], exec
	v_cmp_ge_u64_e32 vcc, v[12:13], v[70:71]
	s_orn2_b64 vcc, vcc, exec
	s_branch .LBB27_1805
.LBB27_1810:                            ;   in Loop: Header=BB27_1685 Depth=2
	s_or_b64 exec, exec, s[94:95]
	s_and_saveexec_b64 s[94:95], s[30:31]
	s_xor_b64 s[94:95], exec, s[94:95]
	s_cbranch_execz .LBB27_1812
; %bb.1811:                             ;   in Loop: Header=BB27_1685 Depth=2
	ds_write_b32 v0, v111
	s_trap 2
.LBB27_1812:                            ;   in Loop: Header=BB27_1685 Depth=2
	s_or_b64 exec, exec, s[92:93]
	;;#ASMSTART
	s_wakeup
	;;#ASMEND
.LBB27_1813:                            ;   in Loop: Header=BB27_1685 Depth=2
	s_or_b64 exec, exec, s[90:91]
.LBB27_1814:                            ;   in Loop: Header=BB27_1685 Depth=2
	s_andn2_saveexec_b64 s[40:41], s[40:41]
	s_cbranch_execz .LBB27_1816
; %bb.1815:                             ;   in Loop: Header=BB27_1685 Depth=2
	;;#ASMSTART
	s_waitcnt lgkmcnt(0) vmcnt(0)
	;;#ASMEND
	s_barrier
.LBB27_1816:                            ;   in Loop: Header=BB27_1685 Depth=2
	s_or_b64 exec, exec, s[40:41]
.LBB27_1817:                            ;   in Loop: Header=BB27_1685 Depth=2
	s_or_b64 exec, exec, s[22:23]
	v_and_b32_e32 v2, 32, v108
	v_cmp_ne_u32_e32 vcc, 0, v2
	s_and_saveexec_b64 s[22:23], vcc
	s_cbranch_execz .LBB27_1684
; %bb.1818:                             ;   in Loop: Header=BB27_1685 Depth=2
	v_lshl_add_u64 v[58:59], v[58:59], 0, 2
	flat_store_dwordx2 v[64:65], v[58:59] sc0 sc1
	s_branch .LBB27_1684
.LBB27_1819:                            ;   in Loop: Header=BB27_47 Depth=1
	s_or_b64 exec, exec, s[26:27]
.LBB27_1820:                            ;   in Loop: Header=BB27_47 Depth=1
	s_or_b64 exec, exec, s[24:25]
	v_cmp_gt_i32_e32 vcc, 2, v2
	s_and_saveexec_b64 s[24:25], vcc
	s_cbranch_execz .LBB27_46
; %bb.1821:                             ;   in Loop: Header=BB27_47 Depth=1
	v_cmp_eq_u32_e64 s[28:29], 0, v2
	s_mov_b64 s[26:27], 0
	s_branch .LBB27_1823
.LBB27_1822:                            ;   in Loop: Header=BB27_1823 Depth=2
	s_or_b64 exec, exec, s[22:23]
	v_add_u32_e32 v8, v23, v8
	s_mov_b64 s[28:29], 0
	s_andn2_b64 exec, exec, s[26:27]
	s_cbranch_execz .LBB27_45
.LBB27_1823:                            ;   Parent Loop BB27_47 Depth=1
                                        ; =>  This Loop Header: Depth=2
                                        ;       Child Loop BB27_1829 Depth 3
                                        ;       Child Loop BB27_1853 Depth 3
	;; [unrolled: 1-line block ×3, first 2 shown]
	v_and_b32_e32 v2, 4, v108
	v_cmp_ne_u32_e32 vcc, 0, v2
	s_and_saveexec_b64 s[40:41], vcc
	s_cbranch_execz .LBB27_1845
; %bb.1824:                             ;   in Loop: Header=BB27_1823 Depth=2
	v_lshl_add_u64 v[10:11], v[58:59], 0, 2
	s_waitcnt vmcnt(0) lgkmcnt(0)
	v_cmp_lt_u64_e32 vcc, v[80:81], v[10:11]
	s_and_saveexec_b64 s[90:91], vcc
	s_cbranch_execz .LBB27_1836
; %bb.1825:                             ;   in Loop: Header=BB27_1823 Depth=2
	v_and_b32_e32 v2, 64, v108
	s_mov_b32 s46, 0
	v_cmp_eq_u32_e32 vcc, 0, v2
	s_mov_b64 s[92:93], 0
                                        ; implicit-def: $sgpr94_sgpr95
                                        ; implicit-def: $sgpr30_sgpr31
                                        ; implicit-def: $sgpr34_sgpr35
	s_branch .LBB27_1829
.LBB27_1826:                            ;   in Loop: Header=BB27_1829 Depth=3
	s_waitcnt vmcnt(0) lgkmcnt(0)
	v_cmp_ge_u64_e64 s[22:23], v[80:81], v[10:11]
	s_or_b64 s[48:49], s[48:49], exec
	s_orn2_b64 s[38:39], s[22:23], exec
.LBB27_1827:                            ;   in Loop: Header=BB27_1829 Depth=3
	s_or_b64 exec, exec, s[52:53]
	s_andn2_b64 s[22:23], s[34:35], exec
	s_and_b64 s[34:35], s[48:49], exec
	s_or_b64 s[34:35], s[22:23], s[34:35]
	s_andn2_b64 s[22:23], s[30:31], exec
	s_and_b64 s[30:31], s[38:39], exec
	s_or_b64 s[30:31], s[22:23], s[30:31]
.LBB27_1828:                            ;   in Loop: Header=BB27_1829 Depth=3
	s_or_b64 exec, exec, s[36:37]
	s_and_b64 s[22:23], exec, s[30:31]
	s_or_b64 s[92:93], s[22:23], s[92:93]
	s_andn2_b64 s[22:23], s[94:95], exec
	s_and_b64 s[94:95], s[34:35], exec
	s_or_b64 s[94:95], s[22:23], s[94:95]
	s_andn2_b64 exec, exec, s[92:93]
	s_cbranch_execz .LBB27_1833
.LBB27_1829:                            ;   Parent Loop BB27_47 Depth=1
                                        ;     Parent Loop BB27_1823 Depth=2
                                        ; =>    This Inner Loop Header: Depth=3
	s_sleep 1
	s_waitcnt vmcnt(0) lgkmcnt(0)
	flat_load_dwordx2 v[80:81], v[64:65] sc0 sc1
	s_or_b64 s[34:35], s[34:35], exec
	s_or_b64 s[30:31], s[30:31], exec
                                        ; implicit-def: $vgpr2
	s_and_saveexec_b64 s[36:37], vcc
	s_cbranch_execz .LBB27_1828
; %bb.1830:                             ;   in Loop: Header=BB27_1829 Depth=3
	s_cmpk_lt_i32 s46, 0x270f
	s_cselect_b64 s[50:51], -1, 0
	s_cmpk_gt_i32 s46, 0x270e
	s_mov_b64 s[38:39], -1
	s_cbranch_scc0 .LBB27_1832
; %bb.1831:                             ;   in Loop: Header=BB27_1829 Depth=3
	s_trap 2
	ds_read_b64 v[12:13], v0
	s_andn2_b64 s[50:51], s[50:51], exec
	s_mov_b32 s46, 0
	s_mov_b64 s[48:49], 0
	s_waitcnt vmcnt(0) lgkmcnt(0)
	flat_load_dword v2, v[12:13] sc0 sc1
	s_waitcnt vmcnt(0) lgkmcnt(0)
	buffer_inv sc0 sc1
	v_cmp_eq_u32_e64 s[22:23], 0, v2
	s_and_b64 s[22:23], s[22:23], exec
	s_or_b64 s[50:51], s[50:51], s[22:23]
	s_and_saveexec_b64 s[52:53], s[50:51]
	s_cbranch_execz .LBB27_1827
	s_branch .LBB27_1826
.LBB27_1832:                            ;   in Loop: Header=BB27_1829 Depth=3
	s_add_i32 s46, s46, 1
	s_mov_b64 s[48:49], -1
                                        ; implicit-def: $vgpr2
	s_and_saveexec_b64 s[52:53], s[50:51]
	s_cbranch_execz .LBB27_1827
	s_branch .LBB27_1826
.LBB27_1833:                            ;   in Loop: Header=BB27_1823 Depth=2
	s_or_b64 exec, exec, s[92:93]
	s_xor_b64 s[22:23], s[94:95], -1
	s_and_saveexec_b64 s[92:93], s[22:23]
	s_xor_b64 s[22:23], exec, s[92:93]
	s_cbranch_execz .LBB27_1835
; %bb.1834:                             ;   in Loop: Header=BB27_1823 Depth=2
	v_or_b32_e32 v108, 64, v108
	s_waitcnt lgkmcnt(0)
	ds_write_b32 v0, v2
	s_trap 2
.LBB27_1835:                            ;   in Loop: Header=BB27_1823 Depth=2
	s_or_b64 exec, exec, s[22:23]
.LBB27_1836:                            ;   in Loop: Header=BB27_1823 Depth=2
	s_or_b64 exec, exec, s[90:91]
	v_and_b32_e32 v2, 0x100, v108
	v_cmp_ne_u32_e32 vcc, 0, v2
	v_and_b32_e32 v2, 7, v58
	s_mov_b64 s[22:23], -1
	;;#ASMSTART
	s_wakeup
	;;#ASMEND
                                        ; implicit-def: $vgpr12_vgpr13
	s_and_saveexec_b64 s[90:91], vcc
	s_cbranch_execz .LBB27_1840
; %bb.1837:                             ;   in Loop: Header=BB27_1823 Depth=2
	v_mad_u64_u32 v[14:15], s[22:23], v2, 24, v[6:7]
	flat_load_dword v9, v[14:15]
                                        ; implicit-def: $vgpr12_vgpr13
	s_waitcnt vmcnt(0) lgkmcnt(0)
	v_cmp_ne_u32_e32 vcc, 1, v9
	v_cmp_eq_u32_e64 s[22:23], 1, v9
	s_and_saveexec_b64 s[92:93], s[22:23]
	s_cbranch_execz .LBB27_1839
; %bb.1838:                             ;   in Loop: Header=BB27_1823 Depth=2
	flat_load_dword v12, v[14:15] offset:4 sc0 sc1
	s_waitcnt vmcnt(0) lgkmcnt(0)
	v_ashrrev_i32_e32 v13, 31, v12
	v_lshrrev_b64 v[12:13], 1, v[12:13]
.LBB27_1839:                            ;   in Loop: Header=BB27_1823 Depth=2
	s_or_b64 exec, exec, s[92:93]
	s_orn2_b64 s[22:23], vcc, exec
.LBB27_1840:                            ;   in Loop: Header=BB27_1823 Depth=2
	s_or_b64 exec, exec, s[90:91]
	s_and_saveexec_b64 s[90:91], s[22:23]
; %bb.1841:                             ;   in Loop: Header=BB27_1823 Depth=2
	v_mad_i64_i32 v[12:13], s[22:23], v2, v30, 0
; %bb.1842:                             ;   in Loop: Header=BB27_1823 Depth=2
	s_or_b64 exec, exec, s[90:91]
	v_and_b32_e32 v2, 0x2000, v108
	v_lshl_add_u64 v[12:13], v[12:13], 1, v[66:67]
	v_cmp_ne_u32_e32 vcc, 0, v2
	ds_write_b64 v0, v[12:13] offset:720
	s_and_saveexec_b64 s[22:23], vcc
	s_cbranch_execz .LBB27_1844
; %bb.1843:                             ;   in Loop: Header=BB27_1823 Depth=2
	ds_read_b64 v[12:13], v0 offset:872
	s_waitcnt lgkmcnt(0)
	v_lshl_add_u64 v[12:13], v[12:13], 0, 1
	ds_write_b64 v0, v[12:13] offset:872
.LBB27_1844:                            ;   in Loop: Header=BB27_1823 Depth=2
	s_or_b64 exec, exec, s[22:23]
	v_mov_b64_e32 v[58:59], v[10:11]
.LBB27_1845:                            ;   in Loop: Header=BB27_1823 Depth=2
	s_or_b64 exec, exec, s[40:41]
	s_xor_b64 s[22:23], s[28:29], -1
	s_and_b64 s[22:23], exec, s[22:23]
	s_or_b64 s[26:27], s[22:23], s[26:27]
	s_and_saveexec_b64 s[22:23], s[4:5]
	s_cbranch_execz .LBB27_1864
; %bb.1846:                             ;   in Loop: Header=BB27_1823 Depth=2
	s_and_saveexec_b64 s[28:29], s[56:57]
	s_xor_b64 s[28:29], exec, s[28:29]
	s_cbranch_execz .LBB27_1861
; %bb.1847:                             ;   in Loop: Header=BB27_1823 Depth=2
	s_and_saveexec_b64 s[40:41], s[12:13]
	s_cbranch_execz .LBB27_1860
; %bb.1848:                             ;   in Loop: Header=BB27_1823 Depth=2
	s_mov_b64 s[92:93], exec
	v_mbcnt_lo_u32_b32 v2, s92, 0
	v_mbcnt_hi_u32_b32 v2, s93, v2
	v_cmp_eq_u32_e32 vcc, 0, v2
	s_waitcnt lgkmcnt(0)
	s_and_saveexec_b64 s[90:91], vcc
	s_cbranch_execz .LBB27_1850
; %bb.1849:                             ;   in Loop: Header=BB27_1823 Depth=2
	s_bcnt1_i32_b64 s46, s[92:93]
	v_mov_b32_e32 v2, s46
	ds_add_u64 v0, v[2:3]
	s_trap 2
.LBB27_1850:                            ;   in Loop: Header=BB27_1823 Depth=2
	s_or_b64 exec, exec, s[90:91]
	s_trap 2
	ds_read_b64 v[10:11], v0
	s_waitcnt lgkmcnt(0)
	v_lshl_add_u64 v[70:71], v[70:71], 0, v[84:85]
	v_cmp_lt_u64_e32 vcc, v[10:11], v[70:71]
	s_and_saveexec_b64 s[90:91], vcc
	s_cbranch_execz .LBB27_1859
; %bb.1851:                             ;   in Loop: Header=BB27_1823 Depth=2
	s_mov_b32 s46, 0
	s_mov_b64 s[92:93], 0
                                        ; implicit-def: $sgpr94_sgpr95
                                        ; implicit-def: $sgpr30_sgpr31
	s_branch .LBB27_1853
.LBB27_1852:                            ;   in Loop: Header=BB27_1853 Depth=3
	s_or_b64 exec, exec, s[36:37]
	s_and_b64 vcc, exec, vcc
	s_or_b64 s[92:93], vcc, s[92:93]
	s_andn2_b64 s[94:95], s[94:95], exec
	s_and_b64 vcc, s[30:31], exec
	s_or_b64 s[94:95], s[94:95], vcc
	s_andn2_b64 exec, exec, s[92:93]
	s_cbranch_execz .LBB27_1857
.LBB27_1853:                            ;   Parent Loop BB27_47 Depth=1
                                        ;     Parent Loop BB27_1823 Depth=2
                                        ; =>    This Inner Loop Header: Depth=3
	s_add_i32 s46, s46, 1
	s_cmpk_lg_i32 s46, 0x2710
	s_cselect_b64 s[34:35], -1, 0
	s_and_b64 vcc, exec, s[34:35]
	s_cbranch_vccz .LBB27_1855
; %bb.1854:                             ;   in Loop: Header=BB27_1853 Depth=3
	s_mov_b64 vcc, -1
	s_or_b64 s[30:31], s[30:31], exec
	s_and_saveexec_b64 s[36:37], s[34:35]
	s_cbranch_execz .LBB27_1852
	s_branch .LBB27_1856
.LBB27_1855:                            ;   in Loop: Header=BB27_1853 Depth=3
	s_trap 2
	ds_read_b64 v[10:11], v0
	s_andn2_b64 s[34:35], s[34:35], exec
	s_mov_b32 s46, 0
	s_waitcnt vmcnt(0) lgkmcnt(0)
	flat_load_dword v2, v[10:11] sc0 sc1
	s_waitcnt vmcnt(0) lgkmcnt(0)
	buffer_inv sc0 sc1
	v_cmp_eq_u32_e32 vcc, 0, v2
	s_and_b64 vcc, vcc, exec
	s_or_b64 s[34:35], s[34:35], vcc
	s_mov_b64 vcc, -1
	s_or_b64 s[30:31], s[30:31], exec
	s_and_saveexec_b64 s[36:37], s[34:35]
	s_cbranch_execz .LBB27_1852
.LBB27_1856:                            ;   in Loop: Header=BB27_1853 Depth=3
	s_sleep 1
	s_trap 2
	ds_read_b64 v[10:11], v0
	s_waitcnt lgkmcnt(0)
	s_andn2_b64 s[30:31], s[30:31], exec
	v_cmp_ge_u64_e32 vcc, v[10:11], v[70:71]
	s_orn2_b64 vcc, vcc, exec
	s_branch .LBB27_1852
.LBB27_1857:                            ;   in Loop: Header=BB27_1823 Depth=2
	s_or_b64 exec, exec, s[92:93]
	s_and_saveexec_b64 s[92:93], s[94:95]
	s_xor_b64 s[92:93], exec, s[92:93]
	s_cbranch_execz .LBB27_1859
; %bb.1858:                             ;   in Loop: Header=BB27_1823 Depth=2
	ds_write_b32 v0, v111
	s_trap 2
.LBB27_1859:                            ;   in Loop: Header=BB27_1823 Depth=2
	s_or_b64 exec, exec, s[90:91]
	;;#ASMSTART
	s_wakeup
	;;#ASMEND
.LBB27_1860:                            ;   in Loop: Header=BB27_1823 Depth=2
	s_or_b64 exec, exec, s[40:41]
.LBB27_1861:                            ;   in Loop: Header=BB27_1823 Depth=2
	s_andn2_saveexec_b64 s[28:29], s[28:29]
	s_cbranch_execz .LBB27_1863
; %bb.1862:                             ;   in Loop: Header=BB27_1823 Depth=2
	s_waitcnt lgkmcnt(0)
	s_barrier
.LBB27_1863:                            ;   in Loop: Header=BB27_1823 Depth=2
	s_or_b64 exec, exec, s[28:29]
.LBB27_1864:                            ;   in Loop: Header=BB27_1823 Depth=2
	s_or_b64 exec, exec, s[22:23]
	v_sub_u32_e32 v2, v22, v8
	v_min_i32_e32 v23, v23, v2
	s_and_saveexec_b64 s[22:23], s[20:21]
	s_xor_b64 s[22:23], exec, s[22:23]
	s_cbranch_execz .LBB27_1868
; %bb.1865:                             ;   in Loop: Header=BB27_1823 Depth=2
	s_trap 2
	ds_read_b32 v2, v0
	v_cmp_lt_i32_e32 vcc, 0, v23
	v_and_b32_e32 v9, 16, v108
	s_waitcnt lgkmcnt(0)
	v_readfirstlane_b32 s28, v2
	s_cmp_eq_u32 s28, 0
	s_cselect_b64 s[28:29], -1, 0
	s_and_b64 s[28:29], vcc, s[28:29]
	v_cmp_ne_u32_e32 vcc, 0, v9
	s_and_b64 s[40:41], vcc, s[28:29]
	s_and_saveexec_b64 s[28:29], s[40:41]
	s_cbranch_execz .LBB27_1867
; %bb.1866:                             ;   in Loop: Header=BB27_1823 Depth=2
	buffer_wbl2 sc1
	s_waitcnt vmcnt(0)
	buffer_inv sc1
.LBB27_1867:                            ;   in Loop: Header=BB27_1823 Depth=2
	s_or_b64 exec, exec, s[28:29]
.LBB27_1868:                            ;   in Loop: Header=BB27_1823 Depth=2
	s_andn2_saveexec_b64 s[22:23], s[22:23]
	s_cbranch_execz .LBB27_1887
; %bb.1869:                             ;   in Loop: Header=BB27_1823 Depth=2
	s_and_saveexec_b64 s[28:29], s[56:57]
	s_xor_b64 s[28:29], exec, s[28:29]
	s_cbranch_execz .LBB27_1884
; %bb.1870:                             ;   in Loop: Header=BB27_1823 Depth=2
	s_and_saveexec_b64 s[40:41], s[12:13]
	s_cbranch_execz .LBB27_1883
; %bb.1871:                             ;   in Loop: Header=BB27_1823 Depth=2
	s_mov_b64 s[92:93], exec
	v_mbcnt_lo_u32_b32 v2, s92, 0
	v_mbcnt_hi_u32_b32 v2, s93, v2
	v_cmp_eq_u32_e32 vcc, 0, v2
	;;#ASMSTART
	s_waitcnt lgkmcnt(0) vmcnt(0)
	;;#ASMEND
	s_and_saveexec_b64 s[90:91], vcc
	s_cbranch_execz .LBB27_1873
; %bb.1872:                             ;   in Loop: Header=BB27_1823 Depth=2
	s_bcnt1_i32_b64 s46, s[92:93]
	v_mov_b32_e32 v2, s46
	s_waitcnt lgkmcnt(0)
	ds_add_u64 v0, v[2:3]
	s_trap 2
.LBB27_1873:                            ;   in Loop: Header=BB27_1823 Depth=2
	s_or_b64 exec, exec, s[90:91]
	s_trap 2
	ds_read_b64 v[10:11], v0
	s_waitcnt lgkmcnt(0)
	v_lshl_add_u64 v[70:71], v[70:71], 0, v[84:85]
	v_cmp_lt_u64_e32 vcc, v[10:11], v[70:71]
	s_and_saveexec_b64 s[90:91], vcc
	s_cbranch_execz .LBB27_1882
; %bb.1874:                             ;   in Loop: Header=BB27_1823 Depth=2
	s_mov_b32 s46, 0
	s_mov_b64 s[92:93], 0
                                        ; implicit-def: $sgpr94_sgpr95
                                        ; implicit-def: $sgpr30_sgpr31
	s_branch .LBB27_1876
.LBB27_1875:                            ;   in Loop: Header=BB27_1876 Depth=3
	s_or_b64 exec, exec, s[36:37]
	s_and_b64 vcc, exec, vcc
	s_or_b64 s[92:93], vcc, s[92:93]
	s_andn2_b64 s[94:95], s[94:95], exec
	s_and_b64 vcc, s[30:31], exec
	s_or_b64 s[94:95], s[94:95], vcc
	s_andn2_b64 exec, exec, s[92:93]
	s_cbranch_execz .LBB27_1880
.LBB27_1876:                            ;   Parent Loop BB27_47 Depth=1
                                        ;     Parent Loop BB27_1823 Depth=2
                                        ; =>    This Inner Loop Header: Depth=3
	s_add_i32 s46, s46, 1
	s_cmpk_lg_i32 s46, 0x2710
	s_cselect_b64 s[34:35], -1, 0
	s_and_b64 vcc, exec, s[34:35]
	s_cbranch_vccz .LBB27_1878
; %bb.1877:                             ;   in Loop: Header=BB27_1876 Depth=3
	s_mov_b64 vcc, -1
	s_or_b64 s[30:31], s[30:31], exec
	s_and_saveexec_b64 s[36:37], s[34:35]
	s_cbranch_execz .LBB27_1875
	s_branch .LBB27_1879
.LBB27_1878:                            ;   in Loop: Header=BB27_1876 Depth=3
	s_trap 2
	ds_read_b64 v[10:11], v0
	s_andn2_b64 s[34:35], s[34:35], exec
	s_mov_b32 s46, 0
	s_waitcnt vmcnt(0) lgkmcnt(0)
	flat_load_dword v2, v[10:11] sc0 sc1
	s_waitcnt vmcnt(0) lgkmcnt(0)
	buffer_inv sc0 sc1
	v_cmp_eq_u32_e32 vcc, 0, v2
	s_and_b64 vcc, vcc, exec
	s_or_b64 s[34:35], s[34:35], vcc
	s_mov_b64 vcc, -1
	s_or_b64 s[30:31], s[30:31], exec
	s_and_saveexec_b64 s[36:37], s[34:35]
	s_cbranch_execz .LBB27_1875
.LBB27_1879:                            ;   in Loop: Header=BB27_1876 Depth=3
	s_sleep 1
	s_trap 2
	ds_read_b64 v[10:11], v0
	s_waitcnt lgkmcnt(0)
	s_andn2_b64 s[30:31], s[30:31], exec
	v_cmp_ge_u64_e32 vcc, v[10:11], v[70:71]
	s_orn2_b64 vcc, vcc, exec
	s_branch .LBB27_1875
.LBB27_1880:                            ;   in Loop: Header=BB27_1823 Depth=2
	s_or_b64 exec, exec, s[92:93]
	s_and_saveexec_b64 s[92:93], s[94:95]
	s_xor_b64 s[92:93], exec, s[92:93]
	s_cbranch_execz .LBB27_1882
; %bb.1881:                             ;   in Loop: Header=BB27_1823 Depth=2
	ds_write_b32 v0, v111
	s_trap 2
.LBB27_1882:                            ;   in Loop: Header=BB27_1823 Depth=2
	s_or_b64 exec, exec, s[90:91]
	;;#ASMSTART
	s_wakeup
	;;#ASMEND
.LBB27_1883:                            ;   in Loop: Header=BB27_1823 Depth=2
	s_or_b64 exec, exec, s[40:41]
.LBB27_1884:                            ;   in Loop: Header=BB27_1823 Depth=2
	s_andn2_saveexec_b64 s[28:29], s[28:29]
	s_cbranch_execz .LBB27_1886
; %bb.1885:                             ;   in Loop: Header=BB27_1823 Depth=2
	;;#ASMSTART
	s_waitcnt lgkmcnt(0) vmcnt(0)
	;;#ASMEND
	s_barrier
.LBB27_1886:                            ;   in Loop: Header=BB27_1823 Depth=2
	s_or_b64 exec, exec, s[28:29]
.LBB27_1887:                            ;   in Loop: Header=BB27_1823 Depth=2
	s_or_b64 exec, exec, s[22:23]
	v_and_b32_e32 v2, 32, v108
	v_cmp_ne_u32_e32 vcc, 0, v2
	s_and_saveexec_b64 s[22:23], vcc
	s_cbranch_execz .LBB27_1822
; %bb.1888:                             ;   in Loop: Header=BB27_1823 Depth=2
	v_lshl_add_u64 v[58:59], v[58:59], 0, 2
	flat_store_dwordx2 v[64:65], v[58:59] sc0 sc1
	s_branch .LBB27_1822
.LBB27_1889:
	s_or_b64 exec, exec, s[58:59]
	scratch_load_dword v21, off, s33 offset:196 ; 4-byte Folded Reload
	scratch_load_dwordx2 v[22:23], off, s33 offset:200 ; 8-byte Folded Reload
.LBB27_1890:
	s_or_b64 exec, exec, s[44:45]
	v_and_b32_e32 v0, 0x800, v108
	v_cmp_eq_u32_e32 vcc, 0, v0
	s_and_saveexec_b64 s[2:3], vcc
	s_cbranch_execz .LBB27_1923
; %bb.1891:
	v_and_b32_e32 v0, 48, v108
	v_cmp_ne_u32_e32 vcc, 0, v0
	s_and_saveexec_b64 s[0:1], vcc
	s_cbranch_execz .LBB27_1893
; %bb.1892:
	s_waitcnt vmcnt(0)
	flat_store_dwordx2 v[22:23], v[58:59] offset:104
.LBB27_1893:
	s_or_b64 exec, exec, s[0:1]
	s_movk_i32 s0, 0x88
	v_and_b32_e32 v0, 0x88, v108
	v_cmp_eq_u32_e32 vcc, s0, v0
	s_and_saveexec_b64 s[4:5], vcc
	s_cbranch_execz .LBB27_1903
; %bb.1894:
	v_add_u32_e32 v0, 6, v58
	v_and_b32_e32 v0, 7, v0
	v_mad_u64_u32 v[2:3], s[0:1], v0, 24, v[6:7]
	flat_load_dwordx2 v[4:5], v[2:3] offset:8 sc0 sc1
	s_waitcnt vmcnt(0)
	v_and_b32_e32 v0, 64, v108
	v_cmp_eq_u32_e64 s[0:1], 0, v0
	s_mov_b32 s18, 0
	s_waitcnt lgkmcnt(0)
	v_cmp_ne_u64_e32 vcc, -1, v[4:5]
	s_and_b64 s[0:1], vcc, s[0:1]
	s_and_b64 exec, exec, s[0:1]
	s_cbranch_execz .LBB27_1903
; %bb.1895:
	s_mov_b64 s[0:1], 0
                                        ; implicit-def: $sgpr6_sgpr7
                                        ; implicit-def: $sgpr10_sgpr11
	s_branch .LBB27_1898
.LBB27_1896:                            ;   in Loop: Header=BB27_1898 Depth=1
	flat_load_dwordx2 v[4:5], v[2:3] offset:8 sc0 sc1
	s_waitcnt vmcnt(0)
	s_andn2_b64 s[10:11], s[10:11], exec
	s_waitcnt lgkmcnt(0)
	v_cmp_eq_u64_e32 vcc, -1, v[4:5]
	s_orn2_b64 s[14:15], vcc, exec
.LBB27_1897:                            ;   in Loop: Header=BB27_1898 Depth=1
	s_or_b64 exec, exec, s[16:17]
	s_and_b64 s[12:13], exec, s[14:15]
	s_or_b64 s[0:1], s[12:13], s[0:1]
	s_andn2_b64 s[6:7], s[6:7], exec
	s_and_b64 s[12:13], s[10:11], exec
	s_or_b64 s[6:7], s[6:7], s[12:13]
	s_andn2_b64 exec, exec, s[0:1]
	s_cbranch_execz .LBB27_1901
.LBB27_1898:                            ; =>This Inner Loop Header: Depth=1
	s_cmpk_lt_i32 s18, 0x270f
	s_cselect_b64 s[12:13], -1, 0
	s_and_b64 vcc, exec, s[12:13]
	s_cbranch_vccnz .LBB27_1900
; %bb.1899:                             ;   in Loop: Header=BB27_1898 Depth=1
	s_trap 2
	ds_read_b64 v[4:5], v0
	s_andn2_b64 s[12:13], s[12:13], exec
	s_mov_b32 s18, 0
	s_waitcnt lgkmcnt(0)
	flat_load_dword v0, v[4:5] sc0 sc1
	s_waitcnt vmcnt(0) lgkmcnt(0)
	buffer_inv sc0 sc1
	v_cmp_eq_u32_e32 vcc, 0, v0
	s_and_b64 s[14:15], vcc, exec
	s_or_b64 s[12:13], s[12:13], s[14:15]
	s_mov_b64 s[14:15], -1
	s_or_b64 s[10:11], s[10:11], exec
	s_and_saveexec_b64 s[16:17], s[12:13]
	s_cbranch_execz .LBB27_1897
	s_branch .LBB27_1896
.LBB27_1900:                            ;   in Loop: Header=BB27_1898 Depth=1
	s_add_i32 s18, s18, 1
                                        ; implicit-def: $vgpr0
	s_mov_b64 s[14:15], -1
	s_or_b64 s[10:11], s[10:11], exec
	s_and_saveexec_b64 s[16:17], s[12:13]
	s_cbranch_execz .LBB27_1897
	s_branch .LBB27_1896
.LBB27_1901:
	s_or_b64 exec, exec, s[0:1]
	s_and_saveexec_b64 s[0:1], s[6:7]
	s_xor_b64 s[0:1], exec, s[0:1]
	s_cbranch_execz .LBB27_1903
; %bb.1902:
	ds_write_b32 v0, v0
	s_trap 2
.LBB27_1903:
	s_or_b64 exec, exec, s[4:5]
	v_and_b32_e32 v0, 0x2000, v108
	v_cmp_ne_u32_e32 vcc, 0, v0
	s_and_saveexec_b64 s[0:1], vcc
	s_cbranch_execz .LBB27_1905
; %bb.1904:
	s_trap 2
	scratch_load_dwordx2 v[4:5], off, s33 offset:208 ; 8-byte Folded Reload
	ds_read_b64 v[2:3], v0
	s_waitcnt vmcnt(0) lgkmcnt(0)
	flat_store_dwordx2 v[4:5], v[2:3] offset:16
.LBB27_1905:
	s_or_b64 exec, exec, s[0:1]
	v_cmp_ne_u32_e32 vcc, 64, v1
	s_and_b64 exec, exec, vcc
	s_cbranch_execz .LBB27_1923
; %bb.1906:
	s_waitcnt vmcnt(0)
	v_cmp_ne_u32_sdwa s[0:1], v1, v21 src0_sel:DWORD src1_sel:WORD_0
	s_and_saveexec_b64 s[4:5], s[0:1]
	s_xor_b64 s[0:1], exec, s[4:5]
	s_cbranch_execz .LBB27_1921
; %bb.1907:
	v_and_b32_e32 v0, 63, v31
	v_cmp_eq_u32_e32 vcc, 0, v0
	s_and_saveexec_b64 s[4:5], vcc
	s_cbranch_execz .LBB27_1920
; %bb.1908:
	s_mov_b64 s[10:11], exec
	v_mbcnt_lo_u32_b32 v0, s10, 0
	v_mbcnt_hi_u32_b32 v0, s11, v0
	v_cmp_eq_u32_e32 vcc, 0, v0
	s_waitcnt lgkmcnt(0)
	s_and_saveexec_b64 s[6:7], vcc
	s_cbranch_execz .LBB27_1910
; %bb.1909:
	s_bcnt1_i32_b64 s10, s[10:11]
	v_mov_b32_e32 v2, s10
	v_mov_b32_e32 v3, 0
	ds_add_u64 v0, v[2:3]
	s_trap 2
.LBB27_1910:
	s_or_b64 exec, exec, s[6:7]
	s_trap 2
	ds_read_b64 v[2:3], v0
	s_waitcnt lgkmcnt(0)
	v_lshrrev_b32_e32 v0, 6, v1
	v_mov_b32_e32 v1, 0
	v_lshl_add_u64 v[0:1], v[70:71], 0, v[0:1]
	v_cmp_lt_u64_e32 vcc, v[2:3], v[0:1]
	s_and_saveexec_b64 s[6:7], vcc
	s_cbranch_execz .LBB27_1919
; %bb.1911:
	s_mov_b32 s22, 0
	s_mov_b64 s[10:11], 0
                                        ; implicit-def: $sgpr12_sgpr13
                                        ; implicit-def: $sgpr14_sgpr15
	s_branch .LBB27_1913
.LBB27_1912:                            ;   in Loop: Header=BB27_1913 Depth=1
	s_or_b64 exec, exec, s[18:19]
	s_and_b64 s[16:17], exec, s[20:21]
	s_or_b64 s[10:11], s[16:17], s[10:11]
	s_andn2_b64 s[12:13], s[12:13], exec
	s_and_b64 s[16:17], s[14:15], exec
	s_or_b64 s[12:13], s[12:13], s[16:17]
	s_andn2_b64 exec, exec, s[10:11]
	s_cbranch_execz .LBB27_1917
.LBB27_1913:                            ; =>This Inner Loop Header: Depth=1
	s_add_i32 s22, s22, 1
	s_cmpk_lg_i32 s22, 0x2710
	s_cselect_b64 s[16:17], -1, 0
	s_and_b64 vcc, exec, s[16:17]
	s_cbranch_vccz .LBB27_1915
; %bb.1914:                             ;   in Loop: Header=BB27_1913 Depth=1
	s_mov_b64 s[20:21], -1
	s_or_b64 s[14:15], s[14:15], exec
	s_and_saveexec_b64 s[18:19], s[16:17]
	s_cbranch_execz .LBB27_1912
	s_branch .LBB27_1916
.LBB27_1915:                            ;   in Loop: Header=BB27_1913 Depth=1
	s_trap 2
	ds_read_b64 v[2:3], v0
	s_andn2_b64 s[16:17], s[16:17], exec
	s_mov_b32 s22, 0
	s_waitcnt lgkmcnt(0)
	flat_load_dword v2, v[2:3] sc0 sc1
	s_waitcnt vmcnt(0) lgkmcnt(0)
	buffer_inv sc0 sc1
	v_cmp_eq_u32_e32 vcc, 0, v2
	s_and_b64 s[18:19], vcc, exec
	s_or_b64 s[16:17], s[16:17], s[18:19]
	s_mov_b64 s[20:21], -1
	s_or_b64 s[14:15], s[14:15], exec
	s_and_saveexec_b64 s[18:19], s[16:17]
	s_cbranch_execz .LBB27_1912
.LBB27_1916:                            ;   in Loop: Header=BB27_1913 Depth=1
	s_sleep 1
	s_trap 2
	ds_read_b64 v[2:3], v0
	s_waitcnt lgkmcnt(0)
	s_andn2_b64 s[14:15], s[14:15], exec
	v_cmp_ge_u64_e32 vcc, v[2:3], v[0:1]
	s_orn2_b64 s[20:21], vcc, exec
	s_branch .LBB27_1912
.LBB27_1917:
	s_or_b64 exec, exec, s[10:11]
	s_and_saveexec_b64 s[10:11], s[12:13]
	s_xor_b64 s[10:11], exec, s[10:11]
	s_cbranch_execz .LBB27_1919
; %bb.1918:
	v_mov_b32_e32 v0, 1
	ds_write_b32 v0, v0
	s_trap 2
.LBB27_1919:
	s_or_b64 exec, exec, s[6:7]
	;;#ASMSTART
	s_wakeup
	;;#ASMEND
.LBB27_1920:
	s_or_b64 exec, exec, s[4:5]
.LBB27_1921:
	s_andn2_saveexec_b64 s[0:1], s[0:1]
	s_cbranch_execz .LBB27_1923
; %bb.1922:
	s_waitcnt lgkmcnt(0)
	s_barrier
.LBB27_1923:
	s_or_b64 exec, exec, s[2:3]
.LBB27_1924:
	s_andn2_saveexec_b64 s[22:23], s[42:43]
	s_cbranch_execz .LBB27_1926
; %bb.1925:
	s_getpc_b64 s[0:1]
	s_add_u32 s0, s0, __PRETTY_FUNCTION__._ZN10PrimitivesI12hip_bfloat1610FuncMinMaxIS0_E12FanSymmetricILi1EELi0E11ProtoSimpleILi2ELi2ELi0ELi4ELi0ELi0EELi0ELb0ELi0ELi0ELi0EEC2EiiPKiS9_PKvPvmhhhP15ncclDevWorkCollP14ncclDevWorkP2pii@rel32@lo+4
	s_addc_u32 s1, s1, __PRETTY_FUNCTION__._ZN10PrimitivesI12hip_bfloat1610FuncMinMaxIS0_E12FanSymmetricILi1EELi0E11ProtoSimpleILi2ELi2ELi0ELi4ELi0ELi0EELi0ELb0ELi0ELi0ELi0EEC2EiiPKiS9_PKvPvmhhhP15ncclDevWorkCollP14ncclDevWorkP2pii@rel32@hi+12
	s_getpc_b64 s[2:3]
	s_add_u32 s2, s2, __assert_fail@rel32@lo+4
	s_addc_u32 s3, s3, __assert_fail@rel32@hi+12
	v_mov_b32_e32 v0, s0
	v_mov_b32_e32 v1, s1
	s_swappc_b64 s[30:31], s[2:3]
	; divergent unreachable
.LBB27_1926:
	s_or_b64 exec, exec, s[22:23]
	scratch_load_dword v126, off, s33       ; 4-byte Folded Reload
	scratch_load_dword v125, off, s33 offset:4 ; 4-byte Folded Reload
	scratch_load_dword v124, off, s33 offset:8 ; 4-byte Folded Reload
	;; [unrolled: 1-line block ×46, first 2 shown]
	v_readlane_b32 s30, v127, 31
	v_readlane_b32 s31, v127, 32
	;; [unrolled: 1-line block ×33, first 2 shown]
	s_mov_b32 s32, s33
	v_readlane_b32 s0, v127, 33
	s_or_saveexec_b64 s[2:3], -1
	scratch_load_dword v127, off, s33 offset:216 ; 4-byte Folded Reload
	s_mov_b64 exec, s[2:3]
	s_mov_b32 s33, s0
	s_waitcnt vmcnt(0) lgkmcnt(0)
	s_setpc_b64 s[30:31]
.Lfunc_end27:
	.size	_ZN12_GLOBAL__N_17runRingI12hip_bfloat1610FuncMinMaxIS1_E11ProtoSimpleILi2ELi2ELi0ELi4ELi0ELi0EELi0ELi0ELi4ELi0EEEviiP15ncclDevWorkColl, .Lfunc_end27-_ZN12_GLOBAL__N_17runRingI12hip_bfloat1610FuncMinMaxIS1_E11ProtoSimpleILi2ELi2ELi0ELi4ELi0ELi0EELi0ELi0ELi4ELi0EEEviiP15ncclDevWorkColl
                                        ; -- End function
	.set .L_ZN12_GLOBAL__N_17runRingI12hip_bfloat1610FuncMinMaxIS1_E11ProtoSimpleILi2ELi2ELi0ELi4ELi0ELi0EELi0ELi0ELi4ELi0EEEviiP15ncclDevWorkColl.num_vgpr, max(128, .L__assert_fail.num_vgpr)
	.set .L_ZN12_GLOBAL__N_17runRingI12hip_bfloat1610FuncMinMaxIS1_E11ProtoSimpleILi2ELi2ELi0ELi4ELi0ELi0EELi0ELi0ELi4ELi0EEEviiP15ncclDevWorkColl.num_agpr, max(0, .L__assert_fail.num_agpr)
	.set .L_ZN12_GLOBAL__N_17runRingI12hip_bfloat1610FuncMinMaxIS1_E11ProtoSimpleILi2ELi2ELi0ELi4ELi0ELi0EELi0ELi0ELi4ELi0EEEviiP15ncclDevWorkColl.numbered_sgpr, max(97, .L__assert_fail.numbered_sgpr)
	.set .L_ZN12_GLOBAL__N_17runRingI12hip_bfloat1610FuncMinMaxIS1_E11ProtoSimpleILi2ELi2ELi0ELi4ELi0ELi0EELi0ELi0ELi4ELi0EEEviiP15ncclDevWorkColl.num_named_barrier, max(0, .L__assert_fail.num_named_barrier)
	.set .L_ZN12_GLOBAL__N_17runRingI12hip_bfloat1610FuncMinMaxIS1_E11ProtoSimpleILi2ELi2ELi0ELi4ELi0ELi0EELi0ELi0ELi4ELi0EEEviiP15ncclDevWorkColl.private_seg_size, 224+max(.L__assert_fail.private_seg_size)
	.set .L_ZN12_GLOBAL__N_17runRingI12hip_bfloat1610FuncMinMaxIS1_E11ProtoSimpleILi2ELi2ELi0ELi4ELi0ELi0EELi0ELi0ELi4ELi0EEEviiP15ncclDevWorkColl.uses_vcc, or(1, .L__assert_fail.uses_vcc)
	.set .L_ZN12_GLOBAL__N_17runRingI12hip_bfloat1610FuncMinMaxIS1_E11ProtoSimpleILi2ELi2ELi0ELi4ELi0ELi0EELi0ELi0ELi4ELi0EEEviiP15ncclDevWorkColl.uses_flat_scratch, or(0, .L__assert_fail.uses_flat_scratch)
	.set .L_ZN12_GLOBAL__N_17runRingI12hip_bfloat1610FuncMinMaxIS1_E11ProtoSimpleILi2ELi2ELi0ELi4ELi0ELi0EELi0ELi0ELi4ELi0EEEviiP15ncclDevWorkColl.has_dyn_sized_stack, or(0, .L__assert_fail.has_dyn_sized_stack)
	.set .L_ZN12_GLOBAL__N_17runRingI12hip_bfloat1610FuncMinMaxIS1_E11ProtoSimpleILi2ELi2ELi0ELi4ELi0ELi0EELi0ELi0ELi4ELi0EEEviiP15ncclDevWorkColl.has_recursion, or(1, .L__assert_fail.has_recursion)
	.set .L_ZN12_GLOBAL__N_17runRingI12hip_bfloat1610FuncMinMaxIS1_E11ProtoSimpleILi2ELi2ELi0ELi4ELi0ELi0EELi0ELi0ELi4ELi0EEEviiP15ncclDevWorkColl.has_indirect_call, or(0, .L__assert_fail.has_indirect_call)
	.section	.AMDGPU.csdata,"",@progbits
; Function info:
; codeLenInByte = 58368
; TotalNumSgprs: 103
; NumVgprs: 128
; NumAgprs: 0
; TotalNumVgprs: 128
; ScratchSize: 288
; MemoryBound: 1
	.text
	.p2align	2                               ; -- Begin function _Z51ncclDevFunc_AllReduce_RING_SIMPLE_MinMax_bf16_0_0_4v
	.type	_Z51ncclDevFunc_AllReduce_RING_SIMPLE_MinMax_bf16_0_0_4v,@function
_Z51ncclDevFunc_AllReduce_RING_SIMPLE_MinMax_bf16_0_0_4v: ; @_Z51ncclDevFunc_AllReduce_RING_SIMPLE_MinMax_bf16_0_0_4v
; %bb.0:
	s_waitcnt vmcnt(0) expcnt(0) lgkmcnt(0)
	s_mov_b32 s0, s33
	s_mov_b32 s33, s32
	s_or_saveexec_b64 s[2:3], -1
	scratch_store_dword off, v44, s33 offset:20 ; 4-byte Folded Spill
	scratch_store_dword off, v45, s33 offset:24 ; 4-byte Folded Spill
	s_mov_b64 exec, s[2:3]
	v_writelane_b32 v45, s0, 38
	v_writelane_b32 v45, s100, 36
	;; [unrolled: 1-line block ×3, first 2 shown]
	s_add_i32 s32, s32, 32
	scratch_store_dword off, v40, s33 offset:12 ; 4-byte Folded Spill
	scratch_store_dword off, v41, s33 offset:8 ; 4-byte Folded Spill
	;; [unrolled: 1-line block ×3, first 2 shown]
	scratch_store_dword off, v43, s33       ; 4-byte Folded Spill
	v_writelane_b32 v45, s34, 0
	v_writelane_b32 v45, s35, 1
	v_writelane_b32 v45, s36, 2
	v_writelane_b32 v45, s37, 3
	v_writelane_b32 v45, s38, 4
	v_writelane_b32 v45, s39, 5
	v_writelane_b32 v45, s48, 6
	v_writelane_b32 v45, s49, 7
	v_writelane_b32 v45, s50, 8
	v_writelane_b32 v45, s51, 9
	v_writelane_b32 v45, s52, 10
	v_writelane_b32 v45, s53, 11
	v_writelane_b32 v45, s54, 12
	v_writelane_b32 v45, s55, 13
	v_writelane_b32 v45, s64, 14
	v_writelane_b32 v45, s65, 15
	v_writelane_b32 v45, s66, 16
	v_writelane_b32 v45, s67, 17
	v_writelane_b32 v45, s68, 18
	v_writelane_b32 v45, s69, 19
	v_writelane_b32 v45, s70, 20
	v_writelane_b32 v45, s71, 21
	v_writelane_b32 v45, s80, 22
	v_writelane_b32 v45, s81, 23
	v_writelane_b32 v45, s82, 24
	v_writelane_b32 v45, s83, 25
	v_writelane_b32 v45, s84, 26
	v_writelane_b32 v45, s85, 27
	v_writelane_b32 v45, s86, 28
	v_writelane_b32 v45, s87, 29
	v_writelane_b32 v45, s96, 30
	v_writelane_b32 v45, s97, 31
	v_writelane_b32 v45, s98, 32
	v_writelane_b32 v45, s99, 33
	v_writelane_b32 v45, s30, 34
	s_nop 1
	v_writelane_b32 v45, s31, 35
	s_trap 2
	ds_read_b32 v0, v0
	v_mov_b32_e32 v40, v31
                                        ; implicit-def: $vgpr44 : SGPR spill to VGPR lane
	v_and_b32_e32 v41, 0x3ff, v40
	s_mov_b32 s96, s12
	v_writelane_b32 v44, s8, 0
	s_waitcnt lgkmcnt(0)
	v_cmp_lt_i32_e32 vcc, v41, v0
	v_writelane_b32 v44, s9, 1
	s_and_saveexec_b64 s[0:1], vcc
	s_cbranch_execz .LBB28_5
; %bb.1:
	v_readlane_b32 s4, v44, 0
	v_readlane_b32 s5, v44, 1
	s_load_dword s2, s[4:5], 0x0
	v_mov_b32_e32 v1, 0
	s_mov_b32 s6, 0
	v_mov_b32_e32 v4, v41
                                        ; implicit-def: $vgpr2
	s_waitcnt lgkmcnt(0)
	s_cmp_lt_u32 s96, s2
	s_cselect_b32 s2, 12, 18
	s_add_u32 s2, s4, s2
	s_addc_u32 s3, s5, 0
	global_load_ushort v1, v1, s[2:3]
	s_trap 2
	ds_read_b32 v3, v0
	s_mov_b64 s[2:3], 0
	s_waitcnt vmcnt(0) lgkmcnt(0)
	v_mul_lo_u32 v3, v3, v1
	s_branch .LBB28_3
.LBB28_2:                               ;   in Loop: Header=BB28_3 Depth=1
	s_or_b64 exec, exec, s[4:5]
	v_add_u32_e32 v4, v4, v1
	v_cmp_ge_i32_e32 vcc, v4, v0
	s_or_b64 s[2:3], vcc, s[2:3]
	v_add_u32_e32 v2, v2, v3
	s_andn2_b64 exec, exec, s[2:3]
	s_cbranch_execz .LBB28_5
.LBB28_3:                               ; =>This Inner Loop Header: Depth=1
	ds_read_b32 v5, v2
	s_waitcnt lgkmcnt(0)
	v_and_b32_e32 v5, 0x1000000, v5
	v_cmp_ne_u32_e32 vcc, 0, v5
	s_and_saveexec_b64 s[4:5], vcc
	s_cbranch_execz .LBB28_2
; %bb.4:                                ;   in Loop: Header=BB28_3 Depth=1
	ds_read_b64 v[6:7], v2 offset:104
	s_waitcnt lgkmcnt(0)
	flat_load_ushort v5, v[6:7]
	v_mov_b32_e32 v7, s6
	s_waitcnt vmcnt(0) lgkmcnt(0)
	v_and_b32_e32 v6, 0xffff, v5
	ds_write_b64 v2, v[6:7] offset:104
	s_branch .LBB28_2
.LBB28_5:
	s_or_b64 exec, exec, s[0:1]
	s_waitcnt lgkmcnt(0)
	s_barrier
	s_trap 2
	ds_read_b32 v0, v0
	s_waitcnt lgkmcnt(0)
	v_cmp_gt_i32_e32 vcc, 1, v0
	s_cbranch_vccnz .LBB28_16
; %bb.6:
	s_mov_b32 s97, 0
	v_mov_b32_e32 v43, 6
	v_writelane_b32 v44, s96, 2
	s_or_saveexec_b64 s[100:101], -1
	scratch_store_dword off, v44, s33 offset:16 ; 4-byte Folded Spill
	s_mov_b64 exec, s[100:101]
	s_branch .LBB28_8
.LBB28_7:                               ;   in Loop: Header=BB28_8 Depth=1
	s_or_b64 exec, exec, s[98:99]
	s_trap 2
	ds_read_b32 v0, v0
	s_add_i32 s97, s97, 1
	s_waitcnt lgkmcnt(0)
	v_cmp_lt_i32_e32 vcc, s97, v0
	s_cbranch_vccz .LBB28_16
.LBB28_8:                               ; =>This Inner Loop Header: Depth=1
	s_trap 2
	ds_read_b32 v0, v0
	s_cmp_eq_u32 s97, 0
	s_cbranch_scc1 .LBB28_11
; %bb.9:                                ;   in Loop: Header=BB28_8 Depth=1
	s_trap 2
	s_waitcnt lgkmcnt(0)
	ds_read_b32 v1, v0
	s_waitcnt lgkmcnt(0)
	v_xor_b32_e32 v1, v1, v0
	v_and_b32_e32 v1, 0xff0000, v1
	v_cmp_eq_u32_e32 vcc, 0, v1
	s_cbranch_vccnz .LBB28_11
; %bb.10:                               ;   in Loop: Header=BB28_8 Depth=1
	s_barrier
	ds_read_b32 v0, v0
.LBB28_11:                              ;   in Loop: Header=BB28_8 Depth=1
	s_waitcnt lgkmcnt(0)
	v_lshlrev_b32_sdwa v42, v43, v0 dst_sel:DWORD dst_unused:UNUSED_PAD src0_sel:DWORD src1_sel:BYTE_2
	v_cmp_lt_u32_e32 vcc, v41, v42
	s_and_saveexec_b64 s[98:99], vcc
	s_cbranch_execz .LBB28_7
; %bb.12:                               ;   in Loop: Header=BB28_8 Depth=1
	v_cmp_lt_i32_e32 vcc, -1, v0
	s_mov_b64 s[86:87], src_shared_base
	s_mov_b64 s[0:1], -1
	s_cbranch_vccnz .LBB28_14
; %bb.13:                               ;   in Loop: Header=BB28_8 Depth=1
	v_readlane_b32 s8, v44, 0
	s_getpc_b64 s[0:1]
	s_add_u32 s0, s0, _ZN12_GLOBAL__N_17runRingI12hip_bfloat1610FuncMinMaxIS1_E11ProtoSimpleILi1ELi4ELi0ELi4ELi0ELi0EELi0ELi0ELi4ELi0EEEviiP15ncclDevWorkColl@rel32@lo+4
	s_addc_u32 s1, s1, _ZN12_GLOBAL__N_17runRingI12hip_bfloat1610FuncMinMaxIS1_E11ProtoSimpleILi1ELi4ELi0ELi4ELi0ELi0EELi0ELi0ELi4ELi0EEEviiP15ncclDevWorkColl@rel32@hi+12
	v_readlane_b32 s9, v44, 1
	s_mov_b32 s12, s96
	v_mov_b32_e32 v31, v40
	v_mov_b32_e32 v0, v41
	;; [unrolled: 1-line block ×4, first 2 shown]
	s_swappc_b64 s[30:31], s[0:1]
	s_mov_b64 s[0:1], 0
.LBB28_14:                              ;   in Loop: Header=BB28_8 Depth=1
	s_andn2_b64 vcc, exec, s[0:1]
	s_cbranch_vccnz .LBB28_7
; %bb.15:                               ;   in Loop: Header=BB28_8 Depth=1
	v_readlane_b32 s8, v44, 0
	s_getpc_b64 s[0:1]
	s_add_u32 s0, s0, _ZN12_GLOBAL__N_17runRingI12hip_bfloat1610FuncMinMaxIS1_E11ProtoSimpleILi2ELi2ELi0ELi4ELi0ELi0EELi0ELi0ELi4ELi0EEEviiP15ncclDevWorkColl@rel32@lo+4
	s_addc_u32 s1, s1, _ZN12_GLOBAL__N_17runRingI12hip_bfloat1610FuncMinMaxIS1_E11ProtoSimpleILi2ELi2ELi0ELi4ELi0ELi0EELi0ELi0ELi4ELi0EEEviiP15ncclDevWorkColl@rel32@hi+12
	v_readlane_b32 s9, v44, 1
	s_mov_b32 s12, s96
	v_mov_b32_e32 v31, v40
	v_mov_b32_e32 v0, v41
	;; [unrolled: 1-line block ×4, first 2 shown]
	s_swappc_b64 s[30:31], s[0:1]
	s_or_saveexec_b64 s[100:101], -1
	scratch_load_dword v44, off, s33 offset:16 ; 4-byte Folded Reload
	s_mov_b64 exec, s[100:101]
	s_waitcnt vmcnt(0)
	v_readlane_b32 s96, v44, 2
	s_branch .LBB28_7
.LBB28_16:
	scratch_load_dword v43, off, s33        ; 4-byte Folded Reload
	scratch_load_dword v42, off, s33 offset:4 ; 4-byte Folded Reload
	scratch_load_dword v41, off, s33 offset:8 ; 4-byte Folded Reload
	;; [unrolled: 1-line block ×3, first 2 shown]
	v_readlane_b32 s30, v45, 34
	v_readlane_b32 s31, v45, 35
	;; [unrolled: 1-line block ×36, first 2 shown]
	s_mov_b32 s32, s33
	v_readlane_b32 s0, v45, 38
	v_readlane_b32 s100, v45, 36
	v_readlane_b32 s101, v45, 37
	s_or_saveexec_b64 s[2:3], -1
	scratch_load_dword v44, off, s33 offset:20 ; 4-byte Folded Reload
	scratch_load_dword v45, off, s33 offset:24 ; 4-byte Folded Reload
	s_mov_b64 exec, s[2:3]
	s_mov_b32 s33, s0
	s_waitcnt vmcnt(0)
	s_setpc_b64 s[30:31]
.Lfunc_end28:
	.size	_Z51ncclDevFunc_AllReduce_RING_SIMPLE_MinMax_bf16_0_0_4v, .Lfunc_end28-_Z51ncclDevFunc_AllReduce_RING_SIMPLE_MinMax_bf16_0_0_4v
                                        ; -- End function
	.set .L_Z51ncclDevFunc_AllReduce_RING_SIMPLE_MinMax_bf16_0_0_4v.num_vgpr, max(46, .L_ZN12_GLOBAL__N_17runRingI12hip_bfloat1610FuncMinMaxIS1_E11ProtoSimpleILi1ELi4ELi0ELi4ELi0ELi0EELi0ELi0ELi4ELi0EEEviiP15ncclDevWorkColl.num_vgpr, .L_ZN12_GLOBAL__N_17runRingI12hip_bfloat1610FuncMinMaxIS1_E11ProtoSimpleILi2ELi2ELi0ELi4ELi0ELi0EELi0ELi0ELi4ELi0EEEviiP15ncclDevWorkColl.num_vgpr)
	.set .L_Z51ncclDevFunc_AllReduce_RING_SIMPLE_MinMax_bf16_0_0_4v.num_agpr, max(0, .L_ZN12_GLOBAL__N_17runRingI12hip_bfloat1610FuncMinMaxIS1_E11ProtoSimpleILi1ELi4ELi0ELi4ELi0ELi0EELi0ELi0ELi4ELi0EEEviiP15ncclDevWorkColl.num_agpr, .L_ZN12_GLOBAL__N_17runRingI12hip_bfloat1610FuncMinMaxIS1_E11ProtoSimpleILi2ELi2ELi0ELi4ELi0ELi0EELi0ELi0ELi4ELi0EEEviiP15ncclDevWorkColl.num_agpr)
	.set .L_Z51ncclDevFunc_AllReduce_RING_SIMPLE_MinMax_bf16_0_0_4v.numbered_sgpr, max(102, .L_ZN12_GLOBAL__N_17runRingI12hip_bfloat1610FuncMinMaxIS1_E11ProtoSimpleILi1ELi4ELi0ELi4ELi0ELi0EELi0ELi0ELi4ELi0EEEviiP15ncclDevWorkColl.numbered_sgpr, .L_ZN12_GLOBAL__N_17runRingI12hip_bfloat1610FuncMinMaxIS1_E11ProtoSimpleILi2ELi2ELi0ELi4ELi0ELi0EELi0ELi0ELi4ELi0EEEviiP15ncclDevWorkColl.numbered_sgpr)
	.set .L_Z51ncclDevFunc_AllReduce_RING_SIMPLE_MinMax_bf16_0_0_4v.num_named_barrier, max(0, .L_ZN12_GLOBAL__N_17runRingI12hip_bfloat1610FuncMinMaxIS1_E11ProtoSimpleILi1ELi4ELi0ELi4ELi0ELi0EELi0ELi0ELi4ELi0EEEviiP15ncclDevWorkColl.num_named_barrier, .L_ZN12_GLOBAL__N_17runRingI12hip_bfloat1610FuncMinMaxIS1_E11ProtoSimpleILi2ELi2ELi0ELi4ELi0ELi0EELi0ELi0ELi4ELi0EEEviiP15ncclDevWorkColl.num_named_barrier)
	.set .L_Z51ncclDevFunc_AllReduce_RING_SIMPLE_MinMax_bf16_0_0_4v.private_seg_size, 32+max(.L_ZN12_GLOBAL__N_17runRingI12hip_bfloat1610FuncMinMaxIS1_E11ProtoSimpleILi1ELi4ELi0ELi4ELi0ELi0EELi0ELi0ELi4ELi0EEEviiP15ncclDevWorkColl.private_seg_size, .L_ZN12_GLOBAL__N_17runRingI12hip_bfloat1610FuncMinMaxIS1_E11ProtoSimpleILi2ELi2ELi0ELi4ELi0ELi0EELi0ELi0ELi4ELi0EEEviiP15ncclDevWorkColl.private_seg_size)
	.set .L_Z51ncclDevFunc_AllReduce_RING_SIMPLE_MinMax_bf16_0_0_4v.uses_vcc, or(1, .L_ZN12_GLOBAL__N_17runRingI12hip_bfloat1610FuncMinMaxIS1_E11ProtoSimpleILi1ELi4ELi0ELi4ELi0ELi0EELi0ELi0ELi4ELi0EEEviiP15ncclDevWorkColl.uses_vcc, .L_ZN12_GLOBAL__N_17runRingI12hip_bfloat1610FuncMinMaxIS1_E11ProtoSimpleILi2ELi2ELi0ELi4ELi0ELi0EELi0ELi0ELi4ELi0EEEviiP15ncclDevWorkColl.uses_vcc)
	.set .L_Z51ncclDevFunc_AllReduce_RING_SIMPLE_MinMax_bf16_0_0_4v.uses_flat_scratch, or(0, .L_ZN12_GLOBAL__N_17runRingI12hip_bfloat1610FuncMinMaxIS1_E11ProtoSimpleILi1ELi4ELi0ELi4ELi0ELi0EELi0ELi0ELi4ELi0EEEviiP15ncclDevWorkColl.uses_flat_scratch, .L_ZN12_GLOBAL__N_17runRingI12hip_bfloat1610FuncMinMaxIS1_E11ProtoSimpleILi2ELi2ELi0ELi4ELi0ELi0EELi0ELi0ELi4ELi0EEEviiP15ncclDevWorkColl.uses_flat_scratch)
	.set .L_Z51ncclDevFunc_AllReduce_RING_SIMPLE_MinMax_bf16_0_0_4v.has_dyn_sized_stack, or(0, .L_ZN12_GLOBAL__N_17runRingI12hip_bfloat1610FuncMinMaxIS1_E11ProtoSimpleILi1ELi4ELi0ELi4ELi0ELi0EELi0ELi0ELi4ELi0EEEviiP15ncclDevWorkColl.has_dyn_sized_stack, .L_ZN12_GLOBAL__N_17runRingI12hip_bfloat1610FuncMinMaxIS1_E11ProtoSimpleILi2ELi2ELi0ELi4ELi0ELi0EELi0ELi0ELi4ELi0EEEviiP15ncclDevWorkColl.has_dyn_sized_stack)
	.set .L_Z51ncclDevFunc_AllReduce_RING_SIMPLE_MinMax_bf16_0_0_4v.has_recursion, or(1, .L_ZN12_GLOBAL__N_17runRingI12hip_bfloat1610FuncMinMaxIS1_E11ProtoSimpleILi1ELi4ELi0ELi4ELi0ELi0EELi0ELi0ELi4ELi0EEEviiP15ncclDevWorkColl.has_recursion, .L_ZN12_GLOBAL__N_17runRingI12hip_bfloat1610FuncMinMaxIS1_E11ProtoSimpleILi2ELi2ELi0ELi4ELi0ELi0EELi0ELi0ELi4ELi0EEEviiP15ncclDevWorkColl.has_recursion)
	.set .L_Z51ncclDevFunc_AllReduce_RING_SIMPLE_MinMax_bf16_0_0_4v.has_indirect_call, or(0, .L_ZN12_GLOBAL__N_17runRingI12hip_bfloat1610FuncMinMaxIS1_E11ProtoSimpleILi1ELi4ELi0ELi4ELi0ELi0EELi0ELi0ELi4ELi0EEEviiP15ncclDevWorkColl.has_indirect_call, .L_ZN12_GLOBAL__N_17runRingI12hip_bfloat1610FuncMinMaxIS1_E11ProtoSimpleILi2ELi2ELi0ELi4ELi0ELi0EELi0ELi0ELi4ELi0EEEviiP15ncclDevWorkColl.has_indirect_call)
	.section	.AMDGPU.csdata,"",@progbits
; Function info:
; codeLenInByte = 1416
; TotalNumSgprs: 108
; NumVgprs: 128
; NumAgprs: 0
; TotalNumVgprs: 128
; ScratchSize: 320
; MemoryBound: 0
	.text
	.p2align	2                               ; -- Begin function _ZN12_GLOBAL__N_17runRingI12hip_bfloat1610FuncMinMaxIS1_E11ProtoSimpleILi1ELi4ELi0ELi4ELi0ELi0EELi0ELi0ELi4ELi1EEEviiP15ncclDevWorkColl
	.type	_ZN12_GLOBAL__N_17runRingI12hip_bfloat1610FuncMinMaxIS1_E11ProtoSimpleILi1ELi4ELi0ELi4ELi0ELi0EELi0ELi0ELi4ELi1EEEviiP15ncclDevWorkColl,@function
_ZN12_GLOBAL__N_17runRingI12hip_bfloat1610FuncMinMaxIS1_E11ProtoSimpleILi1ELi4ELi0ELi4ELi0ELi0EELi0ELi0ELi4ELi1EEEviiP15ncclDevWorkColl: ; @_ZN12_GLOBAL__N_17runRingI12hip_bfloat1610FuncMinMaxIS1_E11ProtoSimpleILi1ELi4ELi0ELi4ELi0ELi0EELi0ELi0ELi4ELi1EEEviiP15ncclDevWorkColl
; %bb.0:
	s_waitcnt vmcnt(0) expcnt(0) lgkmcnt(0)
	s_mov_b32 s0, s33
	s_mov_b32 s33, s32
	s_or_saveexec_b64 s[2:3], -1
	scratch_store_dword off, v127, s33 offset:464 ; 4-byte Folded Spill
	scratch_store_dword off, v126, s33 offset:468 ; 4-byte Folded Spill
	s_mov_b64 exec, s[2:3]
	v_writelane_b32 v127, s0, 34
	s_addk_i32 s32, 0x1e0
	scratch_store_dword off, v40, s33 offset:180 ; 4-byte Folded Spill
	scratch_store_dword off, v41, s33 offset:176 ; 4-byte Folded Spill
	;; [unrolled: 1-line block ×45, first 2 shown]
	scratch_store_dword off, v125, s33      ; 4-byte Folded Spill
	v_writelane_b32 v127, s34, 0
	v_writelane_b32 v127, s35, 1
	;; [unrolled: 1-line block ×33, first 2 shown]
	s_nop 1
	v_writelane_b32 v127, s31, 33
	s_trap 2
	flat_load_dword v5, v[2:3]
	ds_read_b32 v6, v0
	v_mov_b32_e32 v18, v1
	s_mov_b64 s[24:25], s[8:9]
                                        ; implicit-def: $vgpr20_vgpr21
                                        ; implicit-def: $vgpr120_vgpr121
                                        ; implicit-def: $vgpr66_vgpr67
	s_waitcnt lgkmcnt(0)
	v_readfirstlane_b32 s64, v6
	s_waitcnt vmcnt(0)
	v_cmp_ne_u32_sdwa s[0:1], v6, v5 src0_sel:DWORD src1_sel:BYTE_0
	s_and_saveexec_b64 s[2:3], s[0:1]
	s_xor_b64 s[0:1], exec, s[2:3]
	s_cbranch_execz .LBB29_6
; %bb.1:
	v_not_b32_sdwa v4, v5 dst_sel:DWORD dst_unused:UNUSED_PAD src0_sel:BYTE_0
	v_cmp_ne_u32_sdwa s[2:3], v6, v5 src0_sel:DWORD src1_sel:BYTE_1
                                        ; implicit-def: $vgpr20_vgpr21
                                        ; implicit-def: $vgpr120_vgpr121
                                        ; implicit-def: $vgpr66_vgpr67
	s_and_saveexec_b64 s[4:5], s[2:3]
	s_xor_b64 s[2:3], exec, s[4:5]
	s_cbranch_execz .LBB29_3
; %bb.2:
	flat_load_dwordx4 v[8:11], v[2:3] offset:72
	flat_load_dwordx2 v[12:13], v[2:3] offset:96
	v_add_u32_e32 v4, v6, v4
	v_ashrrev_i32_e32 v5, 31, v4
	s_waitcnt vmcnt(0) lgkmcnt(0)
	v_mul_lo_u32 v5, v10, v5
	v_mad_u64_u32 v[120:121], s[4:5], v10, v4, v[8:9]
	v_mul_lo_u32 v4, v11, v4
	v_lshrrev_b64 v[20:21], 13, v[12:13]
	v_add3_u32 v121, v4, v121, v5
	v_mov_b64_e32 v[66:67], v[10:11]
                                        ; implicit-def: $vgpr5
                                        ; implicit-def: $vgpr4
.LBB29_3:
	s_andn2_saveexec_b64 s[2:3], s[2:3]
	s_cbranch_execz .LBB29_5
; %bb.4:
	flat_load_dwordx4 v[6:9], v[2:3] offset:72
	flat_load_dwordx4 v[66:69], v[2:3] offset:88
	v_add_u32_sdwa v4, v5, v4 dst_sel:DWORD dst_unused:UNUSED_PAD src0_sel:BYTE_1 src1_sel:DWORD
	v_ashrrev_i32_e32 v1, 31, v4
	s_waitcnt vmcnt(0) lgkmcnt(0)
	v_mul_lo_u32 v1, v8, v1
	v_mad_u64_u32 v[120:121], s[4:5], v8, v4, v[6:7]
	v_mul_lo_u32 v4, v9, v4
	v_add3_u32 v121, v4, v121, v1
	v_lshrrev_b32_e32 v20, 2, v69
.LBB29_5:
	s_or_b64 exec, exec, s[2:3]
.LBB29_6:
	s_andn2_saveexec_b64 s[0:1], s[0:1]
	s_cbranch_execz .LBB29_8
; %bb.7:
	flat_load_dwordx2 v[4:5], v[2:3] offset:96
	flat_load_dwordx2 v[66:67], v[2:3] offset:72
	v_mov_b64_e32 v[120:121], 0
	s_waitcnt vmcnt(0) lgkmcnt(0)
	v_lshlrev_b64 v[20:21], 8, v[4:5]
.LBB29_8:
	s_or_b64 exec, exec, s[0:1]
	s_trap 2
	ds_read_b64 v[4:5], v0
	s_waitcnt lgkmcnt(0)
	v_cmp_ne_u32_e32 vcc, -1, v4
	s_nop 1
	v_cndmask_b32_e64 v16, 0, 1, vcc
	v_cmp_ne_u32_e32 vcc, -1, v5
	s_nop 1
	v_addc_co_u32_e64 v1, s[0:1], 0, v16, vcc
	v_lshlrev_b32_e32 v4, 1, v1
	v_cmp_le_u32_e64 s[0:1], v4, v18
	s_and_saveexec_b64 s[2:3], s[0:1]
	s_xor_b64 s[2:3], exec, s[2:3]
                                        ; implicit-def: $vgpr126 : SGPR spill to VGPR lane
	v_writelane_b32 v126, s2, 0
	s_nop 1
	v_writelane_b32 v126, s3, 1
	s_cbranch_execz .LBB29_3522
; %bb.9:
	flat_load_dwordx4 v[10:13], v[2:3] offset:16
	flat_load_dwordx2 v[4:5], v[2:3] offset:104
	flat_load_ushort v7, v[2:3] offset:8
	flat_load_dword v6, v[2:3] offset:4
	s_trap 2
	s_load_dword s0, s[24:25], 0x0
	v_mov_b32_e32 v8, 0
	v_mov_b32_e32 v110, 4
	s_waitcnt lgkmcnt(0)
	s_cmp_lt_u32 s12, s0
	s_cselect_b32 s0, 12, 18
	s_add_u32 s0, s24, s0
	s_addc_u32 s1, s25, 0
	global_load_ushort v19, v8, s[0:1]
	ds_read_b32 v8, v0
	v_cmp_ge_u32_e64 s[0:1], v0, v16
	s_waitcnt lgkmcnt(0)
	v_readfirstlane_b32 s22, v8
	s_and_saveexec_b64 s[2:3], s[0:1]
	s_cbranch_execz .LBB29_19
; %bb.10:
	v_cmp_ge_u32_e64 s[0:1], v0, v1
                                        ; implicit-def: $vgpr110
	s_and_saveexec_b64 s[4:5], s[0:1]
	s_xor_b64 s[0:1], exec, s[4:5]
	s_cbranch_execz .LBB29_16
; %bb.11:
	v_cndmask_b32_e64 v8, 0, 1, vcc
	v_sub_u32_e32 v8, v18, v8
	v_cmp_ge_u32_e32 vcc, v0, v8
	s_and_saveexec_b64 s[4:5], vcc
	s_xor_b64 s[4:5], exec, s[4:5]
; %bb.12:
                                        ; implicit-def: $vgpr1
; %bb.13:
	s_or_saveexec_b64 s[4:5], s[4:5]
	v_mov_b32_e32 v110, 16
	s_xor_b64 exec, exec, s[4:5]
; %bb.14:
	v_sub_u32_e32 v1, v18, v1
	v_cmp_lt_i32_e32 vcc, v0, v1
	s_nop 1
	v_cndmask_b32_e64 v110, 32, 0, vcc
; %bb.15:
	s_or_b64 exec, exec, s[4:5]
.LBB29_16:
	s_andn2_saveexec_b64 s[0:1], s[0:1]
; %bb.17:
	v_mov_b32_e32 v110, 8
; %bb.18:
	s_or_b64 exec, exec, s[0:1]
.LBB29_19:
	s_or_b64 exec, exec, s[2:3]
	v_and_b32_e32 v1, 36, v110
	v_cmp_ne_u32_e32 vcc, 0, v1
	v_mov_b32_e32 v8, -1
	s_and_saveexec_b64 s[0:1], vcc
	s_cbranch_execz .LBB29_21
; %bb.20:
	s_trap 2
	ds_read_b32 v8, v0
.LBB29_21:
	s_or_b64 exec, exec, s[0:1]
	v_and_b32_e32 v1, 24, v110
	v_cmp_ne_u32_e64 s[0:1], 0, v1
	s_and_saveexec_b64 s[2:3], s[0:1]
	s_cbranch_execz .LBB29_23
; %bb.22:
	s_trap 2
	s_waitcnt lgkmcnt(0)
	ds_read_b32 v8, v0
.LBB29_23:
	s_or_b64 exec, exec, s[2:3]
	s_waitcnt vmcnt(0)
	v_lshrrev_b64 v[6:7], 31, v[6:7]
	v_and_b32_e32 v1, 3, v6
	v_mov_b64_e32 v[6:7], 0
	scratch_store_dwordx2 off, v[6:7], s33 offset:420 ; 8-byte Folded Spill
                                        ; implicit-def: $vgpr6_vgpr7
                                        ; kill: killed $vgpr6_vgpr7
                                        ; implicit-def: $vgpr6
	s_waitcnt lgkmcnt(0)
	v_ashrrev_i32_e32 v9, 31, v8
	scratch_store_dwordx2 off, v[6:7], s33 offset:324 ; 8-byte Folded Spill
	v_mov_b64_e32 v[6:7], 0
                                        ; implicit-def: $vgpr124_vgpr125
	scratch_store_dwordx4 off, v[6:9], s33 offset:288 ; 16-byte Folded Spill
                                        ; implicit-def: $vgpr6_vgpr7
                                        ; kill: killed $vgpr6_vgpr7
                                        ; implicit-def: $vgpr56_vgpr57
                                        ; implicit-def: $vgpr40_vgpr41
	s_and_saveexec_b64 s[0:1], vcc
	s_cbranch_execz .LBB29_33
; %bb.24:
	s_trap 2
	ds_read_b64 v[6:7], v0
	v_and_b32_e32 v14, 0xffff, v1
	s_movk_i32 s2, 0xa8
	s_waitcnt lgkmcnt(0)
	v_lshl_add_u64 v[6:7], v[8:9], 3, v[6:7]
	flat_load_dwordx2 v[6:7], v[6:7]
	s_waitcnt vmcnt(0) lgkmcnt(0)
	v_mad_u64_u32 v[14:15], s[2:3], v14, s2, v[6:7]
	flat_load_dword v6, v[14:15] offset:640
	s_waitcnt vmcnt(0) lgkmcnt(0)
	v_cmp_eq_u32_e32 vcc, 1, v6
                                        ; implicit-def: $vgpr6_vgpr7
                                        ; kill: killed $vgpr6_vgpr7
	s_and_saveexec_b64 s[2:3], vcc
	s_cbranch_execz .LBB29_26
; %bb.25:
	flat_load_dwordx2 v[22:23], v[14:15] offset:648
	v_or_b32_e32 v110, 0x2000, v110
	s_waitcnt vmcnt(0) lgkmcnt(0)
	flat_load_dwordx2 v[6:7], v[22:23]
	s_trap 2
	scratch_store_dwordx2 off, v[22:23], s33 offset:456 ; 8-byte Folded Spill
	s_waitcnt vmcnt(0) lgkmcnt(0)
	ds_write_b64 v0, v[6:7]
	flat_load_dwordx2 v[6:7], v[22:23] offset:8
	s_waitcnt vmcnt(0) lgkmcnt(0)
	ds_write_b64 v0, v[6:7]
	flat_load_dwordx2 v[6:7], v[22:23] offset:16
	s_waitcnt vmcnt(0) lgkmcnt(0)
	ds_write_b64 v0, v[6:7]
.LBB29_26:
	s_or_b64 exec, exec, s[2:3]
	flat_load_dwordx2 v[6:7], v[14:15] offset:608
	v_and_b32_e32 v17, 32, v110
	v_cmp_ne_u32_e32 vcc, 0, v17
                                        ; implicit-def: $vgpr40_vgpr41
	s_waitcnt vmcnt(0) lgkmcnt(0)
	v_lshl_add_u64 v[124:125], v[6:7], 0, 3
	v_and_b32_e32 v124, -4, v124
	s_and_saveexec_b64 s[2:3], vcc
	s_cbranch_execz .LBB29_28
; %bb.27:
	flat_load_dwordx2 v[40:41], v[14:15] offset:560
	s_waitcnt vmcnt(0) lgkmcnt(0)
	flat_store_dwordx2 v[40:41], v[124:125] sc0 sc1
.LBB29_28:
	s_or_b64 exec, exec, s[2:3]
	s_mov_b64 s[2:3], 0x1f8
	v_lshl_add_u64 v[6:7], v[14:15], 0, s[2:3]
	scratch_store_dwordx2 off, v[6:7], s33 offset:420 ; 8-byte Folded Spill
	v_and_b32_e32 v6, 4, v110
	v_cmp_ne_u32_e32 vcc, 0, v6
	v_mov_b64_e32 v[6:7], 0
	scratch_store_dwordx4 off, v[6:9], s33 offset:288 ; 16-byte Folded Spill
                                        ; implicit-def: $vgpr6
	scratch_store_dwordx2 off, v[6:7], s33 offset:324 ; 8-byte Folded Spill
                                        ; implicit-def: $vgpr6_vgpr7
                                        ; kill: killed $vgpr6_vgpr7
                                        ; implicit-def: $vgpr56_vgpr57
	s_and_saveexec_b64 s[2:3], vcc
	s_cbranch_execz .LBB29_32
; %bb.29:
	v_and_b32_e32 v6, 0x800, v110
	v_cmp_eq_u32_e32 vcc, 0, v6
	s_and_saveexec_b64 s[4:5], vcc
	s_cbranch_execz .LBB29_31
; %bb.30:
	s_trap 2
	scratch_load_dwordx2 v[6:7], off, s33 offset:420 ; 8-byte Folded Reload
	s_waitcnt vmcnt(0)
	ds_write_b64 v0, v[6:7]
.LBB29_31:
	s_or_b64 exec, exec, s[4:5]
	flat_load_dwordx2 v[40:41], v[14:15] offset:552
	v_or_b32_e32 v7, 0x100, v110
                                        ; kill: killed $vgpr14_vgpr15
	s_waitcnt vmcnt(0) lgkmcnt(0)
	flat_load_dwordx2 v[56:57], v[40:41] sc0 sc1
	flat_load_dword v6, v[14:15] offset:576
	flat_load_dwordx2 v[22:23], v[14:15] offset:600
	flat_load_dwordx2 v[24:25], v[14:15] offset:520
	s_waitcnt vmcnt(0) lgkmcnt(0)
	v_ashrrev_i32_e32 v6, 1, v6
	v_cmp_eq_u64_e32 vcc, 0, v[22:23]
	v_mov_b64_e32 v[14:15], v[22:23]
	scratch_store_dwordx2 off, v[24:25], s33 offset:280 ; 8-byte Folded Spill
	v_cndmask_b32_e32 v110, v7, v110, vcc
	scratch_store_dwordx2 off, v[6:7], s33 offset:324 ; 8-byte Folded Spill
	scratch_store_dwordx4 off, v[14:17], s33 offset:288 ; 16-byte Folded Spill
.LBB29_32:
	s_or_b64 exec, exec, s[2:3]
.LBB29_33:
	s_or_b64 exec, exec, s[0:1]
	v_and_b32_e32 v6, 24, v110
	v_cmp_ne_u32_e32 vcc, 0, v6
                                        ; implicit-def: $vgpr6_vgpr7
                                        ; kill: killed $vgpr6_vgpr7
	s_and_saveexec_b64 s[0:1], vcc
	s_cbranch_execz .LBB29_41
; %bb.34:
	s_trap 2
	ds_read_b64 v[6:7], v0
	v_and_b32_e32 v1, 0xffff, v1
	s_movk_i32 s2, 0xa8
	s_waitcnt lgkmcnt(0)
	v_lshl_add_u64 v[6:7], v[8:9], 3, v[6:7]
	flat_load_dwordx2 v[6:7], v[6:7]
	s_waitcnt vmcnt(0) lgkmcnt(0)
	v_mad_u64_u32 v[6:7], s[2:3], v1, s2, v[6:7]
	scratch_store_dwordx2 off, v[6:7], s33 offset:420 ; 8-byte Folded Spill
	flat_load_dwordx4 v[6:9], v[6:7] offset:96
	v_or_b32_e32 v1, 0x100, v110
	s_waitcnt vmcnt(0) lgkmcnt(0)
	v_cmp_eq_u64_e32 vcc, 0, v[6:7]
	s_nop 1
	v_cndmask_b32_e32 v110, v1, v110, vcc
	v_and_b32_e32 v1, 16, v110
	v_cmp_ne_u32_e32 vcc, 0, v1
	scratch_store_dwordx4 off, v[6:9], s33 offset:288 ; 16-byte Folded Spill
                                        ; implicit-def: $vgpr6_vgpr7
                                        ; kill: killed $vgpr6_vgpr7
	s_and_saveexec_b64 s[2:3], vcc
	s_cbranch_execz .LBB29_36
; %bb.35:
	scratch_load_dwordx2 v[6:7], off, s33 offset:420 ; 8-byte Folded Reload
	s_waitcnt vmcnt(0)
	flat_load_dwordx2 v[40:41], v[6:7] offset:48
	flat_load_dwordx2 v[8:9], v[6:7] offset:120
	s_nop 0
	flat_load_dwordx2 v[6:7], v[6:7] offset:16
	s_waitcnt vmcnt(0) lgkmcnt(0)
	scratch_store_dwordx2 off, v[8:9], s33 offset:304 ; 8-byte Folded Spill
	scratch_store_dwordx2 off, v[6:7], s33 offset:280 ; 8-byte Folded Spill
.LBB29_36:
	s_or_b64 exec, exec, s[2:3]
	scratch_load_dwordx4 v[6:9], off, s33 offset:288 ; 16-byte Folded Reload
	v_and_b32_e32 v1, 8, v110
	v_cmp_ne_u32_e32 vcc, 0, v1
	s_waitcnt vmcnt(0)
	v_lshl_add_u64 v[124:125], v[8:9], 0, 3
	v_and_b32_e32 v124, -4, v124
	s_and_saveexec_b64 s[2:3], vcc
	s_cbranch_execz .LBB29_40
; %bb.37:
	v_and_b32_e32 v1, 0x800, v110
	v_cmp_eq_u32_e32 vcc, 0, v1
	s_and_saveexec_b64 s[4:5], vcc
	s_cbranch_execz .LBB29_39
; %bb.38:
	s_trap 2
	scratch_load_dwordx2 v[6:7], off, s33 offset:420 ; 8-byte Folded Reload
	s_waitcnt vmcnt(0)
	ds_write_b64 v0, v[6:7]
.LBB29_39:
	s_or_b64 exec, exec, s[4:5]
	scratch_load_dwordx2 v[6:7], off, s33 offset:420 ; 8-byte Folded Reload
	s_waitcnt vmcnt(0)
	flat_load_dwordx2 v[40:41], v[6:7] offset:56
	s_waitcnt vmcnt(0) lgkmcnt(0)
	flat_load_dwordx2 v[56:57], v[40:41] sc0 sc1
	flat_load_dword v1, v[6:7] offset:72
	s_nop 0
	flat_load_dwordx2 v[6:7], v[6:7] offset:16
	s_waitcnt vmcnt(0) lgkmcnt(0)
	scratch_store_dwordx2 off, v[6:7], s33 offset:280 ; 8-byte Folded Spill
	v_ashrrev_i32_e32 v6, 1, v1
	scratch_store_dwordx2 off, v[6:7], s33 offset:324 ; 8-byte Folded Spill
.LBB29_40:
	s_or_b64 exec, exec, s[2:3]
.LBB29_41:
	s_or_b64 exec, exec, s[0:1]
	v_cmp_eq_u32_e64 s[0:1], 0, v0
	s_and_saveexec_b64 s[2:3], s[0:1]
	s_cbranch_execz .LBB29_43
; %bb.42:
	flat_load_dwordx2 v[6:7], v[2:3] offset:32
	v_mov_b32_e32 v8, v12
	v_mov_b32_e32 v9, v13
	ds_write2_b64 v0, v[8:9], v[10:11] offset1:1
	s_trap 2
	s_waitcnt vmcnt(0) lgkmcnt(0)
	ds_write_b64 v0, v[6:7]
	ds_write_b64 v0, v[4:5]
.LBB29_43:
	s_or_b64 exec, exec, s[2:3]
	v_mov_b64_e32 v[46:47], 0
	s_trap 2
	v_cmp_lt_i64_e32 vcc, 0, v[66:67]
	s_mov_b64 s[2:3], exec
	v_writelane_b32 v126, s2, 2
	s_nop 1
	v_writelane_b32 v126, s3, 3
	s_and_b64 s[2:3], s[2:3], vcc
	s_mov_b64 exec, s[2:3]
	s_cbranch_execz .LBB29_3488
; %bb.44:
	scratch_load_dwordx2 v[6:7], off, s33 offset:324 ; 8-byte Folded Reload
	v_mov_b32_e32 v4, v0
	flat_load_dword v1, v[2:3] offset:4
	v_and_b32_e32 v2, 0x1fffff00, v20
	scratch_store_dword off, v19, s33 offset:440 ; 4-byte Folded Spill
	scratch_store_dword off, v31, s33 offset:444 ; 4-byte Folded Spill
	;; [unrolled: 1-line block ×3, first 2 shown]
	s_ashr_i32 s14, s22, 31
	v_mad_i64_i32 v[68:69], s[12:13], v2, s64, 0
	s_lshr_b32 s12, s14, 29
	s_add_i32 s22, s22, s12
	s_ashr_i32 s65, s64, 31
	s_ashr_i32 s12, s22, 4
	s_add_u32 s78, s64, -1
	s_addc_u32 s79, s65, -1
	s_add_i32 s66, s64, s64
	s_not_b32 s13, s64
	s_cmp_gt_i32 s64, 0
	s_cselect_b32 s13, s13, -1
	s_ashr_i32 s22, s22, 31
	v_and_b32_e32 v0, 63, v31
	v_and_b32_e32 v8, 63, v4
	s_add_i32 s67, s13, s66
	s_lshr_b32 s13, s22, 29
	v_lshrrev_b32_e32 v60, 6, v18
	v_lshrrev_b32_e32 v9, 6, v4
	v_cmp_eq_u32_e64 s[14:15], 0, v0
	v_lshlrev_b32_e32 v0, 4, v8
	s_add_i32 s12, s12, s13
	v_lshl_or_b32 v12, v9, 12, v0
	s_ashr_i32 s68, s67, 31
	s_ashr_i32 s69, s12, 3
	v_cmp_ge_u32_e64 s[2:3], v4, v18
	s_cmp_gt_i32 s64, 2
	v_lshlrev_b32_e32 v10, 10, v60
	s_cselect_b64 s[88:89], -1, 0
	s_add_i32 s70, s33, 0xf0
	s_add_i32 s71, s33, 0xd0
	;; [unrolled: 1-line block ×7, first 2 shown]
	v_writelane_b32 v126, s24, 4
	s_mov_b64 s[58:59], 0x2000
	v_lshlrev_b32_e32 v11, 7, v60
	v_add_u32_e32 v90, 0xfffffc00, v10
	v_writelane_b32 v126, s25, 5
	s_mov_b64 s[60:61], 0x400
	v_add_u32_e32 v92, 0xffffff80, v11
	v_ashrrev_i32_e32 v91, 31, v90
	v_mov_b32_e32 v3, 0
	s_mov_b64 s[62:63], 0x800
	s_mov_b64 s[72:73], 0x80
	;; [unrolled: 1-line block ×3, first 2 shown]
	v_ashrrev_i32_e32 v93, 31, v92
	v_cmp_eq_u32_e64 s[4:5], 64, v18
	v_cmp_ne_u32_e64 s[6:7], 64, v18
	v_cmp_ne_u32_sdwa s[56:57], v18, v19 src0_sel:DWORD src1_sel:WORD_0
	s_mov_b64 s[74:75], 0
	v_mov_b32_e32 v61, v3
	v_cmp_eq_u32_e64 s[16:17], 0, v8
	v_cmp_lt_u32_e64 s[18:19], v8, v16
	v_cmp_le_u32_e64 s[20:21], v8, v16
	v_mov_b32_e32 v13, v3
	v_mov_b32_e32 v31, v11
	v_mov_b64_e32 v[70:71], 0
	v_mov_b64_e32 v[46:47], 0
	s_movk_i32 s87, 0x1000
	s_movk_i32 s96, 0x108
	s_mov_b32 s97, 0x7f800000
	s_movk_i32 s46, 0x7fff
	s_mov_b32 s47, 0xffff0000
	v_mov_b64_e32 v[122:123], v[2:3]
	s_waitcnt vmcnt(0)
	v_ashrrev_i32_e32 v5, 31, v6
	scratch_store_dwordx2 off, v[4:5], s33 offset:332 ; 8-byte Folded Spill
	s_trap 2
	scratch_load_dwordx2 v[6:7], off, s33 offset:304 ; 8-byte Folded Reload
	v_mov_b32_e32 v5, 0xfffff800
	scratch_store_dword off, v4, s33 offset:320 ; 4-byte Folded Spill
	v_mov_b32_e32 v4, 0xffffe000
	v_lshl_add_u32 v4, v60, 13, v4
	v_lshl_add_u32 v76, v60, 11, v5
	v_ashrrev_i32_e32 v5, 31, v4
	scratch_store_dwordx2 off, v[4:5], s33 offset:340 ; 8-byte Folded Spill
	v_lshl_add_u64 v[4:5], v[4:5], 0, s[58:59]
	v_ashrrev_i32_e32 v77, 31, v76
	scratch_store_dwordx2 off, v[4:5], s33 offset:272 ; 8-byte Folded Spill
	v_lshl_add_u64 v[4:5], v[90:91], 0, s[60:61]
	v_lshl_add_u64 v[104:105], v[76:77], 0, s[62:63]
	scratch_store_dwordx2 off, v[4:5], s33 offset:264 ; 8-byte Folded Spill
	v_lshl_add_u64 v[4:5], v[92:93], 0, s[72:73]
	scratch_store_dwordx2 off, v[12:13], s33 offset:356 ; 8-byte Folded Spill
	scratch_store_dwordx2 off, v[4:5], s33 offset:256 ; 8-byte Folded Spill
	s_waitcnt vmcnt(0)
	v_cmp_eq_u64_e64 s[10:11], 0, v[6:7]
	v_cmp_ne_u64_e64 s[8:9], 0, v[6:7]
	v_mov_b32_e32 v6, 0xfffff000
	v_lshl_add_u32 v88, v60, 12, v6
	v_lshl_or_b32 v6, v9, 13, v0
	s_waitcnt lgkmcnt(0)
	v_and_b32_e32 v0, 1, v1
	v_cmp_eq_u32_e64 s[22:23], 1, v0
	s_xor_b64 s[90:91], s[22:23], -1
	s_cmp_ge_i32 s13, s64
	s_cselect_b32 s24, s64, 0
	v_ashrrev_i32_e32 v89, 31, v88
	s_sub_i32 s84, s13, s24
	v_mov_b32_e32 v7, v3
	v_lshl_add_u64 v[106:107], v[88:89], 0, s[76:77]
	s_ashr_i32 s85, s84, 31
	s_add_i32 s86, s64, -2
	v_mov_b32_e32 v0, v3
	v_mov_b32_e32 v1, v3
	scratch_store_dwordx2 off, v[6:7], s33 offset:380 ; 8-byte Folded Spill
	scratch_store_dwordx2 off, v[0:1], s33 offset:348 ; 8-byte Folded Spill
	;; [unrolled: 1-line block ×3, first 2 shown]
	scratch_store_dwordx4 off, v[66:69], s33 offset:388 ; 16-byte Folded Spill
	scratch_store_dwordx2 off, v[68:69], s33 offset:404 ; 8-byte Folded Spill
	s_branch .LBB29_47
.LBB29_45:                              ;   in Loop: Header=BB29_47 Depth=1
	s_or_b64 exec, exec, s[24:25]
.LBB29_46:                              ;   in Loop: Header=BB29_47 Depth=1
	s_or_b64 exec, exec, s[28:29]
	s_waitcnt vmcnt(0)
	v_lshl_add_u64 v[70:71], v[70:71], 0, v[68:69]
	v_cmp_ge_i64_e32 vcc, v[70:71], v[66:67]
	s_or_b64 s[74:75], vcc, s[74:75]
	s_andn2_b64 exec, exec, s[74:75]
	s_cbranch_execz .LBB29_3487
.LBB29_47:                              ; =>This Loop Header: Depth=1
                                        ;     Child Loop BB29_62 Depth 2
                                        ;     Child Loop BB29_86 Depth 2
	;; [unrolled: 1-line block ×13, first 2 shown]
                                        ;       Child Loop BB29_306 Depth 3
                                        ;       Child Loop BB29_334 Depth 3
	;; [unrolled: 1-line block ×5, first 2 shown]
                                        ;         Child Loop BB29_779 Depth 4
                                        ;         Child Loop BB29_816 Depth 4
                                        ;       Child Loop BB29_893 Depth 3
                                        ;       Child Loop BB29_1096 Depth 3
                                        ;         Child Loop BB29_1097 Depth 4
                                        ;         Child Loop BB29_1106 Depth 4
                                        ;       Child Loop BB29_1125 Depth 3
                                        ;       Child Loop BB29_1144 Depth 3
	;; [unrolled: 1-line block ×5, first 2 shown]
                                        ;     Child Loop BB29_1246 Depth 2
                                        ;     Child Loop BB29_1281 Depth 2
	;; [unrolled: 1-line block ×5, first 2 shown]
                                        ;       Child Loop BB29_1787 Depth 3
                                        ;       Child Loop BB29_1822 Depth 3
	;; [unrolled: 1-line block ×4, first 2 shown]
                                        ;     Child Loop BB29_1898 Depth 2
                                        ;     Child Loop BB29_1906 Depth 2
	;; [unrolled: 1-line block ×3, first 2 shown]
                                        ;       Child Loop BB29_2112 Depth 3
                                        ;       Child Loop BB29_2119 Depth 3
	;; [unrolled: 1-line block ×4, first 2 shown]
                                        ;     Child Loop BB29_2138 Depth 2
                                        ;     Child Loop BB29_2150 Depth 2
	;; [unrolled: 1-line block ×3, first 2 shown]
                                        ;       Child Loop BB29_2549 Depth 3
                                        ;       Child Loop BB29_2586 Depth 3
                                        ;     Child Loop BB29_2663 Depth 2
                                        ;     Child Loop BB29_2866 Depth 2
                                        ;       Child Loop BB29_2867 Depth 3
                                        ;       Child Loop BB29_2876 Depth 3
                                        ;     Child Loop BB29_2895 Depth 2
                                        ;     Child Loop BB29_2918 Depth 2
                                        ;     Child Loop BB29_1253 Depth 2
                                        ;     Child Loop BB29_1309 Depth 2
                                        ;     Child Loop BB29_1351 Depth 2
                                        ;     Child Loop BB29_2936 Depth 2
                                        ;       Child Loop BB29_2949 Depth 3
                                        ;       Child Loop BB29_2989 Depth 3
	;; [unrolled: 1-line block ×5, first 2 shown]
                                        ;         Child Loop BB29_3109 Depth 4
                                        ;         Child Loop BB29_3114 Depth 4
                                        ;       Child Loop BB29_3120 Depth 3
                                        ;       Child Loop BB29_3128 Depth 3
	;; [unrolled: 1-line block ×3, first 2 shown]
                                        ;         Child Loop BB29_3140 Depth 4
                                        ;         Child Loop BB29_3145 Depth 4
                                        ;       Child Loop BB29_3149 Depth 3
                                        ;       Child Loop BB29_3161 Depth 3
	;; [unrolled: 1-line block ×10, first 2 shown]
                                        ;     Child Loop BB29_3262 Depth 2
                                        ;     Child Loop BB29_3286 Depth 2
                                        ;     Child Loop BB29_3305 Depth 2
                                        ;     Child Loop BB29_3334 Depth 2
                                        ;     Child Loop BB29_3346 Depth 2
                                        ;     Child Loop BB29_3362 Depth 2
                                        ;     Child Loop BB29_3373 Depth 2
                                        ;     Child Loop BB29_3387 Depth 2
                                        ;     Child Loop BB29_3406 Depth 2
                                        ;     Child Loop BB29_3427 Depth 2
                                        ;     Child Loop BB29_3439 Depth 2
                                        ;     Child Loop BB29_3474 Depth 2
	v_sub_co_u32_e32 v116, vcc, v66, v70
	scratch_store_dwordx2 off, v[70:71], s33 offset:364 ; 8-byte Folded Spill
	s_nop 0
	v_subb_co_u32_e32 v117, vcc, v67, v71, vcc
	v_cmp_lt_i64_e32 vcc, v[116:117], v[68:69]
	s_and_saveexec_b64 s[26:27], vcc
	s_cbranch_execz .LBB29_53
; %bb.48:                               ;   in Loop: Header=BB29_47 Depth=1
	v_lshl_add_u64 v[4:5], s[78:79], 0, v[116:117]
	v_or_b32_e32 v1, s65, v5
	v_mov_b32_e32 v0, v3
	v_cmp_ne_u64_e32 vcc, 0, v[0:1]
                                        ; implicit-def: $vgpr8_vgpr9
	s_and_saveexec_b64 s[24:25], vcc
	s_xor_b64 s[28:29], exec, s[24:25]
	s_cbranch_execz .LBB29_50
; %bb.49:                               ;   in Loop: Header=BB29_47 Depth=1
	s_ashr_i32 s40, s65, 31
	s_add_u32 s24, s64, s40
	s_mov_b32 s41, s40
	s_addc_u32 s25, s65, s40
	s_xor_b64 s[42:43], s[24:25], s[40:41]
	v_cvt_f32_u32_e32 v0, s42
	v_cvt_f32_u32_e32 v1, s43
	s_sub_u32 s13, 0, s42
	s_subb_u32 s41, 0, s43
	v_fmac_f32_e32 v0, 0x4f800000, v1
	v_rcp_f32_e32 v0, v0
	s_nop 0
	v_mul_f32_e32 v0, 0x5f7ffffc, v0
	v_mul_f32_e32 v1, 0x2f800000, v0
	v_trunc_f32_e32 v1, v1
	v_fmac_f32_e32 v0, 0xcf800000, v1
	v_cvt_u32_f32_e32 v1, v1
	v_cvt_u32_f32_e32 v0, v0
	v_readfirstlane_b32 s44, v1
	v_readfirstlane_b32 s24, v0
	s_mul_i32 s25, s13, s44
	s_mul_hi_u32 s92, s13, s24
	s_mul_i32 s45, s41, s24
	s_add_i32 s25, s92, s25
	s_add_i32 s25, s25, s45
	s_mul_i32 s93, s13, s24
	s_mul_i32 s92, s24, s25
	s_mul_hi_u32 s94, s24, s93
	s_mul_hi_u32 s45, s24, s25
	s_add_u32 s92, s94, s92
	s_addc_u32 s45, 0, s45
	s_mul_hi_u32 s95, s44, s93
	s_mul_i32 s93, s44, s93
	s_add_u32 s92, s92, s93
	s_mul_hi_u32 s94, s44, s25
	s_addc_u32 s45, s45, s95
	s_addc_u32 s92, s94, 0
	s_mul_i32 s25, s44, s25
	s_add_u32 s25, s45, s25
	s_addc_u32 s45, 0, s92
	s_add_u32 s92, s24, s25
	s_cselect_b64 s[24:25], -1, 0
	s_cmp_lg_u64 s[24:25], 0
	s_addc_u32 s44, s44, s45
	s_mul_i32 s24, s13, s44
	s_mul_hi_u32 s25, s13, s92
	s_add_i32 s24, s25, s24
	s_mul_i32 s41, s41, s92
	s_add_i32 s24, s24, s41
	s_mul_i32 s13, s13, s92
	s_mul_hi_u32 s41, s44, s13
	s_mul_i32 s45, s44, s13
	s_mul_i32 s94, s92, s24
	s_mul_hi_u32 s13, s92, s13
	s_mul_hi_u32 s93, s92, s24
	s_add_u32 s13, s13, s94
	s_addc_u32 s93, 0, s93
	s_add_u32 s13, s13, s45
	s_mul_hi_u32 s25, s44, s24
	s_addc_u32 s13, s93, s41
	s_addc_u32 s25, s25, 0
	s_mul_i32 s24, s44, s24
	s_add_u32 s13, s13, s24
	s_addc_u32 s41, 0, s25
	s_add_u32 s13, s92, s13
	v_ashrrev_i32_e32 v0, 31, v5
	s_cselect_b64 s[24:25], -1, 0
	v_mov_b32_e32 v1, v0
	s_cmp_lg_u64 s[24:25], 0
	v_lshl_add_u64 v[4:5], v[4:5], 0, v[0:1]
	s_addc_u32 s41, s44, s41
	v_xor_b32_e32 v10, v4, v0
	v_xor_b32_e32 v1, v5, v0
	v_mad_u64_u32 v[4:5], s[24:25], v10, s41, 0
	v_mul_hi_u32 v2, v10, s13
	v_lshl_add_u64 v[4:5], v[2:3], 0, v[4:5]
	v_mad_u64_u32 v[8:9], s[24:25], v1, s13, 0
	v_add_co_u32_e32 v2, vcc, v4, v8
	v_mad_u64_u32 v[6:7], s[24:25], v1, s41, 0
	s_nop 0
	v_addc_co_u32_e32 v2, vcc, v5, v9, vcc
	v_xor_b32_e32 v0, s40, v0
	s_nop 0
	v_addc_co_u32_e32 v7, vcc, 0, v7, vcc
	v_lshl_add_u64 v[4:5], v[2:3], 0, v[6:7]
	v_mul_lo_u32 v2, s43, v4
	v_mul_lo_u32 v8, s42, v5
	v_mad_u64_u32 v[6:7], s[24:25], s42, v4, 0
	v_add3_u32 v2, v7, v8, v2
	v_sub_u32_e32 v7, v1, v2
	v_mov_b32_e32 v8, s43
	v_sub_co_u32_e32 v10, vcc, v10, v6
	s_nop 1
	v_subb_co_u32_e64 v6, s[24:25], v7, v8, vcc
	v_subrev_co_u32_e64 v7, s[24:25], s42, v10
	v_subb_co_u32_e32 v1, vcc, v1, v2, vcc
	s_nop 0
	v_subbrev_co_u32_e64 v6, s[24:25], 0, v6, s[24:25]
	v_cmp_le_u32_e64 s[24:25], s43, v6
	v_cmp_le_u32_e32 vcc, s43, v1
	s_nop 0
	v_cndmask_b32_e64 v8, 0, -1, s[24:25]
	v_cmp_le_u32_e64 s[24:25], s42, v7
	v_cndmask_b32_e64 v2, 0, -1, vcc
	v_cmp_le_u32_e32 vcc, s42, v10
	v_cndmask_b32_e64 v7, 0, -1, s[24:25]
	v_cmp_eq_u32_e64 s[24:25], s43, v6
	s_nop 1
	v_cndmask_b32_e64 v11, v8, v7, s[24:25]
	v_lshl_add_u64 v[6:7], v[4:5], 0, 2
	v_lshl_add_u64 v[8:9], v[4:5], 0, 1
	v_cmp_ne_u32_e64 s[24:25], 0, v11
	s_nop 1
	v_cndmask_b32_e64 v7, v9, v7, s[24:25]
	v_cndmask_b32_e64 v9, 0, -1, vcc
	v_cmp_eq_u32_e32 vcc, s43, v1
	s_nop 1
	v_cndmask_b32_e32 v1, v2, v9, vcc
	v_cmp_ne_u32_e32 vcc, 0, v1
	v_cndmask_b32_e64 v2, v8, v6, s[24:25]
	s_nop 0
	v_cndmask_b32_e32 v2, v4, v2, vcc
	v_cndmask_b32_e32 v1, v5, v7, vcc
	v_xor_b32_e32 v2, v2, v0
	v_xor_b32_e32 v1, v1, v0
	v_sub_co_u32_e32 v8, vcc, v2, v0
                                        ; implicit-def: $vgpr4_vgpr5
	s_nop 1
	v_subb_co_u32_e32 v9, vcc, v1, v0, vcc
.LBB29_50:                              ;   in Loop: Header=BB29_47 Depth=1
	s_andn2_saveexec_b64 s[24:25], s[28:29]
	s_cbranch_execz .LBB29_52
; %bb.51:                               ;   in Loop: Header=BB29_47 Depth=1
	v_cvt_f32_u32_e32 v0, s64
	s_sub_i32 s13, 0, s64
	v_rcp_iflag_f32_e32 v0, v0
	s_nop 0
	v_mul_f32_e32 v0, 0x4f7ffffe, v0
	v_cvt_u32_f32_e32 v0, v0
	v_mul_lo_u32 v1, s13, v0
	v_mul_hi_u32 v1, v0, v1
	v_add_u32_e32 v0, v0, v1
	v_mul_hi_u32 v0, v4, v0
	v_mul_lo_u32 v1, v0, s64
	v_sub_u32_e32 v1, v4, v1
	v_add_u32_e32 v2, 1, v0
	v_subrev_u32_e32 v4, s64, v1
	v_cmp_le_u32_e32 vcc, s64, v1
	s_nop 1
	v_cndmask_b32_e32 v1, v1, v4, vcc
	v_cndmask_b32_e32 v0, v0, v2, vcc
	v_add_u32_e32 v2, 1, v0
	v_cmp_le_u32_e32 vcc, s64, v1
	s_nop 1
	v_cndmask_b32_e32 v2, v0, v2, vcc
	v_mov_b64_e32 v[8:9], v[2:3]
.LBB29_52:                              ;   in Loop: Header=BB29_47 Depth=1
	s_or_b64 exec, exec, s[24:25]
	v_lshl_add_u64 v[122:123], v[8:9], 0, 7
	v_and_b32_e32 v122, -8, v122
.LBB29_53:                              ;   in Loop: Header=BB29_47 Depth=1
	s_or_b64 exec, exec, s[26:27]
	v_mul_lo_u32 v0, v123, s67
	v_mul_lo_u32 v1, v122, s68
	v_mad_u64_u32 v[8:9], s[24:25], v122, s67, 0
	v_add3_u32 v9, v9, v1, v0
	scratch_load_dwordx2 v[0:1], off, s33 offset:364 ; 8-byte Folded Reload
	s_waitcnt vmcnt(0)
	v_lshl_add_u64 v[0:1], v[0:1], 0, v[120:121]
	scratch_store_dwordx2 off, v[0:1], s33 offset:312 ; 8-byte Folded Spill
	v_sub_co_u32_e32 v0, vcc, v116, v8
	s_nop 1
	v_subb_co_u32_e32 v1, vcc, v117, v9, vcc
	v_cmp_lt_i64_e32 vcc, v[122:123], v[0:1]
	s_nop 1
	v_cndmask_b32_e32 v1, v0, v122, vcc
	v_max_i32_e32 v118, 0, v1
	v_add_u32_e32 v2, 15, v118
	v_ashrrev_i32_e32 v4, 31, v2
	v_lshrrev_b32_e32 v4, 28, v4
	v_add_u32_e32 v2, v2, v4
	v_cmp_gt_i32_e32 vcc, 1, v1
	v_and_b32_e32 v2, -16, v2
	s_or_b64 s[26:27], s[2:3], vcc
	v_mov_b32_e32 v0, 0
	v_max_i32_e32 v4, s69, v2
	s_xor_b64 s[24:25], s[26:27], -1
	s_and_saveexec_b64 s[28:29], s[24:25]
	s_cbranch_execz .LBB29_222
; %bb.54:                               ;   in Loop: Header=BB29_47 Depth=1
	s_and_saveexec_b64 s[24:25], s[0:1]
	s_cbranch_execz .LBB29_56
; %bb.55:                               ;   in Loop: Header=BB29_47 Depth=1
	s_trap 2
	scratch_load_dwordx2 v[6:7], off, s33 offset:312 ; 8-byte Folded Reload
	ds_read_b64 v[0:1], v0
	s_waitcnt vmcnt(0) lgkmcnt(0)
	v_lshl_add_u64 v[0:1], v[6:7], 1, v[0:1]
	v_lshl_add_u64 v[0:1], v[8:9], 1, v[0:1]
	ds_write_b64 v0, v[0:1]
	scratch_load_dwordx2 v[0:1], off, s33 offset:348 ; 8-byte Folded Reload
	s_waitcnt vmcnt(0)
	ds_write_b64 v0, v[0:1]
.LBB29_56:                              ;   in Loop: Header=BB29_47 Depth=1
	s_or_b64 exec, exec, s[24:25]
	v_and_b32_e32 v0, 8, v110
	v_min_i32_e32 v4, v4, v118
	v_cmp_ne_u32_e32 vcc, 0, v0
	s_and_saveexec_b64 s[40:41], vcc
	s_cbranch_execz .LBB29_78
; %bb.57:                               ;   in Loop: Header=BB29_47 Depth=1
	s_waitcnt lgkmcnt(0)
	v_lshl_add_u64 v[0:1], v[56:57], 0, 8
	v_lshl_add_u64 v[8:9], v[124:125], 0, 4
	v_cmp_lt_u64_e32 vcc, v[0:1], v[8:9]
	s_and_saveexec_b64 s[42:43], vcc
	s_cbranch_execz .LBB29_69
; %bb.58:                               ;   in Loop: Header=BB29_47 Depth=1
	v_and_b32_e32 v0, 64, v110
	s_mov_b32 s44, 0
	v_cmp_eq_u32_e32 vcc, 0, v0
	s_mov_b64 s[92:93], 0
                                        ; implicit-def: $sgpr94_sgpr95
                                        ; implicit-def: $sgpr30_sgpr31
                                        ; implicit-def: $sgpr34_sgpr35
	s_branch .LBB29_62
.LBB29_59:                              ;   in Loop: Header=BB29_62 Depth=2
	s_waitcnt vmcnt(0) lgkmcnt(0)
	v_lshl_add_u64 v[6:7], v[56:57], 0, 8
	v_cmp_ge_u64_e64 s[24:25], v[6:7], v[8:9]
	s_or_b64 s[48:49], s[48:49], exec
	s_orn2_b64 s[38:39], s[24:25], exec
.LBB29_60:                              ;   in Loop: Header=BB29_62 Depth=2
	s_or_b64 exec, exec, s[52:53]
	s_andn2_b64 s[24:25], s[34:35], exec
	s_and_b64 s[34:35], s[48:49], exec
	s_or_b64 s[34:35], s[24:25], s[34:35]
	s_andn2_b64 s[24:25], s[30:31], exec
	s_and_b64 s[30:31], s[38:39], exec
	s_or_b64 s[30:31], s[24:25], s[30:31]
.LBB29_61:                              ;   in Loop: Header=BB29_62 Depth=2
	s_or_b64 exec, exec, s[36:37]
	s_and_b64 s[24:25], exec, s[30:31]
	s_or_b64 s[92:93], s[24:25], s[92:93]
	s_andn2_b64 s[24:25], s[94:95], exec
	s_and_b64 s[94:95], s[34:35], exec
	s_or_b64 s[94:95], s[24:25], s[94:95]
	s_andn2_b64 exec, exec, s[92:93]
	s_cbranch_execz .LBB29_66
.LBB29_62:                              ;   Parent Loop BB29_47 Depth=1
                                        ; =>  This Inner Loop Header: Depth=2
	s_sleep 1
	s_waitcnt vmcnt(0) lgkmcnt(0)
	flat_load_dwordx2 v[56:57], v[40:41] sc0 sc1
	s_or_b64 s[34:35], s[34:35], exec
	s_or_b64 s[30:31], s[30:31], exec
                                        ; implicit-def: $vgpr0
	s_and_saveexec_b64 s[36:37], vcc
	s_cbranch_execz .LBB29_61
; %bb.63:                               ;   in Loop: Header=BB29_62 Depth=2
	s_cmpk_lt_i32 s44, 0x270f
	s_cselect_b64 s[50:51], -1, 0
	s_cmpk_gt_i32 s44, 0x270e
	s_mov_b64 s[38:39], -1
	s_cbranch_scc0 .LBB29_65
; %bb.64:                               ;   in Loop: Header=BB29_62 Depth=2
	s_trap 2
	ds_read_b64 v[0:1], v0
	s_andn2_b64 s[50:51], s[50:51], exec
	s_mov_b32 s44, 0
	s_mov_b64 s[48:49], 0
	s_waitcnt vmcnt(0) lgkmcnt(0)
	flat_load_dword v0, v[0:1] sc0 sc1
	s_waitcnt vmcnt(0) lgkmcnt(0)
	buffer_inv sc0 sc1
	v_cmp_eq_u32_e64 s[24:25], 0, v0
	s_and_b64 s[24:25], s[24:25], exec
	s_or_b64 s[50:51], s[50:51], s[24:25]
	s_and_saveexec_b64 s[52:53], s[50:51]
	s_cbranch_execz .LBB29_60
	s_branch .LBB29_59
.LBB29_65:                              ;   in Loop: Header=BB29_62 Depth=2
	s_add_i32 s44, s44, 1
	s_mov_b64 s[48:49], -1
                                        ; implicit-def: $vgpr0
	s_and_saveexec_b64 s[52:53], s[50:51]
	s_cbranch_execz .LBB29_60
	s_branch .LBB29_59
.LBB29_66:                              ;   in Loop: Header=BB29_47 Depth=1
	s_or_b64 exec, exec, s[92:93]
	s_xor_b64 s[24:25], s[94:95], -1
	s_and_saveexec_b64 s[44:45], s[24:25]
	s_xor_b64 s[24:25], exec, s[44:45]
	s_cbranch_execz .LBB29_68
; %bb.67:                               ;   in Loop: Header=BB29_47 Depth=1
	v_or_b32_e32 v110, 64, v110
	s_waitcnt lgkmcnt(0)
	ds_write_b32 v0, v0
	s_trap 2
.LBB29_68:                              ;   in Loop: Header=BB29_47 Depth=1
	s_or_b64 exec, exec, s[24:25]
.LBB29_69:                              ;   in Loop: Header=BB29_47 Depth=1
	s_or_b64 exec, exec, s[42:43]
	v_and_b32_e32 v0, 0x100, v110
	v_cmp_ne_u32_e32 vcc, 0, v0
	v_and_b32_e32 v0, 7, v124
	s_mov_b64 s[24:25], -1
	;;#ASMSTART
	s_wakeup
	;;#ASMEND
                                        ; implicit-def: $vgpr10_vgpr11
	s_and_saveexec_b64 s[42:43], vcc
	s_cbranch_execz .LBB29_73
; %bb.70:                               ;   in Loop: Header=BB29_47 Depth=1
	scratch_load_dwordx4 v[10:13], off, s33 offset:288 ; 16-byte Folded Reload
	v_ashrrev_i32_e32 v5, 31, v4
	v_lshlrev_b64 v[6:7], 1, v[4:5]
	s_waitcnt vmcnt(0)
	v_mad_u64_u32 v[12:13], s[24:25], v0, 24, v[10:11]
	flat_load_dword v1, v[12:13]
                                        ; implicit-def: $vgpr10_vgpr11
	s_waitcnt vmcnt(0) lgkmcnt(0)
	v_cmp_ne_u32_e32 vcc, 1, v1
	v_cmp_eq_u32_e64 s[24:25], 1, v1
	flat_store_dwordx2 v[12:13], v[6:7] offset:8
	s_and_saveexec_b64 s[92:93], s[24:25]
	s_cbranch_execz .LBB29_72
; %bb.71:                               ;   in Loop: Header=BB29_47 Depth=1
	flat_load_dword v6, v[12:13] offset:4 sc0 sc1
	s_waitcnt vmcnt(0) lgkmcnt(0)
	v_ashrrev_i32_e32 v7, 31, v6
	v_lshrrev_b64 v[10:11], 1, v[6:7]
.LBB29_72:                              ;   in Loop: Header=BB29_47 Depth=1
	s_or_b64 exec, exec, s[92:93]
	s_orn2_b64 s[24:25], vcc, exec
.LBB29_73:                              ;   in Loop: Header=BB29_47 Depth=1
	s_or_b64 exec, exec, s[42:43]
	s_and_saveexec_b64 s[42:43], s[24:25]
	s_cbranch_execz .LBB29_75
; %bb.74:                               ;   in Loop: Header=BB29_47 Depth=1
	scratch_load_dwordx2 v[6:7], off, s33 offset:324 ; 8-byte Folded Reload
	s_waitcnt vmcnt(0)
	v_mad_i64_i32 v[10:11], s[24:25], v0, v6, 0
.LBB29_75:                              ;   in Loop: Header=BB29_47 Depth=1
	s_or_b64 exec, exec, s[42:43]
	scratch_load_dwordx2 v[0:1], off, s33 offset:280 ; 8-byte Folded Reload
	s_waitcnt vmcnt(0)
	v_lshl_add_u64 v[0:1], v[10:11], 1, v[0:1]
	ds_write_b64 v0, v[0:1] offset:784
	v_and_b32_e32 v0, 0x2000, v110
	v_cmp_ne_u32_e32 vcc, 0, v0
	s_and_saveexec_b64 s[24:25], vcc
	s_cbranch_execz .LBB29_77
; %bb.76:                               ;   in Loop: Header=BB29_47 Depth=1
	ds_read_b64 v[0:1], v0 offset:872
	s_waitcnt lgkmcnt(0)
	v_lshl_add_u64 v[0:1], v[0:1], 0, 1
	ds_write_b64 v0, v[0:1] offset:872
.LBB29_77:                              ;   in Loop: Header=BB29_47 Depth=1
	s_or_b64 exec, exec, s[24:25]
	v_mov_b64_e32 v[124:125], v[8:9]
.LBB29_78:                              ;   in Loop: Header=BB29_47 Depth=1
	s_or_b64 exec, exec, s[40:41]
	s_and_saveexec_b64 s[24:25], s[6:7]
	s_cbranch_execz .LBB29_97
; %bb.79:                               ;   in Loop: Header=BB29_47 Depth=1
	s_and_saveexec_b64 s[40:41], s[56:57]
	s_xor_b64 s[40:41], exec, s[40:41]
	s_cbranch_execz .LBB29_94
; %bb.80:                               ;   in Loop: Header=BB29_47 Depth=1
	s_and_saveexec_b64 s[42:43], s[14:15]
	s_cbranch_execz .LBB29_93
; %bb.81:                               ;   in Loop: Header=BB29_47 Depth=1
	s_mov_b64 s[94:95], exec
	v_mbcnt_lo_u32_b32 v0, s94, 0
	v_mbcnt_hi_u32_b32 v0, s95, v0
	v_cmp_eq_u32_e32 vcc, 0, v0
	s_waitcnt lgkmcnt(0)
	s_and_saveexec_b64 s[92:93], vcc
	s_cbranch_execz .LBB29_83
; %bb.82:                               ;   in Loop: Header=BB29_47 Depth=1
	s_bcnt1_i32_b64 s13, s[94:95]
	v_mov_b32_e32 v2, s13
	ds_add_u64 v0, v[2:3]
	s_trap 2
.LBB29_83:                              ;   in Loop: Header=BB29_47 Depth=1
	s_or_b64 exec, exec, s[92:93]
	s_trap 2
	ds_read_b64 v[0:1], v0
	s_waitcnt lgkmcnt(0)
	v_lshl_add_u64 v[46:47], v[46:47], 0, v[60:61]
	v_cmp_lt_u64_e32 vcc, v[0:1], v[46:47]
	s_and_saveexec_b64 s[92:93], vcc
	s_cbranch_execz .LBB29_92
; %bb.84:                               ;   in Loop: Header=BB29_47 Depth=1
	s_mov_b32 s44, 0
	s_mov_b64 s[94:95], 0
                                        ; implicit-def: $sgpr30_sgpr31
                                        ; implicit-def: $sgpr34_sgpr35
	s_branch .LBB29_86
.LBB29_85:                              ;   in Loop: Header=BB29_86 Depth=2
	s_or_b64 exec, exec, s[38:39]
	s_and_b64 vcc, exec, vcc
	s_or_b64 s[94:95], vcc, s[94:95]
	s_andn2_b64 vcc, s[30:31], exec
	s_and_b64 s[30:31], s[34:35], exec
	s_or_b64 s[30:31], vcc, s[30:31]
	s_andn2_b64 exec, exec, s[94:95]
	s_cbranch_execz .LBB29_90
.LBB29_86:                              ;   Parent Loop BB29_47 Depth=1
                                        ; =>  This Inner Loop Header: Depth=2
	s_add_i32 s44, s44, 1
	s_cmpk_lg_i32 s44, 0x2710
	s_cselect_b64 s[36:37], -1, 0
	s_and_b64 vcc, exec, s[36:37]
	s_cbranch_vccz .LBB29_88
; %bb.87:                               ;   in Loop: Header=BB29_86 Depth=2
	s_mov_b64 vcc, -1
	s_or_b64 s[34:35], s[34:35], exec
	s_and_saveexec_b64 s[38:39], s[36:37]
	s_cbranch_execz .LBB29_85
	s_branch .LBB29_89
.LBB29_88:                              ;   in Loop: Header=BB29_86 Depth=2
	s_trap 2
	ds_read_b64 v[0:1], v0
	s_andn2_b64 s[36:37], s[36:37], exec
	s_mov_b32 s44, 0
	s_waitcnt vmcnt(0) lgkmcnt(0)
	flat_load_dword v0, v[0:1] sc0 sc1
	s_waitcnt vmcnt(0) lgkmcnt(0)
	buffer_inv sc0 sc1
	v_cmp_eq_u32_e32 vcc, 0, v0
	s_and_b64 vcc, vcc, exec
	s_or_b64 s[36:37], s[36:37], vcc
	s_mov_b64 vcc, -1
	s_or_b64 s[34:35], s[34:35], exec
	s_and_saveexec_b64 s[38:39], s[36:37]
	s_cbranch_execz .LBB29_85
.LBB29_89:                              ;   in Loop: Header=BB29_86 Depth=2
	s_sleep 1
	s_trap 2
	ds_read_b64 v[0:1], v0
	s_waitcnt lgkmcnt(0)
	s_andn2_b64 s[34:35], s[34:35], exec
	v_cmp_ge_u64_e32 vcc, v[0:1], v[46:47]
	s_orn2_b64 vcc, vcc, exec
	s_branch .LBB29_85
.LBB29_90:                              ;   in Loop: Header=BB29_47 Depth=1
	s_or_b64 exec, exec, s[94:95]
	s_and_saveexec_b64 s[44:45], s[30:31]
	s_xor_b64 s[44:45], exec, s[44:45]
	s_cbranch_execz .LBB29_92
; %bb.91:                               ;   in Loop: Header=BB29_47 Depth=1
	v_mov_b32_e32 v0, 1
	ds_write_b32 v0, v0
	s_trap 2
.LBB29_92:                              ;   in Loop: Header=BB29_47 Depth=1
	s_or_b64 exec, exec, s[92:93]
	;;#ASMSTART
	s_wakeup
	;;#ASMEND
.LBB29_93:                              ;   in Loop: Header=BB29_47 Depth=1
	s_or_b64 exec, exec, s[42:43]
.LBB29_94:                              ;   in Loop: Header=BB29_47 Depth=1
	s_andn2_saveexec_b64 s[40:41], s[40:41]
	s_cbranch_execz .LBB29_96
; %bb.95:                               ;   in Loop: Header=BB29_47 Depth=1
	s_waitcnt lgkmcnt(0)
	s_barrier
.LBB29_96:                              ;   in Loop: Header=BB29_47 Depth=1
	s_or_b64 exec, exec, s[40:41]
.LBB29_97:                              ;   in Loop: Header=BB29_47 Depth=1
	s_or_b64 exec, exec, s[24:25]
	s_trap 2
	ds_read_b32 v0, v0
	v_and_b32_e32 v1, 0x4000, v110
	v_cmp_ne_u32_e32 vcc, 0, v1
	s_xor_b64 s[24:25], s[4:5], -1
	s_and_b64 s[40:41], s[24:25], vcc
	s_and_saveexec_b64 s[24:25], s[40:41]
	s_cbranch_execz .LBB29_116
; %bb.98:                               ;   in Loop: Header=BB29_47 Depth=1
	s_and_saveexec_b64 s[40:41], s[56:57]
	s_xor_b64 s[40:41], exec, s[40:41]
	s_cbranch_execz .LBB29_113
; %bb.99:                               ;   in Loop: Header=BB29_47 Depth=1
	s_and_saveexec_b64 s[42:43], s[14:15]
	s_cbranch_execz .LBB29_112
; %bb.100:                              ;   in Loop: Header=BB29_47 Depth=1
	s_mov_b64 s[94:95], exec
	v_mbcnt_lo_u32_b32 v1, s94, 0
	v_mbcnt_hi_u32_b32 v1, s95, v1
	v_cmp_eq_u32_e32 vcc, 0, v1
	s_waitcnt lgkmcnt(0)
	s_and_saveexec_b64 s[92:93], vcc
	s_cbranch_execz .LBB29_102
; %bb.101:                              ;   in Loop: Header=BB29_47 Depth=1
	s_bcnt1_i32_b64 s13, s[94:95]
	v_mov_b32_e32 v2, s13
	ds_add_u64 v0, v[2:3]
	s_trap 2
.LBB29_102:                             ;   in Loop: Header=BB29_47 Depth=1
	s_or_b64 exec, exec, s[92:93]
	s_trap 2
	ds_read_b64 v[6:7], v0
	s_waitcnt lgkmcnt(0)
	v_lshl_add_u64 v[46:47], v[46:47], 0, v[60:61]
	v_cmp_lt_u64_e32 vcc, v[6:7], v[46:47]
	s_and_saveexec_b64 s[92:93], vcc
	s_cbranch_execz .LBB29_111
; %bb.103:                              ;   in Loop: Header=BB29_47 Depth=1
	s_mov_b32 s44, 0
	s_mov_b64 s[94:95], 0
                                        ; implicit-def: $sgpr30_sgpr31
                                        ; implicit-def: $sgpr34_sgpr35
	s_branch .LBB29_105
.LBB29_104:                             ;   in Loop: Header=BB29_105 Depth=2
	s_or_b64 exec, exec, s[38:39]
	s_and_b64 vcc, exec, vcc
	s_or_b64 s[94:95], vcc, s[94:95]
	s_andn2_b64 vcc, s[30:31], exec
	s_and_b64 s[30:31], s[34:35], exec
	s_or_b64 s[30:31], vcc, s[30:31]
	s_andn2_b64 exec, exec, s[94:95]
	s_cbranch_execz .LBB29_109
.LBB29_105:                             ;   Parent Loop BB29_47 Depth=1
                                        ; =>  This Inner Loop Header: Depth=2
	s_add_i32 s44, s44, 1
	s_cmpk_lg_i32 s44, 0x2710
	s_cselect_b64 s[36:37], -1, 0
	s_and_b64 vcc, exec, s[36:37]
	s_cbranch_vccz .LBB29_107
; %bb.106:                              ;   in Loop: Header=BB29_105 Depth=2
	s_mov_b64 vcc, -1
	s_or_b64 s[34:35], s[34:35], exec
	s_and_saveexec_b64 s[38:39], s[36:37]
	s_cbranch_execz .LBB29_104
	s_branch .LBB29_108
.LBB29_107:                             ;   in Loop: Header=BB29_105 Depth=2
	s_trap 2
	ds_read_b64 v[6:7], v0
	s_andn2_b64 s[36:37], s[36:37], exec
	s_mov_b32 s44, 0
	s_waitcnt vmcnt(0) lgkmcnt(0)
	flat_load_dword v1, v[6:7] sc0 sc1
	s_waitcnt vmcnt(0) lgkmcnt(0)
	buffer_inv sc0 sc1
	v_cmp_eq_u32_e32 vcc, 0, v1
	s_and_b64 vcc, vcc, exec
	s_or_b64 s[36:37], s[36:37], vcc
	s_mov_b64 vcc, -1
	s_or_b64 s[34:35], s[34:35], exec
	s_and_saveexec_b64 s[38:39], s[36:37]
	s_cbranch_execz .LBB29_104
.LBB29_108:                             ;   in Loop: Header=BB29_105 Depth=2
	s_sleep 1
	s_trap 2
	ds_read_b64 v[6:7], v0
	s_waitcnt lgkmcnt(0)
	s_andn2_b64 s[34:35], s[34:35], exec
	v_cmp_ge_u64_e32 vcc, v[6:7], v[46:47]
	s_orn2_b64 vcc, vcc, exec
	s_branch .LBB29_104
.LBB29_109:                             ;   in Loop: Header=BB29_47 Depth=1
	s_or_b64 exec, exec, s[94:95]
	s_and_saveexec_b64 s[44:45], s[30:31]
	s_xor_b64 s[44:45], exec, s[44:45]
	s_cbranch_execz .LBB29_111
; %bb.110:                              ;   in Loop: Header=BB29_47 Depth=1
	v_mov_b32_e32 v1, 1
	ds_write_b32 v0, v1
	s_trap 2
.LBB29_111:                             ;   in Loop: Header=BB29_47 Depth=1
	s_or_b64 exec, exec, s[92:93]
	;;#ASMSTART
	s_wakeup
	;;#ASMEND
.LBB29_112:                             ;   in Loop: Header=BB29_47 Depth=1
	s_or_b64 exec, exec, s[42:43]
.LBB29_113:                             ;   in Loop: Header=BB29_47 Depth=1
	s_andn2_saveexec_b64 s[40:41], s[40:41]
	s_cbranch_execz .LBB29_115
; %bb.114:                              ;   in Loop: Header=BB29_47 Depth=1
	s_waitcnt lgkmcnt(0)
	s_barrier
.LBB29_115:                             ;   in Loop: Header=BB29_47 Depth=1
	s_or_b64 exec, exec, s[40:41]
.LBB29_116:                             ;   in Loop: Header=BB29_47 Depth=1
	s_or_b64 exec, exec, s[24:25]
	s_trap 2
	s_waitcnt lgkmcnt(0)
	ds_read_b64 v[28:29], v0
	s_waitcnt lgkmcnt(0)
	v_cmp_eq_u64_e32 vcc, 0, v[28:29]
	s_cbranch_vccnz .LBB29_124
; %bb.117:                              ;   in Loop: Header=BB29_47 Depth=1
	s_trap 2
	ds_read_b64 v[58:59], v0
	s_waitcnt lgkmcnt(0)
	v_cmp_eq_u64_e32 vcc, 0, v[58:59]
	s_cbranch_vccnz .LBB29_124
; %bb.118:                              ;   in Loop: Header=BB29_47 Depth=1
	s_mov_b64 s[40:41], -1
	s_and_saveexec_b64 s[24:25], s[16:17]
	s_cbranch_execz .LBB29_120
; %bb.119:                              ;   in Loop: Header=BB29_47 Depth=1
	ds_read_b32 v1, v0 offset:720
	s_waitcnt lgkmcnt(0)
	v_and_b32_e32 v1, 15, v1
	v_cmp_eq_u32_e32 vcc, 0, v1
	s_orn2_b64 s[40:41], vcc, exec
.LBB29_120:                             ;   in Loop: Header=BB29_47 Depth=1
	s_or_b64 exec, exec, s[24:25]
	s_and_saveexec_b64 s[24:25], s[18:19]
	s_cbranch_execz .LBB29_122
; %bb.121:                              ;   in Loop: Header=BB29_47 Depth=1
	ds_read_b32 v1, v0 offset:784
	s_waitcnt lgkmcnt(0)
	v_and_b32_e32 v1, 15, v1
	v_cmp_eq_u32_e32 vcc, 0, v1
	s_and_b64 s[42:43], s[40:41], vcc
	s_andn2_b64 s[40:41], s[40:41], exec
	s_and_b64 s[42:43], s[42:43], exec
	s_or_b64 s[40:41], s[40:41], s[42:43]
.LBB29_122:                             ;   in Loop: Header=BB29_47 Depth=1
	s_or_b64 exec, exec, s[24:25]
	s_xor_b64 s[40:41], s[40:41], -1
	v_cmp_eq_u32_e64 s[24:25], 0, v0
	v_cndmask_b32_e64 v0, 0, 1, s[40:41]
	s_mov_b64 s[42:43], -1
	v_cmp_ne_u32_e32 vcc, 0, v0
	s_cbranch_vccz .LBB29_125
; %bb.123:                              ;   in Loop: Header=BB29_47 Depth=1
	s_mov_b64 s[42:43], 0
	s_mov_b64 s[40:41], -1
	s_branch .LBB29_126
.LBB29_124:                             ;   in Loop: Header=BB29_47 Depth=1
	s_mov_b64 s[24:25], 0
	s_and_saveexec_b64 s[40:41], s[6:7]
	s_cbranch_execnz .LBB29_176
	s_branch .LBB29_194
.LBB29_125:                             ;   in Loop: Header=BB29_47 Depth=1
	s_mov_b64 s[40:41], 0
.LBB29_126:                             ;   in Loop: Header=BB29_47 Depth=1
	v_cndmask_b32_e64 v2, 0, v4, s[24:25]
	v_lshlrev_b32_e32 v5, 1, v2
	s_andn2_b64 vcc, exec, s[42:43]
	v_mov_b32_e32 v0, 0
	s_cbranch_vccnz .LBB29_134
; %bb.127:                              ;   in Loop: Header=BB29_47 Depth=1
	scratch_load_dword v1, off, s33 offset:320 ; 4-byte Folded Reload
	scratch_load_dwordx2 v[8:9], off, s33 offset:380 ; 8-byte Folded Reload
	v_ashrrev_i32_e32 v0, 31, v5
	v_lshrrev_b32_e32 v0, 19, v0
	v_add_u32_e32 v0, v5, v0
	v_ashrrev_i32_e32 v0, 13, v0
	s_mov_b64 s[42:43], 0
                                        ; implicit-def: $vgpr12_vgpr13
                                        ; implicit-def: $vgpr16_vgpr17
                                        ; implicit-def: $vgpr20_vgpr21
                                        ; implicit-def: $vgpr24_vgpr25
                                        ; implicit-def: $vgpr32_vgpr33
                                        ; implicit-def: $vgpr36_vgpr37
                                        ; implicit-def: $vgpr48_vgpr49
	s_waitcnt vmcnt(1)
	v_lshrrev_b32_e32 v1, 6, v1
	v_sub_u32_e32 v7, v0, v1
	s_waitcnt vmcnt(0)
	v_lshl_add_u64 v[62:63], v[58:59], 0, v[8:9]
	v_cmp_lt_i32_e32 vcc, 0, v7
                                        ; implicit-def: $vgpr8_vgpr9
	s_and_saveexec_b64 s[24:25], vcc
	s_cbranch_execz .LBB29_136
; %bb.128:                              ;   in Loop: Header=BB29_47 Depth=1
	scratch_load_dwordx2 v[8:9], off, s33 offset:380 ; 8-byte Folded Reload
	s_mov_b64 s[94:95], 0
                                        ; implicit-def: $sgpr92_sgpr93
                                        ; implicit-def: $vgpr12_vgpr13
                                        ; implicit-def: $vgpr16_vgpr17
                                        ; implicit-def: $vgpr20_vgpr21
                                        ; implicit-def: $vgpr24_vgpr25
                                        ; implicit-def: $vgpr32_vgpr33
                                        ; implicit-def: $vgpr36_vgpr37
                                        ; implicit-def: $vgpr48_vgpr49
	s_waitcnt vmcnt(0)
	v_lshl_add_u64 v[72:73], v[28:29], 0, v[8:9]
                                        ; implicit-def: $vgpr8_vgpr9
	s_branch .LBB29_130
.LBB29_129:                             ;   in Loop: Header=BB29_130 Depth=2
	s_or_b64 exec, exec, s[30:31]
	global_store_dwordx4 v[62:63], v[52:55], off
	global_store_dwordx4 v[62:63], v[64:67], off offset:1024
	global_store_dwordx4 v[62:63], v[68:71], off offset:2048
	;; [unrolled: 1-line block ×3, first 2 shown]
	v_add_co_u32_e32 v52, vcc, s87, v62
	v_sub_u32_e32 v7, v6, v1
	s_nop 0
	v_addc_co_u32_e32 v53, vcc, 0, v63, vcc
	v_cmp_gt_i32_e32 vcc, 1, v7
	s_or_b64 s[42:43], vcc, s[42:43]
	global_store_dwordx4 v[52:53], v[84:87], off
	global_store_dwordx4 v[52:53], v[96:99], off offset:1024
	global_store_dwordx4 v[52:53], v[100:103], off offset:2048
	;; [unrolled: 1-line block ×3, first 2 shown]
	s_waitcnt vmcnt(8)
	v_lshl_add_u64 v[52:53], v[62:63], 0, v[78:79]
	s_andn2_b64 s[44:45], s[92:93], exec
	s_and_b64 s[92:93], s[94:95], exec
	v_lshl_add_u64 v[62:63], v[52:53], 0, s[58:59]
	v_lshl_add_u64 v[72:73], v[72:73], 0, v[78:79]
	s_or_b64 s[92:93], s[44:45], s[92:93]
	s_andn2_b64 exec, exec, s[42:43]
	s_cbranch_execz .LBB29_135
.LBB29_130:                             ;   Parent Loop BB29_47 Depth=1
                                        ; =>  This Inner Loop Header: Depth=2
	v_add_co_u32_e32 v112, vcc, 0x1000, v72
	global_load_dwordx4 v[52:55], v[72:73], off nt
	global_load_dwordx4 v[64:67], v[72:73], off offset:1024 nt
	global_load_dwordx4 v[68:71], v[72:73], off offset:2048 nt
	;; [unrolled: 1-line block ×3, first 2 shown]
	v_addc_co_u32_e32 v113, vcc, 0, v73, vcc
	global_load_dwordx4 v[84:87], v[112:113], off nt
	global_load_dwordx4 v[96:99], v[112:113], off offset:1024 nt
	global_load_dwordx4 v[100:103], v[112:113], off offset:2048 nt
	s_nop 0
	global_load_dwordx4 v[112:115], v[112:113], off offset:3072 nt
	s_and_saveexec_b64 s[30:31], s[94:95]
	s_cbranch_execz .LBB29_132
; %bb.131:                              ;   in Loop: Header=BB29_130 Depth=2
	v_add_co_u32_e32 v42, vcc, 0x1000, v62
	global_store_dwordx4 v[62:63], v[8:11], off
	global_store_dwordx4 v[62:63], v[12:15], off offset:1024
	global_store_dwordx4 v[62:63], v[16:19], off offset:2048
	;; [unrolled: 1-line block ×3, first 2 shown]
	v_addc_co_u32_e32 v43, vcc, 0, v63, vcc
	global_store_dwordx4 v[42:43], v[24:27], off
	global_store_dwordx4 v[42:43], v[32:35], off offset:1024
	global_store_dwordx4 v[42:43], v[36:39], off offset:2048
	;; [unrolled: 1-line block ×3, first 2 shown]
	scratch_load_dwordx2 v[42:43], off, s33 offset:272 ; 8-byte Folded Reload
	s_waitcnt vmcnt(0)
	v_lshl_add_u64 v[62:63], v[62:63], 0, v[42:43]
.LBB29_132:                             ;   in Loop: Header=BB29_130 Depth=2
	s_or_b64 exec, exec, s[30:31]
	scratch_load_dwordx2 v[42:43], off, s33 offset:272 ; 8-byte Folded Reload
	v_sub_u32_e32 v6, v7, v60
	v_mov_b32_e32 v1, 0
	v_cmp_lt_i32_e64 s[94:95], 0, v6
	v_mov_b64_e32 v[78:79], 0
	s_waitcnt vmcnt(0)
	v_lshl_add_u64 v[72:73], v[72:73], 0, v[42:43]
	s_and_saveexec_b64 s[30:31], s[94:95]
	s_cbranch_execz .LBB29_129
; %bb.133:                              ;   in Loop: Header=BB29_130 Depth=2
	v_add_co_u32_e32 v48, vcc, s87, v72
	global_load_dwordx4 v[8:11], v[72:73], off nt
	global_load_dwordx4 v[12:15], v[72:73], off offset:1024 nt
	global_load_dwordx4 v[16:19], v[72:73], off offset:2048 nt
	;; [unrolled: 1-line block ×3, first 2 shown]
	v_addc_co_u32_e32 v49, vcc, 0, v73, vcc
	global_load_dwordx4 v[24:27], v[48:49], off nt
	global_load_dwordx4 v[32:35], v[48:49], off offset:1024 nt
	global_load_dwordx4 v[36:39], v[48:49], off offset:2048 nt
	s_nop 0
	global_load_dwordx4 v[48:51], v[48:49], off offset:3072 nt
	v_lshl_add_u64 v[72:73], v[72:73], 0, s[58:59]
	scratch_load_dwordx2 v[78:79], off, s33 offset:340 ; 8-byte Folded Reload
	v_mov_b32_e32 v1, v60
	s_branch .LBB29_129
.LBB29_134:                             ;   in Loop: Header=BB29_47 Depth=1
	scratch_load_dword v6, off, s33 offset:320 ; 4-byte Folded Reload
	s_waitcnt vmcnt(0)
	v_mov_b32_e32 v1, v6
	v_and_b32_e32 v6, 63, v6
	s_and_saveexec_b64 s[24:25], s[40:41]
	s_cbranch_execnz .LBB29_155
	s_branch .LBB29_175
.LBB29_135:                             ;   in Loop: Header=BB29_47 Depth=1
	s_or_b64 exec, exec, s[42:43]
	s_and_b64 s[42:43], s[92:93], exec
.LBB29_136:                             ;   in Loop: Header=BB29_47 Depth=1
	s_or_b64 exec, exec, s[24:25]
	s_and_saveexec_b64 s[24:25], s[42:43]
	s_cbranch_execz .LBB29_138
; %bb.137:                              ;   in Loop: Header=BB29_47 Depth=1
	global_store_dwordx4 v[62:63], v[8:11], off
	global_store_dwordx4 v[62:63], v[12:15], off offset:1024
	global_store_dwordx4 v[62:63], v[16:19], off offset:2048
	;; [unrolled: 1-line block ×3, first 2 shown]
	v_add_co_u32_e32 v8, vcc, 0x1000, v62
	s_nop 1
	v_addc_co_u32_e32 v9, vcc, 0, v63, vcc
	global_store_dwordx4 v[8:9], v[24:27], off
	global_store_dwordx4 v[8:9], v[32:35], off offset:1024
	global_store_dwordx4 v[8:9], v[36:39], off offset:2048
	;; [unrolled: 1-line block ×3, first 2 shown]
.LBB29_138:                             ;   in Loop: Header=BB29_47 Depth=1
	s_or_b64 exec, exec, s[24:25]
	v_lshlrev_b32_e32 v20, 13, v0
	v_cmp_ne_u32_e32 vcc, v5, v20
                                        ; implicit-def: $vgpr0
                                        ; implicit-def: $vgpr1
                                        ; implicit-def: $vgpr6
	s_and_saveexec_b64 s[42:43], vcc
	s_cbranch_execz .LBB29_154
; %bb.139:                              ;   in Loop: Header=BB29_47 Depth=1
	scratch_load_dword v6, off, s33 offset:320 ; 4-byte Folded Reload
	v_lshlrev_b32_e32 v0, 6, v7
	v_sub_u32_e32 v1, v5, v20
	s_mov_b64 s[94:95], 0
	s_waitcnt vmcnt(0)
	v_and_b32_e32 v6, 63, v6
	v_sub_u32_e32 v0, v6, v0
	v_ashrrev_i32_e32 v6, 31, v0
	v_lshrrev_b32_e32 v6, 26, v6
	v_add_u32_e32 v6, v0, v6
	v_ashrrev_i32_e32 v8, 6, v6
	v_and_b32_e32 v6, 0xffffffc0, v6
	v_sub_u32_e32 v7, v0, v6
	v_ashrrev_i32_e32 v6, 31, v1
	v_lshrrev_b32_e32 v6, 22, v6
	v_add_u32_e32 v6, v1, v6
	v_lshlrev_b32_e32 v0, 4, v7
	v_and_b32_e32 v21, 0xfffffc00, v6
	v_lshl_add_u32 v0, v8, 10, v0
	v_sub_u32_e32 v23, v1, v21
	v_add_u32_e32 v10, v0, v20
	v_ashrrev_i32_e32 v9, 10, v6
	v_cmp_lt_i32_e32 vcc, 15, v23
	v_sub_u32_e32 v0, v1, v0
	v_ashrrev_i32_e32 v11, 31, v10
	v_addc_co_u32_e64 v1, s[24:25], 0, v9, vcc
	v_sub_u32_e32 v22, v1, v8
	v_lshl_add_u64 v[16:17], v[10:11], 0, v[58:59]
	v_cmp_lt_i32_e64 s[24:25], 15, v0
                                        ; implicit-def: $vgpr8_vgpr9
	s_and_saveexec_b64 s[92:93], s[24:25]
	s_cbranch_execz .LBB29_149
; %bb.140:                              ;   in Loop: Header=BB29_47 Depth=1
	v_lshl_add_u64 v[18:19], v[10:11], 0, v[28:29]
	s_mov_b64 s[34:35], 0
                                        ; implicit-def: $sgpr30_sgpr31
                                        ; implicit-def: $vgpr8_vgpr9
	s_branch .LBB29_142
.LBB29_141:                             ;   in Loop: Header=BB29_142 Depth=2
	s_or_b64 exec, exec, s[24:25]
	v_cmp_gt_i32_e64 s[24:25], 16, v0
	s_or_b64 s[94:95], s[24:25], s[94:95]
	s_andn2_b64 s[24:25], s[30:31], exec
	s_and_b64 s[44:45], s[34:35], exec
	s_or_b64 s[30:31], s[24:25], s[44:45]
	s_andn2_b64 exec, exec, s[94:95]
	s_cbranch_execz .LBB29_148
.LBB29_142:                             ;   Parent Loop BB29_47 Depth=1
                                        ; =>  This Inner Loop Header: Depth=2
	global_load_dwordx4 v[12:15], v[18:19], off nt
	s_and_saveexec_b64 s[24:25], s[34:35]
	s_cbranch_execz .LBB29_144
; %bb.143:                              ;   in Loop: Header=BB29_142 Depth=2
	scratch_load_dwordx2 v[24:25], off, s33 offset:264 ; 8-byte Folded Reload
	s_waitcnt vmcnt(0)
	v_lshl_add_u64 v[24:25], v[16:17], 0, v[24:25]
	global_store_dwordx4 v[16:17], v[8:11], off
	v_mov_b64_e32 v[16:17], v[24:25]
.LBB29_144:                             ;   in Loop: Header=BB29_142 Depth=2
	s_or_b64 exec, exec, s[24:25]
	scratch_load_dwordx2 v[24:25], off, s33 offset:264 ; 8-byte Folded Reload
	v_lshlrev_b32_e32 v1, 10, v60
	v_sub_u32_e32 v0, v0, v1
	v_cmp_lt_i32_e64 s[34:35], 15, v0
	s_waitcnt vmcnt(0)
	v_lshl_add_u64 v[18:19], v[18:19], 0, v[24:25]
	s_and_saveexec_b64 s[24:25], s[34:35]
	s_cbranch_execz .LBB29_146
; %bb.145:                              ;   in Loop: Header=BB29_142 Depth=2
	global_load_dwordx4 v[8:11], v[18:19], off nt
	v_lshl_add_u64 v[18:19], v[18:19], 0, s[60:61]
.LBB29_146:                             ;   in Loop: Header=BB29_142 Depth=2
	s_or_b64 exec, exec, s[24:25]
	v_sub_u32_e32 v22, v22, v60
	global_store_dwordx4 v[16:17], v[12:15], off
	v_lshl_add_u64 v[16:17], v[16:17], 0, s[60:61]
	s_and_saveexec_b64 s[24:25], s[34:35]
	s_cbranch_execz .LBB29_141
; %bb.147:                              ;   in Loop: Header=BB29_142 Depth=2
	v_lshlrev_b32_e32 v1, 10, v60
	v_sub_u32_e32 v22, v22, v60
	v_sub_u32_e32 v0, v0, v1
	v_lshl_add_u64 v[18:19], v[18:19], 0, v[90:91]
	v_lshl_add_u64 v[16:17], v[16:17], 0, v[90:91]
	s_branch .LBB29_141
.LBB29_148:                             ;   in Loop: Header=BB29_47 Depth=1
	s_or_b64 exec, exec, s[94:95]
	s_and_b64 s[94:95], s[30:31], exec
.LBB29_149:                             ;   in Loop: Header=BB29_47 Depth=1
	s_or_b64 exec, exec, s[92:93]
	s_and_saveexec_b64 s[24:25], s[94:95]
	s_cbranch_execz .LBB29_151
; %bb.150:                              ;   in Loop: Header=BB29_47 Depth=1
	s_waitcnt vmcnt(1)
	global_store_dwordx4 v[16:17], v[8:11], off
.LBB29_151:                             ;   in Loop: Header=BB29_47 Depth=1
	s_or_b64 exec, exec, s[24:25]
	s_waitcnt vmcnt(1)
	v_and_b32_e32 v8, 14, v5
	v_cndmask_b32_e32 v5, v23, v8, vcc
	v_cmp_ne_u32_e64 s[24:25], 0, v5
	s_mov_b64 s[94:95], s[40:41]
                                        ; implicit-def: $vgpr0
                                        ; implicit-def: $vgpr1
                                        ; implicit-def: $vgpr6
	s_and_saveexec_b64 s[92:93], s[24:25]
	s_cbranch_execz .LBB29_153
; %bb.152:                              ;   in Loop: Header=BB29_47 Depth=1
	v_sub_u32_e32 v0, v23, v8
	v_cndmask_b32_e32 v0, 0, v0, vcc
	v_cmp_lt_i32_e32 vcc, 0, v22
	v_add3_u32 v0, v21, v20, v0
	s_or_b64 s[94:95], s[40:41], exec
	v_cndmask_b32_e32 v1, 0, v60, vcc
	v_sub_u32_e32 v1, v1, v22
	v_lshl_add_u32 v1, v1, 6, v7
	v_ashrrev_i32_e32 v6, 31, v1
	v_lshrrev_b32_e32 v6, 26, v6
	v_add_u32_e32 v6, v1, v6
	v_and_b32_e32 v6, 0xffffffc0, v6
	v_sub_u32_e32 v6, v1, v6
.LBB29_153:                             ;   in Loop: Header=BB29_47 Depth=1
	s_or_b64 exec, exec, s[92:93]
	s_andn2_b64 s[24:25], s[40:41], exec
	s_and_b64 s[40:41], s[94:95], exec
	s_or_b64 s[40:41], s[24:25], s[40:41]
.LBB29_154:                             ;   in Loop: Header=BB29_47 Depth=1
	s_or_b64 exec, exec, s[42:43]
	s_and_saveexec_b64 s[24:25], s[40:41]
	s_cbranch_execz .LBB29_175
.LBB29_155:                             ;   in Loop: Header=BB29_47 Depth=1
	v_ashrrev_i32_e32 v7, 31, v1
	v_lshrrev_b32_e32 v7, 26, v7
	v_add_u32_e32 v1, v1, v7
	v_ashrrev_i32_e32 v1, 6, v1
	v_lshlrev_b32_e32 v7, 11, v1
	v_lshlrev_b32_e32 v8, 1, v6
	v_add3_u32 v10, v0, v8, v7
	v_ashrrev_i32_e32 v7, 31, v5
	v_lshrrev_b32_e32 v7, 21, v7
	v_add_u32_e32 v7, v5, v7
	v_ashrrev_i32_e32 v7, 11, v7
	v_sub_u32_e32 v12, v7, v1
	v_ashrrev_i32_e32 v11, 31, v10
	v_lshl_add_u64 v[8:9], v[58:59], 0, v[10:11]
	v_cmp_lt_i32_e32 vcc, 0, v12
	s_mov_b64 s[42:43], 0
                                        ; implicit-def: $vgpr14
                                        ; implicit-def: $vgpr15
                                        ; implicit-def: $vgpr16
                                        ; implicit-def: $vgpr17
                                        ; implicit-def: $vgpr18
                                        ; implicit-def: $vgpr19
                                        ; implicit-def: $vgpr20
                                        ; implicit-def: $vgpr21
                                        ; implicit-def: $vgpr22
                                        ; implicit-def: $vgpr23
                                        ; implicit-def: $vgpr24
                                        ; implicit-def: $vgpr25
                                        ; implicit-def: $vgpr26
                                        ; implicit-def: $vgpr27
                                        ; implicit-def: $vgpr30
                                        ; implicit-def: $vgpr32
	s_and_saveexec_b64 s[40:41], vcc
	s_cbranch_execz .LBB29_163
; %bb.156:                              ;   in Loop: Header=BB29_47 Depth=1
	v_lshl_add_u64 v[10:11], v[10:11], 0, v[28:29]
	s_mov_b64 s[94:95], 0
                                        ; implicit-def: $sgpr92_sgpr93
                                        ; implicit-def: $vgpr14
                                        ; implicit-def: $vgpr15
                                        ; implicit-def: $vgpr16
                                        ; implicit-def: $vgpr17
                                        ; implicit-def: $vgpr18
                                        ; implicit-def: $vgpr19
                                        ; implicit-def: $vgpr20
                                        ; implicit-def: $vgpr21
                                        ; implicit-def: $vgpr22
                                        ; implicit-def: $vgpr23
                                        ; implicit-def: $vgpr24
                                        ; implicit-def: $vgpr25
                                        ; implicit-def: $vgpr26
                                        ; implicit-def: $vgpr27
                                        ; implicit-def: $vgpr30
                                        ; implicit-def: $vgpr32
	s_branch .LBB29_158
.LBB29_157:                             ;   in Loop: Header=BB29_158 Depth=2
	s_or_b64 exec, exec, vcc
	s_waitcnt vmcnt(0) lgkmcnt(0)
	flat_store_short v[8:9], v33 nt
	flat_store_short v[8:9], v34 offset:128 nt
	flat_store_short v[8:9], v35 offset:256 nt
	;; [unrolled: 1-line block ×15, first 2 shown]
	v_lshl_add_u64 v[8:9], v[8:9], 0, v[12:13]
	v_lshl_add_u64 v[10:11], v[10:11], 0, v[12:13]
	v_sub_u32_e32 v12, v1, v65
	v_cmp_gt_i32_e32 vcc, 1, v12
	s_or_b64 s[42:43], vcc, s[42:43]
	s_andn2_b64 s[44:45], s[92:93], exec
	s_and_b64 s[92:93], s[94:95], exec
	v_lshl_add_u64 v[8:9], v[8:9], 0, s[62:63]
	s_or_b64 s[92:93], s[44:45], s[92:93]
	s_andn2_b64 exec, exec, s[42:43]
	s_cbranch_execz .LBB29_162
.LBB29_158:                             ;   Parent Loop BB29_47 Depth=1
                                        ; =>  This Inner Loop Header: Depth=2
	flat_load_ushort v33, v[10:11] nt
	flat_load_ushort v34, v[10:11] offset:128 nt
	flat_load_ushort v35, v[10:11] offset:256 nt
	;; [unrolled: 1-line block ×15, first 2 shown]
	s_and_saveexec_b64 vcc, s[94:95]
	s_cbranch_execz .LBB29_160
; %bb.159:                              ;   in Loop: Header=BB29_158 Depth=2
	flat_store_short v[8:9], v14 nt
	flat_store_short v[8:9], v15 offset:128 nt
	flat_store_short v[8:9], v16 offset:256 nt
	;; [unrolled: 1-line block ×15, first 2 shown]
	v_lshl_add_u64 v[8:9], v[8:9], 0, v[104:105]
.LBB29_160:                             ;   in Loop: Header=BB29_158 Depth=2
	s_or_b64 exec, exec, vcc
	v_sub_u32_e32 v1, v12, v60
	v_lshl_add_u64 v[10:11], v[10:11], 0, v[104:105]
	v_mov_b32_e32 v65, 0
	v_cmp_lt_i32_e64 s[94:95], 0, v1
	v_mov_b64_e32 v[12:13], 0
	s_and_saveexec_b64 vcc, s[94:95]
	s_cbranch_execz .LBB29_157
; %bb.161:                              ;   in Loop: Header=BB29_158 Depth=2
	flat_load_ushort v14, v[10:11] nt
	flat_load_ushort v15, v[10:11] offset:128 nt
	flat_load_ushort v16, v[10:11] offset:256 nt
	;; [unrolled: 1-line block ×15, first 2 shown]
	v_lshl_add_u64 v[10:11], v[10:11], 0, s[62:63]
	v_mov_b32_e32 v65, v60
	v_mov_b64_e32 v[12:13], v[76:77]
	s_branch .LBB29_157
.LBB29_162:                             ;   in Loop: Header=BB29_47 Depth=1
	s_or_b64 exec, exec, s[42:43]
	s_and_b64 s[42:43], s[92:93], exec
.LBB29_163:                             ;   in Loop: Header=BB29_47 Depth=1
	s_or_b64 exec, exec, s[40:41]
	s_and_saveexec_b64 s[40:41], s[42:43]
	s_cbranch_execz .LBB29_165
; %bb.164:                              ;   in Loop: Header=BB29_47 Depth=1
	flat_store_short v[8:9], v14 nt
	flat_store_short v[8:9], v15 offset:128 nt
	flat_store_short v[8:9], v16 offset:256 nt
	;; [unrolled: 1-line block ×15, first 2 shown]
.LBB29_165:                             ;   in Loop: Header=BB29_47 Depth=1
	s_or_b64 exec, exec, s[40:41]
	v_lshlrev_b32_e32 v1, 11, v7
	v_cmp_ne_u32_e32 vcc, v5, v1
	s_and_b64 exec, exec, vcc
	s_cbranch_execz .LBB29_175
; %bb.166:                              ;   in Loop: Header=BB29_47 Depth=1
	v_lshlrev_b32_e32 v7, 6, v12
	v_sub_u32_e32 v6, v6, v7
	v_ashrrev_i32_e32 v7, 31, v6
	v_lshrrev_b32_e32 v7, 26, v7
	v_add_u32_e32 v7, v6, v7
	v_and_b32_e32 v8, 0x7fffffc0, v7
	v_sub_u32_e32 v6, v6, v8
	v_lshlrev_b32_e32 v7, 1, v7
	v_and_b32_e32 v7, 0xffffff80, v7
	v_lshlrev_b32_e32 v6, 1, v6
	v_add3_u32 v6, v7, v6, v1
	v_sub_u32_e32 v1, v5, v6
	v_cmp_lt_i32_e32 vcc, 1, v1
	s_and_b64 exec, exec, vcc
	s_cbranch_execz .LBB29_175
; %bb.167:                              ;   in Loop: Header=BB29_47 Depth=1
	v_add_u32_e32 v6, v6, v0
	v_ashrrev_i32_e32 v7, 31, v6
	v_lshl_add_u64 v[8:9], v[58:59], 0, v[6:7]
	v_lshl_add_u64 v[10:11], v[6:7], 0, v[28:29]
	s_mov_b64 s[92:93], 0
	s_mov_b64 s[40:41], 0
                                        ; implicit-def: $sgpr42_sgpr43
                                        ; implicit-def: $vgpr0
	s_branch .LBB29_169
.LBB29_168:                             ;   in Loop: Header=BB29_169 Depth=2
	s_or_b64 exec, exec, s[94:95]
	v_sub_u32_e32 v1, v1, v6
	v_cmp_gt_i32_e32 vcc, 2, v1
	s_or_b64 s[40:41], vcc, s[40:41]
	s_waitcnt lgkmcnt(0)
	flat_store_short v[8:9], v5 nt
	v_lshl_add_u64 v[8:9], v[8:9], 0, v[12:13]
	s_andn2_b64 s[42:43], s[42:43], exec
	s_and_b64 s[44:45], s[92:93], exec
	v_lshl_add_u64 v[10:11], v[10:11], 0, v[12:13]
	v_lshl_add_u64 v[8:9], v[8:9], 0, s[72:73]
	s_or_b64 s[42:43], s[42:43], s[44:45]
	s_andn2_b64 exec, exec, s[40:41]
	s_cbranch_execz .LBB29_173
.LBB29_169:                             ;   Parent Loop BB29_47 Depth=1
                                        ; =>  This Inner Loop Header: Depth=2
	flat_load_ushort v5, v[10:11] nt
	s_and_saveexec_b64 s[94:95], s[92:93]
	s_cbranch_execz .LBB29_171
; %bb.170:                              ;   in Loop: Header=BB29_169 Depth=2
	scratch_load_dwordx2 v[6:7], off, s33 offset:256 ; 8-byte Folded Reload
	s_waitcnt vmcnt(0)
	v_lshl_add_u64 v[6:7], v[8:9], 0, v[6:7]
	flat_store_short v[8:9], v0 nt
	v_mov_b64_e32 v[8:9], v[6:7]
.LBB29_171:                             ;   in Loop: Header=BB29_169 Depth=2
	s_or_b64 exec, exec, s[94:95]
	scratch_load_dwordx2 v[6:7], off, s33 offset:256 ; 8-byte Folded Reload
	v_sub_u32_e32 v1, v1, v31
	v_cmp_lt_i32_e64 s[92:93], 1, v1
	v_mov_b64_e32 v[12:13], 0
	s_waitcnt vmcnt(0)
	v_lshl_add_u64 v[10:11], v[10:11], 0, v[6:7]
	v_mov_b32_e32 v6, 0
	s_and_saveexec_b64 s[94:95], s[92:93]
	s_cbranch_execz .LBB29_168
; %bb.172:                              ;   in Loop: Header=BB29_169 Depth=2
	flat_load_ushort v0, v[10:11] nt
	v_lshl_add_u64 v[10:11], v[10:11], 0, s[72:73]
	v_mov_b32_e32 v6, v31
	v_mov_b64_e32 v[12:13], v[92:93]
	s_branch .LBB29_168
.LBB29_173:                             ;   in Loop: Header=BB29_47 Depth=1
	s_or_b64 exec, exec, s[40:41]
	s_and_b64 exec, exec, s[42:43]
	s_cbranch_execz .LBB29_175
; %bb.174:                              ;   in Loop: Header=BB29_47 Depth=1
	s_waitcnt vmcnt(0)
	flat_store_short v[8:9], v0 nt
.LBB29_175:                             ;   in Loop: Header=BB29_47 Depth=1
	s_or_b64 exec, exec, s[24:25]
	v_cmp_lt_i32_e64 s[24:25], 0, v2
	s_and_saveexec_b64 s[40:41], s[6:7]
	s_cbranch_execz .LBB29_194
.LBB29_176:                             ;   in Loop: Header=BB29_47 Depth=1
	s_and_saveexec_b64 s[42:43], s[56:57]
	s_xor_b64 s[42:43], exec, s[42:43]
	s_cbranch_execz .LBB29_191
; %bb.177:                              ;   in Loop: Header=BB29_47 Depth=1
	s_and_saveexec_b64 s[92:93], s[14:15]
	s_cbranch_execz .LBB29_190
; %bb.178:                              ;   in Loop: Header=BB29_47 Depth=1
	s_mov_b64 s[30:31], exec
	s_waitcnt vmcnt(0)
	v_mbcnt_lo_u32_b32 v0, s30, 0
	v_mbcnt_hi_u32_b32 v0, s31, v0
	v_cmp_eq_u32_e32 vcc, 0, v0
	s_waitcnt lgkmcnt(0)
	s_and_saveexec_b64 s[94:95], vcc
	s_cbranch_execz .LBB29_180
; %bb.179:                              ;   in Loop: Header=BB29_47 Depth=1
	s_bcnt1_i32_b64 s13, s[30:31]
	v_mov_b32_e32 v2, s13
	ds_add_u64 v0, v[2:3]
	s_trap 2
.LBB29_180:                             ;   in Loop: Header=BB29_47 Depth=1
	s_or_b64 exec, exec, s[94:95]
	s_trap 2
	ds_read_b64 v[0:1], v0
	s_waitcnt lgkmcnt(0)
	v_lshl_add_u64 v[46:47], v[46:47], 0, v[60:61]
	v_cmp_lt_u64_e32 vcc, v[0:1], v[46:47]
	s_and_saveexec_b64 s[94:95], vcc
	s_cbranch_execz .LBB29_189
; %bb.181:                              ;   in Loop: Header=BB29_47 Depth=1
	s_mov_b32 s44, 0
	s_mov_b64 s[30:31], 0
                                        ; implicit-def: $sgpr34_sgpr35
                                        ; implicit-def: $sgpr36_sgpr37
	s_branch .LBB29_183
.LBB29_182:                             ;   in Loop: Header=BB29_183 Depth=2
	s_or_b64 exec, exec, s[48:49]
	s_and_b64 vcc, exec, vcc
	s_or_b64 s[30:31], vcc, s[30:31]
	s_andn2_b64 vcc, s[34:35], exec
	s_and_b64 s[34:35], s[36:37], exec
	s_or_b64 s[34:35], vcc, s[34:35]
	s_andn2_b64 exec, exec, s[30:31]
	s_cbranch_execz .LBB29_187
.LBB29_183:                             ;   Parent Loop BB29_47 Depth=1
                                        ; =>  This Inner Loop Header: Depth=2
	s_add_i32 s44, s44, 1
	s_cmpk_lg_i32 s44, 0x2710
	s_cselect_b64 s[38:39], -1, 0
	s_and_b64 vcc, exec, s[38:39]
	s_cbranch_vccz .LBB29_185
; %bb.184:                              ;   in Loop: Header=BB29_183 Depth=2
	s_mov_b64 vcc, -1
	s_or_b64 s[36:37], s[36:37], exec
	s_and_saveexec_b64 s[48:49], s[38:39]
	s_cbranch_execz .LBB29_182
	s_branch .LBB29_186
.LBB29_185:                             ;   in Loop: Header=BB29_183 Depth=2
	s_trap 2
	ds_read_b64 v[0:1], v0
	s_andn2_b64 s[38:39], s[38:39], exec
	s_mov_b32 s44, 0
	s_waitcnt lgkmcnt(0)
	flat_load_dword v0, v[0:1] sc0 sc1
	s_waitcnt vmcnt(0) lgkmcnt(0)
	buffer_inv sc0 sc1
	v_cmp_eq_u32_e32 vcc, 0, v0
	s_and_b64 vcc, vcc, exec
	s_or_b64 s[38:39], s[38:39], vcc
	s_mov_b64 vcc, -1
	s_or_b64 s[36:37], s[36:37], exec
	s_and_saveexec_b64 s[48:49], s[38:39]
	s_cbranch_execz .LBB29_182
.LBB29_186:                             ;   in Loop: Header=BB29_183 Depth=2
	s_sleep 1
	s_trap 2
	ds_read_b64 v[0:1], v0
	s_waitcnt lgkmcnt(0)
	s_andn2_b64 s[36:37], s[36:37], exec
	v_cmp_ge_u64_e32 vcc, v[0:1], v[46:47]
	s_orn2_b64 vcc, vcc, exec
	s_branch .LBB29_182
.LBB29_187:                             ;   in Loop: Header=BB29_47 Depth=1
	s_or_b64 exec, exec, s[30:31]
	s_and_saveexec_b64 s[44:45], s[34:35]
	s_xor_b64 s[44:45], exec, s[44:45]
	s_cbranch_execz .LBB29_189
; %bb.188:                              ;   in Loop: Header=BB29_47 Depth=1
	v_mov_b32_e32 v0, 1
	ds_write_b32 v0, v0
	s_trap 2
.LBB29_189:                             ;   in Loop: Header=BB29_47 Depth=1
	s_or_b64 exec, exec, s[94:95]
	;;#ASMSTART
	s_wakeup
	;;#ASMEND
.LBB29_190:                             ;   in Loop: Header=BB29_47 Depth=1
	s_or_b64 exec, exec, s[92:93]
.LBB29_191:                             ;   in Loop: Header=BB29_47 Depth=1
	s_andn2_saveexec_b64 s[42:43], s[42:43]
	s_cbranch_execz .LBB29_193
; %bb.192:                              ;   in Loop: Header=BB29_47 Depth=1
	s_waitcnt lgkmcnt(0)
	s_barrier
.LBB29_193:                             ;   in Loop: Header=BB29_47 Depth=1
	s_or_b64 exec, exec, s[42:43]
.LBB29_194:                             ;   in Loop: Header=BB29_47 Depth=1
	s_or_b64 exec, exec, s[40:41]
	s_waitcnt vmcnt(0)
	v_and_b32_e32 v0, 16, v110
	s_and_saveexec_b64 s[40:41], s[22:23]
	s_xor_b64 s[40:41], exec, s[40:41]
	s_cbranch_execz .LBB29_199
; %bb.195:                              ;   in Loop: Header=BB29_47 Depth=1
	v_and_b32_e32 v1, 16, v110
	v_cmp_ne_u32_e32 vcc, 0, v1
	v_and_b32_e32 v0, 16, v110
	s_and_b64 s[42:43], vcc, s[24:25]
	s_and_saveexec_b64 s[24:25], s[42:43]
	s_cbranch_execz .LBB29_197
; %bb.196:                              ;   in Loop: Header=BB29_47 Depth=1
	v_mov_b32_e32 v0, 1
	buffer_wbl2 sc1
	s_waitcnt lgkmcnt(0)
	buffer_inv sc1
.LBB29_197:                             ;   in Loop: Header=BB29_47 Depth=1
	s_or_b64 exec, exec, s[24:25]
	s_andn2_saveexec_b64 s[24:25], s[40:41]
	s_cbranch_execnz .LBB29_200
.LBB29_198:                             ;   in Loop: Header=BB29_47 Depth=1
	s_or_b64 exec, exec, s[24:25]
	v_cmp_ne_u32_e32 vcc, 0, v0
	s_and_saveexec_b64 s[24:25], vcc
	s_cbranch_execnz .LBB29_218
	s_branch .LBB29_221
.LBB29_199:                             ;   in Loop: Header=BB29_47 Depth=1
	s_andn2_saveexec_b64 s[24:25], s[40:41]
	s_cbranch_execz .LBB29_198
.LBB29_200:                             ;   in Loop: Header=BB29_47 Depth=1
	s_and_saveexec_b64 s[40:41], s[56:57]
	s_xor_b64 s[40:41], exec, s[40:41]
	s_cbranch_execz .LBB29_215
; %bb.201:                              ;   in Loop: Header=BB29_47 Depth=1
	s_and_saveexec_b64 s[42:43], s[14:15]
	s_cbranch_execz .LBB29_214
; %bb.202:                              ;   in Loop: Header=BB29_47 Depth=1
	s_mov_b64 s[94:95], exec
	v_mbcnt_lo_u32_b32 v1, s94, 0
	v_mbcnt_hi_u32_b32 v1, s95, v1
	v_cmp_eq_u32_e32 vcc, 0, v1
	;;#ASMSTART
	s_waitcnt lgkmcnt(0) vmcnt(0)
	;;#ASMEND
	s_and_saveexec_b64 s[92:93], vcc
	s_cbranch_execz .LBB29_204
; %bb.203:                              ;   in Loop: Header=BB29_47 Depth=1
	s_bcnt1_i32_b64 s13, s[94:95]
	v_mov_b32_e32 v2, s13
	s_waitcnt lgkmcnt(0)
	ds_add_u64 v0, v[2:3]
	s_trap 2
.LBB29_204:                             ;   in Loop: Header=BB29_47 Depth=1
	s_or_b64 exec, exec, s[92:93]
	s_trap 2
	ds_read_b64 v[6:7], v0
	s_waitcnt lgkmcnt(0)
	v_lshl_add_u64 v[46:47], v[46:47], 0, v[60:61]
	v_cmp_lt_u64_e32 vcc, v[6:7], v[46:47]
	s_and_saveexec_b64 s[92:93], vcc
	s_cbranch_execz .LBB29_213
; %bb.205:                              ;   in Loop: Header=BB29_47 Depth=1
	s_mov_b32 s44, 0
	s_mov_b64 s[94:95], 0
                                        ; implicit-def: $sgpr30_sgpr31
                                        ; implicit-def: $sgpr34_sgpr35
	s_branch .LBB29_207
.LBB29_206:                             ;   in Loop: Header=BB29_207 Depth=2
	s_or_b64 exec, exec, s[38:39]
	s_and_b64 vcc, exec, vcc
	s_or_b64 s[94:95], vcc, s[94:95]
	s_andn2_b64 vcc, s[30:31], exec
	s_and_b64 s[30:31], s[34:35], exec
	s_or_b64 s[30:31], vcc, s[30:31]
	s_andn2_b64 exec, exec, s[94:95]
	s_cbranch_execz .LBB29_211
.LBB29_207:                             ;   Parent Loop BB29_47 Depth=1
                                        ; =>  This Inner Loop Header: Depth=2
	s_add_i32 s44, s44, 1
	s_cmpk_lg_i32 s44, 0x2710
	s_cselect_b64 s[36:37], -1, 0
	s_and_b64 vcc, exec, s[36:37]
	s_cbranch_vccz .LBB29_209
; %bb.208:                              ;   in Loop: Header=BB29_207 Depth=2
	s_mov_b64 vcc, -1
	s_or_b64 s[34:35], s[34:35], exec
	s_and_saveexec_b64 s[38:39], s[36:37]
	s_cbranch_execz .LBB29_206
	s_branch .LBB29_210
.LBB29_209:                             ;   in Loop: Header=BB29_207 Depth=2
	s_trap 2
	ds_read_b64 v[6:7], v0
	s_andn2_b64 s[36:37], s[36:37], exec
	s_mov_b32 s44, 0
	s_waitcnt lgkmcnt(0)
	flat_load_dword v1, v[6:7] sc0 sc1
	s_waitcnt vmcnt(0) lgkmcnt(0)
	buffer_inv sc0 sc1
	v_cmp_eq_u32_e32 vcc, 0, v1
	s_and_b64 vcc, vcc, exec
	s_or_b64 s[36:37], s[36:37], vcc
	s_mov_b64 vcc, -1
	s_or_b64 s[34:35], s[34:35], exec
	s_and_saveexec_b64 s[38:39], s[36:37]
	s_cbranch_execz .LBB29_206
.LBB29_210:                             ;   in Loop: Header=BB29_207 Depth=2
	s_sleep 1
	s_trap 2
	ds_read_b64 v[6:7], v0
	s_waitcnt lgkmcnt(0)
	s_andn2_b64 s[34:35], s[34:35], exec
	v_cmp_ge_u64_e32 vcc, v[6:7], v[46:47]
	s_orn2_b64 vcc, vcc, exec
	s_branch .LBB29_206
.LBB29_211:                             ;   in Loop: Header=BB29_47 Depth=1
	s_or_b64 exec, exec, s[94:95]
	s_and_saveexec_b64 s[44:45], s[30:31]
	s_xor_b64 s[44:45], exec, s[44:45]
	s_cbranch_execz .LBB29_213
; %bb.212:                              ;   in Loop: Header=BB29_47 Depth=1
	v_mov_b32_e32 v1, 1
	ds_write_b32 v0, v1
	s_trap 2
.LBB29_213:                             ;   in Loop: Header=BB29_47 Depth=1
	s_or_b64 exec, exec, s[92:93]
	;;#ASMSTART
	s_wakeup
	;;#ASMEND
.LBB29_214:                             ;   in Loop: Header=BB29_47 Depth=1
	s_or_b64 exec, exec, s[42:43]
.LBB29_215:                             ;   in Loop: Header=BB29_47 Depth=1
	s_andn2_saveexec_b64 s[40:41], s[40:41]
	s_cbranch_execz .LBB29_217
; %bb.216:                              ;   in Loop: Header=BB29_47 Depth=1
	;;#ASMSTART
	s_waitcnt lgkmcnt(0) vmcnt(0)
	;;#ASMEND
	s_barrier
.LBB29_217:                             ;   in Loop: Header=BB29_47 Depth=1
	s_or_b64 exec, exec, s[40:41]
	s_or_b64 exec, exec, s[24:25]
	v_cmp_ne_u32_e32 vcc, 0, v0
	s_and_saveexec_b64 s[24:25], vcc
	s_cbranch_execz .LBB29_221
.LBB29_218:                             ;   in Loop: Header=BB29_47 Depth=1
	s_and_saveexec_b64 s[40:41], s[8:9]
	s_cbranch_execz .LBB29_220
; %bb.219:                              ;   in Loop: Header=BB29_47 Depth=1
	scratch_load_dwordx2 v[0:1], off, s33 offset:304 ; 8-byte Folded Reload
	v_mov_b32_e32 v2, 1
	s_waitcnt vmcnt(0)
	flat_store_dword v[0:1], v2 sc0 sc1
.LBB29_220:                             ;   in Loop: Header=BB29_47 Depth=1
	s_or_b64 exec, exec, s[40:41]
	v_lshl_add_u64 v[124:125], v[124:125], 0, 4
	flat_store_dwordx2 v[40:41], v[124:125] sc0 sc1
.LBB29_221:                             ;   in Loop: Header=BB29_47 Depth=1
	s_or_b64 exec, exec, s[24:25]
	v_mov_b32_e32 v0, v4
.LBB29_222:                             ;   in Loop: Header=BB29_47 Depth=1
	s_or_b64 exec, exec, s[28:29]
	s_and_saveexec_b64 s[28:29], s[26:27]
	s_cbranch_execz .LBB29_292
; %bb.223:                              ;   in Loop: Header=BB29_47 Depth=1
	v_sub_u32_e32 v0, v118, v0
	v_min_i32_e32 v4, v4, v0
	v_and_b32_e32 v0, 8, v110
	v_cmp_ne_u32_e32 vcc, 0, v0
	s_and_saveexec_b64 s[26:27], vcc
	s_cbranch_execz .LBB29_245
; %bb.224:                              ;   in Loop: Header=BB29_47 Depth=1
	s_waitcnt lgkmcnt(0)
	v_lshl_add_u64 v[0:1], v[56:57], 0, 8
	v_lshl_add_u64 v[8:9], v[124:125], 0, 4
	v_cmp_lt_u64_e32 vcc, v[0:1], v[8:9]
	s_and_saveexec_b64 s[40:41], vcc
	s_cbranch_execz .LBB29_236
; %bb.225:                              ;   in Loop: Header=BB29_47 Depth=1
	v_and_b32_e32 v0, 64, v110
	s_mov_b32 s44, 0
	v_cmp_eq_u32_e32 vcc, 0, v0
	s_mov_b64 s[42:43], 0
                                        ; implicit-def: $sgpr92_sgpr93
                                        ; implicit-def: $sgpr94_sgpr95
                                        ; implicit-def: $sgpr30_sgpr31
	s_branch .LBB29_229
.LBB29_226:                             ;   in Loop: Header=BB29_229 Depth=2
	s_waitcnt vmcnt(0) lgkmcnt(0)
	v_lshl_add_u64 v[6:7], v[56:57], 0, 8
	v_cmp_ge_u64_e64 s[24:25], v[6:7], v[8:9]
	s_or_b64 s[38:39], s[38:39], exec
	s_orn2_b64 s[36:37], s[24:25], exec
.LBB29_227:                             ;   in Loop: Header=BB29_229 Depth=2
	s_or_b64 exec, exec, s[50:51]
	s_andn2_b64 s[24:25], s[30:31], exec
	s_and_b64 s[30:31], s[38:39], exec
	s_or_b64 s[30:31], s[24:25], s[30:31]
	s_andn2_b64 s[24:25], s[94:95], exec
	s_and_b64 s[94:95], s[36:37], exec
	s_or_b64 s[94:95], s[24:25], s[94:95]
.LBB29_228:                             ;   in Loop: Header=BB29_229 Depth=2
	s_or_b64 exec, exec, s[34:35]
	s_and_b64 s[24:25], exec, s[94:95]
	s_or_b64 s[42:43], s[24:25], s[42:43]
	s_andn2_b64 s[24:25], s[92:93], exec
	s_and_b64 s[92:93], s[30:31], exec
	s_or_b64 s[92:93], s[24:25], s[92:93]
	s_andn2_b64 exec, exec, s[42:43]
	s_cbranch_execz .LBB29_233
.LBB29_229:                             ;   Parent Loop BB29_47 Depth=1
                                        ; =>  This Inner Loop Header: Depth=2
	s_sleep 1
	s_waitcnt vmcnt(0) lgkmcnt(0)
	flat_load_dwordx2 v[56:57], v[40:41] sc0 sc1
	s_or_b64 s[30:31], s[30:31], exec
	s_or_b64 s[94:95], s[94:95], exec
                                        ; implicit-def: $vgpr0
	s_and_saveexec_b64 s[34:35], vcc
	s_cbranch_execz .LBB29_228
; %bb.230:                              ;   in Loop: Header=BB29_229 Depth=2
	s_cmpk_lt_i32 s44, 0x270f
	s_cselect_b64 s[48:49], -1, 0
	s_cmpk_gt_i32 s44, 0x270e
	s_mov_b64 s[36:37], -1
	s_cbranch_scc0 .LBB29_232
; %bb.231:                              ;   in Loop: Header=BB29_229 Depth=2
	s_trap 2
	ds_read_b64 v[0:1], v0
	s_andn2_b64 s[48:49], s[48:49], exec
	s_mov_b32 s44, 0
	s_mov_b64 s[38:39], 0
	s_waitcnt vmcnt(0) lgkmcnt(0)
	flat_load_dword v0, v[0:1] sc0 sc1
	s_waitcnt vmcnt(0) lgkmcnt(0)
	buffer_inv sc0 sc1
	v_cmp_eq_u32_e64 s[24:25], 0, v0
	s_and_b64 s[24:25], s[24:25], exec
	s_or_b64 s[48:49], s[48:49], s[24:25]
	s_and_saveexec_b64 s[50:51], s[48:49]
	s_cbranch_execz .LBB29_227
	s_branch .LBB29_226
.LBB29_232:                             ;   in Loop: Header=BB29_229 Depth=2
	s_add_i32 s44, s44, 1
	s_mov_b64 s[38:39], -1
                                        ; implicit-def: $vgpr0
	s_and_saveexec_b64 s[50:51], s[48:49]
	s_cbranch_execz .LBB29_227
	s_branch .LBB29_226
.LBB29_233:                             ;   in Loop: Header=BB29_47 Depth=1
	s_or_b64 exec, exec, s[42:43]
	s_xor_b64 s[24:25], s[92:93], -1
	s_and_saveexec_b64 s[42:43], s[24:25]
	s_xor_b64 s[24:25], exec, s[42:43]
	s_cbranch_execz .LBB29_235
; %bb.234:                              ;   in Loop: Header=BB29_47 Depth=1
	v_or_b32_e32 v110, 64, v110
	s_waitcnt lgkmcnt(0)
	ds_write_b32 v0, v0
	s_trap 2
.LBB29_235:                             ;   in Loop: Header=BB29_47 Depth=1
	s_or_b64 exec, exec, s[24:25]
.LBB29_236:                             ;   in Loop: Header=BB29_47 Depth=1
	s_or_b64 exec, exec, s[40:41]
	v_and_b32_e32 v0, 0x100, v110
	v_cmp_ne_u32_e32 vcc, 0, v0
	v_and_b32_e32 v0, 7, v124
	s_mov_b64 s[24:25], -1
	;;#ASMSTART
	s_wakeup
	;;#ASMEND
                                        ; implicit-def: $vgpr10_vgpr11
	s_and_saveexec_b64 s[40:41], vcc
	s_cbranch_execz .LBB29_240
; %bb.237:                              ;   in Loop: Header=BB29_47 Depth=1
	scratch_load_dwordx4 v[10:13], off, s33 offset:288 ; 16-byte Folded Reload
	v_ashrrev_i32_e32 v5, 31, v4
	v_lshlrev_b64 v[6:7], 1, v[4:5]
	s_waitcnt vmcnt(0)
	v_mad_u64_u32 v[12:13], s[24:25], v0, 24, v[10:11]
	flat_load_dword v1, v[12:13]
                                        ; implicit-def: $vgpr10_vgpr11
	s_waitcnt vmcnt(0) lgkmcnt(0)
	v_cmp_ne_u32_e32 vcc, 1, v1
	v_cmp_eq_u32_e64 s[24:25], 1, v1
	flat_store_dwordx2 v[12:13], v[6:7] offset:8
	s_and_saveexec_b64 s[42:43], s[24:25]
	s_cbranch_execz .LBB29_239
; %bb.238:                              ;   in Loop: Header=BB29_47 Depth=1
	flat_load_dword v6, v[12:13] offset:4 sc0 sc1
	s_waitcnt vmcnt(0) lgkmcnt(0)
	v_ashrrev_i32_e32 v7, 31, v6
	v_lshrrev_b64 v[10:11], 1, v[6:7]
.LBB29_239:                             ;   in Loop: Header=BB29_47 Depth=1
	s_or_b64 exec, exec, s[42:43]
	s_orn2_b64 s[24:25], vcc, exec
.LBB29_240:                             ;   in Loop: Header=BB29_47 Depth=1
	s_or_b64 exec, exec, s[40:41]
	s_and_saveexec_b64 s[40:41], s[24:25]
	s_cbranch_execz .LBB29_242
; %bb.241:                              ;   in Loop: Header=BB29_47 Depth=1
	scratch_load_dwordx2 v[6:7], off, s33 offset:324 ; 8-byte Folded Reload
	s_waitcnt vmcnt(0)
	v_mad_i64_i32 v[10:11], s[24:25], v0, v6, 0
.LBB29_242:                             ;   in Loop: Header=BB29_47 Depth=1
	s_or_b64 exec, exec, s[40:41]
	scratch_load_dwordx2 v[0:1], off, s33 offset:280 ; 8-byte Folded Reload
	s_waitcnt vmcnt(0)
	v_lshl_add_u64 v[0:1], v[10:11], 1, v[0:1]
	ds_write_b64 v0, v[0:1] offset:784
	v_and_b32_e32 v0, 0x2000, v110
	v_cmp_ne_u32_e32 vcc, 0, v0
	s_and_saveexec_b64 s[24:25], vcc
	s_cbranch_execz .LBB29_244
; %bb.243:                              ;   in Loop: Header=BB29_47 Depth=1
	ds_read_b64 v[0:1], v0 offset:872
	s_waitcnt lgkmcnt(0)
	v_lshl_add_u64 v[0:1], v[0:1], 0, 1
	ds_write_b64 v0, v[0:1] offset:872
.LBB29_244:                             ;   in Loop: Header=BB29_47 Depth=1
	s_or_b64 exec, exec, s[24:25]
	v_mov_b64_e32 v[124:125], v[8:9]
.LBB29_245:                             ;   in Loop: Header=BB29_47 Depth=1
	s_or_b64 exec, exec, s[26:27]
	s_and_saveexec_b64 s[24:25], s[6:7]
	s_cbranch_execz .LBB29_264
; %bb.246:                              ;   in Loop: Header=BB29_47 Depth=1
	s_and_saveexec_b64 s[26:27], s[56:57]
	s_xor_b64 s[26:27], exec, s[26:27]
	s_cbranch_execz .LBB29_261
; %bb.247:                              ;   in Loop: Header=BB29_47 Depth=1
	s_and_saveexec_b64 s[40:41], s[14:15]
	s_cbranch_execz .LBB29_260
; %bb.248:                              ;   in Loop: Header=BB29_47 Depth=1
	s_mov_b64 s[92:93], exec
	v_mbcnt_lo_u32_b32 v0, s92, 0
	v_mbcnt_hi_u32_b32 v0, s93, v0
	v_cmp_eq_u32_e32 vcc, 0, v0
	s_waitcnt lgkmcnt(0)
	s_and_saveexec_b64 s[42:43], vcc
	s_cbranch_execz .LBB29_250
; %bb.249:                              ;   in Loop: Header=BB29_47 Depth=1
	s_bcnt1_i32_b64 s13, s[92:93]
	v_mov_b32_e32 v2, s13
	ds_add_u64 v0, v[2:3]
	s_trap 2
.LBB29_250:                             ;   in Loop: Header=BB29_47 Depth=1
	s_or_b64 exec, exec, s[42:43]
	s_trap 2
	ds_read_b64 v[0:1], v0
	s_waitcnt lgkmcnt(0)
	v_lshl_add_u64 v[46:47], v[46:47], 0, v[60:61]
	v_cmp_lt_u64_e32 vcc, v[0:1], v[46:47]
	s_and_saveexec_b64 s[42:43], vcc
	s_cbranch_execz .LBB29_259
; %bb.251:                              ;   in Loop: Header=BB29_47 Depth=1
	s_mov_b32 s44, 0
	s_mov_b64 s[92:93], 0
                                        ; implicit-def: $sgpr94_sgpr95
                                        ; implicit-def: $sgpr30_sgpr31
	s_branch .LBB29_253
.LBB29_252:                             ;   in Loop: Header=BB29_253 Depth=2
	s_or_b64 exec, exec, s[36:37]
	s_and_b64 vcc, exec, vcc
	s_or_b64 s[92:93], vcc, s[92:93]
	s_andn2_b64 s[94:95], s[94:95], exec
	s_and_b64 vcc, s[30:31], exec
	s_or_b64 s[94:95], s[94:95], vcc
	s_andn2_b64 exec, exec, s[92:93]
	s_cbranch_execz .LBB29_257
.LBB29_253:                             ;   Parent Loop BB29_47 Depth=1
                                        ; =>  This Inner Loop Header: Depth=2
	s_add_i32 s44, s44, 1
	s_cmpk_lg_i32 s44, 0x2710
	s_cselect_b64 s[34:35], -1, 0
	s_and_b64 vcc, exec, s[34:35]
	s_cbranch_vccz .LBB29_255
; %bb.254:                              ;   in Loop: Header=BB29_253 Depth=2
	s_mov_b64 vcc, -1
	s_or_b64 s[30:31], s[30:31], exec
	s_and_saveexec_b64 s[36:37], s[34:35]
	s_cbranch_execz .LBB29_252
	s_branch .LBB29_256
.LBB29_255:                             ;   in Loop: Header=BB29_253 Depth=2
	s_trap 2
	ds_read_b64 v[0:1], v0
	s_andn2_b64 s[34:35], s[34:35], exec
	s_mov_b32 s44, 0
	s_waitcnt vmcnt(0) lgkmcnt(0)
	flat_load_dword v0, v[0:1] sc0 sc1
	s_waitcnt vmcnt(0) lgkmcnt(0)
	buffer_inv sc0 sc1
	v_cmp_eq_u32_e32 vcc, 0, v0
	s_and_b64 vcc, vcc, exec
	s_or_b64 s[34:35], s[34:35], vcc
	s_mov_b64 vcc, -1
	s_or_b64 s[30:31], s[30:31], exec
	s_and_saveexec_b64 s[36:37], s[34:35]
	s_cbranch_execz .LBB29_252
.LBB29_256:                             ;   in Loop: Header=BB29_253 Depth=2
	s_sleep 1
	s_trap 2
	ds_read_b64 v[0:1], v0
	s_waitcnt lgkmcnt(0)
	s_andn2_b64 s[30:31], s[30:31], exec
	v_cmp_ge_u64_e32 vcc, v[0:1], v[46:47]
	s_orn2_b64 vcc, vcc, exec
	s_branch .LBB29_252
.LBB29_257:                             ;   in Loop: Header=BB29_47 Depth=1
	s_or_b64 exec, exec, s[92:93]
	s_and_saveexec_b64 s[44:45], s[94:95]
	s_xor_b64 s[44:45], exec, s[44:45]
	s_cbranch_execz .LBB29_259
; %bb.258:                              ;   in Loop: Header=BB29_47 Depth=1
	v_mov_b32_e32 v0, 1
	ds_write_b32 v0, v0
	s_trap 2
.LBB29_259:                             ;   in Loop: Header=BB29_47 Depth=1
	s_or_b64 exec, exec, s[42:43]
	;;#ASMSTART
	s_wakeup
	;;#ASMEND
.LBB29_260:                             ;   in Loop: Header=BB29_47 Depth=1
	s_or_b64 exec, exec, s[40:41]
.LBB29_261:                             ;   in Loop: Header=BB29_47 Depth=1
	s_andn2_saveexec_b64 s[26:27], s[26:27]
	s_cbranch_execz .LBB29_263
; %bb.262:                              ;   in Loop: Header=BB29_47 Depth=1
	s_waitcnt lgkmcnt(0)
	s_barrier
.LBB29_263:                             ;   in Loop: Header=BB29_47 Depth=1
	s_or_b64 exec, exec, s[26:27]
.LBB29_264:                             ;   in Loop: Header=BB29_47 Depth=1
	s_or_b64 exec, exec, s[24:25]
	v_and_b32_e32 v0, 16, v110
	s_and_saveexec_b64 s[24:25], s[22:23]
	s_xor_b64 s[24:25], exec, s[24:25]
	s_cbranch_execz .LBB29_269
; %bb.265:                              ;   in Loop: Header=BB29_47 Depth=1
	s_trap 2
	ds_read_b32 v1, v0
	v_cmp_lt_i32_e32 vcc, 0, v4
	v_and_b32_e32 v2, 16, v110
	v_and_b32_e32 v0, 16, v110
	s_waitcnt lgkmcnt(0)
	v_readfirstlane_b32 s13, v1
	s_cmp_eq_u32 s13, 0
	s_cselect_b64 s[26:27], -1, 0
	s_and_b64 s[26:27], vcc, s[26:27]
	v_cmp_ne_u32_e32 vcc, 0, v2
	s_and_b64 s[40:41], vcc, s[26:27]
	s_and_saveexec_b64 s[26:27], s[40:41]
	s_cbranch_execz .LBB29_267
; %bb.266:                              ;   in Loop: Header=BB29_47 Depth=1
	v_mov_b32_e32 v0, 1
	buffer_wbl2 sc1
	s_waitcnt vmcnt(0)
	buffer_inv sc1
.LBB29_267:                             ;   in Loop: Header=BB29_47 Depth=1
	s_or_b64 exec, exec, s[26:27]
	s_andn2_saveexec_b64 s[24:25], s[24:25]
	s_cbranch_execnz .LBB29_270
.LBB29_268:                             ;   in Loop: Header=BB29_47 Depth=1
	s_or_b64 exec, exec, s[24:25]
	v_cmp_ne_u32_e32 vcc, 0, v0
	s_and_saveexec_b64 s[24:25], vcc
	s_cbranch_execnz .LBB29_288
	s_branch .LBB29_291
.LBB29_269:                             ;   in Loop: Header=BB29_47 Depth=1
	s_andn2_saveexec_b64 s[24:25], s[24:25]
	s_cbranch_execz .LBB29_268
.LBB29_270:                             ;   in Loop: Header=BB29_47 Depth=1
	s_and_saveexec_b64 s[26:27], s[56:57]
	s_xor_b64 s[26:27], exec, s[26:27]
	s_cbranch_execz .LBB29_285
; %bb.271:                              ;   in Loop: Header=BB29_47 Depth=1
	s_and_saveexec_b64 s[40:41], s[14:15]
	s_cbranch_execz .LBB29_284
; %bb.272:                              ;   in Loop: Header=BB29_47 Depth=1
	s_mov_b64 s[92:93], exec
	v_mbcnt_lo_u32_b32 v1, s92, 0
	v_mbcnt_hi_u32_b32 v1, s93, v1
	v_cmp_eq_u32_e32 vcc, 0, v1
	;;#ASMSTART
	s_waitcnt lgkmcnt(0) vmcnt(0)
	;;#ASMEND
	s_and_saveexec_b64 s[42:43], vcc
	s_cbranch_execz .LBB29_274
; %bb.273:                              ;   in Loop: Header=BB29_47 Depth=1
	s_bcnt1_i32_b64 s13, s[92:93]
	v_mov_b32_e32 v2, s13
	s_waitcnt lgkmcnt(0)
	ds_add_u64 v0, v[2:3]
	s_trap 2
.LBB29_274:                             ;   in Loop: Header=BB29_47 Depth=1
	s_or_b64 exec, exec, s[42:43]
	s_trap 2
	ds_read_b64 v[4:5], v0
	s_waitcnt lgkmcnt(0)
	v_lshl_add_u64 v[46:47], v[46:47], 0, v[60:61]
	v_cmp_lt_u64_e32 vcc, v[4:5], v[46:47]
	s_and_saveexec_b64 s[42:43], vcc
	s_cbranch_execz .LBB29_283
; %bb.275:                              ;   in Loop: Header=BB29_47 Depth=1
	s_mov_b32 s44, 0
	s_mov_b64 s[92:93], 0
                                        ; implicit-def: $sgpr94_sgpr95
                                        ; implicit-def: $sgpr30_sgpr31
	s_branch .LBB29_277
.LBB29_276:                             ;   in Loop: Header=BB29_277 Depth=2
	s_or_b64 exec, exec, s[36:37]
	s_and_b64 vcc, exec, vcc
	s_or_b64 s[92:93], vcc, s[92:93]
	s_andn2_b64 s[94:95], s[94:95], exec
	s_and_b64 vcc, s[30:31], exec
	s_or_b64 s[94:95], s[94:95], vcc
	s_andn2_b64 exec, exec, s[92:93]
	s_cbranch_execz .LBB29_281
.LBB29_277:                             ;   Parent Loop BB29_47 Depth=1
                                        ; =>  This Inner Loop Header: Depth=2
	s_add_i32 s44, s44, 1
	s_cmpk_lg_i32 s44, 0x2710
	s_cselect_b64 s[34:35], -1, 0
	s_and_b64 vcc, exec, s[34:35]
	s_cbranch_vccz .LBB29_279
; %bb.278:                              ;   in Loop: Header=BB29_277 Depth=2
	s_mov_b64 vcc, -1
	s_or_b64 s[30:31], s[30:31], exec
	s_and_saveexec_b64 s[36:37], s[34:35]
	s_cbranch_execz .LBB29_276
	s_branch .LBB29_280
.LBB29_279:                             ;   in Loop: Header=BB29_277 Depth=2
	s_trap 2
	ds_read_b64 v[4:5], v0
	s_andn2_b64 s[34:35], s[34:35], exec
	s_mov_b32 s44, 0
	s_waitcnt vmcnt(0) lgkmcnt(0)
	flat_load_dword v1, v[4:5] sc0 sc1
	s_waitcnt vmcnt(0) lgkmcnt(0)
	buffer_inv sc0 sc1
	v_cmp_eq_u32_e32 vcc, 0, v1
	s_and_b64 vcc, vcc, exec
	s_or_b64 s[34:35], s[34:35], vcc
	s_mov_b64 vcc, -1
	s_or_b64 s[30:31], s[30:31], exec
	s_and_saveexec_b64 s[36:37], s[34:35]
	s_cbranch_execz .LBB29_276
.LBB29_280:                             ;   in Loop: Header=BB29_277 Depth=2
	s_sleep 1
	s_trap 2
	ds_read_b64 v[4:5], v0
	s_waitcnt lgkmcnt(0)
	s_andn2_b64 s[30:31], s[30:31], exec
	v_cmp_ge_u64_e32 vcc, v[4:5], v[46:47]
	s_orn2_b64 vcc, vcc, exec
	s_branch .LBB29_276
.LBB29_281:                             ;   in Loop: Header=BB29_47 Depth=1
	s_or_b64 exec, exec, s[92:93]
	s_and_saveexec_b64 s[44:45], s[94:95]
	s_xor_b64 s[44:45], exec, s[44:45]
	s_cbranch_execz .LBB29_283
; %bb.282:                              ;   in Loop: Header=BB29_47 Depth=1
	v_mov_b32_e32 v1, 1
	ds_write_b32 v0, v1
	s_trap 2
.LBB29_283:                             ;   in Loop: Header=BB29_47 Depth=1
	s_or_b64 exec, exec, s[42:43]
	;;#ASMSTART
	s_wakeup
	;;#ASMEND
.LBB29_284:                             ;   in Loop: Header=BB29_47 Depth=1
	s_or_b64 exec, exec, s[40:41]
.LBB29_285:                             ;   in Loop: Header=BB29_47 Depth=1
	s_andn2_saveexec_b64 s[26:27], s[26:27]
	s_cbranch_execz .LBB29_287
; %bb.286:                              ;   in Loop: Header=BB29_47 Depth=1
	;;#ASMSTART
	s_waitcnt lgkmcnt(0) vmcnt(0)
	;;#ASMEND
	s_barrier
.LBB29_287:                             ;   in Loop: Header=BB29_47 Depth=1
	s_or_b64 exec, exec, s[26:27]
	s_or_b64 exec, exec, s[24:25]
	v_cmp_ne_u32_e32 vcc, 0, v0
	s_and_saveexec_b64 s[24:25], vcc
	s_cbranch_execz .LBB29_291
.LBB29_288:                             ;   in Loop: Header=BB29_47 Depth=1
	s_and_saveexec_b64 s[26:27], s[8:9]
	s_cbranch_execz .LBB29_290
; %bb.289:                              ;   in Loop: Header=BB29_47 Depth=1
	scratch_load_dwordx2 v[0:1], off, s33 offset:304 ; 8-byte Folded Reload
	v_mov_b32_e32 v2, 1
	s_waitcnt vmcnt(0)
	flat_store_dword v[0:1], v2 sc0 sc1
.LBB29_290:                             ;   in Loop: Header=BB29_47 Depth=1
	s_or_b64 exec, exec, s[26:27]
	v_lshl_add_u64 v[124:125], v[124:125], 0, 4
	flat_store_dwordx2 v[40:41], v[124:125] sc0 sc1
.LBB29_291:                             ;   in Loop: Header=BB29_47 Depth=1
	s_or_b64 exec, exec, s[24:25]
.LBB29_292:                             ;   in Loop: Header=BB29_47 Depth=1
	s_or_b64 exec, exec, s[28:29]
	v_cndmask_b32_e64 v0, 0, 1, s[88:89]
	v_cmp_ne_u32_e64 s[24:25], 1, v0
	s_andn2_b64 vcc, exec, s[88:89]
	s_cbranch_vccnz .LBB29_1233
; %bb.293:                              ;   in Loop: Header=BB29_47 Depth=1
	s_mov_b32 s44, 2
	s_branch .LBB29_296
.LBB29_294:                             ;   in Loop: Header=BB29_296 Depth=2
	s_or_b64 exec, exec, s[26:27]
.LBB29_295:                             ;   in Loop: Header=BB29_296 Depth=2
	s_or_b64 exec, exec, s[28:29]
	s_add_i32 s44, s44, 1
	s_cmp_eq_u32 s44, s64
	s_cbranch_scc1 .LBB29_1232
.LBB29_296:                             ;   Parent Loop BB29_47 Depth=1
                                        ; =>  This Loop Header: Depth=2
                                        ;       Child Loop BB29_306 Depth 3
                                        ;       Child Loop BB29_334 Depth 3
	;; [unrolled: 1-line block ×5, first 2 shown]
                                        ;         Child Loop BB29_779 Depth 4
                                        ;         Child Loop BB29_816 Depth 4
                                        ;       Child Loop BB29_893 Depth 3
                                        ;       Child Loop BB29_1096 Depth 3
                                        ;         Child Loop BB29_1097 Depth 4
                                        ;         Child Loop BB29_1106 Depth 4
                                        ;       Child Loop BB29_1125 Depth 3
                                        ;       Child Loop BB29_1144 Depth 3
	;; [unrolled: 1-line block ×5, first 2 shown]
	s_sub_i32 s13, s66, s44
	s_cmp_ge_i32 s13, s64
	s_cselect_b32 s26, s64, 0
	s_sub_i32 s13, s13, s26
	s_ashr_i32 s26, s13, 31
	v_mul_lo_u32 v0, v122, s26
	v_mul_lo_u32 v1, v123, s13
	v_mad_u64_u32 v[4:5], s[26:27], v122, s13, 0
	v_add3_u32 v5, v5, v0, v1
	v_sub_co_u32_e32 v0, vcc, v116, v4
	s_nop 1
	v_subb_co_u32_e32 v1, vcc, v117, v5, vcc
	v_cmp_lt_i64_e32 vcc, v[122:123], v[0:1]
	s_nop 1
	v_cndmask_b32_e32 v0, v0, v122, vcc
	v_max_i32_e32 v121, 0, v0
	v_add_u32_e32 v1, 15, v121
	v_ashrrev_i32_e32 v2, 31, v1
	v_lshrrev_b32_e32 v2, 28, v2
	v_add_u32_e32 v1, v1, v2
	v_cmp_gt_i32_e32 vcc, 1, v0
	v_and_b32_e32 v1, -16, v1
	s_or_b64 s[92:93], s[2:3], vcc
	v_max_i32_e32 v28, s69, v1
	s_xor_b64 s[26:27], s[92:93], -1
	v_mov_b32_e32 v0, 0
	s_and_saveexec_b64 s[94:95], s[26:27]
	s_cbranch_execz .LBB29_302
; %bb.297:                              ;   in Loop: Header=BB29_296 Depth=2
	s_and_saveexec_b64 s[26:27], s[0:1]
	s_cbranch_execz .LBB29_299
; %bb.298:                              ;   in Loop: Header=BB29_296 Depth=2
	s_trap 2
	scratch_load_dwordx2 v[6:7], off, s33 offset:312 ; 8-byte Folded Reload
	ds_read_b64 v[0:1], v0
	s_waitcnt vmcnt(0) lgkmcnt(0)
	v_lshl_add_u64 v[0:1], v[6:7], 1, v[0:1]
	v_lshl_add_u64 v[0:1], v[4:5], 1, v[0:1]
	ds_write_b64 v0, v[0:1]
	scratch_load_dwordx2 v[0:1], off, s33 offset:348 ; 8-byte Folded Reload
	s_waitcnt vmcnt(0)
	ds_write_b64 v0, v[0:1]
.LBB29_299:                             ;   in Loop: Header=BB29_296 Depth=2
	s_or_b64 exec, exec, s[26:27]
	v_and_b32_e32 v0, 12, v110
	v_min_i32_e32 v28, v28, v121
	v_cmp_ne_u32_e32 vcc, 0, v0
	s_and_saveexec_b64 s[28:29], vcc
	s_cbranch_execz .LBB29_326
; %bb.300:                              ;   in Loop: Header=BB29_296 Depth=2
	v_and_b32_e32 v2, 8, v110
	s_waitcnt lgkmcnt(0)
	v_lshl_add_u64 v[0:1], v[56:57], 0, v[2:3]
	v_lshl_add_u64 v[4:5], v[124:125], 0, 4
	v_cmp_lt_u64_e32 vcc, v[0:1], v[4:5]
	s_and_saveexec_b64 s[40:41], vcc
	s_cbranch_execz .LBB29_313
; %bb.301:                              ;   in Loop: Header=BB29_296 Depth=2
	v_and_b32_e32 v0, 64, v110
	s_mov_b32 s45, 0
	v_cmp_eq_u32_e32 vcc, 0, v0
	s_mov_b64 s[42:43], 0
                                        ; implicit-def: $sgpr30_sgpr31
                                        ; implicit-def: $sgpr34_sgpr35
                                        ; implicit-def: $sgpr36_sgpr37
	s_branch .LBB29_306
.LBB29_302:                             ;   in Loop: Header=BB29_296 Depth=2
	s_or_b64 exec, exec, s[94:95]
	s_and_saveexec_b64 s[28:29], s[92:93]
	s_cbranch_execz .LBB29_295
	s_branch .LBB29_1160
.LBB29_303:                             ;   in Loop: Header=BB29_306 Depth=3
	s_waitcnt vmcnt(0) lgkmcnt(0)
	v_lshl_add_u64 v[6:7], v[56:57], 0, v[2:3]
	v_cmp_ge_u64_e64 s[26:27], v[6:7], v[4:5]
	s_or_b64 s[50:51], s[50:51], exec
	s_orn2_b64 s[48:49], s[26:27], exec
.LBB29_304:                             ;   in Loop: Header=BB29_306 Depth=3
	s_or_b64 exec, exec, s[54:55]
	s_andn2_b64 s[26:27], s[36:37], exec
	s_and_b64 s[36:37], s[50:51], exec
	s_or_b64 s[36:37], s[26:27], s[36:37]
	s_andn2_b64 s[26:27], s[34:35], exec
	s_and_b64 s[34:35], s[48:49], exec
	s_or_b64 s[34:35], s[26:27], s[34:35]
.LBB29_305:                             ;   in Loop: Header=BB29_306 Depth=3
	s_or_b64 exec, exec, s[38:39]
	s_and_b64 s[26:27], exec, s[34:35]
	s_or_b64 s[42:43], s[26:27], s[42:43]
	s_andn2_b64 s[26:27], s[30:31], exec
	s_and_b64 s[30:31], s[36:37], exec
	s_or_b64 s[30:31], s[26:27], s[30:31]
	s_andn2_b64 exec, exec, s[42:43]
	s_cbranch_execz .LBB29_310
.LBB29_306:                             ;   Parent Loop BB29_47 Depth=1
                                        ;     Parent Loop BB29_296 Depth=2
                                        ; =>    This Inner Loop Header: Depth=3
	s_sleep 1
	s_waitcnt vmcnt(0) lgkmcnt(0)
	flat_load_dwordx2 v[56:57], v[40:41] sc0 sc1
	s_or_b64 s[36:37], s[36:37], exec
	s_or_b64 s[34:35], s[34:35], exec
                                        ; implicit-def: $vgpr0
	s_and_saveexec_b64 s[38:39], vcc
	s_cbranch_execz .LBB29_305
; %bb.307:                              ;   in Loop: Header=BB29_306 Depth=3
	s_cmpk_lt_i32 s45, 0x270f
	s_cselect_b64 s[52:53], -1, 0
	s_cmpk_gt_i32 s45, 0x270e
	s_mov_b64 s[48:49], -1
	s_cbranch_scc0 .LBB29_309
; %bb.308:                              ;   in Loop: Header=BB29_306 Depth=3
	s_trap 2
	ds_read_b64 v[0:1], v0
	s_andn2_b64 s[52:53], s[52:53], exec
	s_mov_b32 s45, 0
	s_mov_b64 s[50:51], 0
	s_waitcnt vmcnt(0) lgkmcnt(0)
	flat_load_dword v0, v[0:1] sc0 sc1
	s_waitcnt vmcnt(0) lgkmcnt(0)
	buffer_inv sc0 sc1
	v_cmp_eq_u32_e64 s[26:27], 0, v0
	s_and_b64 s[26:27], s[26:27], exec
	s_or_b64 s[52:53], s[52:53], s[26:27]
	s_and_saveexec_b64 s[54:55], s[52:53]
	s_cbranch_execz .LBB29_304
	s_branch .LBB29_303
.LBB29_309:                             ;   in Loop: Header=BB29_306 Depth=3
	s_add_i32 s45, s45, 1
	s_mov_b64 s[50:51], -1
                                        ; implicit-def: $vgpr0
	s_and_saveexec_b64 s[54:55], s[52:53]
	s_cbranch_execz .LBB29_304
	s_branch .LBB29_303
.LBB29_310:                             ;   in Loop: Header=BB29_296 Depth=2
	s_or_b64 exec, exec, s[42:43]
	s_xor_b64 s[26:27], s[30:31], -1
	s_and_saveexec_b64 s[42:43], s[26:27]
	s_xor_b64 s[26:27], exec, s[42:43]
	s_cbranch_execz .LBB29_312
; %bb.311:                              ;   in Loop: Header=BB29_296 Depth=2
	v_or_b32_e32 v110, 64, v110
	s_waitcnt lgkmcnt(0)
	ds_write_b32 v0, v0
	s_trap 2
.LBB29_312:                             ;   in Loop: Header=BB29_296 Depth=2
	s_or_b64 exec, exec, s[26:27]
.LBB29_313:                             ;   in Loop: Header=BB29_296 Depth=2
	s_or_b64 exec, exec, s[40:41]
	v_and_b32_e32 v0, 0x108, v110
	v_cmp_ne_u32_e32 vcc, s96, v0
	;;#ASMSTART
	s_wakeup
	;;#ASMEND
                                        ; implicit-def: $vgpr8_vgpr9
	s_and_saveexec_b64 s[26:27], vcc
	s_xor_b64 s[26:27], exec, s[26:27]
; %bb.314:                              ;   in Loop: Header=BB29_296 Depth=2
	v_and_b32_e32 v8, 7, v124
	v_mov_b32_e32 v9, v3
                                        ; implicit-def: $vgpr124_vgpr125
; %bb.315:                              ;   in Loop: Header=BB29_296 Depth=2
	s_andn2_saveexec_b64 s[26:27], s[26:27]
	s_cbranch_execz .LBB29_317
; %bb.316:                              ;   in Loop: Header=BB29_296 Depth=2
	scratch_load_dwordx4 v[10:13], off, s33 offset:288 ; 16-byte Folded Reload
	v_and_b32_e32 v8, 7, v124
	v_ashrrev_i32_e32 v29, 31, v28
	v_mov_b32_e32 v9, v3
	v_lshlrev_b64 v[6:7], 1, v[28:29]
	s_waitcnt vmcnt(0)
	v_mad_u64_u32 v[0:1], s[40:41], v8, 24, v[10:11]
	flat_store_dwordx2 v[0:1], v[6:7] offset:8
.LBB29_317:                             ;   in Loop: Header=BB29_296 Depth=2
	s_or_b64 exec, exec, s[26:27]
	v_and_b32_e32 v0, 0x100, v110
	v_cmp_ne_u32_e32 vcc, 0, v0
	s_mov_b64 s[26:27], -1
                                        ; implicit-def: $vgpr10_vgpr11
	s_and_saveexec_b64 s[40:41], vcc
	s_cbranch_execz .LBB29_321
; %bb.318:                              ;   in Loop: Header=BB29_296 Depth=2
	scratch_load_dwordx4 v[10:13], off, s33 offset:288 ; 16-byte Folded Reload
	s_waitcnt vmcnt(0)
	v_mad_u64_u32 v[12:13], s[26:27], v8, 24, v[10:11]
	v_mov_b32_e32 v0, v13
	v_mad_u64_u32 v[0:1], s[26:27], v9, 24, v[0:1]
	v_mov_b32_e32 v13, v0
	flat_load_dword v0, v[12:13]
                                        ; implicit-def: $vgpr10_vgpr11
	s_waitcnt vmcnt(0) lgkmcnt(0)
	v_cmp_ne_u32_e32 vcc, 1, v0
	v_cmp_eq_u32_e64 s[26:27], 1, v0
	s_and_saveexec_b64 s[42:43], s[26:27]
	s_cbranch_execz .LBB29_320
; %bb.319:                              ;   in Loop: Header=BB29_296 Depth=2
	flat_load_dword v0, v[12:13] offset:4 sc0 sc1
	s_waitcnt vmcnt(0) lgkmcnt(0)
	v_ashrrev_i32_e32 v1, 31, v0
	v_lshrrev_b64 v[10:11], 1, v[0:1]
.LBB29_320:                             ;   in Loop: Header=BB29_296 Depth=2
	s_or_b64 exec, exec, s[42:43]
	s_orn2_b64 s[26:27], vcc, exec
.LBB29_321:                             ;   in Loop: Header=BB29_296 Depth=2
	s_or_b64 exec, exec, s[40:41]
	s_and_saveexec_b64 s[40:41], s[26:27]
	s_cbranch_execz .LBB29_323
; %bb.322:                              ;   in Loop: Header=BB29_296 Depth=2
	scratch_load_dwordx2 v[0:1], off, s33 offset:324 ; 8-byte Folded Reload
	scratch_load_dwordx2 v[10:11], off, s33 offset:332 ; 8-byte Folded Reload
	s_waitcnt vmcnt(0)
	v_mov_b32_e32 v6, v0
	v_mul_lo_u32 v0, v9, v6
	v_mul_lo_u32 v1, v8, v11
	v_mad_u64_u32 v[10:11], s[26:27], v8, v6, 0
	v_add3_u32 v11, v11, v1, v0
.LBB29_323:                             ;   in Loop: Header=BB29_296 Depth=2
	s_or_b64 exec, exec, s[40:41]
	v_cmp_eq_u32_e32 vcc, 0, v2
	v_mov_b32_e32 v0, 0xc8
	v_mov_b32_e32 v1, 0x90
	v_cndmask_b32_e32 v2, v0, v1, vcc
	scratch_load_dwordx2 v[0:1], off, s33 offset:280 ; 8-byte Folded Reload
	s_waitcnt vmcnt(0)
	v_lshl_add_u64 v[0:1], v[10:11], 1, v[0:1]
	v_add_u32_e32 v2, v0, v2
	ds_write_b64 v2, v[0:1] offset:584
	v_and_b32_e32 v0, 0x2000, v110
	v_cmp_ne_u32_e32 vcc, 0, v0
	s_and_saveexec_b64 s[26:27], vcc
	s_cbranch_execz .LBB29_325
; %bb.324:                              ;   in Loop: Header=BB29_296 Depth=2
	ds_read_b64 v[0:1], v0 offset:872
	s_waitcnt lgkmcnt(0)
	v_lshl_add_u64 v[0:1], v[0:1], 0, 1
	ds_write_b64 v0, v[0:1] offset:872
.LBB29_325:                             ;   in Loop: Header=BB29_296 Depth=2
	s_or_b64 exec, exec, s[26:27]
	v_mov_b64_e32 v[124:125], v[4:5]
.LBB29_326:                             ;   in Loop: Header=BB29_296 Depth=2
	s_or_b64 exec, exec, s[28:29]
	s_and_saveexec_b64 s[26:27], s[6:7]
	s_cbranch_execz .LBB29_345
; %bb.327:                              ;   in Loop: Header=BB29_296 Depth=2
	s_and_saveexec_b64 s[28:29], s[56:57]
	s_xor_b64 s[28:29], exec, s[28:29]
	s_cbranch_execz .LBB29_342
; %bb.328:                              ;   in Loop: Header=BB29_296 Depth=2
	s_and_saveexec_b64 s[40:41], s[14:15]
	s_cbranch_execz .LBB29_341
; %bb.329:                              ;   in Loop: Header=BB29_296 Depth=2
	s_mov_b64 s[30:31], exec
	v_mbcnt_lo_u32_b32 v0, s30, 0
	v_mbcnt_hi_u32_b32 v0, s31, v0
	v_cmp_eq_u32_e32 vcc, 0, v0
	s_waitcnt lgkmcnt(0)
	s_and_saveexec_b64 s[42:43], vcc
	s_cbranch_execz .LBB29_331
; %bb.330:                              ;   in Loop: Header=BB29_296 Depth=2
	s_bcnt1_i32_b64 s13, s[30:31]
	v_mov_b32_e32 v2, s13
	ds_add_u64 v0, v[2:3]
	s_trap 2
.LBB29_331:                             ;   in Loop: Header=BB29_296 Depth=2
	s_or_b64 exec, exec, s[42:43]
	s_trap 2
	ds_read_b64 v[0:1], v0
	s_waitcnt lgkmcnt(0)
	v_lshl_add_u64 v[46:47], v[46:47], 0, v[60:61]
	v_cmp_lt_u64_e32 vcc, v[0:1], v[46:47]
	s_and_saveexec_b64 s[42:43], vcc
	s_cbranch_execz .LBB29_340
; %bb.332:                              ;   in Loop: Header=BB29_296 Depth=2
	s_mov_b32 s45, 0
	s_mov_b64 s[30:31], 0
                                        ; implicit-def: $sgpr34_sgpr35
                                        ; implicit-def: $sgpr36_sgpr37
	s_branch .LBB29_334
.LBB29_333:                             ;   in Loop: Header=BB29_334 Depth=3
	s_or_b64 exec, exec, s[48:49]
	s_and_b64 vcc, exec, vcc
	s_or_b64 s[30:31], vcc, s[30:31]
	s_andn2_b64 vcc, s[34:35], exec
	s_and_b64 s[34:35], s[36:37], exec
	s_or_b64 s[34:35], vcc, s[34:35]
	s_andn2_b64 exec, exec, s[30:31]
	s_cbranch_execz .LBB29_338
.LBB29_334:                             ;   Parent Loop BB29_47 Depth=1
                                        ;     Parent Loop BB29_296 Depth=2
                                        ; =>    This Inner Loop Header: Depth=3
	s_add_i32 s45, s45, 1
	s_cmpk_lg_i32 s45, 0x2710
	s_cselect_b64 s[38:39], -1, 0
	s_and_b64 vcc, exec, s[38:39]
	s_cbranch_vccz .LBB29_336
; %bb.335:                              ;   in Loop: Header=BB29_334 Depth=3
	s_mov_b64 vcc, -1
	s_or_b64 s[36:37], s[36:37], exec
	s_and_saveexec_b64 s[48:49], s[38:39]
	s_cbranch_execz .LBB29_333
	s_branch .LBB29_337
.LBB29_336:                             ;   in Loop: Header=BB29_334 Depth=3
	s_trap 2
	ds_read_b64 v[0:1], v0
	s_andn2_b64 s[38:39], s[38:39], exec
	s_mov_b32 s45, 0
	s_waitcnt vmcnt(0) lgkmcnt(0)
	flat_load_dword v0, v[0:1] sc0 sc1
	s_waitcnt vmcnt(0) lgkmcnt(0)
	buffer_inv sc0 sc1
	v_cmp_eq_u32_e32 vcc, 0, v0
	s_and_b64 vcc, vcc, exec
	s_or_b64 s[38:39], s[38:39], vcc
	s_mov_b64 vcc, -1
	s_or_b64 s[36:37], s[36:37], exec
	s_and_saveexec_b64 s[48:49], s[38:39]
	s_cbranch_execz .LBB29_333
.LBB29_337:                             ;   in Loop: Header=BB29_334 Depth=3
	s_sleep 1
	s_trap 2
	ds_read_b64 v[0:1], v0
	s_waitcnt lgkmcnt(0)
	s_andn2_b64 s[36:37], s[36:37], exec
	v_cmp_ge_u64_e32 vcc, v[0:1], v[46:47]
	s_orn2_b64 vcc, vcc, exec
	s_branch .LBB29_333
.LBB29_338:                             ;   in Loop: Header=BB29_296 Depth=2
	s_or_b64 exec, exec, s[30:31]
	s_and_saveexec_b64 vcc, s[34:35]
	s_xor_b64 vcc, exec, vcc
	s_cbranch_execz .LBB29_340
; %bb.339:                              ;   in Loop: Header=BB29_296 Depth=2
	v_mov_b32_e32 v0, 1
	ds_write_b32 v0, v0
	s_trap 2
.LBB29_340:                             ;   in Loop: Header=BB29_296 Depth=2
	s_or_b64 exec, exec, s[42:43]
	;;#ASMSTART
	s_wakeup
	;;#ASMEND
.LBB29_341:                             ;   in Loop: Header=BB29_296 Depth=2
	s_or_b64 exec, exec, s[40:41]
.LBB29_342:                             ;   in Loop: Header=BB29_296 Depth=2
	s_andn2_saveexec_b64 s[28:29], s[28:29]
	s_cbranch_execz .LBB29_344
; %bb.343:                              ;   in Loop: Header=BB29_296 Depth=2
	s_waitcnt lgkmcnt(0)
	s_barrier
.LBB29_344:                             ;   in Loop: Header=BB29_296 Depth=2
	s_or_b64 exec, exec, s[28:29]
.LBB29_345:                             ;   in Loop: Header=BB29_296 Depth=2
	s_or_b64 exec, exec, s[26:27]
	s_trap 2
	ds_read_b32 v0, v0
	v_and_b32_e32 v1, 0x4000, v110
	v_cmp_ne_u32_e32 vcc, 0, v1
	s_xor_b64 s[26:27], s[4:5], -1
	s_and_b64 s[28:29], s[26:27], vcc
	s_and_saveexec_b64 s[26:27], s[28:29]
	s_cbranch_execz .LBB29_364
; %bb.346:                              ;   in Loop: Header=BB29_296 Depth=2
	s_and_saveexec_b64 s[28:29], s[56:57]
	s_xor_b64 s[28:29], exec, s[28:29]
	s_cbranch_execz .LBB29_361
; %bb.347:                              ;   in Loop: Header=BB29_296 Depth=2
	s_and_saveexec_b64 s[40:41], s[14:15]
	s_cbranch_execz .LBB29_360
; %bb.348:                              ;   in Loop: Header=BB29_296 Depth=2
	s_mov_b64 s[30:31], exec
	v_mbcnt_lo_u32_b32 v1, s30, 0
	v_mbcnt_hi_u32_b32 v1, s31, v1
	v_cmp_eq_u32_e32 vcc, 0, v1
	s_waitcnt lgkmcnt(0)
	s_and_saveexec_b64 s[42:43], vcc
	s_cbranch_execz .LBB29_350
; %bb.349:                              ;   in Loop: Header=BB29_296 Depth=2
	s_bcnt1_i32_b64 s13, s[30:31]
	v_mov_b32_e32 v2, s13
	ds_add_u64 v0, v[2:3]
	s_trap 2
.LBB29_350:                             ;   in Loop: Header=BB29_296 Depth=2
	s_or_b64 exec, exec, s[42:43]
	s_trap 2
	ds_read_b64 v[4:5], v0
	s_waitcnt lgkmcnt(0)
	v_lshl_add_u64 v[46:47], v[46:47], 0, v[60:61]
	v_cmp_lt_u64_e32 vcc, v[4:5], v[46:47]
	s_and_saveexec_b64 s[42:43], vcc
	s_cbranch_execz .LBB29_359
; %bb.351:                              ;   in Loop: Header=BB29_296 Depth=2
	s_mov_b32 s45, 0
	s_mov_b64 s[30:31], 0
                                        ; implicit-def: $sgpr34_sgpr35
                                        ; implicit-def: $sgpr36_sgpr37
	s_branch .LBB29_353
.LBB29_352:                             ;   in Loop: Header=BB29_353 Depth=3
	s_or_b64 exec, exec, s[48:49]
	s_and_b64 vcc, exec, vcc
	s_or_b64 s[30:31], vcc, s[30:31]
	s_andn2_b64 vcc, s[34:35], exec
	s_and_b64 s[34:35], s[36:37], exec
	s_or_b64 s[34:35], vcc, s[34:35]
	s_andn2_b64 exec, exec, s[30:31]
	s_cbranch_execz .LBB29_357
.LBB29_353:                             ;   Parent Loop BB29_47 Depth=1
                                        ;     Parent Loop BB29_296 Depth=2
                                        ; =>    This Inner Loop Header: Depth=3
	s_add_i32 s45, s45, 1
	s_cmpk_lg_i32 s45, 0x2710
	s_cselect_b64 s[38:39], -1, 0
	s_and_b64 vcc, exec, s[38:39]
	s_cbranch_vccz .LBB29_355
; %bb.354:                              ;   in Loop: Header=BB29_353 Depth=3
	s_mov_b64 vcc, -1
	s_or_b64 s[36:37], s[36:37], exec
	s_and_saveexec_b64 s[48:49], s[38:39]
	s_cbranch_execz .LBB29_352
	s_branch .LBB29_356
.LBB29_355:                             ;   in Loop: Header=BB29_353 Depth=3
	s_trap 2
	ds_read_b64 v[4:5], v0
	s_andn2_b64 s[38:39], s[38:39], exec
	s_mov_b32 s45, 0
	s_waitcnt vmcnt(0) lgkmcnt(0)
	flat_load_dword v1, v[4:5] sc0 sc1
	s_waitcnt vmcnt(0) lgkmcnt(0)
	buffer_inv sc0 sc1
	v_cmp_eq_u32_e32 vcc, 0, v1
	s_and_b64 vcc, vcc, exec
	s_or_b64 s[38:39], s[38:39], vcc
	s_mov_b64 vcc, -1
	s_or_b64 s[36:37], s[36:37], exec
	s_and_saveexec_b64 s[48:49], s[38:39]
	s_cbranch_execz .LBB29_352
.LBB29_356:                             ;   in Loop: Header=BB29_353 Depth=3
	s_sleep 1
	s_trap 2
	ds_read_b64 v[4:5], v0
	s_waitcnt lgkmcnt(0)
	s_andn2_b64 s[36:37], s[36:37], exec
	v_cmp_ge_u64_e32 vcc, v[4:5], v[46:47]
	s_orn2_b64 vcc, vcc, exec
	s_branch .LBB29_352
.LBB29_357:                             ;   in Loop: Header=BB29_296 Depth=2
	s_or_b64 exec, exec, s[30:31]
	s_and_saveexec_b64 vcc, s[34:35]
	s_xor_b64 vcc, exec, vcc
	s_cbranch_execz .LBB29_359
; %bb.358:                              ;   in Loop: Header=BB29_296 Depth=2
	v_mov_b32_e32 v1, 1
	ds_write_b32 v0, v1
	s_trap 2
.LBB29_359:                             ;   in Loop: Header=BB29_296 Depth=2
	s_or_b64 exec, exec, s[42:43]
	;;#ASMSTART
	s_wakeup
	;;#ASMEND
.LBB29_360:                             ;   in Loop: Header=BB29_296 Depth=2
	s_or_b64 exec, exec, s[40:41]
.LBB29_361:                             ;   in Loop: Header=BB29_296 Depth=2
	s_andn2_saveexec_b64 s[28:29], s[28:29]
	s_cbranch_execz .LBB29_363
; %bb.362:                              ;   in Loop: Header=BB29_296 Depth=2
	s_waitcnt lgkmcnt(0)
	s_barrier
.LBB29_363:                             ;   in Loop: Header=BB29_296 Depth=2
	s_or_b64 exec, exec, s[28:29]
.LBB29_364:                             ;   in Loop: Header=BB29_296 Depth=2
	s_or_b64 exec, exec, s[26:27]
	s_trap 2
	s_waitcnt lgkmcnt(0)
	ds_read_b64 v[62:63], v0
	s_waitcnt lgkmcnt(0)
	v_cmp_eq_u64_e32 vcc, 0, v[62:63]
	s_cbranch_vccnz .LBB29_372
; %bb.365:                              ;   in Loop: Header=BB29_296 Depth=2
	s_trap 2
	ds_read_b64 v[72:73], v0
	s_waitcnt lgkmcnt(0)
	v_cmp_eq_u64_e32 vcc, 0, v[72:73]
	s_cbranch_vccnz .LBB29_372
; %bb.366:                              ;   in Loop: Header=BB29_296 Depth=2
	s_trap 2
	ds_read_b64 v[4:5], v0
	s_mov_b64 s[28:29], -1
	s_waitcnt lgkmcnt(0)
	v_readfirstlane_b32 s42, v4
	s_and_saveexec_b64 s[26:27], s[20:21]
	s_cbranch_execz .LBB29_368
; %bb.367:                              ;   in Loop: Header=BB29_296 Depth=2
	ds_read_b32 v1, v0 offset:720
	s_waitcnt lgkmcnt(0)
	v_and_b32_e32 v1, 15, v1
	v_cmp_eq_u32_e32 vcc, 0, v1
	s_orn2_b64 s[28:29], vcc, exec
.LBB29_368:                             ;   in Loop: Header=BB29_296 Depth=2
	s_or_b64 exec, exec, s[26:27]
	s_and_saveexec_b64 s[26:27], s[18:19]
	s_cbranch_execz .LBB29_370
; %bb.369:                              ;   in Loop: Header=BB29_296 Depth=2
	ds_read_b32 v1, v0 offset:784
	s_waitcnt lgkmcnt(0)
	v_and_b32_e32 v1, 15, v1
	v_cmp_eq_u32_e32 vcc, 0, v1
	s_and_b64 s[40:41], s[28:29], vcc
	s_andn2_b64 s[28:29], s[28:29], exec
	s_and_b64 s[40:41], s[40:41], exec
	s_or_b64 s[28:29], s[28:29], s[40:41]
.LBB29_370:                             ;   in Loop: Header=BB29_296 Depth=2
	s_or_b64 exec, exec, s[26:27]
	s_xor_b64 s[28:29], s[28:29], -1
	v_cmp_eq_u32_e64 s[26:27], 0, v0
	v_cndmask_b32_e64 v0, 0, 1, s[28:29]
	s_mov_b64 s[40:41], -1
	v_cmp_ne_u32_e32 vcc, 0, v0
	s_cbranch_vccz .LBB29_377
; %bb.371:                              ;   in Loop: Header=BB29_296 Depth=2
	s_and_b32 s45, s42, 1
	s_mov_b64 s[40:41], 0
	s_mov_b64 s[30:31], -1
	s_branch .LBB29_378
.LBB29_372:                             ;   in Loop: Header=BB29_296 Depth=2
	s_mov_b64 s[26:27], 0
	s_and_saveexec_b64 s[28:29], s[6:7]
	s_cbranch_execnz .LBB29_1118
.LBB29_373:                             ;   in Loop: Header=BB29_296 Depth=2
	s_or_b64 exec, exec, s[28:29]
                                        ; implicit-def: $vgpr0
	s_and_saveexec_b64 s[28:29], s[22:23]
	s_xor_b64 s[28:29], exec, s[28:29]
	s_cbranch_execz .LBB29_1136
.LBB29_374:                             ;   in Loop: Header=BB29_296 Depth=2
	v_and_b32_e32 v1, 16, v110
	v_cmp_ne_u32_e32 vcc, 0, v1
	v_and_b32_e32 v0, 16, v110
	s_and_b64 s[40:41], vcc, s[26:27]
	s_and_saveexec_b64 s[26:27], s[40:41]
	s_cbranch_execz .LBB29_376
; %bb.375:                              ;   in Loop: Header=BB29_296 Depth=2
	v_mov_b32_e32 v0, 1
	buffer_wbl2 sc1
	s_waitcnt vmcnt(0) lgkmcnt(0)
	buffer_inv sc1
.LBB29_376:                             ;   in Loop: Header=BB29_296 Depth=2
	s_or_b64 exec, exec, s[26:27]
	s_andn2_saveexec_b64 s[26:27], s[28:29]
	s_cbranch_execz .LBB29_1155
	s_branch .LBB29_1137
.LBB29_377:                             ;   in Loop: Header=BB29_296 Depth=2
	s_mov_b64 s[30:31], 0
                                        ; implicit-def: $sgpr45
.LBB29_378:                             ;   in Loop: Header=BB29_296 Depth=2
	v_cndmask_b32_e64 v111, 0, v28, s[26:27]
	v_lshlrev_b32_e32 v29, 1, v111
	s_andn2_b64 vcc, exec, s[40:41]
	v_mov_b32_e32 v12, 0
	s_cbranch_vccnz .LBB29_642
; %bb.379:                              ;   in Loop: Header=BB29_296 Depth=2
	v_ashrrev_i32_e32 v0, 31, v29
	v_lshrrev_b32_e32 v0, 20, v0
	v_add_u32_e32 v0, v29, v0
	v_ashrrev_i32_e32 v53, 12, v0
	scratch_load_dword v0, off, s33 offset:320 ; 4-byte Folded Reload
	s_and_b32 s45, s42, 1
	s_mov_b64 s[26:27], 0
                                        ; implicit-def: $vgpr80_vgpr81
                                        ; implicit-def: $vgpr36_vgpr37
                                        ; implicit-def: $vgpr24_vgpr25
                                        ; implicit-def: $vgpr12_vgpr13
                                        ; implicit-def: $vgpr32_vgpr33
                                        ; implicit-def: $vgpr20_vgpr21
                                        ; implicit-def: $vgpr16_vgpr17
                                        ; implicit-def: $vgpr8_vgpr9
	s_waitcnt vmcnt(0)
	v_lshrrev_b32_e32 v0, 6, v0
	v_sub_u32_e32 v118, v53, v0
	scratch_load_dwordx2 v[0:1], off, s33 offset:356 ; 8-byte Folded Reload
	v_cmp_lt_i32_e32 vcc, 0, v118
	s_waitcnt vmcnt(0)
	v_lshl_add_u64 v[4:5], v[72:73], 0, v[0:1]
	s_and_saveexec_b64 s[28:29], vcc
	s_cbranch_execz .LBB29_644
; %bb.380:                              ;   in Loop: Header=BB29_296 Depth=2
	scratch_store_dword off, v53, s33 offset:372 ; 4-byte Folded Spill
	s_trap 2
	scratch_load_dwordx2 v[6:7], off, s33 offset:356 ; 8-byte Folded Reload
	ds_read_b64 v[0:1], v0
	s_and_b32 s13, 0xffff, s45
	s_cmp_eq_u32 s13, 0
	s_mov_b64 s[34:35], 0
	s_mov_b64 s[40:41], 0
	s_cselect_b64 vcc, -1, 0
                                        ; implicit-def: $sgpr42_sgpr43
                                        ; implicit-def: $vgpr80_vgpr81
                                        ; implicit-def: $vgpr36_vgpr37
                                        ; implicit-def: $vgpr24_vgpr25
                                        ; implicit-def: $vgpr12_vgpr13
                                        ; implicit-def: $vgpr32_vgpr33
                                        ; implicit-def: $vgpr20_vgpr21
                                        ; implicit-def: $vgpr16_vgpr17
                                        ; implicit-def: $vgpr8_vgpr9
	s_waitcnt vmcnt(0)
	v_lshl_add_u64 v[58:59], v[62:63], 0, v[6:7]
	s_waitcnt lgkmcnt(0)
	v_lshl_add_u64 v[78:79], v[0:1], 0, v[6:7]
	s_branch .LBB29_382
.LBB29_381:                             ;   in Loop: Header=BB29_382 Depth=3
	s_or_b64 exec, exec, s[36:37]
	v_lshrrev_b32_e32 v0, 16, v0
	v_and_or_b32 v66, v66, s47, v0
	v_lshrrev_b32_e32 v0, 16, v69
	v_and_or_b32 v67, v67, s47, v0
	v_lshrrev_b32_e32 v0, 16, v30
	v_lshrrev_b32_e32 v2, 16, v68
	v_and_or_b32 v97, v85, s47, v0
	v_lshrrev_b32_e32 v0, 16, v115
	v_and_or_b32 v65, v65, s47, v2
	;; [unrolled: 2-line block ×13, first 2 shown]
	v_lshl_add_u64 v[0:1], v[58:59], 0, v[88:89]
	v_cndmask_b32_e64 v58, v58, v0, s[34:35]
	v_cndmask_b32_e64 v0, 0, v60, s[34:35]
	v_sub_u32_e32 v118, v118, v0
	v_cmp_gt_i32_e64 s[26:27], 1, v118
	v_and_or_b32 v64, v64, s47, v2
	v_mov_b32_e32 v2, 0x1000
	s_or_b64 s[40:41], s[26:27], s[40:41]
	global_store_dwordx4 v[4:5], v[84:87], off
	global_store_dwordx4 v[4:5], v[96:99], off offset:1024
	global_store_dwordx4 v[4:5], v[64:67], off offset:2048
	;; [unrolled: 1-line block ×3, first 2 shown]
	v_lshl_add_u64 v[6:7], v[78:79], 0, v[88:89]
	s_andn2_b64 s[26:27], s[42:43], exec
	v_cndmask_b32_e64 v49, 0, v107, s[34:35]
	v_cndmask_b32_e64 v48, v2, v106, s[34:35]
	s_and_b64 s[42:43], s[34:35], exec
	v_lshl_add_u64 v[4:5], v[4:5], 0, v[48:49]
	v_cndmask_b32_e64 v59, v59, v1, s[34:35]
	v_cndmask_b32_e64 v79, v79, v7, s[34:35]
	;; [unrolled: 1-line block ×3, first 2 shown]
	s_or_b64 s[42:43], s[26:27], s[42:43]
	s_andn2_b64 exec, exec, s[40:41]
	s_cbranch_execz .LBB29_643
.LBB29_382:                             ;   Parent Loop BB29_47 Depth=1
                                        ;     Parent Loop BB29_296 Depth=2
                                        ; =>    This Inner Loop Header: Depth=3
	global_load_dwordx4 v[100:103], v[58:59], off nt
	global_load_dwordx4 v[84:87], v[58:59], off offset:1024 nt
	global_load_dwordx4 v[64:67], v[58:59], off offset:2048 nt
	;; [unrolled: 1-line block ×3, first 2 shown]
	global_load_dwordx4 v[112:115], v[78:79], off nt
	global_load_dwordx4 v[96:99], v[78:79], off offset:1024 nt
	global_load_dwordx4 v[68:71], v[78:79], off offset:2048 nt
	;; [unrolled: 1-line block ×3, first 2 shown]
	s_and_saveexec_b64 s[36:37], s[34:35]
	s_cbranch_execz .LBB29_512
; %bb.383:                              ;   in Loop: Header=BB29_382 Depth=3
	v_lshlrev_b32_e32 v0, 16, v80
	v_lshlrev_b32_e32 v1, 16, v32
	v_max_f32_e32 v1, v1, v1
	v_max_f32_e32 v0, v0, v0
	v_min_f32_e32 v6, v0, v1
	v_max_f32_e32 v0, v0, v1
	v_cndmask_b32_e32 v0, v0, v6, vcc
	v_and_b32_e32 v1, 0x7f800000, v0
	v_cmp_ne_u32_e64 s[26:27], s97, v1
                                        ; implicit-def: $vgpr119
	s_and_saveexec_b64 s[34:35], s[26:27]
	s_xor_b64 s[26:27], exec, s[34:35]
; %bb.384:                              ;   in Loop: Header=BB29_382 Depth=3
	v_bfe_u32 v1, v0, 16, 1
	v_add3_u32 v119, v0, v1, s46
                                        ; implicit-def: $vgpr0
; %bb.385:                              ;   in Loop: Header=BB29_382 Depth=3
	s_andn2_saveexec_b64 s[34:35], s[26:27]
; %bb.386:                              ;   in Loop: Header=BB29_382 Depth=3
	v_or_b32_e32 v1, 0x10000, v0
	v_cmp_eq_u32_sdwa s[26:27], v0, v3 src0_sel:WORD_0 src1_sel:DWORD
	s_nop 1
	v_cndmask_b32_e64 v119, v1, v0, s[26:27]
; %bb.387:                              ;   in Loop: Header=BB29_382 Depth=3
	s_or_b64 exec, exec, s[34:35]
	v_and_b32_e32 v0, 0xffff0000, v80
	v_and_b32_e32 v1, 0xffff0000, v32
	v_max_f32_e32 v1, v1, v1
	v_max_f32_e32 v0, v0, v0
	v_min_f32_e32 v6, v0, v1
	v_max_f32_e32 v0, v0, v1
	v_cndmask_b32_e32 v0, v0, v6, vcc
	v_and_b32_e32 v1, 0x7f800000, v0
	v_cmp_ne_u32_e64 s[26:27], s97, v1
                                        ; implicit-def: $vgpr80
	s_and_saveexec_b64 s[34:35], s[26:27]
	s_xor_b64 s[26:27], exec, s[34:35]
; %bb.388:                              ;   in Loop: Header=BB29_382 Depth=3
	v_bfe_u32 v1, v0, 16, 1
	v_add3_u32 v80, v0, v1, s46
                                        ; implicit-def: $vgpr0
; %bb.389:                              ;   in Loop: Header=BB29_382 Depth=3
	s_andn2_saveexec_b64 s[34:35], s[26:27]
; %bb.390:                              ;   in Loop: Header=BB29_382 Depth=3
	v_or_b32_e32 v1, 0x10000, v0
	v_cmp_eq_u32_sdwa s[26:27], v0, v3 src0_sel:WORD_0 src1_sel:DWORD
	s_nop 1
	v_cndmask_b32_e64 v80, v1, v0, s[26:27]
; %bb.391:                              ;   in Loop: Header=BB29_382 Depth=3
	s_or_b64 exec, exec, s[34:35]
	v_lshlrev_b32_e32 v0, 16, v81
	v_lshlrev_b32_e32 v1, 16, v33
	v_max_f32_e32 v1, v1, v1
	v_max_f32_e32 v0, v0, v0
	v_min_f32_e32 v6, v0, v1
	v_max_f32_e32 v0, v0, v1
	v_cndmask_b32_e32 v0, v0, v6, vcc
	v_and_b32_e32 v1, 0x7f800000, v0
	v_cmp_ne_u32_e64 s[26:27], s97, v1
                                        ; implicit-def: $vgpr75
	s_and_saveexec_b64 s[34:35], s[26:27]
	s_xor_b64 s[26:27], exec, s[34:35]
; %bb.392:                              ;   in Loop: Header=BB29_382 Depth=3
	v_bfe_u32 v1, v0, 16, 1
	v_add3_u32 v75, v0, v1, s46
                                        ; implicit-def: $vgpr0
; %bb.393:                              ;   in Loop: Header=BB29_382 Depth=3
	s_andn2_saveexec_b64 s[34:35], s[26:27]
; %bb.394:                              ;   in Loop: Header=BB29_382 Depth=3
	v_or_b32_e32 v1, 0x10000, v0
	v_cmp_eq_u32_sdwa s[26:27], v0, v3 src0_sel:WORD_0 src1_sel:DWORD
	s_nop 1
	v_cndmask_b32_e64 v75, v1, v0, s[26:27]
; %bb.395:                              ;   in Loop: Header=BB29_382 Depth=3
	s_or_b64 exec, exec, s[34:35]
	v_and_b32_e32 v0, 0xffff0000, v81
	v_and_b32_e32 v1, 0xffff0000, v33
	v_max_f32_e32 v1, v1, v1
	v_max_f32_e32 v0, v0, v0
	v_min_f32_e32 v6, v0, v1
	v_max_f32_e32 v0, v0, v1
	v_cndmask_b32_e32 v0, v0, v6, vcc
	v_and_b32_e32 v1, 0x7f800000, v0
	v_cmp_ne_u32_e64 s[26:27], s97, v1
                                        ; implicit-def: $vgpr81
	s_and_saveexec_b64 s[34:35], s[26:27]
	s_xor_b64 s[26:27], exec, s[34:35]
; %bb.396:                              ;   in Loop: Header=BB29_382 Depth=3
	v_bfe_u32 v1, v0, 16, 1
	v_add3_u32 v81, v0, v1, s46
                                        ; implicit-def: $vgpr0
; %bb.397:                              ;   in Loop: Header=BB29_382 Depth=3
	s_andn2_saveexec_b64 s[34:35], s[26:27]
; %bb.398:                              ;   in Loop: Header=BB29_382 Depth=3
	v_or_b32_e32 v1, 0x10000, v0
	v_cmp_eq_u32_sdwa s[26:27], v0, v3 src0_sel:WORD_0 src1_sel:DWORD
	s_nop 1
	v_cndmask_b32_e64 v81, v1, v0, s[26:27]
; %bb.399:                              ;   in Loop: Header=BB29_382 Depth=3
	s_or_b64 exec, exec, s[34:35]
	v_lshlrev_b32_e32 v0, 16, v82
	v_lshlrev_b32_e32 v1, 16, v34
	v_max_f32_e32 v1, v1, v1
	v_max_f32_e32 v0, v0, v0
	v_min_f32_e32 v6, v0, v1
	v_max_f32_e32 v0, v0, v1
	v_cndmask_b32_e32 v0, v0, v6, vcc
	v_and_b32_e32 v1, 0x7f800000, v0
	v_cmp_ne_u32_e64 s[26:27], s97, v1
                                        ; implicit-def: $vgpr120
	s_and_saveexec_b64 s[34:35], s[26:27]
	s_xor_b64 s[26:27], exec, s[34:35]
; %bb.400:                              ;   in Loop: Header=BB29_382 Depth=3
	v_bfe_u32 v1, v0, 16, 1
	v_add3_u32 v120, v0, v1, s46
                                        ; implicit-def: $vgpr0
; %bb.401:                              ;   in Loop: Header=BB29_382 Depth=3
	s_andn2_saveexec_b64 s[34:35], s[26:27]
; %bb.402:                              ;   in Loop: Header=BB29_382 Depth=3
	v_or_b32_e32 v1, 0x10000, v0
	v_cmp_eq_u32_sdwa s[26:27], v0, v3 src0_sel:WORD_0 src1_sel:DWORD
	s_nop 1
	v_cndmask_b32_e64 v120, v1, v0, s[26:27]
; %bb.403:                              ;   in Loop: Header=BB29_382 Depth=3
	s_or_b64 exec, exec, s[34:35]
	v_and_b32_e32 v0, 0xffff0000, v82
	v_and_b32_e32 v1, 0xffff0000, v34
	v_max_f32_e32 v1, v1, v1
	v_max_f32_e32 v0, v0, v0
	v_min_f32_e32 v6, v0, v1
	v_max_f32_e32 v0, v0, v1
	v_cndmask_b32_e32 v0, v0, v6, vcc
	v_and_b32_e32 v1, 0x7f800000, v0
	v_cmp_ne_u32_e64 s[26:27], s97, v1
                                        ; implicit-def: $vgpr82
	s_and_saveexec_b64 s[34:35], s[26:27]
	s_xor_b64 s[26:27], exec, s[34:35]
; %bb.404:                              ;   in Loop: Header=BB29_382 Depth=3
	v_bfe_u32 v1, v0, 16, 1
	v_add3_u32 v82, v0, v1, s46
                                        ; implicit-def: $vgpr0
; %bb.405:                              ;   in Loop: Header=BB29_382 Depth=3
	s_andn2_saveexec_b64 s[34:35], s[26:27]
; %bb.406:                              ;   in Loop: Header=BB29_382 Depth=3
	v_or_b32_e32 v1, 0x10000, v0
	v_cmp_eq_u32_sdwa s[26:27], v0, v3 src0_sel:WORD_0 src1_sel:DWORD
	s_nop 1
	v_cndmask_b32_e64 v82, v1, v0, s[26:27]
; %bb.407:                              ;   in Loop: Header=BB29_382 Depth=3
	s_or_b64 exec, exec, s[34:35]
	v_lshlrev_b32_e32 v0, 16, v83
	v_lshlrev_b32_e32 v1, 16, v35
	v_max_f32_e32 v1, v1, v1
	v_max_f32_e32 v0, v0, v0
	v_min_f32_e32 v6, v0, v1
	v_max_f32_e32 v0, v0, v1
	v_cndmask_b32_e32 v0, v0, v6, vcc
	v_and_b32_e32 v1, 0x7f800000, v0
	v_cmp_ne_u32_e64 s[26:27], s97, v1
                                        ; implicit-def: $vgpr44
	s_and_saveexec_b64 s[34:35], s[26:27]
	s_xor_b64 s[26:27], exec, s[34:35]
; %bb.408:                              ;   in Loop: Header=BB29_382 Depth=3
	v_bfe_u32 v1, v0, 16, 1
	v_add3_u32 v44, v0, v1, s46
                                        ; implicit-def: $vgpr0
; %bb.409:                              ;   in Loop: Header=BB29_382 Depth=3
	s_andn2_saveexec_b64 s[34:35], s[26:27]
; %bb.410:                              ;   in Loop: Header=BB29_382 Depth=3
	v_or_b32_e32 v1, 0x10000, v0
	v_cmp_eq_u32_sdwa s[26:27], v0, v3 src0_sel:WORD_0 src1_sel:DWORD
	s_nop 1
	v_cndmask_b32_e64 v44, v1, v0, s[26:27]
; %bb.411:                              ;   in Loop: Header=BB29_382 Depth=3
	s_or_b64 exec, exec, s[34:35]
	v_and_b32_e32 v0, 0xffff0000, v83
	v_and_b32_e32 v1, 0xffff0000, v35
	v_max_f32_e32 v1, v1, v1
	v_max_f32_e32 v0, v0, v0
	v_min_f32_e32 v6, v0, v1
	v_max_f32_e32 v0, v0, v1
	v_cndmask_b32_e32 v0, v0, v6, vcc
	v_and_b32_e32 v1, 0x7f800000, v0
	v_cmp_ne_u32_e64 s[26:27], s97, v1
                                        ; implicit-def: $vgpr83
	s_and_saveexec_b64 s[34:35], s[26:27]
	s_xor_b64 s[26:27], exec, s[34:35]
; %bb.412:                              ;   in Loop: Header=BB29_382 Depth=3
	v_bfe_u32 v1, v0, 16, 1
	v_add3_u32 v83, v0, v1, s46
                                        ; implicit-def: $vgpr0
; %bb.413:                              ;   in Loop: Header=BB29_382 Depth=3
	s_andn2_saveexec_b64 s[34:35], s[26:27]
; %bb.414:                              ;   in Loop: Header=BB29_382 Depth=3
	v_or_b32_e32 v1, 0x10000, v0
	v_cmp_eq_u32_sdwa s[26:27], v0, v3 src0_sel:WORD_0 src1_sel:DWORD
	s_nop 1
	v_cndmask_b32_e64 v83, v1, v0, s[26:27]
; %bb.415:                              ;   in Loop: Header=BB29_382 Depth=3
	s_or_b64 exec, exec, s[34:35]
	v_lshlrev_b32_e32 v0, 16, v36
	v_lshlrev_b32_e32 v1, 16, v20
	v_max_f32_e32 v1, v1, v1
	v_max_f32_e32 v0, v0, v0
	v_min_f32_e32 v6, v0, v1
	v_max_f32_e32 v0, v0, v1
	v_cndmask_b32_e32 v0, v0, v6, vcc
	v_and_b32_e32 v1, 0x7f800000, v0
	v_cmp_ne_u32_e64 s[26:27], s97, v1
                                        ; implicit-def: $vgpr45
	s_and_saveexec_b64 s[34:35], s[26:27]
	s_xor_b64 s[26:27], exec, s[34:35]
; %bb.416:                              ;   in Loop: Header=BB29_382 Depth=3
	v_bfe_u32 v1, v0, 16, 1
	v_add3_u32 v45, v0, v1, s46
                                        ; implicit-def: $vgpr0
; %bb.417:                              ;   in Loop: Header=BB29_382 Depth=3
	s_andn2_saveexec_b64 s[34:35], s[26:27]
; %bb.418:                              ;   in Loop: Header=BB29_382 Depth=3
	v_or_b32_e32 v1, 0x10000, v0
	v_cmp_eq_u32_sdwa s[26:27], v0, v3 src0_sel:WORD_0 src1_sel:DWORD
	s_nop 1
	v_cndmask_b32_e64 v45, v1, v0, s[26:27]
; %bb.419:                              ;   in Loop: Header=BB29_382 Depth=3
	s_or_b64 exec, exec, s[34:35]
	v_and_b32_e32 v0, 0xffff0000, v36
	v_and_b32_e32 v1, 0xffff0000, v20
	v_max_f32_e32 v1, v1, v1
	v_max_f32_e32 v0, v0, v0
	v_min_f32_e32 v6, v0, v1
	v_max_f32_e32 v0, v0, v1
	v_cndmask_b32_e32 v0, v0, v6, vcc
	v_and_b32_e32 v1, 0x7f800000, v0
	v_cmp_ne_u32_e64 s[26:27], s97, v1
                                        ; implicit-def: $vgpr36
	s_and_saveexec_b64 s[34:35], s[26:27]
	s_xor_b64 s[26:27], exec, s[34:35]
; %bb.420:                              ;   in Loop: Header=BB29_382 Depth=3
	v_bfe_u32 v1, v0, 16, 1
	v_add3_u32 v36, v0, v1, s46
                                        ; implicit-def: $vgpr0
; %bb.421:                              ;   in Loop: Header=BB29_382 Depth=3
	s_andn2_saveexec_b64 s[34:35], s[26:27]
; %bb.422:                              ;   in Loop: Header=BB29_382 Depth=3
	v_or_b32_e32 v1, 0x10000, v0
	v_cmp_eq_u32_sdwa s[26:27], v0, v3 src0_sel:WORD_0 src1_sel:DWORD
	s_nop 1
	v_cndmask_b32_e64 v36, v1, v0, s[26:27]
; %bb.423:                              ;   in Loop: Header=BB29_382 Depth=3
	s_or_b64 exec, exec, s[34:35]
	v_lshlrev_b32_e32 v0, 16, v37
	v_lshlrev_b32_e32 v1, 16, v21
	v_max_f32_e32 v1, v1, v1
	v_max_f32_e32 v0, v0, v0
	v_min_f32_e32 v6, v0, v1
	v_max_f32_e32 v0, v0, v1
	v_cndmask_b32_e32 v0, v0, v6, vcc
	v_and_b32_e32 v1, 0x7f800000, v0
	v_cmp_ne_u32_e64 s[26:27], s97, v1
                                        ; implicit-def: $vgpr30
	s_and_saveexec_b64 s[34:35], s[26:27]
	s_xor_b64 s[26:27], exec, s[34:35]
; %bb.424:                              ;   in Loop: Header=BB29_382 Depth=3
	v_bfe_u32 v1, v0, 16, 1
	v_add3_u32 v30, v0, v1, s46
                                        ; implicit-def: $vgpr0
; %bb.425:                              ;   in Loop: Header=BB29_382 Depth=3
	s_andn2_saveexec_b64 s[34:35], s[26:27]
; %bb.426:                              ;   in Loop: Header=BB29_382 Depth=3
	v_or_b32_e32 v1, 0x10000, v0
	v_cmp_eq_u32_sdwa s[26:27], v0, v3 src0_sel:WORD_0 src1_sel:DWORD
	s_nop 1
	v_cndmask_b32_e64 v30, v1, v0, s[26:27]
; %bb.427:                              ;   in Loop: Header=BB29_382 Depth=3
	s_or_b64 exec, exec, s[34:35]
	v_and_b32_e32 v0, 0xffff0000, v37
	v_and_b32_e32 v1, 0xffff0000, v21
	v_max_f32_e32 v1, v1, v1
	v_max_f32_e32 v0, v0, v0
	v_min_f32_e32 v6, v0, v1
	v_max_f32_e32 v0, v0, v1
	v_cndmask_b32_e32 v0, v0, v6, vcc
	v_and_b32_e32 v1, 0x7f800000, v0
	v_cmp_ne_u32_e64 s[26:27], s97, v1
                                        ; implicit-def: $vgpr37
	s_and_saveexec_b64 s[34:35], s[26:27]
	s_xor_b64 s[26:27], exec, s[34:35]
; %bb.428:                              ;   in Loop: Header=BB29_382 Depth=3
	v_bfe_u32 v1, v0, 16, 1
	v_add3_u32 v37, v0, v1, s46
                                        ; implicit-def: $vgpr0
; %bb.429:                              ;   in Loop: Header=BB29_382 Depth=3
	s_andn2_saveexec_b64 s[34:35], s[26:27]
; %bb.430:                              ;   in Loop: Header=BB29_382 Depth=3
	v_or_b32_e32 v1, 0x10000, v0
	v_cmp_eq_u32_sdwa s[26:27], v0, v3 src0_sel:WORD_0 src1_sel:DWORD
	s_nop 1
	v_cndmask_b32_e64 v37, v1, v0, s[26:27]
; %bb.431:                              ;   in Loop: Header=BB29_382 Depth=3
	s_or_b64 exec, exec, s[34:35]
	v_lshlrev_b32_e32 v0, 16, v38
	v_lshlrev_b32_e32 v1, 16, v22
	v_max_f32_e32 v1, v1, v1
	v_max_f32_e32 v0, v0, v0
	v_min_f32_e32 v6, v0, v1
	v_max_f32_e32 v0, v0, v1
	v_cndmask_b32_e32 v0, v0, v6, vcc
	v_and_b32_e32 v1, 0x7f800000, v0
	v_cmp_ne_u32_e64 s[26:27], s97, v1
                                        ; implicit-def: $vgpr6
	s_and_saveexec_b64 s[34:35], s[26:27]
	s_xor_b64 s[26:27], exec, s[34:35]
; %bb.432:                              ;   in Loop: Header=BB29_382 Depth=3
	v_bfe_u32 v1, v0, 16, 1
	v_add3_u32 v6, v0, v1, s46
                                        ; implicit-def: $vgpr0
; %bb.433:                              ;   in Loop: Header=BB29_382 Depth=3
	s_andn2_saveexec_b64 s[34:35], s[26:27]
; %bb.434:                              ;   in Loop: Header=BB29_382 Depth=3
	v_or_b32_e32 v1, 0x10000, v0
	v_cmp_eq_u32_sdwa s[26:27], v0, v3 src0_sel:WORD_0 src1_sel:DWORD
	s_nop 1
	v_cndmask_b32_e64 v6, v1, v0, s[26:27]
; %bb.435:                              ;   in Loop: Header=BB29_382 Depth=3
	s_or_b64 exec, exec, s[34:35]
	v_and_b32_e32 v0, 0xffff0000, v38
	v_and_b32_e32 v1, 0xffff0000, v22
	v_max_f32_e32 v1, v1, v1
	v_max_f32_e32 v0, v0, v0
	v_min_f32_e32 v7, v0, v1
	v_max_f32_e32 v0, v0, v1
	v_cndmask_b32_e32 v0, v0, v7, vcc
	v_and_b32_e32 v1, 0x7f800000, v0
	v_cmp_ne_u32_e64 s[26:27], s97, v1
                                        ; implicit-def: $vgpr7
	s_and_saveexec_b64 s[34:35], s[26:27]
	s_xor_b64 s[26:27], exec, s[34:35]
; %bb.436:                              ;   in Loop: Header=BB29_382 Depth=3
	v_bfe_u32 v1, v0, 16, 1
	v_add3_u32 v7, v0, v1, s46
                                        ; implicit-def: $vgpr0
; %bb.437:                              ;   in Loop: Header=BB29_382 Depth=3
	s_andn2_saveexec_b64 s[34:35], s[26:27]
; %bb.438:                              ;   in Loop: Header=BB29_382 Depth=3
	v_or_b32_e32 v1, 0x10000, v0
	v_cmp_eq_u32_sdwa s[26:27], v0, v3 src0_sel:WORD_0 src1_sel:DWORD
	s_nop 1
	v_cndmask_b32_e64 v7, v1, v0, s[26:27]
; %bb.439:                              ;   in Loop: Header=BB29_382 Depth=3
	s_or_b64 exec, exec, s[34:35]
	v_lshlrev_b32_e32 v0, 16, v39
	v_lshlrev_b32_e32 v1, 16, v23
	v_max_f32_e32 v1, v1, v1
	v_max_f32_e32 v0, v0, v0
	v_min_f32_e32 v38, v0, v1
	v_max_f32_e32 v0, v0, v1
	v_cndmask_b32_e32 v0, v0, v38, vcc
	v_and_b32_e32 v1, 0x7f800000, v0
	v_cmp_ne_u32_e64 s[26:27], s97, v1
                                        ; implicit-def: $vgpr42
	s_and_saveexec_b64 s[34:35], s[26:27]
	s_xor_b64 s[26:27], exec, s[34:35]
; %bb.440:                              ;   in Loop: Header=BB29_382 Depth=3
	v_bfe_u32 v1, v0, 16, 1
	v_add3_u32 v42, v0, v1, s46
                                        ; implicit-def: $vgpr0
; %bb.441:                              ;   in Loop: Header=BB29_382 Depth=3
	s_andn2_saveexec_b64 s[34:35], s[26:27]
; %bb.442:                              ;   in Loop: Header=BB29_382 Depth=3
	v_or_b32_e32 v1, 0x10000, v0
	v_cmp_eq_u32_sdwa s[26:27], v0, v3 src0_sel:WORD_0 src1_sel:DWORD
	s_nop 1
	v_cndmask_b32_e64 v42, v1, v0, s[26:27]
; %bb.443:                              ;   in Loop: Header=BB29_382 Depth=3
	s_or_b64 exec, exec, s[34:35]
	v_and_b32_e32 v0, 0xffff0000, v39
	v_and_b32_e32 v1, 0xffff0000, v23
	v_max_f32_e32 v1, v1, v1
	v_max_f32_e32 v0, v0, v0
	v_min_f32_e32 v38, v0, v1
	v_max_f32_e32 v0, v0, v1
	v_cndmask_b32_e32 v0, v0, v38, vcc
	v_and_b32_e32 v1, 0x7f800000, v0
	v_cmp_ne_u32_e64 s[26:27], s97, v1
                                        ; implicit-def: $vgpr39
	s_and_saveexec_b64 s[34:35], s[26:27]
	s_xor_b64 s[26:27], exec, s[34:35]
; %bb.444:                              ;   in Loop: Header=BB29_382 Depth=3
	v_bfe_u32 v1, v0, 16, 1
	v_add3_u32 v39, v0, v1, s46
                                        ; implicit-def: $vgpr0
; %bb.445:                              ;   in Loop: Header=BB29_382 Depth=3
	s_andn2_saveexec_b64 s[34:35], s[26:27]
; %bb.446:                              ;   in Loop: Header=BB29_382 Depth=3
	v_or_b32_e32 v1, 0x10000, v0
	v_cmp_eq_u32_sdwa s[26:27], v0, v3 src0_sel:WORD_0 src1_sel:DWORD
	s_nop 1
	v_cndmask_b32_e64 v39, v1, v0, s[26:27]
; %bb.447:                              ;   in Loop: Header=BB29_382 Depth=3
	s_or_b64 exec, exec, s[34:35]
	v_lshlrev_b32_e32 v0, 16, v24
	v_lshlrev_b32_e32 v1, 16, v16
	v_max_f32_e32 v1, v1, v1
	v_max_f32_e32 v0, v0, v0
	v_min_f32_e32 v38, v0, v1
	v_max_f32_e32 v0, v0, v1
	v_cndmask_b32_e32 v0, v0, v38, vcc
	v_and_b32_e32 v1, 0x7f800000, v0
	v_cmp_ne_u32_e64 s[26:27], s97, v1
                                        ; implicit-def: $vgpr38
	s_and_saveexec_b64 s[34:35], s[26:27]
	s_xor_b64 s[26:27], exec, s[34:35]
; %bb.448:                              ;   in Loop: Header=BB29_382 Depth=3
	v_bfe_u32 v1, v0, 16, 1
	v_add3_u32 v38, v0, v1, s46
                                        ; implicit-def: $vgpr0
; %bb.449:                              ;   in Loop: Header=BB29_382 Depth=3
	s_andn2_saveexec_b64 s[34:35], s[26:27]
; %bb.450:                              ;   in Loop: Header=BB29_382 Depth=3
	v_or_b32_e32 v1, 0x10000, v0
	v_cmp_eq_u32_sdwa s[26:27], v0, v3 src0_sel:WORD_0 src1_sel:DWORD
	s_nop 1
	v_cndmask_b32_e64 v38, v1, v0, s[26:27]
; %bb.451:                              ;   in Loop: Header=BB29_382 Depth=3
	s_or_b64 exec, exec, s[34:35]
	v_and_b32_e32 v0, 0xffff0000, v24
	v_and_b32_e32 v1, 0xffff0000, v16
	v_max_f32_e32 v1, v1, v1
	v_max_f32_e32 v0, v0, v0
	v_min_f32_e32 v24, v0, v1
	v_max_f32_e32 v0, v0, v1
	v_cndmask_b32_e32 v0, v0, v24, vcc
	v_and_b32_e32 v1, 0x7f800000, v0
	v_cmp_ne_u32_e64 s[26:27], s97, v1
                                        ; implicit-def: $vgpr24
	s_and_saveexec_b64 s[34:35], s[26:27]
	s_xor_b64 s[26:27], exec, s[34:35]
; %bb.452:                              ;   in Loop: Header=BB29_382 Depth=3
	v_bfe_u32 v1, v0, 16, 1
	v_add3_u32 v24, v0, v1, s46
                                        ; implicit-def: $vgpr0
; %bb.453:                              ;   in Loop: Header=BB29_382 Depth=3
	s_andn2_saveexec_b64 s[34:35], s[26:27]
; %bb.454:                              ;   in Loop: Header=BB29_382 Depth=3
	v_or_b32_e32 v1, 0x10000, v0
	v_cmp_eq_u32_sdwa s[26:27], v0, v3 src0_sel:WORD_0 src1_sel:DWORD
	s_nop 1
	v_cndmask_b32_e64 v24, v1, v0, s[26:27]
; %bb.455:                              ;   in Loop: Header=BB29_382 Depth=3
	s_or_b64 exec, exec, s[34:35]
	v_lshlrev_b32_e32 v0, 16, v25
	v_lshlrev_b32_e32 v1, 16, v17
	v_max_f32_e32 v1, v1, v1
	v_max_f32_e32 v0, v0, v0
	v_min_f32_e32 v43, v0, v1
	v_max_f32_e32 v0, v0, v1
	v_cndmask_b32_e32 v0, v0, v43, vcc
	v_and_b32_e32 v1, 0x7f800000, v0
	v_cmp_ne_u32_e64 s[26:27], s97, v1
                                        ; implicit-def: $vgpr43
	s_and_saveexec_b64 s[34:35], s[26:27]
	s_xor_b64 s[26:27], exec, s[34:35]
; %bb.456:                              ;   in Loop: Header=BB29_382 Depth=3
	v_bfe_u32 v1, v0, 16, 1
	v_add3_u32 v43, v0, v1, s46
                                        ; implicit-def: $vgpr0
; %bb.457:                              ;   in Loop: Header=BB29_382 Depth=3
	s_andn2_saveexec_b64 s[34:35], s[26:27]
; %bb.458:                              ;   in Loop: Header=BB29_382 Depth=3
	v_or_b32_e32 v1, 0x10000, v0
	v_cmp_eq_u32_sdwa s[26:27], v0, v3 src0_sel:WORD_0 src1_sel:DWORD
	s_nop 1
	v_cndmask_b32_e64 v43, v1, v0, s[26:27]
; %bb.459:                              ;   in Loop: Header=BB29_382 Depth=3
	s_or_b64 exec, exec, s[34:35]
	v_and_b32_e32 v0, 0xffff0000, v25
	v_and_b32_e32 v1, 0xffff0000, v17
	v_max_f32_e32 v1, v1, v1
	v_max_f32_e32 v0, v0, v0
	v_min_f32_e32 v25, v0, v1
	v_max_f32_e32 v0, v0, v1
	v_cndmask_b32_e32 v0, v0, v25, vcc
	v_and_b32_e32 v1, 0x7f800000, v0
	v_cmp_ne_u32_e64 s[26:27], s97, v1
                                        ; implicit-def: $vgpr25
	s_and_saveexec_b64 s[34:35], s[26:27]
	s_xor_b64 s[26:27], exec, s[34:35]
; %bb.460:                              ;   in Loop: Header=BB29_382 Depth=3
	v_bfe_u32 v1, v0, 16, 1
	v_add3_u32 v25, v0, v1, s46
                                        ; implicit-def: $vgpr0
; %bb.461:                              ;   in Loop: Header=BB29_382 Depth=3
	s_andn2_saveexec_b64 s[34:35], s[26:27]
; %bb.462:                              ;   in Loop: Header=BB29_382 Depth=3
	v_or_b32_e32 v1, 0x10000, v0
	v_cmp_eq_u32_sdwa s[26:27], v0, v3 src0_sel:WORD_0 src1_sel:DWORD
	s_nop 1
	v_cndmask_b32_e64 v25, v1, v0, s[26:27]
; %bb.463:                              ;   in Loop: Header=BB29_382 Depth=3
	s_or_b64 exec, exec, s[34:35]
	v_lshlrev_b32_e32 v0, 16, v26
	v_lshlrev_b32_e32 v1, 16, v18
	v_max_f32_e32 v1, v1, v1
	v_max_f32_e32 v0, v0, v0
	v_min_f32_e32 v74, v0, v1
	v_max_f32_e32 v0, v0, v1
	v_cndmask_b32_e32 v1, v0, v74, vcc
	v_and_b32_e32 v0, 0x7f800000, v1
	v_cmp_ne_u32_e64 s[26:27], s97, v0
                                        ; implicit-def: $vgpr0
	s_and_saveexec_b64 s[34:35], s[26:27]
	s_xor_b64 s[26:27], exec, s[34:35]
; %bb.464:                              ;   in Loop: Header=BB29_382 Depth=3
	v_bfe_u32 v0, v1, 16, 1
	v_add3_u32 v0, v1, v0, s46
                                        ; implicit-def: $vgpr1
; %bb.465:                              ;   in Loop: Header=BB29_382 Depth=3
	s_andn2_saveexec_b64 s[34:35], s[26:27]
; %bb.466:                              ;   in Loop: Header=BB29_382 Depth=3
	v_or_b32_e32 v0, 0x10000, v1
	v_cmp_eq_u32_sdwa s[26:27], v1, v3 src0_sel:WORD_0 src1_sel:DWORD
	s_nop 1
	v_cndmask_b32_e64 v0, v0, v1, s[26:27]
; %bb.467:                              ;   in Loop: Header=BB29_382 Depth=3
	s_or_b64 exec, exec, s[34:35]
	v_and_b32_e32 v1, 0xffff0000, v26
	v_and_b32_e32 v26, 0xffff0000, v18
	v_max_f32_e32 v26, v26, v26
	v_max_f32_e32 v1, v1, v1
	v_min_f32_e32 v74, v1, v26
	v_max_f32_e32 v1, v1, v26
	v_cndmask_b32_e32 v1, v1, v74, vcc
	v_and_b32_e32 v26, 0x7f800000, v1
	v_cmp_ne_u32_e64 s[26:27], s97, v26
                                        ; implicit-def: $vgpr26
	s_and_saveexec_b64 s[34:35], s[26:27]
	s_xor_b64 s[26:27], exec, s[34:35]
; %bb.468:                              ;   in Loop: Header=BB29_382 Depth=3
	v_bfe_u32 v26, v1, 16, 1
	v_add3_u32 v26, v1, v26, s46
                                        ; implicit-def: $vgpr1
; %bb.469:                              ;   in Loop: Header=BB29_382 Depth=3
	s_andn2_saveexec_b64 s[34:35], s[26:27]
; %bb.470:                              ;   in Loop: Header=BB29_382 Depth=3
	v_or_b32_e32 v26, 0x10000, v1
	v_cmp_eq_u32_sdwa s[26:27], v1, v3 src0_sel:WORD_0 src1_sel:DWORD
	s_nop 1
	v_cndmask_b32_e64 v26, v26, v1, s[26:27]
; %bb.471:                              ;   in Loop: Header=BB29_382 Depth=3
	s_or_b64 exec, exec, s[34:35]
	v_lshlrev_b32_e32 v1, 16, v27
	v_lshlrev_b32_e32 v74, 16, v19
	v_max_f32_e32 v74, v74, v74
	v_max_f32_e32 v1, v1, v1
	v_min_f32_e32 v94, v1, v74
	v_max_f32_e32 v1, v1, v74
	v_cndmask_b32_e32 v1, v1, v94, vcc
	v_and_b32_e32 v74, 0x7f800000, v1
	v_cmp_ne_u32_e64 s[26:27], s97, v74
                                        ; implicit-def: $vgpr94
	s_and_saveexec_b64 s[34:35], s[26:27]
	s_xor_b64 s[26:27], exec, s[34:35]
; %bb.472:                              ;   in Loop: Header=BB29_382 Depth=3
	v_bfe_u32 v74, v1, 16, 1
	v_add3_u32 v94, v1, v74, s46
                                        ; implicit-def: $vgpr1
; %bb.473:                              ;   in Loop: Header=BB29_382 Depth=3
	s_andn2_saveexec_b64 s[34:35], s[26:27]
; %bb.474:                              ;   in Loop: Header=BB29_382 Depth=3
	v_or_b32_e32 v74, 0x10000, v1
	v_cmp_eq_u32_sdwa s[26:27], v1, v3 src0_sel:WORD_0 src1_sel:DWORD
	s_nop 1
	v_cndmask_b32_e64 v94, v74, v1, s[26:27]
; %bb.475:                              ;   in Loop: Header=BB29_382 Depth=3
	s_or_b64 exec, exec, s[34:35]
	v_and_b32_e32 v1, 0xffff0000, v27
	v_and_b32_e32 v27, 0xffff0000, v19
	v_max_f32_e32 v27, v27, v27
	v_max_f32_e32 v1, v1, v1
	v_min_f32_e32 v74, v1, v27
	v_max_f32_e32 v1, v1, v27
	v_cndmask_b32_e32 v1, v1, v74, vcc
	v_and_b32_e32 v27, 0x7f800000, v1
	v_cmp_ne_u32_e64 s[26:27], s97, v27
                                        ; implicit-def: $vgpr27
	s_and_saveexec_b64 s[34:35], s[26:27]
	s_xor_b64 s[26:27], exec, s[34:35]
; %bb.476:                              ;   in Loop: Header=BB29_382 Depth=3
	v_bfe_u32 v27, v1, 16, 1
	v_add3_u32 v27, v1, v27, s46
                                        ; implicit-def: $vgpr1
; %bb.477:                              ;   in Loop: Header=BB29_382 Depth=3
	s_andn2_saveexec_b64 s[34:35], s[26:27]
; %bb.478:                              ;   in Loop: Header=BB29_382 Depth=3
	v_or_b32_e32 v27, 0x10000, v1
	v_cmp_eq_u32_sdwa s[26:27], v1, v3 src0_sel:WORD_0 src1_sel:DWORD
	s_nop 1
	v_cndmask_b32_e64 v27, v27, v1, s[26:27]
; %bb.479:                              ;   in Loop: Header=BB29_382 Depth=3
	s_or_b64 exec, exec, s[34:35]
	v_lshlrev_b32_e32 v1, 16, v12
	v_lshlrev_b32_e32 v74, 16, v8
	v_max_f32_e32 v74, v74, v74
	v_max_f32_e32 v1, v1, v1
	v_min_f32_e32 v95, v1, v74
	v_max_f32_e32 v1, v1, v74
	v_cndmask_b32_e32 v1, v1, v95, vcc
	v_and_b32_e32 v74, 0x7f800000, v1
	v_cmp_ne_u32_e64 s[26:27], s97, v74
                                        ; implicit-def: $vgpr95
	s_and_saveexec_b64 s[34:35], s[26:27]
	s_xor_b64 s[26:27], exec, s[34:35]
; %bb.480:                              ;   in Loop: Header=BB29_382 Depth=3
	v_bfe_u32 v74, v1, 16, 1
	v_add3_u32 v95, v1, v74, s46
                                        ; implicit-def: $vgpr1
; %bb.481:                              ;   in Loop: Header=BB29_382 Depth=3
	s_andn2_saveexec_b64 s[34:35], s[26:27]
; %bb.482:                              ;   in Loop: Header=BB29_382 Depth=3
	v_or_b32_e32 v74, 0x10000, v1
	v_cmp_eq_u32_sdwa s[26:27], v1, v3 src0_sel:WORD_0 src1_sel:DWORD
	s_nop 1
	v_cndmask_b32_e64 v95, v74, v1, s[26:27]
; %bb.483:                              ;   in Loop: Header=BB29_382 Depth=3
	s_or_b64 exec, exec, s[34:35]
	v_and_b32_e32 v1, 0xffff0000, v12
	v_and_b32_e32 v12, 0xffff0000, v8
	v_max_f32_e32 v12, v12, v12
	v_max_f32_e32 v1, v1, v1
	v_min_f32_e32 v74, v1, v12
	v_max_f32_e32 v1, v1, v12
	v_cndmask_b32_e32 v1, v1, v74, vcc
	v_and_b32_e32 v12, 0x7f800000, v1
	v_cmp_ne_u32_e64 s[26:27], s97, v12
                                        ; implicit-def: $vgpr12
	s_and_saveexec_b64 s[34:35], s[26:27]
	s_xor_b64 s[26:27], exec, s[34:35]
; %bb.484:                              ;   in Loop: Header=BB29_382 Depth=3
	v_bfe_u32 v12, v1, 16, 1
	v_add3_u32 v12, v1, v12, s46
                                        ; implicit-def: $vgpr1
; %bb.485:                              ;   in Loop: Header=BB29_382 Depth=3
	s_andn2_saveexec_b64 s[34:35], s[26:27]
; %bb.486:                              ;   in Loop: Header=BB29_382 Depth=3
	v_or_b32_e32 v12, 0x10000, v1
	v_cmp_eq_u32_sdwa s[26:27], v1, v3 src0_sel:WORD_0 src1_sel:DWORD
	s_nop 1
	v_cndmask_b32_e64 v12, v12, v1, s[26:27]
; %bb.487:                              ;   in Loop: Header=BB29_382 Depth=3
	s_or_b64 exec, exec, s[34:35]
	v_lshlrev_b32_e32 v1, 16, v13
	v_lshlrev_b32_e32 v74, 16, v9
	v_max_f32_e32 v74, v74, v74
	v_max_f32_e32 v1, v1, v1
	v_min_f32_e32 v108, v1, v74
	v_max_f32_e32 v1, v1, v74
	v_cndmask_b32_e32 v1, v1, v108, vcc
	v_and_b32_e32 v74, 0x7f800000, v1
	v_cmp_ne_u32_e64 s[26:27], s97, v74
                                        ; implicit-def: $vgpr108
	s_and_saveexec_b64 s[34:35], s[26:27]
	s_xor_b64 s[26:27], exec, s[34:35]
; %bb.488:                              ;   in Loop: Header=BB29_382 Depth=3
	v_bfe_u32 v74, v1, 16, 1
	v_add3_u32 v108, v1, v74, s46
                                        ; implicit-def: $vgpr1
; %bb.489:                              ;   in Loop: Header=BB29_382 Depth=3
	s_andn2_saveexec_b64 s[34:35], s[26:27]
; %bb.490:                              ;   in Loop: Header=BB29_382 Depth=3
	v_or_b32_e32 v74, 0x10000, v1
	v_cmp_eq_u32_sdwa s[26:27], v1, v3 src0_sel:WORD_0 src1_sel:DWORD
	s_nop 1
	v_cndmask_b32_e64 v108, v74, v1, s[26:27]
; %bb.491:                              ;   in Loop: Header=BB29_382 Depth=3
	s_or_b64 exec, exec, s[34:35]
	v_and_b32_e32 v1, 0xffff0000, v13
	v_and_b32_e32 v13, 0xffff0000, v9
	v_max_f32_e32 v13, v13, v13
	v_max_f32_e32 v1, v1, v1
	v_min_f32_e32 v74, v1, v13
	v_max_f32_e32 v1, v1, v13
	v_cndmask_b32_e32 v1, v1, v74, vcc
	v_and_b32_e32 v13, 0x7f800000, v1
	v_cmp_ne_u32_e64 s[26:27], s97, v13
                                        ; implicit-def: $vgpr13
	s_and_saveexec_b64 s[34:35], s[26:27]
	s_xor_b64 s[26:27], exec, s[34:35]
; %bb.492:                              ;   in Loop: Header=BB29_382 Depth=3
	v_bfe_u32 v13, v1, 16, 1
	v_add3_u32 v13, v1, v13, s46
                                        ; implicit-def: $vgpr1
; %bb.493:                              ;   in Loop: Header=BB29_382 Depth=3
	s_andn2_saveexec_b64 s[34:35], s[26:27]
; %bb.494:                              ;   in Loop: Header=BB29_382 Depth=3
	v_or_b32_e32 v13, 0x10000, v1
	v_cmp_eq_u32_sdwa s[26:27], v1, v3 src0_sel:WORD_0 src1_sel:DWORD
	s_nop 1
	v_cndmask_b32_e64 v13, v13, v1, s[26:27]
; %bb.495:                              ;   in Loop: Header=BB29_382 Depth=3
	s_or_b64 exec, exec, s[34:35]
	v_lshlrev_b32_e32 v1, 16, v14
	v_lshlrev_b32_e32 v74, 16, v10
	v_max_f32_e32 v74, v74, v74
	v_max_f32_e32 v1, v1, v1
	v_min_f32_e32 v109, v1, v74
	v_max_f32_e32 v1, v1, v74
	v_cndmask_b32_e32 v1, v1, v109, vcc
	v_and_b32_e32 v74, 0x7f800000, v1
	v_cmp_ne_u32_e64 s[26:27], s97, v74
                                        ; implicit-def: $vgpr109
	s_and_saveexec_b64 s[34:35], s[26:27]
	s_xor_b64 s[26:27], exec, s[34:35]
; %bb.496:                              ;   in Loop: Header=BB29_382 Depth=3
	v_bfe_u32 v74, v1, 16, 1
	v_add3_u32 v109, v1, v74, s46
                                        ; implicit-def: $vgpr1
; %bb.497:                              ;   in Loop: Header=BB29_382 Depth=3
	s_andn2_saveexec_b64 s[34:35], s[26:27]
; %bb.498:                              ;   in Loop: Header=BB29_382 Depth=3
	v_or_b32_e32 v74, 0x10000, v1
	v_cmp_eq_u32_sdwa s[26:27], v1, v3 src0_sel:WORD_0 src1_sel:DWORD
	s_nop 1
	v_cndmask_b32_e64 v109, v74, v1, s[26:27]
; %bb.499:                              ;   in Loop: Header=BB29_382 Depth=3
	s_or_b64 exec, exec, s[34:35]
	v_and_b32_e32 v1, 0xffff0000, v14
	v_and_b32_e32 v14, 0xffff0000, v10
	v_max_f32_e32 v14, v14, v14
	v_max_f32_e32 v1, v1, v1
	v_min_f32_e32 v74, v1, v14
	v_max_f32_e32 v1, v1, v14
	v_cndmask_b32_e32 v1, v1, v74, vcc
	v_and_b32_e32 v14, 0x7f800000, v1
	v_cmp_ne_u32_e64 s[26:27], s97, v14
                                        ; implicit-def: $vgpr14
	s_and_saveexec_b64 s[34:35], s[26:27]
	s_xor_b64 s[26:27], exec, s[34:35]
; %bb.500:                              ;   in Loop: Header=BB29_382 Depth=3
	v_bfe_u32 v14, v1, 16, 1
	v_add3_u32 v14, v1, v14, s46
                                        ; implicit-def: $vgpr1
; %bb.501:                              ;   in Loop: Header=BB29_382 Depth=3
	s_andn2_saveexec_b64 s[34:35], s[26:27]
; %bb.502:                              ;   in Loop: Header=BB29_382 Depth=3
	v_or_b32_e32 v14, 0x10000, v1
	v_cmp_eq_u32_sdwa s[26:27], v1, v3 src0_sel:WORD_0 src1_sel:DWORD
	s_nop 1
	v_cndmask_b32_e64 v14, v14, v1, s[26:27]
; %bb.503:                              ;   in Loop: Header=BB29_382 Depth=3
	s_or_b64 exec, exec, s[34:35]
	v_lshlrev_b32_e32 v1, 16, v15
	v_lshlrev_b32_e32 v74, 16, v11
	v_max_f32_e32 v74, v74, v74
	v_max_f32_e32 v1, v1, v1
	v_min_f32_e32 v2, v1, v74
	v_max_f32_e32 v1, v1, v74
	v_cndmask_b32_e32 v74, v1, v2, vcc
	v_and_b32_e32 v1, 0x7f800000, v74
	v_cmp_ne_u32_e64 s[26:27], s97, v1
                                        ; implicit-def: $vgpr1
	s_and_saveexec_b64 s[34:35], s[26:27]
	s_xor_b64 s[26:27], exec, s[34:35]
; %bb.504:                              ;   in Loop: Header=BB29_382 Depth=3
	v_bfe_u32 v1, v74, 16, 1
	v_add3_u32 v1, v74, v1, s46
                                        ; implicit-def: $vgpr74
; %bb.505:                              ;   in Loop: Header=BB29_382 Depth=3
	s_andn2_saveexec_b64 s[34:35], s[26:27]
; %bb.506:                              ;   in Loop: Header=BB29_382 Depth=3
	v_or_b32_e32 v1, 0x10000, v74
	v_cmp_eq_u32_sdwa s[26:27], v74, v3 src0_sel:WORD_0 src1_sel:DWORD
	s_nop 1
	v_cndmask_b32_e64 v1, v1, v74, s[26:27]
; %bb.507:                              ;   in Loop: Header=BB29_382 Depth=3
	s_or_b64 exec, exec, s[34:35]
	v_and_b32_e32 v2, 0xffff0000, v15
	v_and_b32_e32 v15, 0xffff0000, v11
	v_max_f32_e32 v15, v15, v15
	v_max_f32_e32 v2, v2, v2
	v_min_f32_e32 v74, v2, v15
	v_max_f32_e32 v2, v2, v15
	v_cndmask_b32_e32 v74, v2, v74, vcc
	v_and_b32_e32 v2, 0x7f800000, v74
	v_cmp_ne_u32_e64 s[26:27], s97, v2
                                        ; implicit-def: $vgpr15
	s_and_saveexec_b64 s[34:35], s[26:27]
	s_xor_b64 s[26:27], exec, s[34:35]
; %bb.508:                              ;   in Loop: Header=BB29_382 Depth=3
	v_bfe_u32 v2, v74, 16, 1
	v_add3_u32 v15, v74, v2, s46
                                        ; implicit-def: $vgpr74
; %bb.509:                              ;   in Loop: Header=BB29_382 Depth=3
	s_andn2_saveexec_b64 s[34:35], s[26:27]
; %bb.510:                              ;   in Loop: Header=BB29_382 Depth=3
	v_or_b32_e32 v2, 0x10000, v74
	v_cmp_eq_u32_sdwa s[26:27], v74, v3 src0_sel:WORD_0 src1_sel:DWORD
	s_nop 1
	v_cndmask_b32_e64 v15, v2, v74, s[26:27]
; %bb.511:                              ;   in Loop: Header=BB29_382 Depth=3
	s_or_b64 exec, exec, s[34:35]
	v_lshrrev_b32_e32 v0, 16, v0
	v_and_or_b32 v26, v26, s47, v0
	v_lshrrev_b32_e32 v0, 16, v94
	v_and_or_b32 v27, v27, s47, v0
	;; [unrolled: 2-line block ×3, first 2 shown]
	v_lshrrev_b32_e32 v0, 16, v45
	v_lshrrev_b32_e32 v2, 16, v43
	v_and_or_b32 v36, v36, s47, v0
	v_lshrrev_b32_e32 v0, 16, v6
	v_and_or_b32 v25, v25, s47, v2
	;; [unrolled: 2-line block ×12, first 2 shown]
	v_and_or_b32 v15, v15, s47, v0
	global_store_dwordx4 v[4:5], v[80:83], off
	global_store_dwordx4 v[4:5], v[36:39], off offset:1024
	global_store_dwordx4 v[4:5], v[24:27], off offset:2048
	;; [unrolled: 1-line block ×3, first 2 shown]
	v_lshl_add_u64 v[4:5], v[4:5], 0, v[106:107]
.LBB29_512:                             ;   in Loop: Header=BB29_382 Depth=3
	s_or_b64 exec, exec, s[36:37]
	v_sub_u32_e32 v118, v118, v60
	v_lshl_add_u64 v[58:59], v[58:59], 0, v[106:107]
	v_lshl_add_u64 v[78:79], v[78:79], 0, v[106:107]
	v_cmp_lt_i32_e64 s[34:35], 0, v118
	s_and_saveexec_b64 s[26:27], s[34:35]
	s_cbranch_execz .LBB29_514
; %bb.513:                              ;   in Loop: Header=BB29_382 Depth=3
	global_load_dwordx4 v[80:83], v[58:59], off nt
	global_load_dwordx4 v[36:39], v[58:59], off offset:1024 nt
	global_load_dwordx4 v[24:27], v[58:59], off offset:2048 nt
	;; [unrolled: 1-line block ×3, first 2 shown]
	global_load_dwordx4 v[32:35], v[78:79], off nt
	global_load_dwordx4 v[20:23], v[78:79], off offset:1024 nt
	global_load_dwordx4 v[16:19], v[78:79], off offset:2048 nt
	;; [unrolled: 1-line block ×3, first 2 shown]
	v_lshl_add_u64 v[58:59], v[58:59], 0, s[76:77]
	v_lshl_add_u64 v[78:79], v[78:79], 0, s[76:77]
.LBB29_514:                             ;   in Loop: Header=BB29_382 Depth=3
	s_or_b64 exec, exec, s[26:27]
	s_waitcnt vmcnt(7)
	v_lshlrev_b32_e32 v0, 16, v100
	s_waitcnt vmcnt(3)
	v_lshlrev_b32_e32 v1, 16, v112
	v_max_f32_e32 v1, v1, v1
	v_max_f32_e32 v0, v0, v0
	v_min_f32_e32 v2, v0, v1
	v_max_f32_e32 v0, v0, v1
	v_cndmask_b32_e32 v0, v0, v2, vcc
	v_and_b32_e32 v1, 0x7f800000, v0
	v_cmp_ne_u32_e64 s[26:27], s97, v1
                                        ; implicit-def: $vgpr119
	s_and_saveexec_b64 s[36:37], s[26:27]
	s_xor_b64 s[26:27], exec, s[36:37]
; %bb.515:                              ;   in Loop: Header=BB29_382 Depth=3
	v_bfe_u32 v1, v0, 16, 1
	v_add3_u32 v119, v0, v1, s46
                                        ; implicit-def: $vgpr0
; %bb.516:                              ;   in Loop: Header=BB29_382 Depth=3
	s_andn2_saveexec_b64 s[36:37], s[26:27]
; %bb.517:                              ;   in Loop: Header=BB29_382 Depth=3
	v_or_b32_e32 v1, 0x10000, v0
	v_cmp_eq_u32_sdwa s[26:27], v0, v3 src0_sel:WORD_0 src1_sel:DWORD
	s_nop 1
	v_cndmask_b32_e64 v119, v1, v0, s[26:27]
; %bb.518:                              ;   in Loop: Header=BB29_382 Depth=3
	s_or_b64 exec, exec, s[36:37]
	v_and_b32_e32 v0, 0xffff0000, v100
	v_and_b32_e32 v1, 0xffff0000, v112
	v_max_f32_e32 v1, v1, v1
	v_max_f32_e32 v0, v0, v0
	v_min_f32_e32 v2, v0, v1
	v_max_f32_e32 v0, v0, v1
	v_cndmask_b32_e32 v0, v0, v2, vcc
	v_and_b32_e32 v1, 0x7f800000, v0
	v_cmp_ne_u32_e64 s[26:27], s97, v1
                                        ; implicit-def: $vgpr100
	s_and_saveexec_b64 s[36:37], s[26:27]
	s_xor_b64 s[26:27], exec, s[36:37]
; %bb.519:                              ;   in Loop: Header=BB29_382 Depth=3
	v_bfe_u32 v1, v0, 16, 1
	v_add3_u32 v100, v0, v1, s46
                                        ; implicit-def: $vgpr0
; %bb.520:                              ;   in Loop: Header=BB29_382 Depth=3
	s_andn2_saveexec_b64 s[36:37], s[26:27]
; %bb.521:                              ;   in Loop: Header=BB29_382 Depth=3
	v_or_b32_e32 v1, 0x10000, v0
	v_cmp_eq_u32_sdwa s[26:27], v0, v3 src0_sel:WORD_0 src1_sel:DWORD
	s_nop 1
	v_cndmask_b32_e64 v100, v1, v0, s[26:27]
; %bb.522:                              ;   in Loop: Header=BB29_382 Depth=3
	s_or_b64 exec, exec, s[36:37]
	v_lshlrev_b32_e32 v0, 16, v101
	v_lshlrev_b32_e32 v1, 16, v113
	v_max_f32_e32 v1, v1, v1
	v_max_f32_e32 v0, v0, v0
	v_min_f32_e32 v2, v0, v1
	v_max_f32_e32 v0, v0, v1
	v_cndmask_b32_e32 v0, v0, v2, vcc
	v_and_b32_e32 v1, 0x7f800000, v0
	v_cmp_ne_u32_e64 s[26:27], s97, v1
                                        ; implicit-def: $vgpr112
	s_and_saveexec_b64 s[36:37], s[26:27]
	s_xor_b64 s[26:27], exec, s[36:37]
; %bb.523:                              ;   in Loop: Header=BB29_382 Depth=3
	v_bfe_u32 v1, v0, 16, 1
	v_add3_u32 v112, v0, v1, s46
                                        ; implicit-def: $vgpr0
; %bb.524:                              ;   in Loop: Header=BB29_382 Depth=3
	s_andn2_saveexec_b64 s[36:37], s[26:27]
; %bb.525:                              ;   in Loop: Header=BB29_382 Depth=3
	v_or_b32_e32 v1, 0x10000, v0
	v_cmp_eq_u32_sdwa s[26:27], v0, v3 src0_sel:WORD_0 src1_sel:DWORD
	s_nop 1
	v_cndmask_b32_e64 v112, v1, v0, s[26:27]
; %bb.526:                              ;   in Loop: Header=BB29_382 Depth=3
	s_or_b64 exec, exec, s[36:37]
	v_and_b32_e32 v0, 0xffff0000, v101
	v_and_b32_e32 v1, 0xffff0000, v113
	v_max_f32_e32 v1, v1, v1
	v_max_f32_e32 v0, v0, v0
	v_min_f32_e32 v2, v0, v1
	v_max_f32_e32 v0, v0, v1
	v_cndmask_b32_e32 v0, v0, v2, vcc
	v_and_b32_e32 v1, 0x7f800000, v0
	v_cmp_ne_u32_e64 s[26:27], s97, v1
                                        ; implicit-def: $vgpr101
	s_and_saveexec_b64 s[36:37], s[26:27]
	s_xor_b64 s[26:27], exec, s[36:37]
; %bb.527:                              ;   in Loop: Header=BB29_382 Depth=3
	v_bfe_u32 v1, v0, 16, 1
	v_add3_u32 v101, v0, v1, s46
                                        ; implicit-def: $vgpr0
; %bb.528:                              ;   in Loop: Header=BB29_382 Depth=3
	s_andn2_saveexec_b64 s[36:37], s[26:27]
; %bb.529:                              ;   in Loop: Header=BB29_382 Depth=3
	v_or_b32_e32 v1, 0x10000, v0
	v_cmp_eq_u32_sdwa s[26:27], v0, v3 src0_sel:WORD_0 src1_sel:DWORD
	s_nop 1
	v_cndmask_b32_e64 v101, v1, v0, s[26:27]
; %bb.530:                              ;   in Loop: Header=BB29_382 Depth=3
	s_or_b64 exec, exec, s[36:37]
	v_lshlrev_b32_e32 v0, 16, v102
	v_lshlrev_b32_e32 v1, 16, v114
	v_max_f32_e32 v1, v1, v1
	v_max_f32_e32 v0, v0, v0
	v_min_f32_e32 v2, v0, v1
	v_max_f32_e32 v0, v0, v1
	v_cndmask_b32_e32 v0, v0, v2, vcc
	v_and_b32_e32 v1, 0x7f800000, v0
	v_cmp_ne_u32_e64 s[26:27], s97, v1
                                        ; implicit-def: $vgpr113
	s_and_saveexec_b64 s[36:37], s[26:27]
	s_xor_b64 s[26:27], exec, s[36:37]
; %bb.531:                              ;   in Loop: Header=BB29_382 Depth=3
	v_bfe_u32 v1, v0, 16, 1
	v_add3_u32 v113, v0, v1, s46
                                        ; implicit-def: $vgpr0
; %bb.532:                              ;   in Loop: Header=BB29_382 Depth=3
	s_andn2_saveexec_b64 s[36:37], s[26:27]
; %bb.533:                              ;   in Loop: Header=BB29_382 Depth=3
	v_or_b32_e32 v1, 0x10000, v0
	v_cmp_eq_u32_sdwa s[26:27], v0, v3 src0_sel:WORD_0 src1_sel:DWORD
	s_nop 1
	v_cndmask_b32_e64 v113, v1, v0, s[26:27]
; %bb.534:                              ;   in Loop: Header=BB29_382 Depth=3
	s_or_b64 exec, exec, s[36:37]
	v_and_b32_e32 v0, 0xffff0000, v102
	v_and_b32_e32 v1, 0xffff0000, v114
	v_max_f32_e32 v1, v1, v1
	v_max_f32_e32 v0, v0, v0
	v_min_f32_e32 v2, v0, v1
	v_max_f32_e32 v0, v0, v1
	v_cndmask_b32_e32 v0, v0, v2, vcc
	v_and_b32_e32 v1, 0x7f800000, v0
	v_cmp_ne_u32_e64 s[26:27], s97, v1
                                        ; implicit-def: $vgpr102
	s_and_saveexec_b64 s[36:37], s[26:27]
	s_xor_b64 s[26:27], exec, s[36:37]
; %bb.535:                              ;   in Loop: Header=BB29_382 Depth=3
	v_bfe_u32 v1, v0, 16, 1
	v_add3_u32 v102, v0, v1, s46
                                        ; implicit-def: $vgpr0
; %bb.536:                              ;   in Loop: Header=BB29_382 Depth=3
	s_andn2_saveexec_b64 s[36:37], s[26:27]
; %bb.537:                              ;   in Loop: Header=BB29_382 Depth=3
	v_or_b32_e32 v1, 0x10000, v0
	v_cmp_eq_u32_sdwa s[26:27], v0, v3 src0_sel:WORD_0 src1_sel:DWORD
	s_nop 1
	v_cndmask_b32_e64 v102, v1, v0, s[26:27]
; %bb.538:                              ;   in Loop: Header=BB29_382 Depth=3
	s_or_b64 exec, exec, s[36:37]
	v_lshlrev_b32_e32 v0, 16, v103
	v_lshlrev_b32_e32 v1, 16, v115
	v_max_f32_e32 v1, v1, v1
	v_max_f32_e32 v0, v0, v0
	v_min_f32_e32 v2, v0, v1
	v_max_f32_e32 v0, v0, v1
	v_cndmask_b32_e32 v0, v0, v2, vcc
	v_and_b32_e32 v1, 0x7f800000, v0
	v_cmp_ne_u32_e64 s[26:27], s97, v1
                                        ; implicit-def: $vgpr114
	s_and_saveexec_b64 s[36:37], s[26:27]
	s_xor_b64 s[26:27], exec, s[36:37]
; %bb.539:                              ;   in Loop: Header=BB29_382 Depth=3
	v_bfe_u32 v1, v0, 16, 1
	v_add3_u32 v114, v0, v1, s46
                                        ; implicit-def: $vgpr0
; %bb.540:                              ;   in Loop: Header=BB29_382 Depth=3
	s_andn2_saveexec_b64 s[36:37], s[26:27]
; %bb.541:                              ;   in Loop: Header=BB29_382 Depth=3
	v_or_b32_e32 v1, 0x10000, v0
	v_cmp_eq_u32_sdwa s[26:27], v0, v3 src0_sel:WORD_0 src1_sel:DWORD
	s_nop 1
	v_cndmask_b32_e64 v114, v1, v0, s[26:27]
; %bb.542:                              ;   in Loop: Header=BB29_382 Depth=3
	s_or_b64 exec, exec, s[36:37]
	v_and_b32_e32 v0, 0xffff0000, v103
	v_and_b32_e32 v1, 0xffff0000, v115
	v_max_f32_e32 v1, v1, v1
	v_max_f32_e32 v0, v0, v0
	v_min_f32_e32 v2, v0, v1
	v_max_f32_e32 v0, v0, v1
	v_cndmask_b32_e32 v0, v0, v2, vcc
	v_and_b32_e32 v1, 0x7f800000, v0
	v_cmp_ne_u32_e64 s[26:27], s97, v1
                                        ; implicit-def: $vgpr103
	s_and_saveexec_b64 s[36:37], s[26:27]
	s_xor_b64 s[26:27], exec, s[36:37]
; %bb.543:                              ;   in Loop: Header=BB29_382 Depth=3
	v_bfe_u32 v1, v0, 16, 1
	v_add3_u32 v103, v0, v1, s46
                                        ; implicit-def: $vgpr0
; %bb.544:                              ;   in Loop: Header=BB29_382 Depth=3
	s_andn2_saveexec_b64 s[36:37], s[26:27]
; %bb.545:                              ;   in Loop: Header=BB29_382 Depth=3
	v_or_b32_e32 v1, 0x10000, v0
	v_cmp_eq_u32_sdwa s[26:27], v0, v3 src0_sel:WORD_0 src1_sel:DWORD
	s_nop 1
	v_cndmask_b32_e64 v103, v1, v0, s[26:27]
; %bb.546:                              ;   in Loop: Header=BB29_382 Depth=3
	s_or_b64 exec, exec, s[36:37]
	v_lshlrev_b32_e32 v0, 16, v84
	s_waitcnt vmcnt(2)
	v_lshlrev_b32_e32 v1, 16, v96
	v_max_f32_e32 v1, v1, v1
	v_max_f32_e32 v0, v0, v0
	v_min_f32_e32 v2, v0, v1
	v_max_f32_e32 v0, v0, v1
	v_cndmask_b32_e32 v0, v0, v2, vcc
	v_and_b32_e32 v1, 0x7f800000, v0
	v_cmp_ne_u32_e64 s[26:27], s97, v1
                                        ; implicit-def: $vgpr115
	s_and_saveexec_b64 s[36:37], s[26:27]
	s_xor_b64 s[26:27], exec, s[36:37]
; %bb.547:                              ;   in Loop: Header=BB29_382 Depth=3
	v_bfe_u32 v1, v0, 16, 1
	v_add3_u32 v115, v0, v1, s46
                                        ; implicit-def: $vgpr0
; %bb.548:                              ;   in Loop: Header=BB29_382 Depth=3
	s_andn2_saveexec_b64 s[36:37], s[26:27]
; %bb.549:                              ;   in Loop: Header=BB29_382 Depth=3
	v_or_b32_e32 v1, 0x10000, v0
	v_cmp_eq_u32_sdwa s[26:27], v0, v3 src0_sel:WORD_0 src1_sel:DWORD
	s_nop 1
	v_cndmask_b32_e64 v115, v1, v0, s[26:27]
; %bb.550:                              ;   in Loop: Header=BB29_382 Depth=3
	s_or_b64 exec, exec, s[36:37]
	v_and_b32_e32 v0, 0xffff0000, v84
	v_and_b32_e32 v1, 0xffff0000, v96
	v_max_f32_e32 v1, v1, v1
	v_max_f32_e32 v0, v0, v0
	v_min_f32_e32 v2, v0, v1
	v_max_f32_e32 v0, v0, v1
	v_cndmask_b32_e32 v0, v0, v2, vcc
	v_and_b32_e32 v1, 0x7f800000, v0
	v_cmp_ne_u32_e64 s[26:27], s97, v1
                                        ; implicit-def: $vgpr84
	s_and_saveexec_b64 s[36:37], s[26:27]
	s_xor_b64 s[26:27], exec, s[36:37]
; %bb.551:                              ;   in Loop: Header=BB29_382 Depth=3
	v_bfe_u32 v1, v0, 16, 1
	v_add3_u32 v84, v0, v1, s46
                                        ; implicit-def: $vgpr0
; %bb.552:                              ;   in Loop: Header=BB29_382 Depth=3
	s_andn2_saveexec_b64 s[36:37], s[26:27]
; %bb.553:                              ;   in Loop: Header=BB29_382 Depth=3
	v_or_b32_e32 v1, 0x10000, v0
	v_cmp_eq_u32_sdwa s[26:27], v0, v3 src0_sel:WORD_0 src1_sel:DWORD
	s_nop 1
	v_cndmask_b32_e64 v84, v1, v0, s[26:27]
; %bb.554:                              ;   in Loop: Header=BB29_382 Depth=3
	s_or_b64 exec, exec, s[36:37]
	v_lshlrev_b32_e32 v0, 16, v85
	v_lshlrev_b32_e32 v1, 16, v97
	v_max_f32_e32 v1, v1, v1
	v_max_f32_e32 v0, v0, v0
	v_min_f32_e32 v2, v0, v1
	v_max_f32_e32 v0, v0, v1
	v_cndmask_b32_e32 v0, v0, v2, vcc
	v_and_b32_e32 v1, 0x7f800000, v0
	v_cmp_ne_u32_e64 s[26:27], s97, v1
                                        ; implicit-def: $vgpr30
	s_and_saveexec_b64 s[36:37], s[26:27]
	s_xor_b64 s[26:27], exec, s[36:37]
; %bb.555:                              ;   in Loop: Header=BB29_382 Depth=3
	v_bfe_u32 v1, v0, 16, 1
	v_add3_u32 v30, v0, v1, s46
                                        ; implicit-def: $vgpr0
; %bb.556:                              ;   in Loop: Header=BB29_382 Depth=3
	s_andn2_saveexec_b64 s[36:37], s[26:27]
; %bb.557:                              ;   in Loop: Header=BB29_382 Depth=3
	v_or_b32_e32 v1, 0x10000, v0
	v_cmp_eq_u32_sdwa s[26:27], v0, v3 src0_sel:WORD_0 src1_sel:DWORD
	s_nop 1
	v_cndmask_b32_e64 v30, v1, v0, s[26:27]
; %bb.558:                              ;   in Loop: Header=BB29_382 Depth=3
	s_or_b64 exec, exec, s[36:37]
	v_and_b32_e32 v0, 0xffff0000, v85
	v_and_b32_e32 v1, 0xffff0000, v97
	v_max_f32_e32 v1, v1, v1
	v_max_f32_e32 v0, v0, v0
	v_min_f32_e32 v2, v0, v1
	v_max_f32_e32 v0, v0, v1
	v_cndmask_b32_e32 v0, v0, v2, vcc
	v_and_b32_e32 v1, 0x7f800000, v0
	v_cmp_ne_u32_e64 s[26:27], s97, v1
                                        ; implicit-def: $vgpr85
	s_and_saveexec_b64 s[36:37], s[26:27]
	s_xor_b64 s[26:27], exec, s[36:37]
; %bb.559:                              ;   in Loop: Header=BB29_382 Depth=3
	v_bfe_u32 v1, v0, 16, 1
	v_add3_u32 v85, v0, v1, s46
                                        ; implicit-def: $vgpr0
; %bb.560:                              ;   in Loop: Header=BB29_382 Depth=3
	s_andn2_saveexec_b64 s[36:37], s[26:27]
; %bb.561:                              ;   in Loop: Header=BB29_382 Depth=3
	v_or_b32_e32 v1, 0x10000, v0
	v_cmp_eq_u32_sdwa s[26:27], v0, v3 src0_sel:WORD_0 src1_sel:DWORD
	s_nop 1
	v_cndmask_b32_e64 v85, v1, v0, s[26:27]
; %bb.562:                              ;   in Loop: Header=BB29_382 Depth=3
	s_or_b64 exec, exec, s[36:37]
	v_lshlrev_b32_e32 v0, 16, v86
	v_lshlrev_b32_e32 v1, 16, v98
	v_max_f32_e32 v1, v1, v1
	v_max_f32_e32 v0, v0, v0
	v_min_f32_e32 v2, v0, v1
	v_max_f32_e32 v0, v0, v1
	v_cndmask_b32_e32 v0, v0, v2, vcc
	v_and_b32_e32 v1, 0x7f800000, v0
	v_cmp_ne_u32_e64 s[26:27], s97, v1
                                        ; implicit-def: $vgpr6
	s_and_saveexec_b64 s[36:37], s[26:27]
	s_xor_b64 s[26:27], exec, s[36:37]
; %bb.563:                              ;   in Loop: Header=BB29_382 Depth=3
	v_bfe_u32 v1, v0, 16, 1
	v_add3_u32 v6, v0, v1, s46
                                        ; implicit-def: $vgpr0
; %bb.564:                              ;   in Loop: Header=BB29_382 Depth=3
	s_andn2_saveexec_b64 s[36:37], s[26:27]
; %bb.565:                              ;   in Loop: Header=BB29_382 Depth=3
	v_or_b32_e32 v1, 0x10000, v0
	v_cmp_eq_u32_sdwa s[26:27], v0, v3 src0_sel:WORD_0 src1_sel:DWORD
	s_nop 1
	v_cndmask_b32_e64 v6, v1, v0, s[26:27]
; %bb.566:                              ;   in Loop: Header=BB29_382 Depth=3
	s_or_b64 exec, exec, s[36:37]
	v_and_b32_e32 v0, 0xffff0000, v86
	v_and_b32_e32 v1, 0xffff0000, v98
	v_max_f32_e32 v1, v1, v1
	v_max_f32_e32 v0, v0, v0
	v_min_f32_e32 v2, v0, v1
	v_max_f32_e32 v0, v0, v1
	v_cndmask_b32_e32 v0, v0, v2, vcc
	v_and_b32_e32 v1, 0x7f800000, v0
	v_cmp_ne_u32_e64 s[26:27], s97, v1
                                        ; implicit-def: $vgpr7
	s_and_saveexec_b64 s[36:37], s[26:27]
	s_xor_b64 s[26:27], exec, s[36:37]
; %bb.567:                              ;   in Loop: Header=BB29_382 Depth=3
	v_bfe_u32 v1, v0, 16, 1
	v_add3_u32 v7, v0, v1, s46
                                        ; implicit-def: $vgpr0
; %bb.568:                              ;   in Loop: Header=BB29_382 Depth=3
	s_andn2_saveexec_b64 s[36:37], s[26:27]
; %bb.569:                              ;   in Loop: Header=BB29_382 Depth=3
	v_or_b32_e32 v1, 0x10000, v0
	v_cmp_eq_u32_sdwa s[26:27], v0, v3 src0_sel:WORD_0 src1_sel:DWORD
	s_nop 1
	v_cndmask_b32_e64 v7, v1, v0, s[26:27]
; %bb.570:                              ;   in Loop: Header=BB29_382 Depth=3
	s_or_b64 exec, exec, s[36:37]
	v_lshlrev_b32_e32 v0, 16, v87
	v_lshlrev_b32_e32 v1, 16, v99
	v_max_f32_e32 v1, v1, v1
	v_max_f32_e32 v0, v0, v0
	v_min_f32_e32 v2, v0, v1
	v_max_f32_e32 v0, v0, v1
	v_cndmask_b32_e32 v0, v0, v2, vcc
	v_and_b32_e32 v1, 0x7f800000, v0
	v_cmp_ne_u32_e64 s[26:27], s97, v1
                                        ; implicit-def: $vgpr86
	s_and_saveexec_b64 s[36:37], s[26:27]
	s_xor_b64 s[26:27], exec, s[36:37]
; %bb.571:                              ;   in Loop: Header=BB29_382 Depth=3
	v_bfe_u32 v1, v0, 16, 1
	v_add3_u32 v86, v0, v1, s46
                                        ; implicit-def: $vgpr0
; %bb.572:                              ;   in Loop: Header=BB29_382 Depth=3
	s_andn2_saveexec_b64 s[36:37], s[26:27]
; %bb.573:                              ;   in Loop: Header=BB29_382 Depth=3
	v_or_b32_e32 v1, 0x10000, v0
	v_cmp_eq_u32_sdwa s[26:27], v0, v3 src0_sel:WORD_0 src1_sel:DWORD
	s_nop 1
	v_cndmask_b32_e64 v86, v1, v0, s[26:27]
; %bb.574:                              ;   in Loop: Header=BB29_382 Depth=3
	s_or_b64 exec, exec, s[36:37]
	v_and_b32_e32 v0, 0xffff0000, v87
	v_and_b32_e32 v1, 0xffff0000, v99
	v_max_f32_e32 v1, v1, v1
	v_max_f32_e32 v0, v0, v0
	v_min_f32_e32 v2, v0, v1
	v_max_f32_e32 v0, v0, v1
	v_cndmask_b32_e32 v0, v0, v2, vcc
	v_and_b32_e32 v1, 0x7f800000, v0
	v_cmp_ne_u32_e64 s[26:27], s97, v1
                                        ; implicit-def: $vgpr87
	s_and_saveexec_b64 s[36:37], s[26:27]
	s_xor_b64 s[26:27], exec, s[36:37]
; %bb.575:                              ;   in Loop: Header=BB29_382 Depth=3
	v_bfe_u32 v1, v0, 16, 1
	v_add3_u32 v87, v0, v1, s46
                                        ; implicit-def: $vgpr0
; %bb.576:                              ;   in Loop: Header=BB29_382 Depth=3
	s_andn2_saveexec_b64 s[36:37], s[26:27]
; %bb.577:                              ;   in Loop: Header=BB29_382 Depth=3
	v_or_b32_e32 v1, 0x10000, v0
	v_cmp_eq_u32_sdwa s[26:27], v0, v3 src0_sel:WORD_0 src1_sel:DWORD
	s_nop 1
	v_cndmask_b32_e64 v87, v1, v0, s[26:27]
; %bb.578:                              ;   in Loop: Header=BB29_382 Depth=3
	s_or_b64 exec, exec, s[36:37]
	v_lshlrev_b32_e32 v0, 16, v64
	s_waitcnt vmcnt(1)
	v_lshlrev_b32_e32 v1, 16, v68
	v_max_f32_e32 v1, v1, v1
	v_max_f32_e32 v0, v0, v0
	v_min_f32_e32 v2, v0, v1
	v_max_f32_e32 v0, v0, v1
	v_cndmask_b32_e32 v0, v0, v2, vcc
	v_and_b32_e32 v1, 0x7f800000, v0
	v_cmp_ne_u32_e64 s[26:27], s97, v1
                                        ; implicit-def: $vgpr96
	s_and_saveexec_b64 s[36:37], s[26:27]
	s_xor_b64 s[26:27], exec, s[36:37]
; %bb.579:                              ;   in Loop: Header=BB29_382 Depth=3
	v_bfe_u32 v1, v0, 16, 1
	v_add3_u32 v96, v0, v1, s46
                                        ; implicit-def: $vgpr0
; %bb.580:                              ;   in Loop: Header=BB29_382 Depth=3
	s_andn2_saveexec_b64 s[36:37], s[26:27]
; %bb.581:                              ;   in Loop: Header=BB29_382 Depth=3
	v_or_b32_e32 v1, 0x10000, v0
	v_cmp_eq_u32_sdwa s[26:27], v0, v3 src0_sel:WORD_0 src1_sel:DWORD
	s_nop 1
	v_cndmask_b32_e64 v96, v1, v0, s[26:27]
; %bb.582:                              ;   in Loop: Header=BB29_382 Depth=3
	s_or_b64 exec, exec, s[36:37]
	v_and_b32_e32 v0, 0xffff0000, v64
	v_and_b32_e32 v1, 0xffff0000, v68
	v_max_f32_e32 v1, v1, v1
	v_max_f32_e32 v0, v0, v0
	v_min_f32_e32 v2, v0, v1
	v_max_f32_e32 v0, v0, v1
	v_cndmask_b32_e32 v0, v0, v2, vcc
	v_and_b32_e32 v1, 0x7f800000, v0
	v_cmp_ne_u32_e64 s[26:27], s97, v1
                                        ; implicit-def: $vgpr64
	s_and_saveexec_b64 s[36:37], s[26:27]
	s_xor_b64 s[26:27], exec, s[36:37]
; %bb.583:                              ;   in Loop: Header=BB29_382 Depth=3
	v_bfe_u32 v1, v0, 16, 1
	v_add3_u32 v64, v0, v1, s46
                                        ; implicit-def: $vgpr0
; %bb.584:                              ;   in Loop: Header=BB29_382 Depth=3
	s_andn2_saveexec_b64 s[36:37], s[26:27]
; %bb.585:                              ;   in Loop: Header=BB29_382 Depth=3
	v_or_b32_e32 v1, 0x10000, v0
	v_cmp_eq_u32_sdwa s[26:27], v0, v3 src0_sel:WORD_0 src1_sel:DWORD
	s_nop 1
	v_cndmask_b32_e64 v64, v1, v0, s[26:27]
; %bb.586:                              ;   in Loop: Header=BB29_382 Depth=3
	s_or_b64 exec, exec, s[36:37]
	v_lshlrev_b32_e32 v0, 16, v65
	v_lshlrev_b32_e32 v1, 16, v69
	v_max_f32_e32 v1, v1, v1
	v_max_f32_e32 v0, v0, v0
	v_min_f32_e32 v2, v0, v1
	v_max_f32_e32 v0, v0, v1
	v_cndmask_b32_e32 v0, v0, v2, vcc
	v_and_b32_e32 v1, 0x7f800000, v0
	v_cmp_ne_u32_e64 s[26:27], s97, v1
                                        ; implicit-def: $vgpr68
	s_and_saveexec_b64 s[36:37], s[26:27]
	s_xor_b64 s[26:27], exec, s[36:37]
; %bb.587:                              ;   in Loop: Header=BB29_382 Depth=3
	v_bfe_u32 v1, v0, 16, 1
	v_add3_u32 v68, v0, v1, s46
                                        ; implicit-def: $vgpr0
; %bb.588:                              ;   in Loop: Header=BB29_382 Depth=3
	s_andn2_saveexec_b64 s[36:37], s[26:27]
; %bb.589:                              ;   in Loop: Header=BB29_382 Depth=3
	v_or_b32_e32 v1, 0x10000, v0
	v_cmp_eq_u32_sdwa s[26:27], v0, v3 src0_sel:WORD_0 src1_sel:DWORD
	s_nop 1
	v_cndmask_b32_e64 v68, v1, v0, s[26:27]
; %bb.590:                              ;   in Loop: Header=BB29_382 Depth=3
	s_or_b64 exec, exec, s[36:37]
	v_and_b32_e32 v0, 0xffff0000, v65
	v_and_b32_e32 v1, 0xffff0000, v69
	v_max_f32_e32 v1, v1, v1
	v_max_f32_e32 v0, v0, v0
	v_min_f32_e32 v2, v0, v1
	v_max_f32_e32 v0, v0, v1
	v_cndmask_b32_e32 v0, v0, v2, vcc
	v_and_b32_e32 v1, 0x7f800000, v0
	v_cmp_ne_u32_e64 s[26:27], s97, v1
                                        ; implicit-def: $vgpr65
	s_and_saveexec_b64 s[36:37], s[26:27]
	s_xor_b64 s[26:27], exec, s[36:37]
; %bb.591:                              ;   in Loop: Header=BB29_382 Depth=3
	v_bfe_u32 v1, v0, 16, 1
	v_add3_u32 v65, v0, v1, s46
                                        ; implicit-def: $vgpr0
; %bb.592:                              ;   in Loop: Header=BB29_382 Depth=3
	s_andn2_saveexec_b64 s[36:37], s[26:27]
; %bb.593:                              ;   in Loop: Header=BB29_382 Depth=3
	v_or_b32_e32 v1, 0x10000, v0
	v_cmp_eq_u32_sdwa s[26:27], v0, v3 src0_sel:WORD_0 src1_sel:DWORD
	s_nop 1
	v_cndmask_b32_e64 v65, v1, v0, s[26:27]
; %bb.594:                              ;   in Loop: Header=BB29_382 Depth=3
	s_or_b64 exec, exec, s[36:37]
	v_lshlrev_b32_e32 v0, 16, v66
	v_lshlrev_b32_e32 v1, 16, v70
	v_max_f32_e32 v1, v1, v1
	v_max_f32_e32 v0, v0, v0
	v_min_f32_e32 v2, v0, v1
	v_max_f32_e32 v0, v0, v1
	v_cndmask_b32_e32 v1, v0, v2, vcc
	v_and_b32_e32 v0, 0x7f800000, v1
	v_cmp_ne_u32_e64 s[26:27], s97, v0
                                        ; implicit-def: $vgpr0
	s_and_saveexec_b64 s[36:37], s[26:27]
	s_xor_b64 s[26:27], exec, s[36:37]
; %bb.595:                              ;   in Loop: Header=BB29_382 Depth=3
	v_bfe_u32 v0, v1, 16, 1
	v_add3_u32 v0, v1, v0, s46
                                        ; implicit-def: $vgpr1
; %bb.596:                              ;   in Loop: Header=BB29_382 Depth=3
	s_andn2_saveexec_b64 s[36:37], s[26:27]
; %bb.597:                              ;   in Loop: Header=BB29_382 Depth=3
	v_or_b32_e32 v0, 0x10000, v1
	v_cmp_eq_u32_sdwa s[26:27], v1, v3 src0_sel:WORD_0 src1_sel:DWORD
	s_nop 1
	v_cndmask_b32_e64 v0, v0, v1, s[26:27]
; %bb.598:                              ;   in Loop: Header=BB29_382 Depth=3
	s_or_b64 exec, exec, s[36:37]
	v_and_b32_e32 v1, 0xffff0000, v66
	v_and_b32_e32 v2, 0xffff0000, v70
	v_max_f32_e32 v2, v2, v2
	v_max_f32_e32 v1, v1, v1
	v_min_f32_e32 v66, v1, v2
	v_max_f32_e32 v1, v1, v2
	v_cndmask_b32_e32 v1, v1, v66, vcc
	v_and_b32_e32 v2, 0x7f800000, v1
	v_cmp_ne_u32_e64 s[26:27], s97, v2
                                        ; implicit-def: $vgpr66
	s_and_saveexec_b64 s[36:37], s[26:27]
	s_xor_b64 s[26:27], exec, s[36:37]
; %bb.599:                              ;   in Loop: Header=BB29_382 Depth=3
	v_bfe_u32 v2, v1, 16, 1
	v_add3_u32 v66, v1, v2, s46
                                        ; implicit-def: $vgpr1
; %bb.600:                              ;   in Loop: Header=BB29_382 Depth=3
	s_andn2_saveexec_b64 s[36:37], s[26:27]
; %bb.601:                              ;   in Loop: Header=BB29_382 Depth=3
	v_or_b32_e32 v2, 0x10000, v1
	v_cmp_eq_u32_sdwa s[26:27], v1, v3 src0_sel:WORD_0 src1_sel:DWORD
	s_nop 1
	v_cndmask_b32_e64 v66, v2, v1, s[26:27]
; %bb.602:                              ;   in Loop: Header=BB29_382 Depth=3
	s_or_b64 exec, exec, s[36:37]
	v_lshlrev_b32_e32 v1, 16, v67
	v_lshlrev_b32_e32 v2, 16, v71
	v_max_f32_e32 v2, v2, v2
	v_max_f32_e32 v1, v1, v1
	v_min_f32_e32 v69, v1, v2
	v_max_f32_e32 v1, v1, v2
	v_cndmask_b32_e32 v1, v1, v69, vcc
	v_and_b32_e32 v2, 0x7f800000, v1
	v_cmp_ne_u32_e64 s[26:27], s97, v2
                                        ; implicit-def: $vgpr69
	s_and_saveexec_b64 s[36:37], s[26:27]
	s_xor_b64 s[26:27], exec, s[36:37]
; %bb.603:                              ;   in Loop: Header=BB29_382 Depth=3
	v_bfe_u32 v2, v1, 16, 1
	v_add3_u32 v69, v1, v2, s46
                                        ; implicit-def: $vgpr1
; %bb.604:                              ;   in Loop: Header=BB29_382 Depth=3
	s_andn2_saveexec_b64 s[36:37], s[26:27]
; %bb.605:                              ;   in Loop: Header=BB29_382 Depth=3
	v_or_b32_e32 v2, 0x10000, v1
	v_cmp_eq_u32_sdwa s[26:27], v1, v3 src0_sel:WORD_0 src1_sel:DWORD
	s_nop 1
	v_cndmask_b32_e64 v69, v2, v1, s[26:27]
; %bb.606:                              ;   in Loop: Header=BB29_382 Depth=3
	s_or_b64 exec, exec, s[36:37]
	v_and_b32_e32 v1, 0xffff0000, v67
	v_and_b32_e32 v2, 0xffff0000, v71
	v_max_f32_e32 v2, v2, v2
	v_max_f32_e32 v1, v1, v1
	v_min_f32_e32 v67, v1, v2
	v_max_f32_e32 v1, v1, v2
	v_cndmask_b32_e32 v1, v1, v67, vcc
	v_and_b32_e32 v2, 0x7f800000, v1
	v_cmp_ne_u32_e64 s[26:27], s97, v2
                                        ; implicit-def: $vgpr67
	s_and_saveexec_b64 s[36:37], s[26:27]
	s_xor_b64 s[26:27], exec, s[36:37]
; %bb.607:                              ;   in Loop: Header=BB29_382 Depth=3
	v_bfe_u32 v2, v1, 16, 1
	v_add3_u32 v67, v1, v2, s46
                                        ; implicit-def: $vgpr1
; %bb.608:                              ;   in Loop: Header=BB29_382 Depth=3
	s_andn2_saveexec_b64 s[36:37], s[26:27]
; %bb.609:                              ;   in Loop: Header=BB29_382 Depth=3
	v_or_b32_e32 v2, 0x10000, v1
	v_cmp_eq_u32_sdwa s[26:27], v1, v3 src0_sel:WORD_0 src1_sel:DWORD
	s_nop 1
	v_cndmask_b32_e64 v67, v2, v1, s[26:27]
; %bb.610:                              ;   in Loop: Header=BB29_382 Depth=3
	s_or_b64 exec, exec, s[36:37]
	v_lshlrev_b32_e32 v1, 16, v48
	s_waitcnt vmcnt(0)
	v_lshlrev_b32_e32 v2, 16, v52
	v_max_f32_e32 v2, v2, v2
	v_max_f32_e32 v1, v1, v1
	v_min_f32_e32 v70, v1, v2
	v_max_f32_e32 v1, v1, v2
	v_cndmask_b32_e32 v1, v1, v70, vcc
	v_and_b32_e32 v2, 0x7f800000, v1
	v_cmp_ne_u32_e64 s[26:27], s97, v2
                                        ; implicit-def: $vgpr70
	s_and_saveexec_b64 s[36:37], s[26:27]
	s_xor_b64 s[26:27], exec, s[36:37]
; %bb.611:                              ;   in Loop: Header=BB29_382 Depth=3
	v_bfe_u32 v2, v1, 16, 1
	v_add3_u32 v70, v1, v2, s46
                                        ; implicit-def: $vgpr1
; %bb.612:                              ;   in Loop: Header=BB29_382 Depth=3
	s_andn2_saveexec_b64 s[36:37], s[26:27]
; %bb.613:                              ;   in Loop: Header=BB29_382 Depth=3
	v_or_b32_e32 v2, 0x10000, v1
	v_cmp_eq_u32_sdwa s[26:27], v1, v3 src0_sel:WORD_0 src1_sel:DWORD
	s_nop 1
	v_cndmask_b32_e64 v70, v2, v1, s[26:27]
; %bb.614:                              ;   in Loop: Header=BB29_382 Depth=3
	s_or_b64 exec, exec, s[36:37]
	v_and_b32_e32 v1, 0xffff0000, v48
	v_and_b32_e32 v2, 0xffff0000, v52
	v_max_f32_e32 v2, v2, v2
	v_max_f32_e32 v1, v1, v1
	v_min_f32_e32 v48, v1, v2
	v_max_f32_e32 v1, v1, v2
	v_cndmask_b32_e32 v1, v1, v48, vcc
	v_and_b32_e32 v2, 0x7f800000, v1
	v_cmp_ne_u32_e64 s[26:27], s97, v2
                                        ; implicit-def: $vgpr48
	s_and_saveexec_b64 s[36:37], s[26:27]
	s_xor_b64 s[26:27], exec, s[36:37]
; %bb.615:                              ;   in Loop: Header=BB29_382 Depth=3
	v_bfe_u32 v2, v1, 16, 1
	v_add3_u32 v48, v1, v2, s46
                                        ; implicit-def: $vgpr1
; %bb.616:                              ;   in Loop: Header=BB29_382 Depth=3
	s_andn2_saveexec_b64 s[36:37], s[26:27]
; %bb.617:                              ;   in Loop: Header=BB29_382 Depth=3
	v_or_b32_e32 v2, 0x10000, v1
	v_cmp_eq_u32_sdwa s[26:27], v1, v3 src0_sel:WORD_0 src1_sel:DWORD
	s_nop 1
	v_cndmask_b32_e64 v48, v2, v1, s[26:27]
; %bb.618:                              ;   in Loop: Header=BB29_382 Depth=3
	s_or_b64 exec, exec, s[36:37]
	v_lshlrev_b32_e32 v1, 16, v49
	v_lshlrev_b32_e32 v2, 16, v53
	v_max_f32_e32 v2, v2, v2
	v_max_f32_e32 v1, v1, v1
	v_min_f32_e32 v52, v1, v2
	v_max_f32_e32 v1, v1, v2
	v_cndmask_b32_e32 v1, v1, v52, vcc
	v_and_b32_e32 v2, 0x7f800000, v1
	v_cmp_ne_u32_e64 s[26:27], s97, v2
                                        ; implicit-def: $vgpr52
	s_and_saveexec_b64 s[36:37], s[26:27]
	s_xor_b64 s[26:27], exec, s[36:37]
; %bb.619:                              ;   in Loop: Header=BB29_382 Depth=3
	v_bfe_u32 v2, v1, 16, 1
	v_add3_u32 v52, v1, v2, s46
                                        ; implicit-def: $vgpr1
; %bb.620:                              ;   in Loop: Header=BB29_382 Depth=3
	s_andn2_saveexec_b64 s[36:37], s[26:27]
; %bb.621:                              ;   in Loop: Header=BB29_382 Depth=3
	v_or_b32_e32 v2, 0x10000, v1
	v_cmp_eq_u32_sdwa s[26:27], v1, v3 src0_sel:WORD_0 src1_sel:DWORD
	s_nop 1
	v_cndmask_b32_e64 v52, v2, v1, s[26:27]
; %bb.622:                              ;   in Loop: Header=BB29_382 Depth=3
	s_or_b64 exec, exec, s[36:37]
	v_and_b32_e32 v1, 0xffff0000, v49
	v_and_b32_e32 v2, 0xffff0000, v53
	v_max_f32_e32 v2, v2, v2
	v_max_f32_e32 v1, v1, v1
	v_min_f32_e32 v49, v1, v2
	v_max_f32_e32 v1, v1, v2
	v_cndmask_b32_e32 v1, v1, v49, vcc
	v_and_b32_e32 v2, 0x7f800000, v1
	v_cmp_ne_u32_e64 s[26:27], s97, v2
                                        ; implicit-def: $vgpr49
	s_and_saveexec_b64 s[36:37], s[26:27]
	s_xor_b64 s[26:27], exec, s[36:37]
; %bb.623:                              ;   in Loop: Header=BB29_382 Depth=3
	v_bfe_u32 v2, v1, 16, 1
	v_add3_u32 v49, v1, v2, s46
                                        ; implicit-def: $vgpr1
; %bb.624:                              ;   in Loop: Header=BB29_382 Depth=3
	s_andn2_saveexec_b64 s[36:37], s[26:27]
; %bb.625:                              ;   in Loop: Header=BB29_382 Depth=3
	v_or_b32_e32 v2, 0x10000, v1
	v_cmp_eq_u32_sdwa s[26:27], v1, v3 src0_sel:WORD_0 src1_sel:DWORD
	s_nop 1
	v_cndmask_b32_e64 v49, v2, v1, s[26:27]
; %bb.626:                              ;   in Loop: Header=BB29_382 Depth=3
	s_or_b64 exec, exec, s[36:37]
	v_lshlrev_b32_e32 v1, 16, v50
	v_lshlrev_b32_e32 v2, 16, v54
	v_max_f32_e32 v2, v2, v2
	v_max_f32_e32 v1, v1, v1
	v_min_f32_e32 v53, v1, v2
	v_max_f32_e32 v1, v1, v2
	v_cndmask_b32_e32 v1, v1, v53, vcc
	v_and_b32_e32 v2, 0x7f800000, v1
	v_cmp_ne_u32_e64 s[26:27], s97, v2
                                        ; implicit-def: $vgpr53
	s_and_saveexec_b64 s[36:37], s[26:27]
	s_xor_b64 s[26:27], exec, s[36:37]
; %bb.627:                              ;   in Loop: Header=BB29_382 Depth=3
	v_bfe_u32 v2, v1, 16, 1
	v_add3_u32 v53, v1, v2, s46
                                        ; implicit-def: $vgpr1
; %bb.628:                              ;   in Loop: Header=BB29_382 Depth=3
	s_andn2_saveexec_b64 s[36:37], s[26:27]
; %bb.629:                              ;   in Loop: Header=BB29_382 Depth=3
	v_or_b32_e32 v2, 0x10000, v1
	v_cmp_eq_u32_sdwa s[26:27], v1, v3 src0_sel:WORD_0 src1_sel:DWORD
	s_nop 1
	v_cndmask_b32_e64 v53, v2, v1, s[26:27]
; %bb.630:                              ;   in Loop: Header=BB29_382 Depth=3
	s_or_b64 exec, exec, s[36:37]
	v_and_b32_e32 v1, 0xffff0000, v50
	v_and_b32_e32 v2, 0xffff0000, v54
	v_max_f32_e32 v2, v2, v2
	v_max_f32_e32 v1, v1, v1
	v_min_f32_e32 v50, v1, v2
	v_max_f32_e32 v1, v1, v2
	v_cndmask_b32_e32 v1, v1, v50, vcc
	v_and_b32_e32 v2, 0x7f800000, v1
	v_cmp_ne_u32_e64 s[26:27], s97, v2
                                        ; implicit-def: $vgpr50
	s_and_saveexec_b64 s[36:37], s[26:27]
	s_xor_b64 s[26:27], exec, s[36:37]
; %bb.631:                              ;   in Loop: Header=BB29_382 Depth=3
	v_bfe_u32 v2, v1, 16, 1
	v_add3_u32 v50, v1, v2, s46
                                        ; implicit-def: $vgpr1
; %bb.632:                              ;   in Loop: Header=BB29_382 Depth=3
	s_andn2_saveexec_b64 s[36:37], s[26:27]
; %bb.633:                              ;   in Loop: Header=BB29_382 Depth=3
	v_or_b32_e32 v2, 0x10000, v1
	v_cmp_eq_u32_sdwa s[26:27], v1, v3 src0_sel:WORD_0 src1_sel:DWORD
	s_nop 1
	v_cndmask_b32_e64 v50, v2, v1, s[26:27]
; %bb.634:                              ;   in Loop: Header=BB29_382 Depth=3
	s_or_b64 exec, exec, s[36:37]
	v_lshlrev_b32_e32 v1, 16, v51
	v_lshlrev_b32_e32 v2, 16, v55
	v_max_f32_e32 v2, v2, v2
	v_max_f32_e32 v1, v1, v1
	v_min_f32_e32 v54, v1, v2
	v_max_f32_e32 v1, v1, v2
	v_cndmask_b32_e32 v54, v1, v54, vcc
	v_and_b32_e32 v1, 0x7f800000, v54
	v_cmp_ne_u32_e64 s[26:27], s97, v1
                                        ; implicit-def: $vgpr1
	s_and_saveexec_b64 s[36:37], s[26:27]
	s_xor_b64 s[26:27], exec, s[36:37]
; %bb.635:                              ;   in Loop: Header=BB29_382 Depth=3
	v_bfe_u32 v1, v54, 16, 1
	v_add3_u32 v1, v54, v1, s46
                                        ; implicit-def: $vgpr54
; %bb.636:                              ;   in Loop: Header=BB29_382 Depth=3
	s_andn2_saveexec_b64 s[36:37], s[26:27]
; %bb.637:                              ;   in Loop: Header=BB29_382 Depth=3
	v_or_b32_e32 v1, 0x10000, v54
	v_cmp_eq_u32_sdwa s[26:27], v54, v3 src0_sel:WORD_0 src1_sel:DWORD
	s_nop 1
	v_cndmask_b32_e64 v1, v1, v54, s[26:27]
; %bb.638:                              ;   in Loop: Header=BB29_382 Depth=3
	s_or_b64 exec, exec, s[36:37]
	v_and_b32_e32 v2, 0xffff0000, v51
	v_and_b32_e32 v51, 0xffff0000, v55
	v_max_f32_e32 v51, v51, v51
	v_max_f32_e32 v2, v2, v2
	v_min_f32_e32 v54, v2, v51
	v_max_f32_e32 v2, v2, v51
	v_cndmask_b32_e32 v54, v2, v54, vcc
	v_and_b32_e32 v2, 0x7f800000, v54
	v_cmp_ne_u32_e64 s[26:27], s97, v2
                                        ; implicit-def: $vgpr51
	s_and_saveexec_b64 s[36:37], s[26:27]
	s_xor_b64 s[26:27], exec, s[36:37]
; %bb.639:                              ;   in Loop: Header=BB29_382 Depth=3
	v_bfe_u32 v2, v54, 16, 1
	v_add3_u32 v51, v54, v2, s46
                                        ; implicit-def: $vgpr54
; %bb.640:                              ;   in Loop: Header=BB29_382 Depth=3
	s_andn2_saveexec_b64 s[36:37], s[26:27]
	s_cbranch_execz .LBB29_381
; %bb.641:                              ;   in Loop: Header=BB29_382 Depth=3
	v_or_b32_e32 v2, 0x10000, v54
	v_cmp_eq_u32_sdwa s[26:27], v54, v3 src0_sel:WORD_0 src1_sel:DWORD
	s_nop 1
	v_cndmask_b32_e64 v51, v2, v54, s[26:27]
	s_branch .LBB29_381
.LBB29_642:                             ;   in Loop: Header=BB29_296 Depth=2
	scratch_load_dword v1, off, s33 offset:320 ; 4-byte Folded Reload
	s_waitcnt vmcnt(0)
	v_mov_b32_e32 v0, v1
	v_and_b32_e32 v13, 63, v1
	s_and_saveexec_b64 s[42:43], s[30:31]
	s_cbranch_execnz .LBB29_890
	s_branch .LBB29_1117
.LBB29_643:                             ;   in Loop: Header=BB29_296 Depth=2
	s_or_b64 exec, exec, s[40:41]
	scratch_load_dword v53, off, s33 offset:372 ; 4-byte Folded Reload
	s_and_b64 s[26:27], s[42:43], exec
.LBB29_644:                             ;   in Loop: Header=BB29_296 Depth=2
	s_or_b64 exec, exec, s[28:29]
	s_and_saveexec_b64 s[28:29], s[26:27]
	s_cbranch_execz .LBB29_774
; %bb.645:                              ;   in Loop: Header=BB29_296 Depth=2
	s_and_b32 s13, 0xffff, s45
	v_lshlrev_b32_e32 v0, 16, v80
	v_lshlrev_b32_e32 v1, 16, v32
	s_cmp_eq_u32 s13, 0
	v_max_f32_e32 v1, v1, v1
	v_max_f32_e32 v0, v0, v0
	v_min_f32_e32 v2, v0, v1
	v_max_f32_e32 v0, v0, v1
	s_cselect_b64 vcc, -1, 0
	v_cndmask_b32_e32 v0, v0, v2, vcc
	v_and_b32_e32 v1, 0x7f800000, v0
	v_cmp_ne_u32_e64 s[26:27], s97, v1
                                        ; implicit-def: $vgpr48
	s_and_saveexec_b64 s[40:41], s[26:27]
	s_xor_b64 s[26:27], exec, s[40:41]
; %bb.646:                              ;   in Loop: Header=BB29_296 Depth=2
	v_bfe_u32 v1, v0, 16, 1
	v_add3_u32 v48, v0, v1, s46
                                        ; implicit-def: $vgpr0
; %bb.647:                              ;   in Loop: Header=BB29_296 Depth=2
	s_andn2_saveexec_b64 s[40:41], s[26:27]
; %bb.648:                              ;   in Loop: Header=BB29_296 Depth=2
	v_or_b32_e32 v1, 0x10000, v0
	v_cmp_eq_u32_sdwa s[26:27], v0, v3 src0_sel:WORD_0 src1_sel:DWORD
	s_nop 1
	v_cndmask_b32_e64 v48, v1, v0, s[26:27]
; %bb.649:                              ;   in Loop: Header=BB29_296 Depth=2
	s_or_b64 exec, exec, s[40:41]
	v_and_b32_e32 v0, 0xffff0000, v80
	v_and_b32_e32 v1, 0xffff0000, v32
	v_max_f32_e32 v1, v1, v1
	v_max_f32_e32 v0, v0, v0
	v_min_f32_e32 v2, v0, v1
	v_max_f32_e32 v0, v0, v1
	v_cndmask_b32_e32 v0, v0, v2, vcc
	v_and_b32_e32 v1, 0x7f800000, v0
	v_cmp_ne_u32_e64 s[26:27], s97, v1
                                        ; implicit-def: $vgpr32
	s_and_saveexec_b64 s[40:41], s[26:27]
	s_xor_b64 s[26:27], exec, s[40:41]
; %bb.650:                              ;   in Loop: Header=BB29_296 Depth=2
	v_bfe_u32 v1, v0, 16, 1
	v_add3_u32 v32, v0, v1, s46
                                        ; implicit-def: $vgpr0
; %bb.651:                              ;   in Loop: Header=BB29_296 Depth=2
	s_andn2_saveexec_b64 s[40:41], s[26:27]
; %bb.652:                              ;   in Loop: Header=BB29_296 Depth=2
	v_or_b32_e32 v1, 0x10000, v0
	v_cmp_eq_u32_sdwa s[26:27], v0, v3 src0_sel:WORD_0 src1_sel:DWORD
	s_nop 1
	v_cndmask_b32_e64 v32, v1, v0, s[26:27]
; %bb.653:                              ;   in Loop: Header=BB29_296 Depth=2
	s_or_b64 exec, exec, s[40:41]
	v_lshlrev_b32_e32 v0, 16, v81
	v_lshlrev_b32_e32 v1, 16, v33
	v_max_f32_e32 v1, v1, v1
	v_max_f32_e32 v0, v0, v0
	v_min_f32_e32 v2, v0, v1
	v_max_f32_e32 v0, v0, v1
	v_cndmask_b32_e32 v0, v0, v2, vcc
	v_and_b32_e32 v1, 0x7f800000, v0
	v_cmp_ne_u32_e64 s[26:27], s97, v1
                                        ; implicit-def: $vgpr49
	s_and_saveexec_b64 s[40:41], s[26:27]
	s_xor_b64 s[26:27], exec, s[40:41]
; %bb.654:                              ;   in Loop: Header=BB29_296 Depth=2
	v_bfe_u32 v1, v0, 16, 1
	v_add3_u32 v49, v0, v1, s46
                                        ; implicit-def: $vgpr0
; %bb.655:                              ;   in Loop: Header=BB29_296 Depth=2
	s_andn2_saveexec_b64 s[40:41], s[26:27]
; %bb.656:                              ;   in Loop: Header=BB29_296 Depth=2
	v_or_b32_e32 v1, 0x10000, v0
	v_cmp_eq_u32_sdwa s[26:27], v0, v3 src0_sel:WORD_0 src1_sel:DWORD
	s_nop 1
	v_cndmask_b32_e64 v49, v1, v0, s[26:27]
; %bb.657:                              ;   in Loop: Header=BB29_296 Depth=2
	s_or_b64 exec, exec, s[40:41]
	v_and_b32_e32 v0, 0xffff0000, v81
	v_and_b32_e32 v1, 0xffff0000, v33
	v_max_f32_e32 v1, v1, v1
	v_max_f32_e32 v0, v0, v0
	v_min_f32_e32 v2, v0, v1
	v_max_f32_e32 v0, v0, v1
	v_cndmask_b32_e32 v0, v0, v2, vcc
	v_and_b32_e32 v1, 0x7f800000, v0
	v_cmp_ne_u32_e64 s[26:27], s97, v1
                                        ; implicit-def: $vgpr33
	s_and_saveexec_b64 s[40:41], s[26:27]
	s_xor_b64 s[26:27], exec, s[40:41]
; %bb.658:                              ;   in Loop: Header=BB29_296 Depth=2
	v_bfe_u32 v1, v0, 16, 1
	v_add3_u32 v33, v0, v1, s46
                                        ; implicit-def: $vgpr0
; %bb.659:                              ;   in Loop: Header=BB29_296 Depth=2
	s_andn2_saveexec_b64 s[40:41], s[26:27]
; %bb.660:                              ;   in Loop: Header=BB29_296 Depth=2
	v_or_b32_e32 v1, 0x10000, v0
	v_cmp_eq_u32_sdwa s[26:27], v0, v3 src0_sel:WORD_0 src1_sel:DWORD
	s_nop 1
	v_cndmask_b32_e64 v33, v1, v0, s[26:27]
; %bb.661:                              ;   in Loop: Header=BB29_296 Depth=2
	s_or_b64 exec, exec, s[40:41]
	v_lshlrev_b32_e32 v0, 16, v82
	v_lshlrev_b32_e32 v1, 16, v34
	v_max_f32_e32 v1, v1, v1
	v_max_f32_e32 v0, v0, v0
	v_min_f32_e32 v2, v0, v1
	v_max_f32_e32 v0, v0, v1
	v_cndmask_b32_e32 v0, v0, v2, vcc
	v_and_b32_e32 v1, 0x7f800000, v0
	v_cmp_ne_u32_e64 s[26:27], s97, v1
                                        ; implicit-def: $vgpr50
	s_and_saveexec_b64 s[40:41], s[26:27]
	s_xor_b64 s[26:27], exec, s[40:41]
; %bb.662:                              ;   in Loop: Header=BB29_296 Depth=2
	v_bfe_u32 v1, v0, 16, 1
	v_add3_u32 v50, v0, v1, s46
                                        ; implicit-def: $vgpr0
; %bb.663:                              ;   in Loop: Header=BB29_296 Depth=2
	s_andn2_saveexec_b64 s[40:41], s[26:27]
; %bb.664:                              ;   in Loop: Header=BB29_296 Depth=2
	v_or_b32_e32 v1, 0x10000, v0
	v_cmp_eq_u32_sdwa s[26:27], v0, v3 src0_sel:WORD_0 src1_sel:DWORD
	s_nop 1
	v_cndmask_b32_e64 v50, v1, v0, s[26:27]
; %bb.665:                              ;   in Loop: Header=BB29_296 Depth=2
	s_or_b64 exec, exec, s[40:41]
	v_and_b32_e32 v0, 0xffff0000, v82
	v_and_b32_e32 v1, 0xffff0000, v34
	v_max_f32_e32 v1, v1, v1
	v_max_f32_e32 v0, v0, v0
	v_min_f32_e32 v2, v0, v1
	v_max_f32_e32 v0, v0, v1
	v_cndmask_b32_e32 v0, v0, v2, vcc
	v_and_b32_e32 v1, 0x7f800000, v0
	v_cmp_ne_u32_e64 s[26:27], s97, v1
                                        ; implicit-def: $vgpr34
	s_and_saveexec_b64 s[40:41], s[26:27]
	s_xor_b64 s[26:27], exec, s[40:41]
; %bb.666:                              ;   in Loop: Header=BB29_296 Depth=2
	v_bfe_u32 v1, v0, 16, 1
	v_add3_u32 v34, v0, v1, s46
                                        ; implicit-def: $vgpr0
; %bb.667:                              ;   in Loop: Header=BB29_296 Depth=2
	s_andn2_saveexec_b64 s[40:41], s[26:27]
; %bb.668:                              ;   in Loop: Header=BB29_296 Depth=2
	v_or_b32_e32 v1, 0x10000, v0
	v_cmp_eq_u32_sdwa s[26:27], v0, v3 src0_sel:WORD_0 src1_sel:DWORD
	s_nop 1
	v_cndmask_b32_e64 v34, v1, v0, s[26:27]
; %bb.669:                              ;   in Loop: Header=BB29_296 Depth=2
	s_or_b64 exec, exec, s[40:41]
	v_lshlrev_b32_e32 v0, 16, v83
	v_lshlrev_b32_e32 v1, 16, v35
	v_max_f32_e32 v1, v1, v1
	v_max_f32_e32 v0, v0, v0
	v_min_f32_e32 v2, v0, v1
	v_max_f32_e32 v0, v0, v1
	v_cndmask_b32_e32 v0, v0, v2, vcc
	v_and_b32_e32 v1, 0x7f800000, v0
	v_cmp_ne_u32_e64 s[26:27], s97, v1
                                        ; implicit-def: $vgpr51
	s_and_saveexec_b64 s[40:41], s[26:27]
	s_xor_b64 s[26:27], exec, s[40:41]
; %bb.670:                              ;   in Loop: Header=BB29_296 Depth=2
	v_bfe_u32 v1, v0, 16, 1
	v_add3_u32 v51, v0, v1, s46
                                        ; implicit-def: $vgpr0
; %bb.671:                              ;   in Loop: Header=BB29_296 Depth=2
	s_andn2_saveexec_b64 s[40:41], s[26:27]
; %bb.672:                              ;   in Loop: Header=BB29_296 Depth=2
	v_or_b32_e32 v1, 0x10000, v0
	v_cmp_eq_u32_sdwa s[26:27], v0, v3 src0_sel:WORD_0 src1_sel:DWORD
	s_nop 1
	v_cndmask_b32_e64 v51, v1, v0, s[26:27]
; %bb.673:                              ;   in Loop: Header=BB29_296 Depth=2
	s_or_b64 exec, exec, s[40:41]
	v_and_b32_e32 v0, 0xffff0000, v83
	v_and_b32_e32 v1, 0xffff0000, v35
	v_max_f32_e32 v1, v1, v1
	v_max_f32_e32 v0, v0, v0
	v_min_f32_e32 v2, v0, v1
	v_max_f32_e32 v0, v0, v1
	v_cndmask_b32_e32 v0, v0, v2, vcc
	v_and_b32_e32 v1, 0x7f800000, v0
	v_cmp_ne_u32_e64 s[26:27], s97, v1
                                        ; implicit-def: $vgpr35
	s_and_saveexec_b64 s[40:41], s[26:27]
	s_xor_b64 s[26:27], exec, s[40:41]
; %bb.674:                              ;   in Loop: Header=BB29_296 Depth=2
	v_bfe_u32 v1, v0, 16, 1
	v_add3_u32 v35, v0, v1, s46
                                        ; implicit-def: $vgpr0
; %bb.675:                              ;   in Loop: Header=BB29_296 Depth=2
	s_andn2_saveexec_b64 s[40:41], s[26:27]
; %bb.676:                              ;   in Loop: Header=BB29_296 Depth=2
	v_or_b32_e32 v1, 0x10000, v0
	v_cmp_eq_u32_sdwa s[26:27], v0, v3 src0_sel:WORD_0 src1_sel:DWORD
	s_nop 1
	v_cndmask_b32_e64 v35, v1, v0, s[26:27]
; %bb.677:                              ;   in Loop: Header=BB29_296 Depth=2
	s_or_b64 exec, exec, s[40:41]
	v_lshlrev_b32_e32 v0, 16, v36
	v_lshlrev_b32_e32 v1, 16, v20
	v_max_f32_e32 v1, v1, v1
	v_max_f32_e32 v0, v0, v0
	v_min_f32_e32 v2, v0, v1
	v_max_f32_e32 v0, v0, v1
	v_cndmask_b32_e32 v0, v0, v2, vcc
	v_and_b32_e32 v1, 0x7f800000, v0
	v_cmp_ne_u32_e64 s[26:27], s97, v1
                                        ; implicit-def: $vgpr52
	s_and_saveexec_b64 s[40:41], s[26:27]
	s_xor_b64 s[26:27], exec, s[40:41]
; %bb.678:                              ;   in Loop: Header=BB29_296 Depth=2
	v_bfe_u32 v1, v0, 16, 1
	v_add3_u32 v52, v0, v1, s46
                                        ; implicit-def: $vgpr0
; %bb.679:                              ;   in Loop: Header=BB29_296 Depth=2
	s_andn2_saveexec_b64 s[40:41], s[26:27]
; %bb.680:                              ;   in Loop: Header=BB29_296 Depth=2
	v_or_b32_e32 v1, 0x10000, v0
	v_cmp_eq_u32_sdwa s[26:27], v0, v3 src0_sel:WORD_0 src1_sel:DWORD
	s_nop 1
	v_cndmask_b32_e64 v52, v1, v0, s[26:27]
; %bb.681:                              ;   in Loop: Header=BB29_296 Depth=2
	s_or_b64 exec, exec, s[40:41]
	v_and_b32_e32 v0, 0xffff0000, v36
	v_and_b32_e32 v1, 0xffff0000, v20
	v_max_f32_e32 v1, v1, v1
	v_max_f32_e32 v0, v0, v0
	v_min_f32_e32 v2, v0, v1
	v_max_f32_e32 v0, v0, v1
	v_cndmask_b32_e32 v0, v0, v2, vcc
	v_and_b32_e32 v1, 0x7f800000, v0
	v_cmp_ne_u32_e64 s[26:27], s97, v1
                                        ; implicit-def: $vgpr20
	s_and_saveexec_b64 s[40:41], s[26:27]
	s_xor_b64 s[26:27], exec, s[40:41]
; %bb.682:                              ;   in Loop: Header=BB29_296 Depth=2
	v_bfe_u32 v1, v0, 16, 1
	v_add3_u32 v20, v0, v1, s46
                                        ; implicit-def: $vgpr0
; %bb.683:                              ;   in Loop: Header=BB29_296 Depth=2
	s_andn2_saveexec_b64 s[40:41], s[26:27]
; %bb.684:                              ;   in Loop: Header=BB29_296 Depth=2
	v_or_b32_e32 v1, 0x10000, v0
	v_cmp_eq_u32_sdwa s[26:27], v0, v3 src0_sel:WORD_0 src1_sel:DWORD
	s_nop 1
	v_cndmask_b32_e64 v20, v1, v0, s[26:27]
; %bb.685:                              ;   in Loop: Header=BB29_296 Depth=2
	s_or_b64 exec, exec, s[40:41]
	v_lshlrev_b32_e32 v0, 16, v37
	v_lshlrev_b32_e32 v1, 16, v21
	v_max_f32_e32 v1, v1, v1
	v_max_f32_e32 v0, v0, v0
	v_min_f32_e32 v2, v0, v1
	v_max_f32_e32 v0, v0, v1
	v_cndmask_b32_e32 v0, v0, v2, vcc
	v_and_b32_e32 v1, 0x7f800000, v0
	v_cmp_ne_u32_e64 s[26:27], s97, v1
                                        ; implicit-def: $vgpr30
	s_and_saveexec_b64 s[40:41], s[26:27]
	s_xor_b64 s[26:27], exec, s[40:41]
; %bb.686:                              ;   in Loop: Header=BB29_296 Depth=2
	v_bfe_u32 v1, v0, 16, 1
	v_add3_u32 v30, v0, v1, s46
                                        ; implicit-def: $vgpr0
; %bb.687:                              ;   in Loop: Header=BB29_296 Depth=2
	s_andn2_saveexec_b64 s[40:41], s[26:27]
; %bb.688:                              ;   in Loop: Header=BB29_296 Depth=2
	v_or_b32_e32 v1, 0x10000, v0
	v_cmp_eq_u32_sdwa s[26:27], v0, v3 src0_sel:WORD_0 src1_sel:DWORD
	s_nop 1
	v_cndmask_b32_e64 v30, v1, v0, s[26:27]
; %bb.689:                              ;   in Loop: Header=BB29_296 Depth=2
	s_or_b64 exec, exec, s[40:41]
	v_and_b32_e32 v0, 0xffff0000, v37
	v_and_b32_e32 v1, 0xffff0000, v21
	v_max_f32_e32 v1, v1, v1
	v_max_f32_e32 v0, v0, v0
	v_min_f32_e32 v2, v0, v1
	v_max_f32_e32 v0, v0, v1
	v_cndmask_b32_e32 v0, v0, v2, vcc
	v_and_b32_e32 v1, 0x7f800000, v0
	v_cmp_ne_u32_e64 s[26:27], s97, v1
                                        ; implicit-def: $vgpr21
	s_and_saveexec_b64 s[40:41], s[26:27]
	s_xor_b64 s[26:27], exec, s[40:41]
; %bb.690:                              ;   in Loop: Header=BB29_296 Depth=2
	v_bfe_u32 v1, v0, 16, 1
	v_add3_u32 v21, v0, v1, s46
                                        ; implicit-def: $vgpr0
; %bb.691:                              ;   in Loop: Header=BB29_296 Depth=2
	s_andn2_saveexec_b64 s[40:41], s[26:27]
; %bb.692:                              ;   in Loop: Header=BB29_296 Depth=2
	v_or_b32_e32 v1, 0x10000, v0
	v_cmp_eq_u32_sdwa s[26:27], v0, v3 src0_sel:WORD_0 src1_sel:DWORD
	s_nop 1
	v_cndmask_b32_e64 v21, v1, v0, s[26:27]
; %bb.693:                              ;   in Loop: Header=BB29_296 Depth=2
	s_or_b64 exec, exec, s[40:41]
	v_lshlrev_b32_e32 v0, 16, v38
	v_lshlrev_b32_e32 v1, 16, v22
	v_max_f32_e32 v1, v1, v1
	v_max_f32_e32 v0, v0, v0
	v_min_f32_e32 v2, v0, v1
	v_max_f32_e32 v0, v0, v1
	v_cndmask_b32_e32 v0, v0, v2, vcc
	v_and_b32_e32 v1, 0x7f800000, v0
	v_cmp_ne_u32_e64 s[26:27], s97, v1
                                        ; implicit-def: $vgpr6
	s_and_saveexec_b64 s[40:41], s[26:27]
	s_xor_b64 s[26:27], exec, s[40:41]
; %bb.694:                              ;   in Loop: Header=BB29_296 Depth=2
	v_bfe_u32 v1, v0, 16, 1
	v_add3_u32 v6, v0, v1, s46
                                        ; implicit-def: $vgpr0
; %bb.695:                              ;   in Loop: Header=BB29_296 Depth=2
	s_andn2_saveexec_b64 s[40:41], s[26:27]
; %bb.696:                              ;   in Loop: Header=BB29_296 Depth=2
	v_or_b32_e32 v1, 0x10000, v0
	v_cmp_eq_u32_sdwa s[26:27], v0, v3 src0_sel:WORD_0 src1_sel:DWORD
	s_nop 1
	v_cndmask_b32_e64 v6, v1, v0, s[26:27]
; %bb.697:                              ;   in Loop: Header=BB29_296 Depth=2
	s_or_b64 exec, exec, s[40:41]
	v_and_b32_e32 v0, 0xffff0000, v38
	v_and_b32_e32 v1, 0xffff0000, v22
	v_max_f32_e32 v1, v1, v1
	v_max_f32_e32 v0, v0, v0
	v_min_f32_e32 v2, v0, v1
	v_max_f32_e32 v0, v0, v1
	v_cndmask_b32_e32 v0, v0, v2, vcc
	v_and_b32_e32 v1, 0x7f800000, v0
	v_cmp_ne_u32_e64 s[26:27], s97, v1
                                        ; implicit-def: $vgpr7
	s_and_saveexec_b64 s[40:41], s[26:27]
	s_xor_b64 s[26:27], exec, s[40:41]
; %bb.698:                              ;   in Loop: Header=BB29_296 Depth=2
	v_bfe_u32 v1, v0, 16, 1
	v_add3_u32 v7, v0, v1, s46
                                        ; implicit-def: $vgpr0
; %bb.699:                              ;   in Loop: Header=BB29_296 Depth=2
	s_andn2_saveexec_b64 s[40:41], s[26:27]
; %bb.700:                              ;   in Loop: Header=BB29_296 Depth=2
	v_or_b32_e32 v1, 0x10000, v0
	v_cmp_eq_u32_sdwa s[26:27], v0, v3 src0_sel:WORD_0 src1_sel:DWORD
	s_nop 1
	v_cndmask_b32_e64 v7, v1, v0, s[26:27]
; %bb.701:                              ;   in Loop: Header=BB29_296 Depth=2
	s_or_b64 exec, exec, s[40:41]
	v_lshlrev_b32_e32 v0, 16, v39
	v_lshlrev_b32_e32 v1, 16, v23
	v_max_f32_e32 v1, v1, v1
	v_max_f32_e32 v0, v0, v0
	v_min_f32_e32 v2, v0, v1
	v_max_f32_e32 v0, v0, v1
	v_cndmask_b32_e32 v0, v0, v2, vcc
	v_and_b32_e32 v1, 0x7f800000, v0
	v_cmp_ne_u32_e64 s[26:27], s97, v1
                                        ; implicit-def: $vgpr22
	s_and_saveexec_b64 s[40:41], s[26:27]
	s_xor_b64 s[26:27], exec, s[40:41]
; %bb.702:                              ;   in Loop: Header=BB29_296 Depth=2
	v_bfe_u32 v1, v0, 16, 1
	v_add3_u32 v22, v0, v1, s46
                                        ; implicit-def: $vgpr0
; %bb.703:                              ;   in Loop: Header=BB29_296 Depth=2
	s_andn2_saveexec_b64 s[40:41], s[26:27]
; %bb.704:                              ;   in Loop: Header=BB29_296 Depth=2
	v_or_b32_e32 v1, 0x10000, v0
	v_cmp_eq_u32_sdwa s[26:27], v0, v3 src0_sel:WORD_0 src1_sel:DWORD
	s_nop 1
	v_cndmask_b32_e64 v22, v1, v0, s[26:27]
; %bb.705:                              ;   in Loop: Header=BB29_296 Depth=2
	s_or_b64 exec, exec, s[40:41]
	v_and_b32_e32 v0, 0xffff0000, v39
	v_and_b32_e32 v1, 0xffff0000, v23
	v_max_f32_e32 v1, v1, v1
	v_max_f32_e32 v0, v0, v0
	v_min_f32_e32 v2, v0, v1
	v_max_f32_e32 v0, v0, v1
	v_cndmask_b32_e32 v0, v0, v2, vcc
	v_and_b32_e32 v1, 0x7f800000, v0
	v_cmp_ne_u32_e64 s[26:27], s97, v1
                                        ; implicit-def: $vgpr23
	s_and_saveexec_b64 s[40:41], s[26:27]
	s_xor_b64 s[26:27], exec, s[40:41]
; %bb.706:                              ;   in Loop: Header=BB29_296 Depth=2
	v_bfe_u32 v1, v0, 16, 1
	v_add3_u32 v23, v0, v1, s46
                                        ; implicit-def: $vgpr0
; %bb.707:                              ;   in Loop: Header=BB29_296 Depth=2
	s_andn2_saveexec_b64 s[40:41], s[26:27]
; %bb.708:                              ;   in Loop: Header=BB29_296 Depth=2
	v_or_b32_e32 v1, 0x10000, v0
	v_cmp_eq_u32_sdwa s[26:27], v0, v3 src0_sel:WORD_0 src1_sel:DWORD
	s_nop 1
	v_cndmask_b32_e64 v23, v1, v0, s[26:27]
; %bb.709:                              ;   in Loop: Header=BB29_296 Depth=2
	s_or_b64 exec, exec, s[40:41]
	v_lshlrev_b32_e32 v0, 16, v24
	v_lshlrev_b32_e32 v1, 16, v16
	v_max_f32_e32 v1, v1, v1
	v_max_f32_e32 v0, v0, v0
	v_min_f32_e32 v2, v0, v1
	v_max_f32_e32 v0, v0, v1
	v_cndmask_b32_e32 v0, v0, v2, vcc
	v_and_b32_e32 v1, 0x7f800000, v0
	v_cmp_ne_u32_e64 s[26:27], s97, v1
                                        ; implicit-def: $vgpr36
	s_and_saveexec_b64 s[40:41], s[26:27]
	s_xor_b64 s[26:27], exec, s[40:41]
; %bb.710:                              ;   in Loop: Header=BB29_296 Depth=2
	v_bfe_u32 v1, v0, 16, 1
	v_add3_u32 v36, v0, v1, s46
                                        ; implicit-def: $vgpr0
; %bb.711:                              ;   in Loop: Header=BB29_296 Depth=2
	s_andn2_saveexec_b64 s[40:41], s[26:27]
; %bb.712:                              ;   in Loop: Header=BB29_296 Depth=2
	v_or_b32_e32 v1, 0x10000, v0
	v_cmp_eq_u32_sdwa s[26:27], v0, v3 src0_sel:WORD_0 src1_sel:DWORD
	s_nop 1
	v_cndmask_b32_e64 v36, v1, v0, s[26:27]
; %bb.713:                              ;   in Loop: Header=BB29_296 Depth=2
	s_or_b64 exec, exec, s[40:41]
	v_and_b32_e32 v0, 0xffff0000, v24
	v_and_b32_e32 v1, 0xffff0000, v16
	v_max_f32_e32 v1, v1, v1
	v_max_f32_e32 v0, v0, v0
	v_min_f32_e32 v2, v0, v1
	v_max_f32_e32 v0, v0, v1
	v_cndmask_b32_e32 v0, v0, v2, vcc
	v_and_b32_e32 v1, 0x7f800000, v0
	v_cmp_ne_u32_e64 s[26:27], s97, v1
                                        ; implicit-def: $vgpr16
	s_and_saveexec_b64 s[40:41], s[26:27]
	s_xor_b64 s[26:27], exec, s[40:41]
; %bb.714:                              ;   in Loop: Header=BB29_296 Depth=2
	v_bfe_u32 v1, v0, 16, 1
	v_add3_u32 v16, v0, v1, s46
                                        ; implicit-def: $vgpr0
; %bb.715:                              ;   in Loop: Header=BB29_296 Depth=2
	s_andn2_saveexec_b64 s[40:41], s[26:27]
; %bb.716:                              ;   in Loop: Header=BB29_296 Depth=2
	v_or_b32_e32 v1, 0x10000, v0
	v_cmp_eq_u32_sdwa s[26:27], v0, v3 src0_sel:WORD_0 src1_sel:DWORD
	s_nop 1
	v_cndmask_b32_e64 v16, v1, v0, s[26:27]
; %bb.717:                              ;   in Loop: Header=BB29_296 Depth=2
	s_or_b64 exec, exec, s[40:41]
	v_lshlrev_b32_e32 v0, 16, v25
	v_lshlrev_b32_e32 v1, 16, v17
	v_max_f32_e32 v1, v1, v1
	v_max_f32_e32 v0, v0, v0
	v_min_f32_e32 v2, v0, v1
	v_max_f32_e32 v0, v0, v1
	v_cndmask_b32_e32 v0, v0, v2, vcc
	v_and_b32_e32 v1, 0x7f800000, v0
	v_cmp_ne_u32_e64 s[26:27], s97, v1
                                        ; implicit-def: $vgpr24
	s_and_saveexec_b64 s[40:41], s[26:27]
	s_xor_b64 s[26:27], exec, s[40:41]
; %bb.718:                              ;   in Loop: Header=BB29_296 Depth=2
	v_bfe_u32 v1, v0, 16, 1
	v_add3_u32 v24, v0, v1, s46
                                        ; implicit-def: $vgpr0
; %bb.719:                              ;   in Loop: Header=BB29_296 Depth=2
	s_andn2_saveexec_b64 s[40:41], s[26:27]
; %bb.720:                              ;   in Loop: Header=BB29_296 Depth=2
	v_or_b32_e32 v1, 0x10000, v0
	v_cmp_eq_u32_sdwa s[26:27], v0, v3 src0_sel:WORD_0 src1_sel:DWORD
	s_nop 1
	v_cndmask_b32_e64 v24, v1, v0, s[26:27]
; %bb.721:                              ;   in Loop: Header=BB29_296 Depth=2
	s_or_b64 exec, exec, s[40:41]
	v_and_b32_e32 v0, 0xffff0000, v25
	v_and_b32_e32 v1, 0xffff0000, v17
	v_max_f32_e32 v1, v1, v1
	v_max_f32_e32 v0, v0, v0
	v_min_f32_e32 v2, v0, v1
	v_max_f32_e32 v0, v0, v1
	v_cndmask_b32_e32 v0, v0, v2, vcc
	v_and_b32_e32 v1, 0x7f800000, v0
	v_cmp_ne_u32_e64 s[26:27], s97, v1
                                        ; implicit-def: $vgpr17
	s_and_saveexec_b64 s[40:41], s[26:27]
	s_xor_b64 s[26:27], exec, s[40:41]
; %bb.722:                              ;   in Loop: Header=BB29_296 Depth=2
	v_bfe_u32 v1, v0, 16, 1
	v_add3_u32 v17, v0, v1, s46
                                        ; implicit-def: $vgpr0
; %bb.723:                              ;   in Loop: Header=BB29_296 Depth=2
	s_andn2_saveexec_b64 s[40:41], s[26:27]
; %bb.724:                              ;   in Loop: Header=BB29_296 Depth=2
	v_or_b32_e32 v1, 0x10000, v0
	v_cmp_eq_u32_sdwa s[26:27], v0, v3 src0_sel:WORD_0 src1_sel:DWORD
	s_nop 1
	v_cndmask_b32_e64 v17, v1, v0, s[26:27]
; %bb.725:                              ;   in Loop: Header=BB29_296 Depth=2
	s_or_b64 exec, exec, s[40:41]
	v_lshlrev_b32_e32 v0, 16, v26
	v_lshlrev_b32_e32 v1, 16, v18
	v_max_f32_e32 v1, v1, v1
	v_max_f32_e32 v0, v0, v0
	v_min_f32_e32 v2, v0, v1
	v_max_f32_e32 v0, v0, v1
	v_cndmask_b32_e32 v1, v0, v2, vcc
	v_and_b32_e32 v0, 0x7f800000, v1
	v_cmp_ne_u32_e64 s[26:27], s97, v0
                                        ; implicit-def: $vgpr0
	s_and_saveexec_b64 s[40:41], s[26:27]
	s_xor_b64 s[26:27], exec, s[40:41]
; %bb.726:                              ;   in Loop: Header=BB29_296 Depth=2
	v_bfe_u32 v0, v1, 16, 1
	v_add3_u32 v0, v1, v0, s46
                                        ; implicit-def: $vgpr1
; %bb.727:                              ;   in Loop: Header=BB29_296 Depth=2
	s_andn2_saveexec_b64 s[40:41], s[26:27]
; %bb.728:                              ;   in Loop: Header=BB29_296 Depth=2
	v_or_b32_e32 v0, 0x10000, v1
	v_cmp_eq_u32_sdwa s[26:27], v1, v3 src0_sel:WORD_0 src1_sel:DWORD
	s_nop 1
	v_cndmask_b32_e64 v0, v0, v1, s[26:27]
; %bb.729:                              ;   in Loop: Header=BB29_296 Depth=2
	s_or_b64 exec, exec, s[40:41]
	v_and_b32_e32 v1, 0xffff0000, v26
	v_and_b32_e32 v2, 0xffff0000, v18
	v_max_f32_e32 v2, v2, v2
	v_max_f32_e32 v1, v1, v1
	v_min_f32_e32 v18, v1, v2
	v_max_f32_e32 v1, v1, v2
	v_cndmask_b32_e32 v1, v1, v18, vcc
	v_and_b32_e32 v2, 0x7f800000, v1
	v_cmp_ne_u32_e64 s[26:27], s97, v2
                                        ; implicit-def: $vgpr18
	s_and_saveexec_b64 s[40:41], s[26:27]
	s_xor_b64 s[26:27], exec, s[40:41]
; %bb.730:                              ;   in Loop: Header=BB29_296 Depth=2
	v_bfe_u32 v2, v1, 16, 1
	v_add3_u32 v18, v1, v2, s46
                                        ; implicit-def: $vgpr1
; %bb.731:                              ;   in Loop: Header=BB29_296 Depth=2
	s_andn2_saveexec_b64 s[40:41], s[26:27]
; %bb.732:                              ;   in Loop: Header=BB29_296 Depth=2
	v_or_b32_e32 v2, 0x10000, v1
	v_cmp_eq_u32_sdwa s[26:27], v1, v3 src0_sel:WORD_0 src1_sel:DWORD
	s_nop 1
	v_cndmask_b32_e64 v18, v2, v1, s[26:27]
; %bb.733:                              ;   in Loop: Header=BB29_296 Depth=2
	s_or_b64 exec, exec, s[40:41]
	v_lshlrev_b32_e32 v1, 16, v27
	v_lshlrev_b32_e32 v2, 16, v19
	v_max_f32_e32 v2, v2, v2
	v_max_f32_e32 v1, v1, v1
	v_min_f32_e32 v25, v1, v2
	v_max_f32_e32 v1, v1, v2
	v_cndmask_b32_e32 v1, v1, v25, vcc
	v_and_b32_e32 v2, 0x7f800000, v1
	v_cmp_ne_u32_e64 s[26:27], s97, v2
                                        ; implicit-def: $vgpr25
	s_and_saveexec_b64 s[40:41], s[26:27]
	s_xor_b64 s[26:27], exec, s[40:41]
; %bb.734:                              ;   in Loop: Header=BB29_296 Depth=2
	v_bfe_u32 v2, v1, 16, 1
	v_add3_u32 v25, v1, v2, s46
                                        ; implicit-def: $vgpr1
; %bb.735:                              ;   in Loop: Header=BB29_296 Depth=2
	s_andn2_saveexec_b64 s[40:41], s[26:27]
; %bb.736:                              ;   in Loop: Header=BB29_296 Depth=2
	v_or_b32_e32 v2, 0x10000, v1
	v_cmp_eq_u32_sdwa s[26:27], v1, v3 src0_sel:WORD_0 src1_sel:DWORD
	s_nop 1
	v_cndmask_b32_e64 v25, v2, v1, s[26:27]
; %bb.737:                              ;   in Loop: Header=BB29_296 Depth=2
	s_or_b64 exec, exec, s[40:41]
	v_and_b32_e32 v1, 0xffff0000, v27
	v_and_b32_e32 v2, 0xffff0000, v19
	v_max_f32_e32 v2, v2, v2
	v_max_f32_e32 v1, v1, v1
	v_min_f32_e32 v19, v1, v2
	v_max_f32_e32 v1, v1, v2
	v_cndmask_b32_e32 v1, v1, v19, vcc
	v_and_b32_e32 v2, 0x7f800000, v1
	v_cmp_ne_u32_e64 s[26:27], s97, v2
                                        ; implicit-def: $vgpr19
	s_and_saveexec_b64 s[40:41], s[26:27]
	s_xor_b64 s[26:27], exec, s[40:41]
; %bb.738:                              ;   in Loop: Header=BB29_296 Depth=2
	v_bfe_u32 v2, v1, 16, 1
	v_add3_u32 v19, v1, v2, s46
                                        ; implicit-def: $vgpr1
; %bb.739:                              ;   in Loop: Header=BB29_296 Depth=2
	s_andn2_saveexec_b64 s[40:41], s[26:27]
; %bb.740:                              ;   in Loop: Header=BB29_296 Depth=2
	v_or_b32_e32 v2, 0x10000, v1
	v_cmp_eq_u32_sdwa s[26:27], v1, v3 src0_sel:WORD_0 src1_sel:DWORD
	s_nop 1
	v_cndmask_b32_e64 v19, v2, v1, s[26:27]
; %bb.741:                              ;   in Loop: Header=BB29_296 Depth=2
	s_or_b64 exec, exec, s[40:41]
	v_lshlrev_b32_e32 v1, 16, v12
	v_lshlrev_b32_e32 v2, 16, v8
	v_max_f32_e32 v2, v2, v2
	v_max_f32_e32 v1, v1, v1
	v_min_f32_e32 v26, v1, v2
	v_max_f32_e32 v1, v1, v2
	v_cndmask_b32_e32 v1, v1, v26, vcc
	v_and_b32_e32 v2, 0x7f800000, v1
	v_cmp_ne_u32_e64 s[26:27], s97, v2
                                        ; implicit-def: $vgpr26
	s_and_saveexec_b64 s[40:41], s[26:27]
	s_xor_b64 s[26:27], exec, s[40:41]
; %bb.742:                              ;   in Loop: Header=BB29_296 Depth=2
	v_bfe_u32 v2, v1, 16, 1
	v_add3_u32 v26, v1, v2, s46
                                        ; implicit-def: $vgpr1
; %bb.743:                              ;   in Loop: Header=BB29_296 Depth=2
	s_andn2_saveexec_b64 s[40:41], s[26:27]
; %bb.744:                              ;   in Loop: Header=BB29_296 Depth=2
	v_or_b32_e32 v2, 0x10000, v1
	v_cmp_eq_u32_sdwa s[26:27], v1, v3 src0_sel:WORD_0 src1_sel:DWORD
	s_nop 1
	v_cndmask_b32_e64 v26, v2, v1, s[26:27]
; %bb.745:                              ;   in Loop: Header=BB29_296 Depth=2
	s_or_b64 exec, exec, s[40:41]
	v_and_b32_e32 v1, 0xffff0000, v12
	v_and_b32_e32 v2, 0xffff0000, v8
	v_max_f32_e32 v2, v2, v2
	v_max_f32_e32 v1, v1, v1
	v_min_f32_e32 v8, v1, v2
	v_max_f32_e32 v1, v1, v2
	v_cndmask_b32_e32 v1, v1, v8, vcc
	v_and_b32_e32 v2, 0x7f800000, v1
	v_cmp_ne_u32_e64 s[26:27], s97, v2
                                        ; implicit-def: $vgpr8
	s_and_saveexec_b64 s[40:41], s[26:27]
	s_xor_b64 s[26:27], exec, s[40:41]
; %bb.746:                              ;   in Loop: Header=BB29_296 Depth=2
	v_bfe_u32 v2, v1, 16, 1
	v_add3_u32 v8, v1, v2, s46
                                        ; implicit-def: $vgpr1
; %bb.747:                              ;   in Loop: Header=BB29_296 Depth=2
	s_andn2_saveexec_b64 s[40:41], s[26:27]
; %bb.748:                              ;   in Loop: Header=BB29_296 Depth=2
	v_or_b32_e32 v2, 0x10000, v1
	v_cmp_eq_u32_sdwa s[26:27], v1, v3 src0_sel:WORD_0 src1_sel:DWORD
	s_nop 1
	v_cndmask_b32_e64 v8, v2, v1, s[26:27]
; %bb.749:                              ;   in Loop: Header=BB29_296 Depth=2
	s_or_b64 exec, exec, s[40:41]
	v_lshlrev_b32_e32 v1, 16, v13
	v_lshlrev_b32_e32 v2, 16, v9
	v_max_f32_e32 v2, v2, v2
	v_max_f32_e32 v1, v1, v1
	v_min_f32_e32 v12, v1, v2
	v_max_f32_e32 v1, v1, v2
	v_cndmask_b32_e32 v1, v1, v12, vcc
	v_and_b32_e32 v2, 0x7f800000, v1
	v_cmp_ne_u32_e64 s[26:27], s97, v2
                                        ; implicit-def: $vgpr12
	s_and_saveexec_b64 s[40:41], s[26:27]
	s_xor_b64 s[26:27], exec, s[40:41]
; %bb.750:                              ;   in Loop: Header=BB29_296 Depth=2
	v_bfe_u32 v2, v1, 16, 1
	v_add3_u32 v12, v1, v2, s46
                                        ; implicit-def: $vgpr1
; %bb.751:                              ;   in Loop: Header=BB29_296 Depth=2
	s_andn2_saveexec_b64 s[40:41], s[26:27]
; %bb.752:                              ;   in Loop: Header=BB29_296 Depth=2
	v_or_b32_e32 v2, 0x10000, v1
	v_cmp_eq_u32_sdwa s[26:27], v1, v3 src0_sel:WORD_0 src1_sel:DWORD
	s_nop 1
	v_cndmask_b32_e64 v12, v2, v1, s[26:27]
; %bb.753:                              ;   in Loop: Header=BB29_296 Depth=2
	s_or_b64 exec, exec, s[40:41]
	v_and_b32_e32 v1, 0xffff0000, v13
	v_and_b32_e32 v2, 0xffff0000, v9
	v_max_f32_e32 v2, v2, v2
	v_max_f32_e32 v1, v1, v1
	v_min_f32_e32 v9, v1, v2
	v_max_f32_e32 v1, v1, v2
	v_cndmask_b32_e32 v1, v1, v9, vcc
	v_and_b32_e32 v2, 0x7f800000, v1
	v_cmp_ne_u32_e64 s[26:27], s97, v2
                                        ; implicit-def: $vgpr9
	s_and_saveexec_b64 s[40:41], s[26:27]
	s_xor_b64 s[26:27], exec, s[40:41]
; %bb.754:                              ;   in Loop: Header=BB29_296 Depth=2
	v_bfe_u32 v2, v1, 16, 1
	v_add3_u32 v9, v1, v2, s46
                                        ; implicit-def: $vgpr1
; %bb.755:                              ;   in Loop: Header=BB29_296 Depth=2
	s_andn2_saveexec_b64 s[40:41], s[26:27]
; %bb.756:                              ;   in Loop: Header=BB29_296 Depth=2
	v_or_b32_e32 v2, 0x10000, v1
	v_cmp_eq_u32_sdwa s[26:27], v1, v3 src0_sel:WORD_0 src1_sel:DWORD
	s_nop 1
	v_cndmask_b32_e64 v9, v2, v1, s[26:27]
; %bb.757:                              ;   in Loop: Header=BB29_296 Depth=2
	s_or_b64 exec, exec, s[40:41]
	v_lshlrev_b32_e32 v1, 16, v14
	v_lshlrev_b32_e32 v2, 16, v10
	v_max_f32_e32 v2, v2, v2
	v_max_f32_e32 v1, v1, v1
	v_min_f32_e32 v13, v1, v2
	v_max_f32_e32 v1, v1, v2
	v_cndmask_b32_e32 v1, v1, v13, vcc
	v_and_b32_e32 v2, 0x7f800000, v1
	v_cmp_ne_u32_e64 s[26:27], s97, v2
                                        ; implicit-def: $vgpr13
	s_and_saveexec_b64 s[40:41], s[26:27]
	s_xor_b64 s[26:27], exec, s[40:41]
; %bb.758:                              ;   in Loop: Header=BB29_296 Depth=2
	v_bfe_u32 v2, v1, 16, 1
	v_add3_u32 v13, v1, v2, s46
                                        ; implicit-def: $vgpr1
; %bb.759:                              ;   in Loop: Header=BB29_296 Depth=2
	s_andn2_saveexec_b64 s[40:41], s[26:27]
; %bb.760:                              ;   in Loop: Header=BB29_296 Depth=2
	v_or_b32_e32 v2, 0x10000, v1
	v_cmp_eq_u32_sdwa s[26:27], v1, v3 src0_sel:WORD_0 src1_sel:DWORD
	s_nop 1
	v_cndmask_b32_e64 v13, v2, v1, s[26:27]
; %bb.761:                              ;   in Loop: Header=BB29_296 Depth=2
	s_or_b64 exec, exec, s[40:41]
	v_and_b32_e32 v1, 0xffff0000, v14
	v_and_b32_e32 v2, 0xffff0000, v10
	v_max_f32_e32 v2, v2, v2
	v_max_f32_e32 v1, v1, v1
	v_min_f32_e32 v10, v1, v2
	v_max_f32_e32 v1, v1, v2
	v_cndmask_b32_e32 v1, v1, v10, vcc
	v_and_b32_e32 v2, 0x7f800000, v1
	v_cmp_ne_u32_e64 s[26:27], s97, v2
                                        ; implicit-def: $vgpr10
	s_and_saveexec_b64 s[40:41], s[26:27]
	s_xor_b64 s[26:27], exec, s[40:41]
; %bb.762:                              ;   in Loop: Header=BB29_296 Depth=2
	v_bfe_u32 v2, v1, 16, 1
	v_add3_u32 v10, v1, v2, s46
                                        ; implicit-def: $vgpr1
; %bb.763:                              ;   in Loop: Header=BB29_296 Depth=2
	s_andn2_saveexec_b64 s[40:41], s[26:27]
; %bb.764:                              ;   in Loop: Header=BB29_296 Depth=2
	v_or_b32_e32 v2, 0x10000, v1
	v_cmp_eq_u32_sdwa s[26:27], v1, v3 src0_sel:WORD_0 src1_sel:DWORD
	s_nop 1
	v_cndmask_b32_e64 v10, v2, v1, s[26:27]
; %bb.765:                              ;   in Loop: Header=BB29_296 Depth=2
	s_or_b64 exec, exec, s[40:41]
	v_lshlrev_b32_e32 v1, 16, v15
	v_lshlrev_b32_e32 v2, 16, v11
	v_max_f32_e32 v2, v2, v2
	v_max_f32_e32 v1, v1, v1
	v_min_f32_e32 v14, v1, v2
	v_max_f32_e32 v1, v1, v2
	v_cndmask_b32_e32 v14, v1, v14, vcc
	v_and_b32_e32 v1, 0x7f800000, v14
	v_cmp_ne_u32_e64 s[26:27], s97, v1
                                        ; implicit-def: $vgpr1
	s_and_saveexec_b64 s[40:41], s[26:27]
	s_xor_b64 s[26:27], exec, s[40:41]
; %bb.766:                              ;   in Loop: Header=BB29_296 Depth=2
	v_bfe_u32 v1, v14, 16, 1
	v_add3_u32 v1, v14, v1, s46
                                        ; implicit-def: $vgpr14
; %bb.767:                              ;   in Loop: Header=BB29_296 Depth=2
	s_andn2_saveexec_b64 s[40:41], s[26:27]
; %bb.768:                              ;   in Loop: Header=BB29_296 Depth=2
	v_or_b32_e32 v1, 0x10000, v14
	v_cmp_eq_u32_sdwa s[26:27], v14, v3 src0_sel:WORD_0 src1_sel:DWORD
	s_nop 1
	v_cndmask_b32_e64 v1, v1, v14, s[26:27]
; %bb.769:                              ;   in Loop: Header=BB29_296 Depth=2
	s_or_b64 exec, exec, s[40:41]
	v_and_b32_e32 v2, 0xffff0000, v15
	v_and_b32_e32 v11, 0xffff0000, v11
	v_max_f32_e32 v11, v11, v11
	v_max_f32_e32 v2, v2, v2
	v_min_f32_e32 v14, v2, v11
	v_max_f32_e32 v2, v2, v11
	v_cndmask_b32_e32 v14, v2, v14, vcc
	v_and_b32_e32 v2, 0x7f800000, v14
	v_cmp_ne_u32_e32 vcc, s97, v2
                                        ; implicit-def: $vgpr11
	s_and_saveexec_b64 s[26:27], vcc
	s_xor_b64 s[26:27], exec, s[26:27]
; %bb.770:                              ;   in Loop: Header=BB29_296 Depth=2
	v_bfe_u32 v2, v14, 16, 1
	v_add3_u32 v11, v14, v2, s46
                                        ; implicit-def: $vgpr14
; %bb.771:                              ;   in Loop: Header=BB29_296 Depth=2
	s_andn2_saveexec_b64 s[26:27], s[26:27]
; %bb.772:                              ;   in Loop: Header=BB29_296 Depth=2
	v_or_b32_e32 v2, 0x10000, v14
	v_cmp_eq_u32_sdwa vcc, v14, v3 src0_sel:WORD_0 src1_sel:DWORD
	s_nop 1
	v_cndmask_b32_e32 v11, v2, v14, vcc
; %bb.773:                              ;   in Loop: Header=BB29_296 Depth=2
	s_or_b64 exec, exec, s[26:27]
	v_lshrrev_b32_e32 v2, 16, v24
	v_and_or_b32 v15, v17, s47, v2
	v_lshrrev_b32_e32 v2, 16, v36
	v_lshrrev_b32_e32 v0, 16, v0
	v_and_or_b32 v14, v16, s47, v2
	v_and_or_b32 v16, v18, s47, v0
	v_lshrrev_b32_e32 v0, 16, v25
	v_and_or_b32 v17, v19, s47, v0
	v_lshrrev_b32_e32 v0, 16, v30
	;; [unrolled: 2-line block ×13, first 2 shown]
	v_and_or_b32 v9, v11, s47, v0
	global_store_dwordx4 v[4:5], v[22:25], off
	global_store_dwordx4 v[4:5], v[18:21], off offset:1024
	global_store_dwordx4 v[4:5], v[14:17], off offset:2048
	global_store_dwordx4 v[4:5], v[6:9], off offset:3072
.LBB29_774:                             ;   in Loop: Header=BB29_296 Depth=2
	s_or_b64 exec, exec, s[28:29]
	s_waitcnt vmcnt(0)
	v_lshlrev_b32_e32 v20, 12, v53
	v_cmp_ne_u32_e32 vcc, v29, v20
                                        ; implicit-def: $vgpr12
                                        ; implicit-def: $vgpr0
                                        ; implicit-def: $vgpr13
	s_and_saveexec_b64 s[34:35], vcc
	s_cbranch_execz .LBB29_889
; %bb.775:                              ;   in Loop: Header=BB29_296 Depth=2
	scratch_load_dword v2, off, s33 offset:320 ; 4-byte Folded Reload
	v_lshlrev_b32_e32 v1, 6, v118
	v_sub_u32_e32 v0, v29, v20
	s_mov_b64 s[28:29], 0
	s_waitcnt vmcnt(0)
	v_and_b32_e32 v2, 63, v2
	v_sub_u32_e32 v1, v2, v1
	v_ashrrev_i32_e32 v2, 31, v1
	v_lshrrev_b32_e32 v2, 26, v2
	v_add_u32_e32 v2, v1, v2
	v_ashrrev_i32_e32 v4, 6, v2
	v_and_b32_e32 v2, 0xffffffc0, v2
	v_sub_u32_e32 v21, v1, v2
	v_lshlrev_b32_e32 v1, 4, v21
	v_lshl_add_u32 v1, v4, 10, v1
	v_add_u32_e32 v8, v1, v20
	v_sub_u32_e32 v25, v0, v1
	v_ashrrev_i32_e32 v1, 31, v0
	v_lshrrev_b32_e32 v1, 22, v1
	v_add_u32_e32 v1, v0, v1
	v_and_b32_e32 v22, 0xfffffc00, v1
	v_sub_u32_e32 v23, v0, v22
	v_ashrrev_i32_e32 v2, 10, v1
	v_cmp_lt_i32_e64 s[26:27], 15, v23
	v_ashrrev_i32_e32 v9, 31, v8
	s_nop 0
	v_addc_co_u32_e64 v0, vcc, 0, v2, s[26:27]
	v_sub_u32_e32 v24, v0, v4
	v_lshl_add_u64 v[4:5], v[8:9], 0, v[72:73]
	v_cmp_lt_i32_e32 vcc, 15, v25
	s_and_saveexec_b64 s[36:37], vcc
	s_cbranch_execz .LBB29_852
; %bb.776:                              ;   in Loop: Header=BB29_296 Depth=2
	s_trap 2
	ds_read_b64 v[0:1], v0
	s_and_b32 s13, 0xffff, s45
	s_cmp_eq_u32 s13, 0
	v_lshl_add_u64 v[16:17], v[8:9], 0, v[62:63]
	s_mov_b64 s[50:51], 0
	s_waitcnt lgkmcnt(0)
	v_lshl_add_u64 v[18:19], v[0:1], 0, v[8:9]
	s_mov_b64 s[38:39], 0
	s_cselect_b64 s[28:29], -1, 0
                                        ; implicit-def: $sgpr48_sgpr49
	s_branch .LBB29_778
.LBB29_777:                             ;   in Loop: Header=BB29_778 Depth=3
	s_or_b64 exec, exec, s[40:41]
	v_cmp_gt_i32_e32 vcc, 16, v25
	s_or_b64 s[38:39], vcc, s[38:39]
	s_andn2_b64 s[40:41], s[48:49], exec
	s_and_b64 s[42:43], s[50:51], exec
	s_or_b64 s[48:49], s[40:41], s[42:43]
	s_andn2_b64 exec, exec, s[38:39]
	s_cbranch_execz .LBB29_851
.LBB29_778:                             ;   Parent Loop BB29_47 Depth=1
                                        ;     Parent Loop BB29_296 Depth=2
                                        ; =>    This Loop Header: Depth=3
                                        ;         Child Loop BB29_779 Depth 4
                                        ;         Child Loop BB29_816 Depth 4
	s_add_i32 s40, s33, 0xc0
	s_mov_b32 s13, s40
	s_mov_b64 s[52:53], -1
	s_mov_b64 s[54:55], 0
.LBB29_779:                             ;   Parent Loop BB29_47 Depth=1
                                        ;     Parent Loop BB29_296 Depth=2
                                        ;       Parent Loop BB29_778 Depth=3
                                        ; =>      This Inner Loop Header: Depth=4
	s_cmp_eq_u32 s54, 1
	s_cselect_b64 vcc, -1, 0
	v_cndmask_b32_e32 v1, v17, v19, vcc
	v_cndmask_b32_e32 v0, v16, v18, vcc
	global_load_dwordx4 v[6:9], v[0:1], off nt
	s_cmp_eq_u32 s54, 0
	v_lshl_add_u64 v[0:1], v[0:1], 0, s[60:61]
	s_cselect_b64 s[40:41], -1, 0
	s_and_b64 s[42:43], exec, s[52:53]
	s_mov_b64 s[54:55], 1
	s_mov_b64 s[52:53], 0
	v_cndmask_b32_e64 v17, v17, v1, s[40:41]
	v_cndmask_b32_e64 v16, v16, v0, s[40:41]
	v_cndmask_b32_e32 v19, v19, v1, vcc
	v_cndmask_b32_e32 v18, v18, v0, vcc
	s_mov_b64 vcc, s[42:43]
	s_waitcnt vmcnt(0)
	scratch_store_dwordx4 off, v[6:9], s13
	s_mov_b32 s13, s71
	s_cbranch_vccnz .LBB29_779
; %bb.780:                              ;   in Loop: Header=BB29_778 Depth=3
	s_and_saveexec_b64 s[40:41], s[50:51]
	s_cbranch_execz .LBB29_814
; %bb.781:                              ;   in Loop: Header=BB29_778 Depth=3
	scratch_load_dwordx4 v[8:11], off, s33 offset:224
	scratch_load_dwordx4 v[12:15], off, s33 offset:240
	s_waitcnt vmcnt(1)
	v_lshlrev_b32_e32 v0, 16, v8
	s_waitcnt vmcnt(0)
	v_lshlrev_b32_e32 v1, 16, v12
	v_max_f32_e32 v1, v1, v1
	v_max_f32_e32 v0, v0, v0
	v_min_f32_e32 v2, v0, v1
	v_max_f32_e32 v0, v0, v1
	v_cndmask_b32_e64 v1, v0, v2, s[28:29]
	v_and_b32_e32 v0, 0x7f800000, v1
	v_cmp_ne_u32_e32 vcc, s97, v0
                                        ; implicit-def: $vgpr0
	s_and_saveexec_b64 s[42:43], vcc
	s_xor_b64 s[42:43], exec, s[42:43]
; %bb.782:                              ;   in Loop: Header=BB29_778 Depth=3
	v_bfe_u32 v0, v1, 16, 1
	v_add3_u32 v0, v1, v0, s46
                                        ; implicit-def: $vgpr1
; %bb.783:                              ;   in Loop: Header=BB29_778 Depth=3
	s_andn2_saveexec_b64 s[42:43], s[42:43]
; %bb.784:                              ;   in Loop: Header=BB29_778 Depth=3
	v_or_b32_e32 v0, 0x10000, v1
	v_cmp_eq_u32_sdwa vcc, v1, v3 src0_sel:WORD_0 src1_sel:DWORD
	s_nop 1
	v_cndmask_b32_e32 v0, v0, v1, vcc
; %bb.785:                              ;   in Loop: Header=BB29_778 Depth=3
	s_or_b64 exec, exec, s[42:43]
	v_and_b32_e32 v1, 0xffff0000, v8
	v_and_b32_e32 v2, 0xffff0000, v12
	v_max_f32_e32 v2, v2, v2
	v_max_f32_e32 v1, v1, v1
	v_min_f32_e32 v6, v1, v2
	v_max_f32_e32 v1, v1, v2
	v_cndmask_b32_e64 v1, v1, v6, s[28:29]
	v_and_b32_e32 v2, 0x7f800000, v1
	v_cmp_ne_u32_e32 vcc, s97, v2
                                        ; implicit-def: $vgpr6
	s_and_saveexec_b64 s[42:43], vcc
	s_xor_b64 s[42:43], exec, s[42:43]
; %bb.786:                              ;   in Loop: Header=BB29_778 Depth=3
	v_bfe_u32 v2, v1, 16, 1
	v_add3_u32 v6, v1, v2, s46
                                        ; implicit-def: $vgpr1
; %bb.787:                              ;   in Loop: Header=BB29_778 Depth=3
	s_andn2_saveexec_b64 s[42:43], s[42:43]
; %bb.788:                              ;   in Loop: Header=BB29_778 Depth=3
	v_or_b32_e32 v2, 0x10000, v1
	v_cmp_eq_u32_sdwa vcc, v1, v3 src0_sel:WORD_0 src1_sel:DWORD
	s_nop 1
	v_cndmask_b32_e32 v6, v2, v1, vcc
; %bb.789:                              ;   in Loop: Header=BB29_778 Depth=3
	s_or_b64 exec, exec, s[42:43]
	v_lshlrev_b32_e32 v1, 16, v9
	v_lshlrev_b32_e32 v2, 16, v13
	v_max_f32_e32 v2, v2, v2
	v_max_f32_e32 v1, v1, v1
	v_min_f32_e32 v7, v1, v2
	v_max_f32_e32 v1, v1, v2
	v_cndmask_b32_e64 v1, v1, v7, s[28:29]
	v_and_b32_e32 v2, 0x7f800000, v1
	v_cmp_ne_u32_e32 vcc, s97, v2
                                        ; implicit-def: $vgpr7
	s_and_saveexec_b64 s[42:43], vcc
	s_xor_b64 s[42:43], exec, s[42:43]
; %bb.790:                              ;   in Loop: Header=BB29_778 Depth=3
	v_bfe_u32 v2, v1, 16, 1
	v_add3_u32 v7, v1, v2, s46
                                        ; implicit-def: $vgpr1
; %bb.791:                              ;   in Loop: Header=BB29_778 Depth=3
	s_andn2_saveexec_b64 s[42:43], s[42:43]
; %bb.792:                              ;   in Loop: Header=BB29_778 Depth=3
	v_or_b32_e32 v2, 0x10000, v1
	v_cmp_eq_u32_sdwa vcc, v1, v3 src0_sel:WORD_0 src1_sel:DWORD
	s_nop 1
	v_cndmask_b32_e32 v7, v2, v1, vcc
; %bb.793:                              ;   in Loop: Header=BB29_778 Depth=3
	s_or_b64 exec, exec, s[42:43]
	v_and_b32_e32 v1, 0xffff0000, v9
	v_and_b32_e32 v2, 0xffff0000, v13
	v_max_f32_e32 v2, v2, v2
	v_max_f32_e32 v1, v1, v1
	v_min_f32_e32 v8, v1, v2
	v_max_f32_e32 v1, v1, v2
	v_cndmask_b32_e64 v1, v1, v8, s[28:29]
	v_and_b32_e32 v2, 0x7f800000, v1
	v_cmp_ne_u32_e32 vcc, s97, v2
                                        ; implicit-def: $vgpr8
	s_and_saveexec_b64 s[42:43], vcc
	s_xor_b64 s[42:43], exec, s[42:43]
; %bb.794:                              ;   in Loop: Header=BB29_778 Depth=3
	v_bfe_u32 v2, v1, 16, 1
	v_add3_u32 v8, v1, v2, s46
                                        ; implicit-def: $vgpr1
; %bb.795:                              ;   in Loop: Header=BB29_778 Depth=3
	s_andn2_saveexec_b64 s[42:43], s[42:43]
; %bb.796:                              ;   in Loop: Header=BB29_778 Depth=3
	v_or_b32_e32 v2, 0x10000, v1
	v_cmp_eq_u32_sdwa vcc, v1, v3 src0_sel:WORD_0 src1_sel:DWORD
	s_nop 1
	v_cndmask_b32_e32 v8, v2, v1, vcc
; %bb.797:                              ;   in Loop: Header=BB29_778 Depth=3
	s_or_b64 exec, exec, s[42:43]
	v_lshlrev_b32_e32 v1, 16, v10
	v_lshlrev_b32_e32 v2, 16, v14
	v_max_f32_e32 v2, v2, v2
	v_max_f32_e32 v1, v1, v1
	v_min_f32_e32 v9, v1, v2
	v_max_f32_e32 v1, v1, v2
	v_cndmask_b32_e64 v1, v1, v9, s[28:29]
	v_and_b32_e32 v2, 0x7f800000, v1
	v_cmp_ne_u32_e32 vcc, s97, v2
                                        ; implicit-def: $vgpr9
	s_and_saveexec_b64 s[42:43], vcc
	s_xor_b64 s[42:43], exec, s[42:43]
; %bb.798:                              ;   in Loop: Header=BB29_778 Depth=3
	v_bfe_u32 v2, v1, 16, 1
	v_add3_u32 v9, v1, v2, s46
                                        ; implicit-def: $vgpr1
; %bb.799:                              ;   in Loop: Header=BB29_778 Depth=3
	s_andn2_saveexec_b64 s[42:43], s[42:43]
; %bb.800:                              ;   in Loop: Header=BB29_778 Depth=3
	v_or_b32_e32 v2, 0x10000, v1
	v_cmp_eq_u32_sdwa vcc, v1, v3 src0_sel:WORD_0 src1_sel:DWORD
	s_nop 1
	v_cndmask_b32_e32 v9, v2, v1, vcc
; %bb.801:                              ;   in Loop: Header=BB29_778 Depth=3
	s_or_b64 exec, exec, s[42:43]
	v_and_b32_e32 v1, 0xffff0000, v10
	v_and_b32_e32 v2, 0xffff0000, v14
	v_max_f32_e32 v2, v2, v2
	v_max_f32_e32 v1, v1, v1
	v_min_f32_e32 v10, v1, v2
	v_max_f32_e32 v1, v1, v2
	v_cndmask_b32_e64 v10, v1, v10, s[28:29]
	v_and_b32_e32 v1, 0x7f800000, v10
	v_cmp_ne_u32_e32 vcc, s97, v1
                                        ; implicit-def: $vgpr1
	s_and_saveexec_b64 s[42:43], vcc
	s_xor_b64 s[42:43], exec, s[42:43]
; %bb.802:                              ;   in Loop: Header=BB29_778 Depth=3
	v_bfe_u32 v1, v10, 16, 1
	v_add3_u32 v1, v10, v1, s46
                                        ; implicit-def: $vgpr10
; %bb.803:                              ;   in Loop: Header=BB29_778 Depth=3
	s_andn2_saveexec_b64 s[42:43], s[42:43]
; %bb.804:                              ;   in Loop: Header=BB29_778 Depth=3
	v_or_b32_e32 v1, 0x10000, v10
	v_cmp_eq_u32_sdwa vcc, v10, v3 src0_sel:WORD_0 src1_sel:DWORD
	s_nop 1
	v_cndmask_b32_e32 v1, v1, v10, vcc
; %bb.805:                              ;   in Loop: Header=BB29_778 Depth=3
	s_or_b64 exec, exec, s[42:43]
	v_lshlrev_b32_e32 v2, 16, v11
	v_lshlrev_b32_e32 v10, 16, v15
	v_max_f32_e32 v10, v10, v10
	v_max_f32_e32 v2, v2, v2
	v_min_f32_e32 v12, v2, v10
	v_max_f32_e32 v2, v2, v10
	v_cndmask_b32_e64 v12, v2, v12, s[28:29]
	v_and_b32_e32 v2, 0x7f800000, v12
	v_cmp_ne_u32_e32 vcc, s97, v2
                                        ; implicit-def: $vgpr10
	s_and_saveexec_b64 s[42:43], vcc
	s_xor_b64 s[42:43], exec, s[42:43]
; %bb.806:                              ;   in Loop: Header=BB29_778 Depth=3
	v_bfe_u32 v2, v12, 16, 1
	v_add3_u32 v10, v12, v2, s46
                                        ; implicit-def: $vgpr12
; %bb.807:                              ;   in Loop: Header=BB29_778 Depth=3
	s_andn2_saveexec_b64 s[42:43], s[42:43]
; %bb.808:                              ;   in Loop: Header=BB29_778 Depth=3
	v_or_b32_e32 v2, 0x10000, v12
	v_cmp_eq_u32_sdwa vcc, v12, v3 src0_sel:WORD_0 src1_sel:DWORD
	s_nop 1
	v_cndmask_b32_e32 v10, v2, v12, vcc
; %bb.809:                              ;   in Loop: Header=BB29_778 Depth=3
	s_or_b64 exec, exec, s[42:43]
	v_and_b32_e32 v2, 0xffff0000, v11
	v_and_b32_e32 v11, 0xffff0000, v15
	v_max_f32_e32 v11, v11, v11
	v_max_f32_e32 v2, v2, v2
	v_min_f32_e32 v12, v2, v11
	v_max_f32_e32 v2, v2, v11
	v_cndmask_b32_e64 v12, v2, v12, s[28:29]
	v_and_b32_e32 v2, 0x7f800000, v12
	v_cmp_ne_u32_e32 vcc, s97, v2
                                        ; implicit-def: $vgpr11
	s_and_saveexec_b64 s[42:43], vcc
	s_xor_b64 s[42:43], exec, s[42:43]
; %bb.810:                              ;   in Loop: Header=BB29_778 Depth=3
	v_bfe_u32 v2, v12, 16, 1
	v_add3_u32 v11, v12, v2, s46
                                        ; implicit-def: $vgpr12
; %bb.811:                              ;   in Loop: Header=BB29_778 Depth=3
	s_andn2_saveexec_b64 s[42:43], s[42:43]
; %bb.812:                              ;   in Loop: Header=BB29_778 Depth=3
	v_or_b32_e32 v2, 0x10000, v12
	v_cmp_eq_u32_sdwa vcc, v12, v3 src0_sel:WORD_0 src1_sel:DWORD
	s_nop 1
	v_cndmask_b32_e32 v11, v2, v12, vcc
; %bb.813:                              ;   in Loop: Header=BB29_778 Depth=3
	s_or_b64 exec, exec, s[42:43]
	v_lshrrev_b32_e32 v0, 16, v0
	v_lshrrev_b32_e32 v2, 16, v7
	v_and_or_b32 v6, v6, s47, v0
	v_lshrrev_b32_e32 v0, 16, v9
	v_and_or_b32 v7, v8, s47, v2
	v_and_or_b32 v8, v1, s47, v0
	v_lshrrev_b32_e32 v0, 16, v10
	v_and_or_b32 v9, v11, s47, v0
	scratch_store_dwordx4 off, v[6:9], s33 offset:224
	global_store_dwordx4 v[4:5], v[6:9], off
	scratch_load_dwordx2 v[0:1], off, s33 offset:264 ; 8-byte Folded Reload
	s_waitcnt vmcnt(0)
	v_lshl_add_u64 v[4:5], v[0:1], 0, v[4:5]
.LBB29_814:                             ;   in Loop: Header=BB29_778 Depth=3
	s_or_b64 exec, exec, s[40:41]
	v_lshlrev_b32_e32 v0, 10, v60
	v_sub_u32_e32 v25, v25, v0
	v_lshl_add_u64 v[16:17], v[16:17], 0, v[90:91]
	v_lshl_add_u64 v[18:19], v[18:19], 0, v[90:91]
	v_cmp_lt_i32_e64 s[50:51], 15, v25
	s_and_saveexec_b64 s[42:43], s[50:51]
	s_cbranch_execz .LBB29_817
; %bb.815:                              ;   in Loop: Header=BB29_778 Depth=3
	s_add_i32 s40, s33, 0xe0
	s_mov_b32 s13, s40
	s_mov_b64 s[40:41], 0
	s_mov_b64 s[52:53], -1
.LBB29_816:                             ;   Parent Loop BB29_47 Depth=1
                                        ;     Parent Loop BB29_296 Depth=2
                                        ;       Parent Loop BB29_778 Depth=3
                                        ; =>      This Inner Loop Header: Depth=4
	s_cmp_eq_u32 s40, 1
	s_cselect_b64 vcc, -1, 0
	v_cndmask_b32_e32 v1, v17, v19, vcc
	v_cndmask_b32_e32 v0, v16, v18, vcc
	global_load_dwordx4 v[6:9], v[0:1], off nt
	s_cmp_eq_u32 s40, 0
	v_lshl_add_u64 v[0:1], v[0:1], 0, s[60:61]
	s_cselect_b64 s[40:41], -1, 0
	v_cndmask_b32_e64 v17, v17, v1, s[40:41]
	v_cndmask_b32_e64 v16, v16, v0, s[40:41]
	v_cndmask_b32_e32 v19, v19, v1, vcc
	v_cndmask_b32_e32 v18, v18, v0, vcc
	s_mov_b64 s[40:41], 1
	s_and_b64 vcc, exec, s[52:53]
	s_mov_b64 s[52:53], 0
	s_waitcnt vmcnt(0)
	scratch_store_dwordx4 off, v[6:9], s13
	s_mov_b32 s13, s70
	s_cbranch_vccnz .LBB29_816
.LBB29_817:                             ;   in Loop: Header=BB29_778 Depth=3
	s_or_b64 exec, exec, s[42:43]
	scratch_load_dwordx4 v[8:11], off, s33 offset:192
	scratch_load_dwordx4 v[12:15], off, s33 offset:208
	s_waitcnt vmcnt(1)
	v_lshlrev_b32_e32 v0, 16, v8
	s_waitcnt vmcnt(0)
	v_lshlrev_b32_e32 v1, 16, v12
	v_max_f32_e32 v1, v1, v1
	v_max_f32_e32 v0, v0, v0
	v_min_f32_e32 v2, v0, v1
	v_max_f32_e32 v0, v0, v1
	v_cndmask_b32_e64 v1, v0, v2, s[28:29]
	v_and_b32_e32 v0, 0x7f800000, v1
	v_cmp_ne_u32_e32 vcc, s97, v0
                                        ; implicit-def: $vgpr0
	s_and_saveexec_b64 s[40:41], vcc
	s_xor_b64 s[40:41], exec, s[40:41]
; %bb.818:                              ;   in Loop: Header=BB29_778 Depth=3
	v_bfe_u32 v0, v1, 16, 1
	v_add3_u32 v0, v1, v0, s46
                                        ; implicit-def: $vgpr1
; %bb.819:                              ;   in Loop: Header=BB29_778 Depth=3
	s_andn2_saveexec_b64 s[40:41], s[40:41]
; %bb.820:                              ;   in Loop: Header=BB29_778 Depth=3
	v_or_b32_e32 v0, 0x10000, v1
	v_cmp_eq_u32_sdwa vcc, v1, v3 src0_sel:WORD_0 src1_sel:DWORD
	s_nop 1
	v_cndmask_b32_e32 v0, v0, v1, vcc
; %bb.821:                              ;   in Loop: Header=BB29_778 Depth=3
	s_or_b64 exec, exec, s[40:41]
	v_and_b32_e32 v1, 0xffff0000, v8
	v_and_b32_e32 v2, 0xffff0000, v12
	v_max_f32_e32 v2, v2, v2
	v_max_f32_e32 v1, v1, v1
	v_min_f32_e32 v6, v1, v2
	v_max_f32_e32 v1, v1, v2
	v_cndmask_b32_e64 v1, v1, v6, s[28:29]
	v_and_b32_e32 v2, 0x7f800000, v1
	v_cmp_ne_u32_e32 vcc, s97, v2
                                        ; implicit-def: $vgpr6
	s_and_saveexec_b64 s[40:41], vcc
	s_xor_b64 s[40:41], exec, s[40:41]
; %bb.822:                              ;   in Loop: Header=BB29_778 Depth=3
	v_bfe_u32 v2, v1, 16, 1
	v_add3_u32 v6, v1, v2, s46
                                        ; implicit-def: $vgpr1
; %bb.823:                              ;   in Loop: Header=BB29_778 Depth=3
	s_andn2_saveexec_b64 s[40:41], s[40:41]
; %bb.824:                              ;   in Loop: Header=BB29_778 Depth=3
	v_or_b32_e32 v2, 0x10000, v1
	v_cmp_eq_u32_sdwa vcc, v1, v3 src0_sel:WORD_0 src1_sel:DWORD
	s_nop 1
	v_cndmask_b32_e32 v6, v2, v1, vcc
; %bb.825:                              ;   in Loop: Header=BB29_778 Depth=3
	s_or_b64 exec, exec, s[40:41]
	v_lshlrev_b32_e32 v1, 16, v9
	v_lshlrev_b32_e32 v2, 16, v13
	v_max_f32_e32 v2, v2, v2
	v_max_f32_e32 v1, v1, v1
	v_min_f32_e32 v7, v1, v2
	v_max_f32_e32 v1, v1, v2
	v_cndmask_b32_e64 v1, v1, v7, s[28:29]
	v_and_b32_e32 v2, 0x7f800000, v1
	v_cmp_ne_u32_e32 vcc, s97, v2
                                        ; implicit-def: $vgpr7
	s_and_saveexec_b64 s[40:41], vcc
	s_xor_b64 s[40:41], exec, s[40:41]
; %bb.826:                              ;   in Loop: Header=BB29_778 Depth=3
	v_bfe_u32 v2, v1, 16, 1
	v_add3_u32 v7, v1, v2, s46
                                        ; implicit-def: $vgpr1
; %bb.827:                              ;   in Loop: Header=BB29_778 Depth=3
	s_andn2_saveexec_b64 s[40:41], s[40:41]
; %bb.828:                              ;   in Loop: Header=BB29_778 Depth=3
	v_or_b32_e32 v2, 0x10000, v1
	v_cmp_eq_u32_sdwa vcc, v1, v3 src0_sel:WORD_0 src1_sel:DWORD
	s_nop 1
	v_cndmask_b32_e32 v7, v2, v1, vcc
; %bb.829:                              ;   in Loop: Header=BB29_778 Depth=3
	s_or_b64 exec, exec, s[40:41]
	v_and_b32_e32 v1, 0xffff0000, v9
	v_and_b32_e32 v2, 0xffff0000, v13
	v_max_f32_e32 v2, v2, v2
	v_max_f32_e32 v1, v1, v1
	v_min_f32_e32 v8, v1, v2
	v_max_f32_e32 v1, v1, v2
	v_cndmask_b32_e64 v1, v1, v8, s[28:29]
	v_and_b32_e32 v2, 0x7f800000, v1
	v_cmp_ne_u32_e32 vcc, s97, v2
                                        ; implicit-def: $vgpr8
	s_and_saveexec_b64 s[40:41], vcc
	s_xor_b64 s[40:41], exec, s[40:41]
; %bb.830:                              ;   in Loop: Header=BB29_778 Depth=3
	v_bfe_u32 v2, v1, 16, 1
	v_add3_u32 v8, v1, v2, s46
                                        ; implicit-def: $vgpr1
; %bb.831:                              ;   in Loop: Header=BB29_778 Depth=3
	s_andn2_saveexec_b64 s[40:41], s[40:41]
; %bb.832:                              ;   in Loop: Header=BB29_778 Depth=3
	v_or_b32_e32 v2, 0x10000, v1
	v_cmp_eq_u32_sdwa vcc, v1, v3 src0_sel:WORD_0 src1_sel:DWORD
	s_nop 1
	v_cndmask_b32_e32 v8, v2, v1, vcc
; %bb.833:                              ;   in Loop: Header=BB29_778 Depth=3
	s_or_b64 exec, exec, s[40:41]
	v_lshlrev_b32_e32 v1, 16, v10
	v_lshlrev_b32_e32 v2, 16, v14
	v_max_f32_e32 v2, v2, v2
	v_max_f32_e32 v1, v1, v1
	v_min_f32_e32 v9, v1, v2
	v_max_f32_e32 v1, v1, v2
	v_cndmask_b32_e64 v1, v1, v9, s[28:29]
	v_and_b32_e32 v2, 0x7f800000, v1
	v_cmp_ne_u32_e32 vcc, s97, v2
                                        ; implicit-def: $vgpr9
	s_and_saveexec_b64 s[40:41], vcc
	s_xor_b64 s[40:41], exec, s[40:41]
; %bb.834:                              ;   in Loop: Header=BB29_778 Depth=3
	v_bfe_u32 v2, v1, 16, 1
	v_add3_u32 v9, v1, v2, s46
                                        ; implicit-def: $vgpr1
; %bb.835:                              ;   in Loop: Header=BB29_778 Depth=3
	s_andn2_saveexec_b64 s[40:41], s[40:41]
; %bb.836:                              ;   in Loop: Header=BB29_778 Depth=3
	v_or_b32_e32 v2, 0x10000, v1
	v_cmp_eq_u32_sdwa vcc, v1, v3 src0_sel:WORD_0 src1_sel:DWORD
	s_nop 1
	v_cndmask_b32_e32 v9, v2, v1, vcc
; %bb.837:                              ;   in Loop: Header=BB29_778 Depth=3
	s_or_b64 exec, exec, s[40:41]
	v_and_b32_e32 v1, 0xffff0000, v10
	v_and_b32_e32 v2, 0xffff0000, v14
	v_max_f32_e32 v2, v2, v2
	v_max_f32_e32 v1, v1, v1
	v_min_f32_e32 v10, v1, v2
	v_max_f32_e32 v1, v1, v2
	v_cndmask_b32_e64 v10, v1, v10, s[28:29]
	v_and_b32_e32 v1, 0x7f800000, v10
	v_cmp_ne_u32_e32 vcc, s97, v1
                                        ; implicit-def: $vgpr1
	s_and_saveexec_b64 s[40:41], vcc
	s_xor_b64 s[40:41], exec, s[40:41]
; %bb.838:                              ;   in Loop: Header=BB29_778 Depth=3
	v_bfe_u32 v1, v10, 16, 1
	v_add3_u32 v1, v10, v1, s46
                                        ; implicit-def: $vgpr10
; %bb.839:                              ;   in Loop: Header=BB29_778 Depth=3
	s_andn2_saveexec_b64 s[40:41], s[40:41]
; %bb.840:                              ;   in Loop: Header=BB29_778 Depth=3
	v_or_b32_e32 v1, 0x10000, v10
	v_cmp_eq_u32_sdwa vcc, v10, v3 src0_sel:WORD_0 src1_sel:DWORD
	s_nop 1
	v_cndmask_b32_e32 v1, v1, v10, vcc
; %bb.841:                              ;   in Loop: Header=BB29_778 Depth=3
	s_or_b64 exec, exec, s[40:41]
	v_lshlrev_b32_e32 v2, 16, v11
	v_lshlrev_b32_e32 v10, 16, v15
	v_max_f32_e32 v10, v10, v10
	v_max_f32_e32 v2, v2, v2
	v_min_f32_e32 v12, v2, v10
	v_max_f32_e32 v2, v2, v10
	v_cndmask_b32_e64 v12, v2, v12, s[28:29]
	v_and_b32_e32 v2, 0x7f800000, v12
	v_cmp_ne_u32_e32 vcc, s97, v2
                                        ; implicit-def: $vgpr10
	s_and_saveexec_b64 s[40:41], vcc
	s_xor_b64 s[40:41], exec, s[40:41]
; %bb.842:                              ;   in Loop: Header=BB29_778 Depth=3
	v_bfe_u32 v2, v12, 16, 1
	v_add3_u32 v10, v12, v2, s46
                                        ; implicit-def: $vgpr12
; %bb.843:                              ;   in Loop: Header=BB29_778 Depth=3
	s_andn2_saveexec_b64 s[40:41], s[40:41]
; %bb.844:                              ;   in Loop: Header=BB29_778 Depth=3
	v_or_b32_e32 v2, 0x10000, v12
	v_cmp_eq_u32_sdwa vcc, v12, v3 src0_sel:WORD_0 src1_sel:DWORD
	s_nop 1
	v_cndmask_b32_e32 v10, v2, v12, vcc
; %bb.845:                              ;   in Loop: Header=BB29_778 Depth=3
	s_or_b64 exec, exec, s[40:41]
	v_and_b32_e32 v2, 0xffff0000, v11
	v_and_b32_e32 v11, 0xffff0000, v15
	v_max_f32_e32 v11, v11, v11
	v_max_f32_e32 v2, v2, v2
	v_min_f32_e32 v12, v2, v11
	v_max_f32_e32 v2, v2, v11
	v_cndmask_b32_e64 v12, v2, v12, s[28:29]
	v_and_b32_e32 v2, 0x7f800000, v12
	v_cmp_ne_u32_e32 vcc, s97, v2
                                        ; implicit-def: $vgpr11
	s_and_saveexec_b64 s[40:41], vcc
	s_xor_b64 s[40:41], exec, s[40:41]
; %bb.846:                              ;   in Loop: Header=BB29_778 Depth=3
	v_bfe_u32 v2, v12, 16, 1
	v_add3_u32 v11, v12, v2, s46
                                        ; implicit-def: $vgpr12
; %bb.847:                              ;   in Loop: Header=BB29_778 Depth=3
	s_andn2_saveexec_b64 s[40:41], s[40:41]
; %bb.848:                              ;   in Loop: Header=BB29_778 Depth=3
	v_or_b32_e32 v2, 0x10000, v12
	v_cmp_eq_u32_sdwa vcc, v12, v3 src0_sel:WORD_0 src1_sel:DWORD
	s_nop 1
	v_cndmask_b32_e32 v11, v2, v12, vcc
; %bb.849:                              ;   in Loop: Header=BB29_778 Depth=3
	s_or_b64 exec, exec, s[40:41]
	v_lshrrev_b32_e32 v0, 16, v0
	v_lshrrev_b32_e32 v2, 16, v7
	v_and_or_b32 v6, v6, s47, v0
	v_lshrrev_b32_e32 v0, 16, v9
	v_and_or_b32 v7, v8, s47, v2
	v_and_or_b32 v8, v1, s47, v0
	v_lshrrev_b32_e32 v0, 16, v10
	v_and_or_b32 v9, v11, s47, v0
	v_sub_u32_e32 v24, v24, v60
	scratch_store_dwordx4 off, v[6:9], s33 offset:192
	global_store_dwordx4 v[4:5], v[6:9], off
	v_lshl_add_u64 v[4:5], v[4:5], 0, s[60:61]
	s_and_saveexec_b64 s[40:41], s[50:51]
	s_cbranch_execz .LBB29_777
; %bb.850:                              ;   in Loop: Header=BB29_778 Depth=3
	v_lshlrev_b32_e32 v0, 10, v60
	v_lshl_add_u64 v[16:17], v[16:17], 0, v[90:91]
	v_lshl_add_u64 v[18:19], v[18:19], 0, v[90:91]
	;; [unrolled: 1-line block ×3, first 2 shown]
	v_sub_u32_e32 v25, v25, v0
	v_sub_u32_e32 v24, v24, v60
	s_branch .LBB29_777
.LBB29_851:                             ;   in Loop: Header=BB29_296 Depth=2
	s_or_b64 exec, exec, s[38:39]
	s_and_b64 s[28:29], s[48:49], exec
.LBB29_852:                             ;   in Loop: Header=BB29_296 Depth=2
	s_or_b64 exec, exec, s[36:37]
	s_and_saveexec_b64 s[40:41], s[28:29]
	s_cbranch_execz .LBB29_886
; %bb.853:                              ;   in Loop: Header=BB29_296 Depth=2
	scratch_load_dwordx4 v[8:11], off, s33 offset:224
	scratch_load_dwordx4 v[12:15], off, s33 offset:240
	s_and_b32 s13, 0xffff, s45
	s_cmp_eq_u32 s13, 0
	s_cselect_b64 vcc, -1, 0
	s_waitcnt vmcnt(1)
	v_lshlrev_b32_e32 v0, 16, v8
	s_waitcnt vmcnt(0)
	v_lshlrev_b32_e32 v1, 16, v12
	v_max_f32_e32 v1, v1, v1
	v_max_f32_e32 v0, v0, v0
	v_min_f32_e32 v2, v0, v1
	v_max_f32_e32 v0, v0, v1
	v_cndmask_b32_e32 v1, v0, v2, vcc
	v_and_b32_e32 v0, 0x7f800000, v1
	v_cmp_ne_u32_e64 s[28:29], s97, v0
                                        ; implicit-def: $vgpr0
	s_and_saveexec_b64 s[42:43], s[28:29]
	s_xor_b64 s[28:29], exec, s[42:43]
; %bb.854:                              ;   in Loop: Header=BB29_296 Depth=2
	v_bfe_u32 v0, v1, 16, 1
	v_add3_u32 v0, v1, v0, s46
                                        ; implicit-def: $vgpr1
; %bb.855:                              ;   in Loop: Header=BB29_296 Depth=2
	s_andn2_saveexec_b64 s[42:43], s[28:29]
; %bb.856:                              ;   in Loop: Header=BB29_296 Depth=2
	v_or_b32_e32 v0, 0x10000, v1
	v_cmp_eq_u32_sdwa s[28:29], v1, v3 src0_sel:WORD_0 src1_sel:DWORD
	s_nop 1
	v_cndmask_b32_e64 v0, v0, v1, s[28:29]
; %bb.857:                              ;   in Loop: Header=BB29_296 Depth=2
	s_or_b64 exec, exec, s[42:43]
	v_and_b32_e32 v1, 0xffff0000, v8
	v_and_b32_e32 v2, 0xffff0000, v12
	v_max_f32_e32 v2, v2, v2
	v_max_f32_e32 v1, v1, v1
	v_min_f32_e32 v6, v1, v2
	v_max_f32_e32 v1, v1, v2
	v_cndmask_b32_e32 v1, v1, v6, vcc
	v_and_b32_e32 v2, 0x7f800000, v1
	v_cmp_ne_u32_e64 s[28:29], s97, v2
                                        ; implicit-def: $vgpr6
	s_and_saveexec_b64 s[42:43], s[28:29]
	s_xor_b64 s[28:29], exec, s[42:43]
; %bb.858:                              ;   in Loop: Header=BB29_296 Depth=2
	v_bfe_u32 v2, v1, 16, 1
	v_add3_u32 v6, v1, v2, s46
                                        ; implicit-def: $vgpr1
; %bb.859:                              ;   in Loop: Header=BB29_296 Depth=2
	s_andn2_saveexec_b64 s[42:43], s[28:29]
; %bb.860:                              ;   in Loop: Header=BB29_296 Depth=2
	v_or_b32_e32 v2, 0x10000, v1
	v_cmp_eq_u32_sdwa s[28:29], v1, v3 src0_sel:WORD_0 src1_sel:DWORD
	s_nop 1
	v_cndmask_b32_e64 v6, v2, v1, s[28:29]
; %bb.861:                              ;   in Loop: Header=BB29_296 Depth=2
	s_or_b64 exec, exec, s[42:43]
	v_lshlrev_b32_e32 v1, 16, v9
	v_lshlrev_b32_e32 v2, 16, v13
	v_max_f32_e32 v2, v2, v2
	v_max_f32_e32 v1, v1, v1
	v_min_f32_e32 v7, v1, v2
	v_max_f32_e32 v1, v1, v2
	v_cndmask_b32_e32 v1, v1, v7, vcc
	v_and_b32_e32 v2, 0x7f800000, v1
	v_cmp_ne_u32_e64 s[28:29], s97, v2
                                        ; implicit-def: $vgpr7
	s_and_saveexec_b64 s[42:43], s[28:29]
	s_xor_b64 s[28:29], exec, s[42:43]
; %bb.862:                              ;   in Loop: Header=BB29_296 Depth=2
	v_bfe_u32 v2, v1, 16, 1
	v_add3_u32 v7, v1, v2, s46
                                        ; implicit-def: $vgpr1
; %bb.863:                              ;   in Loop: Header=BB29_296 Depth=2
	s_andn2_saveexec_b64 s[42:43], s[28:29]
; %bb.864:                              ;   in Loop: Header=BB29_296 Depth=2
	v_or_b32_e32 v2, 0x10000, v1
	v_cmp_eq_u32_sdwa s[28:29], v1, v3 src0_sel:WORD_0 src1_sel:DWORD
	s_nop 1
	v_cndmask_b32_e64 v7, v2, v1, s[28:29]
; %bb.865:                              ;   in Loop: Header=BB29_296 Depth=2
	s_or_b64 exec, exec, s[42:43]
	v_and_b32_e32 v1, 0xffff0000, v9
	v_and_b32_e32 v2, 0xffff0000, v13
	v_max_f32_e32 v2, v2, v2
	v_max_f32_e32 v1, v1, v1
	v_min_f32_e32 v8, v1, v2
	v_max_f32_e32 v1, v1, v2
	v_cndmask_b32_e32 v1, v1, v8, vcc
	v_and_b32_e32 v2, 0x7f800000, v1
	v_cmp_ne_u32_e64 s[28:29], s97, v2
                                        ; implicit-def: $vgpr8
	s_and_saveexec_b64 s[42:43], s[28:29]
	s_xor_b64 s[28:29], exec, s[42:43]
; %bb.866:                              ;   in Loop: Header=BB29_296 Depth=2
	v_bfe_u32 v2, v1, 16, 1
	v_add3_u32 v8, v1, v2, s46
                                        ; implicit-def: $vgpr1
; %bb.867:                              ;   in Loop: Header=BB29_296 Depth=2
	s_andn2_saveexec_b64 s[42:43], s[28:29]
; %bb.868:                              ;   in Loop: Header=BB29_296 Depth=2
	v_or_b32_e32 v2, 0x10000, v1
	v_cmp_eq_u32_sdwa s[28:29], v1, v3 src0_sel:WORD_0 src1_sel:DWORD
	s_nop 1
	v_cndmask_b32_e64 v8, v2, v1, s[28:29]
; %bb.869:                              ;   in Loop: Header=BB29_296 Depth=2
	s_or_b64 exec, exec, s[42:43]
	v_lshlrev_b32_e32 v1, 16, v10
	v_lshlrev_b32_e32 v2, 16, v14
	v_max_f32_e32 v2, v2, v2
	v_max_f32_e32 v1, v1, v1
	v_min_f32_e32 v9, v1, v2
	v_max_f32_e32 v1, v1, v2
	v_cndmask_b32_e32 v1, v1, v9, vcc
	v_and_b32_e32 v2, 0x7f800000, v1
	v_cmp_ne_u32_e64 s[28:29], s97, v2
                                        ; implicit-def: $vgpr9
	s_and_saveexec_b64 s[42:43], s[28:29]
	s_xor_b64 s[28:29], exec, s[42:43]
; %bb.870:                              ;   in Loop: Header=BB29_296 Depth=2
	v_bfe_u32 v2, v1, 16, 1
	v_add3_u32 v9, v1, v2, s46
                                        ; implicit-def: $vgpr1
; %bb.871:                              ;   in Loop: Header=BB29_296 Depth=2
	s_andn2_saveexec_b64 s[42:43], s[28:29]
; %bb.872:                              ;   in Loop: Header=BB29_296 Depth=2
	v_or_b32_e32 v2, 0x10000, v1
	v_cmp_eq_u32_sdwa s[28:29], v1, v3 src0_sel:WORD_0 src1_sel:DWORD
	s_nop 1
	v_cndmask_b32_e64 v9, v2, v1, s[28:29]
; %bb.873:                              ;   in Loop: Header=BB29_296 Depth=2
	s_or_b64 exec, exec, s[42:43]
	v_and_b32_e32 v1, 0xffff0000, v10
	v_and_b32_e32 v2, 0xffff0000, v14
	v_max_f32_e32 v2, v2, v2
	v_max_f32_e32 v1, v1, v1
	v_min_f32_e32 v10, v1, v2
	v_max_f32_e32 v1, v1, v2
	v_cndmask_b32_e32 v10, v1, v10, vcc
	v_and_b32_e32 v1, 0x7f800000, v10
	v_cmp_ne_u32_e64 s[28:29], s97, v1
                                        ; implicit-def: $vgpr1
	s_and_saveexec_b64 s[42:43], s[28:29]
	s_xor_b64 s[28:29], exec, s[42:43]
; %bb.874:                              ;   in Loop: Header=BB29_296 Depth=2
	v_bfe_u32 v1, v10, 16, 1
	v_add3_u32 v1, v10, v1, s46
                                        ; implicit-def: $vgpr10
; %bb.875:                              ;   in Loop: Header=BB29_296 Depth=2
	s_andn2_saveexec_b64 s[42:43], s[28:29]
; %bb.876:                              ;   in Loop: Header=BB29_296 Depth=2
	v_or_b32_e32 v1, 0x10000, v10
	v_cmp_eq_u32_sdwa s[28:29], v10, v3 src0_sel:WORD_0 src1_sel:DWORD
	s_nop 1
	v_cndmask_b32_e64 v1, v1, v10, s[28:29]
; %bb.877:                              ;   in Loop: Header=BB29_296 Depth=2
	s_or_b64 exec, exec, s[42:43]
	v_lshlrev_b32_e32 v2, 16, v11
	v_lshlrev_b32_e32 v10, 16, v15
	v_max_f32_e32 v10, v10, v10
	v_max_f32_e32 v2, v2, v2
	v_min_f32_e32 v12, v2, v10
	v_max_f32_e32 v2, v2, v10
	v_cndmask_b32_e32 v12, v2, v12, vcc
	v_and_b32_e32 v2, 0x7f800000, v12
	v_cmp_ne_u32_e64 s[28:29], s97, v2
                                        ; implicit-def: $vgpr10
	s_and_saveexec_b64 s[42:43], s[28:29]
	s_xor_b64 s[28:29], exec, s[42:43]
; %bb.878:                              ;   in Loop: Header=BB29_296 Depth=2
	v_bfe_u32 v2, v12, 16, 1
	v_add3_u32 v10, v12, v2, s46
                                        ; implicit-def: $vgpr12
; %bb.879:                              ;   in Loop: Header=BB29_296 Depth=2
	s_andn2_saveexec_b64 s[42:43], s[28:29]
; %bb.880:                              ;   in Loop: Header=BB29_296 Depth=2
	v_or_b32_e32 v2, 0x10000, v12
	v_cmp_eq_u32_sdwa s[28:29], v12, v3 src0_sel:WORD_0 src1_sel:DWORD
	s_nop 1
	v_cndmask_b32_e64 v10, v2, v12, s[28:29]
; %bb.881:                              ;   in Loop: Header=BB29_296 Depth=2
	s_or_b64 exec, exec, s[42:43]
	v_and_b32_e32 v2, 0xffff0000, v11
	v_and_b32_e32 v11, 0xffff0000, v15
	v_max_f32_e32 v11, v11, v11
	v_max_f32_e32 v2, v2, v2
	v_min_f32_e32 v12, v2, v11
	v_max_f32_e32 v2, v2, v11
	v_cndmask_b32_e32 v12, v2, v12, vcc
	v_and_b32_e32 v2, 0x7f800000, v12
	v_cmp_ne_u32_e32 vcc, s97, v2
                                        ; implicit-def: $vgpr11
	s_and_saveexec_b64 s[28:29], vcc
	s_xor_b64 s[28:29], exec, s[28:29]
; %bb.882:                              ;   in Loop: Header=BB29_296 Depth=2
	v_bfe_u32 v2, v12, 16, 1
	v_add3_u32 v11, v12, v2, s46
                                        ; implicit-def: $vgpr12
; %bb.883:                              ;   in Loop: Header=BB29_296 Depth=2
	s_andn2_saveexec_b64 s[28:29], s[28:29]
; %bb.884:                              ;   in Loop: Header=BB29_296 Depth=2
	v_or_b32_e32 v2, 0x10000, v12
	v_cmp_eq_u32_sdwa vcc, v12, v3 src0_sel:WORD_0 src1_sel:DWORD
	s_nop 1
	v_cndmask_b32_e32 v11, v2, v12, vcc
; %bb.885:                              ;   in Loop: Header=BB29_296 Depth=2
	s_or_b64 exec, exec, s[28:29]
	v_lshrrev_b32_e32 v0, 16, v0
	v_lshrrev_b32_e32 v2, 16, v7
	v_and_or_b32 v6, v6, s47, v0
	v_lshrrev_b32_e32 v0, 16, v9
	v_and_or_b32 v7, v8, s47, v2
	v_and_or_b32 v8, v1, s47, v0
	v_lshrrev_b32_e32 v0, 16, v10
	v_and_or_b32 v9, v11, s47, v0
	global_store_dwordx4 v[4:5], v[6:9], off
.LBB29_886:                             ;   in Loop: Header=BB29_296 Depth=2
	s_or_b64 exec, exec, s[40:41]
	v_and_b32_e32 v1, 14, v29
	v_cndmask_b32_e64 v29, v23, v1, s[26:27]
	v_cmp_ne_u32_e32 vcc, 0, v29
	s_mov_b64 s[40:41], s[30:31]
                                        ; implicit-def: $vgpr12
                                        ; implicit-def: $vgpr0
                                        ; implicit-def: $vgpr13
	s_and_saveexec_b64 s[28:29], vcc
	s_cbranch_execz .LBB29_888
; %bb.887:                              ;   in Loop: Header=BB29_296 Depth=2
	v_sub_u32_e32 v0, v23, v1
	v_cndmask_b32_e64 v0, 0, v0, s[26:27]
	v_cmp_lt_i32_e32 vcc, 0, v24
	v_add3_u32 v12, v22, v20, v0
	s_or_b64 s[40:41], s[30:31], exec
	v_cndmask_b32_e32 v0, 0, v60, vcc
	v_sub_u32_e32 v0, v0, v24
	v_lshl_add_u32 v0, v0, 6, v21
	v_ashrrev_i32_e32 v1, 31, v0
	v_lshrrev_b32_e32 v1, 26, v1
	v_add_u32_e32 v1, v0, v1
	v_and_b32_e32 v1, 0xffffffc0, v1
	v_sub_u32_e32 v13, v0, v1
.LBB29_888:                             ;   in Loop: Header=BB29_296 Depth=2
	s_or_b64 exec, exec, s[28:29]
	s_andn2_b64 s[26:27], s[30:31], exec
	s_and_b64 s[28:29], s[40:41], exec
	s_or_b64 s[30:31], s[26:27], s[28:29]
.LBB29_889:                             ;   in Loop: Header=BB29_296 Depth=2
	s_or_b64 exec, exec, s[34:35]
	s_and_saveexec_b64 s[42:43], s[30:31]
	s_cbranch_execz .LBB29_1117
.LBB29_890:                             ;   in Loop: Header=BB29_296 Depth=2
	v_ashrrev_i32_e32 v1, 31, v0
	v_lshrrev_b32_e32 v1, 26, v1
	v_add_u32_e32 v0, v0, v1
	v_ashrrev_i32_e32 v0, 6, v0
	v_lshlrev_b32_e32 v1, 11, v0
	v_lshlrev_b32_e32 v2, 1, v13
	v_add3_u32 v10, v12, v2, v1
	v_ashrrev_i32_e32 v1, 31, v29
	v_lshrrev_b32_e32 v1, 21, v1
	v_add_u32_e32 v1, v29, v1
	v_ashrrev_i32_e32 v14, 11, v1
	v_ashrrev_i32_e32 v11, 31, v10
	v_sub_u32_e32 v15, v14, v0
	v_lshl_add_u64 v[4:5], v[72:73], 0, v[10:11]
	v_cmp_lt_i32_e32 vcc, 0, v15
	v_mov_b32_e32 v96, 0
	s_mov_b64 s[26:27], 0
	v_mov_b32_e32 v85, 0
	v_mov_b32_e32 v82, 0
	;; [unrolled: 1-line block ×31, first 2 shown]
	s_and_saveexec_b64 s[28:29], vcc
	s_cbranch_execz .LBB29_1026
; %bb.891:                              ;   in Loop: Header=BB29_296 Depth=2
	s_trap 2
	ds_read_b64 v[0:1], v0
	s_and_b32 s13, s45, 0xff
	s_cmp_eq_u32 s13, 0
	v_lshl_add_u64 v[8:9], v[10:11], 0, v[62:63]
	s_mov_b64 s[34:35], 0
	s_waitcnt lgkmcnt(0)
	v_lshl_add_u64 v[10:11], v[0:1], 0, v[10:11]
	s_mov_b64 s[30:31], 0
	s_cselect_b64 vcc, -1, 0
                                        ; implicit-def: $sgpr40_sgpr41
                                        ; implicit-def: $vgpr115
                                        ; implicit-def: $vgpr112
                                        ; implicit-def: $vgpr101
                                        ; implicit-def: $vgpr98
                                        ; implicit-def: $vgpr87
                                        ; implicit-def: $vgpr83
                                        ; implicit-def: $vgpr80
                                        ; implicit-def: $vgpr69
                                        ; implicit-def: $vgpr66
                                        ; implicit-def: $vgpr55
                                        ; implicit-def: $vgpr51
                                        ; implicit-def: $vgpr48
                                        ; implicit-def: $vgpr39
                                        ; implicit-def: $vgpr38
                                        ; implicit-def: $vgpr37
                                        ; implicit-def: $vgpr36
                                        ; implicit-def: $vgpr16
                                        ; implicit-def: $vgpr17
                                        ; implicit-def: $vgpr18
                                        ; implicit-def: $vgpr19
                                        ; implicit-def: $vgpr20
                                        ; implicit-def: $vgpr21
                                        ; implicit-def: $vgpr22
                                        ; implicit-def: $vgpr23
                                        ; implicit-def: $vgpr24
                                        ; implicit-def: $vgpr25
                                        ; implicit-def: $vgpr26
                                        ; implicit-def: $vgpr27
                                        ; implicit-def: $vgpr32
                                        ; implicit-def: $vgpr33
                                        ; implicit-def: $vgpr34
                                        ; implicit-def: $vgpr35
	s_branch .LBB29_893
.LBB29_892:                             ;   in Loop: Header=BB29_893 Depth=3
	s_or_b64 exec, exec, s[36:37]
	flat_store_short_d16_hi v[4:5], v6 nt
	flat_store_short_d16_hi v[4:5], v7 offset:128 nt
	flat_store_short_d16_hi v[4:5], v30 offset:256 nt
	;; [unrolled: 1-line block ×15, first 2 shown]
	v_lshl_add_u64 v[0:1], v[8:9], 0, v[76:77]
	v_cndmask_b32_e64 v8, v8, v0, s[34:35]
	v_cndmask_b32_e64 v0, 0, v60, s[34:35]
	v_sub_u32_e32 v15, v15, v0
	v_cmp_gt_i32_e64 s[26:27], 1, v15
	v_mov_b32_e32 v2, 0x800
	s_or_b64 s[30:31], s[26:27], s[30:31]
	v_lshl_add_u64 v[6:7], v[10:11], 0, v[76:77]
	v_cndmask_b32_e64 v53, 0, v105, s[34:35]
	v_cndmask_b32_e64 v52, v2, v104, s[34:35]
	s_andn2_b64 s[26:27], s[40:41], exec
	s_and_b64 s[40:41], s[34:35], exec
	v_lshl_add_u64 v[4:5], v[4:5], 0, v[52:53]
	v_cndmask_b32_e64 v9, v9, v1, s[34:35]
	v_cndmask_b32_e64 v11, v11, v7, s[34:35]
	;; [unrolled: 1-line block ×3, first 2 shown]
	s_or_b64 s[40:41], s[26:27], s[40:41]
	s_andn2_b64 exec, exec, s[30:31]
	s_cbranch_execz .LBB29_1025
.LBB29_893:                             ;   Parent Loop BB29_47 Depth=1
                                        ;     Parent Loop BB29_296 Depth=2
                                        ; =>    This Inner Loop Header: Depth=3
	flat_load_ushort v74, v[8:9] nt
	flat_load_ushort v58, v[8:9] offset:128 nt
	flat_load_ushort v44, v[8:9] offset:256 nt
	;; [unrolled: 1-line block ×15, first 2 shown]
	flat_load_ushort v75, v[10:11] nt
	flat_load_ushort v59, v[10:11] offset:128 nt
	flat_load_ushort v45, v[10:11] offset:256 nt
	;; [unrolled: 1-line block ×15, first 2 shown]
	s_and_saveexec_b64 s[36:37], s[34:35]
	s_cbranch_execz .LBB29_959
; %bb.894:                              ;   in Loop: Header=BB29_893 Depth=3
	v_lshlrev_b32_e32 v0, 16, v115
	v_lshlrev_b32_e32 v1, 16, v16
	v_max_f32_e32 v1, v1, v1
	v_max_f32_e32 v0, v0, v0
	v_min_f32_e32 v2, v0, v1
	v_max_f32_e32 v0, v0, v1
	v_cndmask_b32_e32 v0, v0, v2, vcc
	v_and_b32_e32 v1, 0x7f800000, v0
	v_cmp_ne_u32_e64 s[26:27], s97, v1
                                        ; implicit-def: $vgpr6
	s_and_saveexec_b64 s[34:35], s[26:27]
	s_xor_b64 s[26:27], exec, s[34:35]
; %bb.895:                              ;   in Loop: Header=BB29_893 Depth=3
	v_bfe_u32 v1, v0, 16, 1
	v_add3_u32 v6, v0, v1, s46
                                        ; implicit-def: $vgpr0
; %bb.896:                              ;   in Loop: Header=BB29_893 Depth=3
	s_andn2_saveexec_b64 s[34:35], s[26:27]
; %bb.897:                              ;   in Loop: Header=BB29_893 Depth=3
	v_or_b32_e32 v1, 0x10000, v0
	v_cmp_eq_u32_sdwa s[26:27], v0, v3 src0_sel:WORD_0 src1_sel:DWORD
	s_nop 1
	v_cndmask_b32_e64 v6, v1, v0, s[26:27]
; %bb.898:                              ;   in Loop: Header=BB29_893 Depth=3
	s_or_b64 exec, exec, s[34:35]
	v_lshlrev_b32_e32 v0, 16, v112
	v_lshlrev_b32_e32 v1, 16, v17
	v_max_f32_e32 v1, v1, v1
	v_max_f32_e32 v0, v0, v0
	v_min_f32_e32 v2, v0, v1
	v_max_f32_e32 v0, v0, v1
	v_cndmask_b32_e32 v0, v0, v2, vcc
	v_and_b32_e32 v1, 0x7f800000, v0
	v_cmp_ne_u32_e64 s[26:27], s97, v1
                                        ; implicit-def: $vgpr7
	s_and_saveexec_b64 s[34:35], s[26:27]
	s_xor_b64 s[26:27], exec, s[34:35]
; %bb.899:                              ;   in Loop: Header=BB29_893 Depth=3
	v_bfe_u32 v1, v0, 16, 1
	v_add3_u32 v7, v0, v1, s46
                                        ; implicit-def: $vgpr0
; %bb.900:                              ;   in Loop: Header=BB29_893 Depth=3
	s_andn2_saveexec_b64 s[34:35], s[26:27]
; %bb.901:                              ;   in Loop: Header=BB29_893 Depth=3
	v_or_b32_e32 v1, 0x10000, v0
	v_cmp_eq_u32_sdwa s[26:27], v0, v3 src0_sel:WORD_0 src1_sel:DWORD
	s_nop 1
	v_cndmask_b32_e64 v7, v1, v0, s[26:27]
; %bb.902:                              ;   in Loop: Header=BB29_893 Depth=3
	s_or_b64 exec, exec, s[34:35]
	v_lshlrev_b32_e32 v0, 16, v101
	v_lshlrev_b32_e32 v1, 16, v18
	v_max_f32_e32 v1, v1, v1
	v_max_f32_e32 v0, v0, v0
	v_min_f32_e32 v2, v0, v1
	v_max_f32_e32 v0, v0, v1
	v_cndmask_b32_e32 v0, v0, v2, vcc
	v_and_b32_e32 v1, 0x7f800000, v0
	v_cmp_ne_u32_e64 s[26:27], s97, v1
                                        ; implicit-def: $vgpr30
	s_and_saveexec_b64 s[34:35], s[26:27]
	s_xor_b64 s[26:27], exec, s[34:35]
; %bb.903:                              ;   in Loop: Header=BB29_893 Depth=3
	v_bfe_u32 v1, v0, 16, 1
	v_add3_u32 v30, v0, v1, s46
                                        ; implicit-def: $vgpr0
; %bb.904:                              ;   in Loop: Header=BB29_893 Depth=3
	s_andn2_saveexec_b64 s[34:35], s[26:27]
; %bb.905:                              ;   in Loop: Header=BB29_893 Depth=3
	v_or_b32_e32 v1, 0x10000, v0
	v_cmp_eq_u32_sdwa s[26:27], v0, v3 src0_sel:WORD_0 src1_sel:DWORD
	s_nop 1
	v_cndmask_b32_e64 v30, v1, v0, s[26:27]
; %bb.906:                              ;   in Loop: Header=BB29_893 Depth=3
	s_or_b64 exec, exec, s[34:35]
	v_lshlrev_b32_e32 v0, 16, v98
	v_lshlrev_b32_e32 v1, 16, v19
	v_max_f32_e32 v1, v1, v1
	v_max_f32_e32 v0, v0, v0
	v_min_f32_e32 v2, v0, v1
	v_max_f32_e32 v0, v0, v1
	v_cndmask_b32_e32 v0, v0, v2, vcc
	v_and_b32_e32 v1, 0x7f800000, v0
	v_cmp_ne_u32_e64 s[26:27], s97, v1
                                        ; implicit-def: $vgpr98
	s_and_saveexec_b64 s[34:35], s[26:27]
	s_xor_b64 s[26:27], exec, s[34:35]
; %bb.907:                              ;   in Loop: Header=BB29_893 Depth=3
	v_bfe_u32 v1, v0, 16, 1
	v_add3_u32 v98, v0, v1, s46
                                        ; implicit-def: $vgpr0
; %bb.908:                              ;   in Loop: Header=BB29_893 Depth=3
	s_andn2_saveexec_b64 s[34:35], s[26:27]
; %bb.909:                              ;   in Loop: Header=BB29_893 Depth=3
	v_or_b32_e32 v1, 0x10000, v0
	v_cmp_eq_u32_sdwa s[26:27], v0, v3 src0_sel:WORD_0 src1_sel:DWORD
	s_nop 1
	v_cndmask_b32_e64 v98, v1, v0, s[26:27]
; %bb.910:                              ;   in Loop: Header=BB29_893 Depth=3
	s_or_b64 exec, exec, s[34:35]
	v_lshlrev_b32_e32 v0, 16, v87
	v_lshlrev_b32_e32 v1, 16, v20
	v_max_f32_e32 v1, v1, v1
	v_max_f32_e32 v0, v0, v0
	v_min_f32_e32 v2, v0, v1
	v_max_f32_e32 v0, v0, v1
	v_cndmask_b32_e32 v0, v0, v2, vcc
	v_and_b32_e32 v1, 0x7f800000, v0
	v_cmp_ne_u32_e64 s[26:27], s97, v1
                                        ; implicit-def: $vgpr87
	s_and_saveexec_b64 s[34:35], s[26:27]
	s_xor_b64 s[26:27], exec, s[34:35]
; %bb.911:                              ;   in Loop: Header=BB29_893 Depth=3
	v_bfe_u32 v1, v0, 16, 1
	v_add3_u32 v87, v0, v1, s46
                                        ; implicit-def: $vgpr0
; %bb.912:                              ;   in Loop: Header=BB29_893 Depth=3
	s_andn2_saveexec_b64 s[34:35], s[26:27]
; %bb.913:                              ;   in Loop: Header=BB29_893 Depth=3
	v_or_b32_e32 v1, 0x10000, v0
	v_cmp_eq_u32_sdwa s[26:27], v0, v3 src0_sel:WORD_0 src1_sel:DWORD
	s_nop 1
	v_cndmask_b32_e64 v87, v1, v0, s[26:27]
; %bb.914:                              ;   in Loop: Header=BB29_893 Depth=3
	s_or_b64 exec, exec, s[34:35]
	v_lshlrev_b32_e32 v0, 16, v83
	v_lshlrev_b32_e32 v1, 16, v21
	v_max_f32_e32 v1, v1, v1
	v_max_f32_e32 v0, v0, v0
	v_min_f32_e32 v2, v0, v1
	v_max_f32_e32 v0, v0, v1
	v_cndmask_b32_e32 v1, v0, v2, vcc
	v_and_b32_e32 v0, 0x7f800000, v1
	v_cmp_ne_u32_e64 s[26:27], s97, v0
                                        ; implicit-def: $vgpr0
	s_and_saveexec_b64 s[34:35], s[26:27]
	s_xor_b64 s[26:27], exec, s[34:35]
; %bb.915:                              ;   in Loop: Header=BB29_893 Depth=3
	v_bfe_u32 v0, v1, 16, 1
	v_add3_u32 v0, v1, v0, s46
                                        ; implicit-def: $vgpr1
; %bb.916:                              ;   in Loop: Header=BB29_893 Depth=3
	s_andn2_saveexec_b64 s[34:35], s[26:27]
; %bb.917:                              ;   in Loop: Header=BB29_893 Depth=3
	v_or_b32_e32 v0, 0x10000, v1
	v_cmp_eq_u32_sdwa s[26:27], v1, v3 src0_sel:WORD_0 src1_sel:DWORD
	s_nop 1
	v_cndmask_b32_e64 v0, v0, v1, s[26:27]
; %bb.918:                              ;   in Loop: Header=BB29_893 Depth=3
	s_or_b64 exec, exec, s[34:35]
	v_lshlrev_b32_e32 v1, 16, v80
	v_lshlrev_b32_e32 v2, 16, v22
	v_max_f32_e32 v2, v2, v2
	v_max_f32_e32 v1, v1, v1
	v_min_f32_e32 v80, v1, v2
	v_max_f32_e32 v1, v1, v2
	v_cndmask_b32_e32 v1, v1, v80, vcc
	v_and_b32_e32 v2, 0x7f800000, v1
	v_cmp_ne_u32_e64 s[26:27], s97, v2
                                        ; implicit-def: $vgpr80
	s_and_saveexec_b64 s[34:35], s[26:27]
	s_xor_b64 s[26:27], exec, s[34:35]
; %bb.919:                              ;   in Loop: Header=BB29_893 Depth=3
	v_bfe_u32 v2, v1, 16, 1
	v_add3_u32 v80, v1, v2, s46
                                        ; implicit-def: $vgpr1
; %bb.920:                              ;   in Loop: Header=BB29_893 Depth=3
	s_andn2_saveexec_b64 s[34:35], s[26:27]
; %bb.921:                              ;   in Loop: Header=BB29_893 Depth=3
	v_or_b32_e32 v2, 0x10000, v1
	v_cmp_eq_u32_sdwa s[26:27], v1, v3 src0_sel:WORD_0 src1_sel:DWORD
	s_nop 1
	v_cndmask_b32_e64 v80, v2, v1, s[26:27]
; %bb.922:                              ;   in Loop: Header=BB29_893 Depth=3
	s_or_b64 exec, exec, s[34:35]
	v_lshlrev_b32_e32 v1, 16, v69
	v_lshlrev_b32_e32 v2, 16, v23
	v_max_f32_e32 v2, v2, v2
	v_max_f32_e32 v1, v1, v1
	v_min_f32_e32 v69, v1, v2
	v_max_f32_e32 v1, v1, v2
	v_cndmask_b32_e32 v1, v1, v69, vcc
	v_and_b32_e32 v2, 0x7f800000, v1
	v_cmp_ne_u32_e64 s[26:27], s97, v2
                                        ; implicit-def: $vgpr69
	s_and_saveexec_b64 s[34:35], s[26:27]
	s_xor_b64 s[26:27], exec, s[34:35]
; %bb.923:                              ;   in Loop: Header=BB29_893 Depth=3
	v_bfe_u32 v2, v1, 16, 1
	v_add3_u32 v69, v1, v2, s46
                                        ; implicit-def: $vgpr1
; %bb.924:                              ;   in Loop: Header=BB29_893 Depth=3
	s_andn2_saveexec_b64 s[34:35], s[26:27]
; %bb.925:                              ;   in Loop: Header=BB29_893 Depth=3
	v_or_b32_e32 v2, 0x10000, v1
	v_cmp_eq_u32_sdwa s[26:27], v1, v3 src0_sel:WORD_0 src1_sel:DWORD
	s_nop 1
	v_cndmask_b32_e64 v69, v2, v1, s[26:27]
; %bb.926:                              ;   in Loop: Header=BB29_893 Depth=3
	s_or_b64 exec, exec, s[34:35]
	v_lshlrev_b32_e32 v1, 16, v66
	v_lshlrev_b32_e32 v2, 16, v24
	v_max_f32_e32 v2, v2, v2
	v_max_f32_e32 v1, v1, v1
	v_min_f32_e32 v66, v1, v2
	v_max_f32_e32 v1, v1, v2
	v_cndmask_b32_e32 v1, v1, v66, vcc
	v_and_b32_e32 v2, 0x7f800000, v1
	v_cmp_ne_u32_e64 s[26:27], s97, v2
                                        ; implicit-def: $vgpr66
	s_and_saveexec_b64 s[34:35], s[26:27]
	s_xor_b64 s[26:27], exec, s[34:35]
; %bb.927:                              ;   in Loop: Header=BB29_893 Depth=3
	v_bfe_u32 v2, v1, 16, 1
	v_add3_u32 v66, v1, v2, s46
                                        ; implicit-def: $vgpr1
; %bb.928:                              ;   in Loop: Header=BB29_893 Depth=3
	s_andn2_saveexec_b64 s[34:35], s[26:27]
; %bb.929:                              ;   in Loop: Header=BB29_893 Depth=3
	v_or_b32_e32 v2, 0x10000, v1
	v_cmp_eq_u32_sdwa s[26:27], v1, v3 src0_sel:WORD_0 src1_sel:DWORD
	s_nop 1
	v_cndmask_b32_e64 v66, v2, v1, s[26:27]
; %bb.930:                              ;   in Loop: Header=BB29_893 Depth=3
	s_or_b64 exec, exec, s[34:35]
	v_lshlrev_b32_e32 v1, 16, v55
	v_lshlrev_b32_e32 v2, 16, v25
	v_max_f32_e32 v2, v2, v2
	v_max_f32_e32 v1, v1, v1
	v_min_f32_e32 v55, v1, v2
	v_max_f32_e32 v1, v1, v2
	v_cndmask_b32_e32 v1, v1, v55, vcc
	v_and_b32_e32 v2, 0x7f800000, v1
	v_cmp_ne_u32_e64 s[26:27], s97, v2
                                        ; implicit-def: $vgpr55
	s_and_saveexec_b64 s[34:35], s[26:27]
	s_xor_b64 s[26:27], exec, s[34:35]
; %bb.931:                              ;   in Loop: Header=BB29_893 Depth=3
	v_bfe_u32 v2, v1, 16, 1
	v_add3_u32 v55, v1, v2, s46
                                        ; implicit-def: $vgpr1
; %bb.932:                              ;   in Loop: Header=BB29_893 Depth=3
	s_andn2_saveexec_b64 s[34:35], s[26:27]
; %bb.933:                              ;   in Loop: Header=BB29_893 Depth=3
	v_or_b32_e32 v2, 0x10000, v1
	v_cmp_eq_u32_sdwa s[26:27], v1, v3 src0_sel:WORD_0 src1_sel:DWORD
	s_nop 1
	v_cndmask_b32_e64 v55, v2, v1, s[26:27]
; %bb.934:                              ;   in Loop: Header=BB29_893 Depth=3
	s_or_b64 exec, exec, s[34:35]
	v_lshlrev_b32_e32 v1, 16, v51
	v_lshlrev_b32_e32 v2, 16, v26
	v_max_f32_e32 v2, v2, v2
	v_max_f32_e32 v1, v1, v1
	v_min_f32_e32 v51, v1, v2
	v_max_f32_e32 v1, v1, v2
	v_cndmask_b32_e32 v1, v1, v51, vcc
	v_and_b32_e32 v2, 0x7f800000, v1
	v_cmp_ne_u32_e64 s[26:27], s97, v2
                                        ; implicit-def: $vgpr51
	s_and_saveexec_b64 s[34:35], s[26:27]
	s_xor_b64 s[26:27], exec, s[34:35]
; %bb.935:                              ;   in Loop: Header=BB29_893 Depth=3
	v_bfe_u32 v2, v1, 16, 1
	v_add3_u32 v51, v1, v2, s46
                                        ; implicit-def: $vgpr1
; %bb.936:                              ;   in Loop: Header=BB29_893 Depth=3
	s_andn2_saveexec_b64 s[34:35], s[26:27]
; %bb.937:                              ;   in Loop: Header=BB29_893 Depth=3
	v_or_b32_e32 v2, 0x10000, v1
	v_cmp_eq_u32_sdwa s[26:27], v1, v3 src0_sel:WORD_0 src1_sel:DWORD
	s_nop 1
	v_cndmask_b32_e64 v51, v2, v1, s[26:27]
; %bb.938:                              ;   in Loop: Header=BB29_893 Depth=3
	s_or_b64 exec, exec, s[34:35]
	v_lshlrev_b32_e32 v1, 16, v48
	v_lshlrev_b32_e32 v2, 16, v27
	v_max_f32_e32 v2, v2, v2
	v_max_f32_e32 v1, v1, v1
	v_min_f32_e32 v48, v1, v2
	v_max_f32_e32 v1, v1, v2
	v_cndmask_b32_e32 v1, v1, v48, vcc
	v_and_b32_e32 v2, 0x7f800000, v1
	v_cmp_ne_u32_e64 s[26:27], s97, v2
                                        ; implicit-def: $vgpr48
	s_and_saveexec_b64 s[34:35], s[26:27]
	s_xor_b64 s[26:27], exec, s[34:35]
; %bb.939:                              ;   in Loop: Header=BB29_893 Depth=3
	v_bfe_u32 v2, v1, 16, 1
	v_add3_u32 v48, v1, v2, s46
                                        ; implicit-def: $vgpr1
; %bb.940:                              ;   in Loop: Header=BB29_893 Depth=3
	s_andn2_saveexec_b64 s[34:35], s[26:27]
; %bb.941:                              ;   in Loop: Header=BB29_893 Depth=3
	v_or_b32_e32 v2, 0x10000, v1
	v_cmp_eq_u32_sdwa s[26:27], v1, v3 src0_sel:WORD_0 src1_sel:DWORD
	s_nop 1
	v_cndmask_b32_e64 v48, v2, v1, s[26:27]
; %bb.942:                              ;   in Loop: Header=BB29_893 Depth=3
	s_or_b64 exec, exec, s[34:35]
	v_lshlrev_b32_e32 v1, 16, v39
	v_lshlrev_b32_e32 v2, 16, v32
	v_max_f32_e32 v2, v2, v2
	v_max_f32_e32 v1, v1, v1
	v_min_f32_e32 v39, v1, v2
	v_max_f32_e32 v1, v1, v2
	v_cndmask_b32_e32 v1, v1, v39, vcc
	v_and_b32_e32 v2, 0x7f800000, v1
	v_cmp_ne_u32_e64 s[26:27], s97, v2
                                        ; implicit-def: $vgpr39
	s_and_saveexec_b64 s[34:35], s[26:27]
	s_xor_b64 s[26:27], exec, s[34:35]
; %bb.943:                              ;   in Loop: Header=BB29_893 Depth=3
	v_bfe_u32 v2, v1, 16, 1
	v_add3_u32 v39, v1, v2, s46
                                        ; implicit-def: $vgpr1
; %bb.944:                              ;   in Loop: Header=BB29_893 Depth=3
	s_andn2_saveexec_b64 s[34:35], s[26:27]
; %bb.945:                              ;   in Loop: Header=BB29_893 Depth=3
	v_or_b32_e32 v2, 0x10000, v1
	v_cmp_eq_u32_sdwa s[26:27], v1, v3 src0_sel:WORD_0 src1_sel:DWORD
	s_nop 1
	v_cndmask_b32_e64 v39, v2, v1, s[26:27]
; %bb.946:                              ;   in Loop: Header=BB29_893 Depth=3
	s_or_b64 exec, exec, s[34:35]
	v_lshlrev_b32_e32 v1, 16, v38
	v_lshlrev_b32_e32 v2, 16, v33
	v_max_f32_e32 v2, v2, v2
	v_max_f32_e32 v1, v1, v1
	v_min_f32_e32 v38, v1, v2
	v_max_f32_e32 v1, v1, v2
	v_cndmask_b32_e32 v38, v1, v38, vcc
	v_and_b32_e32 v1, 0x7f800000, v38
	v_cmp_ne_u32_e64 s[26:27], s97, v1
                                        ; implicit-def: $vgpr1
	s_and_saveexec_b64 s[34:35], s[26:27]
	s_xor_b64 s[26:27], exec, s[34:35]
; %bb.947:                              ;   in Loop: Header=BB29_893 Depth=3
	v_bfe_u32 v1, v38, 16, 1
	v_add3_u32 v1, v38, v1, s46
                                        ; implicit-def: $vgpr38
; %bb.948:                              ;   in Loop: Header=BB29_893 Depth=3
	s_andn2_saveexec_b64 s[34:35], s[26:27]
; %bb.949:                              ;   in Loop: Header=BB29_893 Depth=3
	v_or_b32_e32 v1, 0x10000, v38
	v_cmp_eq_u32_sdwa s[26:27], v38, v3 src0_sel:WORD_0 src1_sel:DWORD
	s_nop 1
	v_cndmask_b32_e64 v1, v1, v38, s[26:27]
; %bb.950:                              ;   in Loop: Header=BB29_893 Depth=3
	s_or_b64 exec, exec, s[34:35]
	v_lshlrev_b32_e32 v2, 16, v37
	v_lshlrev_b32_e32 v37, 16, v34
	v_max_f32_e32 v37, v37, v37
	v_max_f32_e32 v2, v2, v2
	v_min_f32_e32 v38, v2, v37
	v_max_f32_e32 v2, v2, v37
	v_cndmask_b32_e32 v38, v2, v38, vcc
	v_and_b32_e32 v2, 0x7f800000, v38
	v_cmp_ne_u32_e64 s[26:27], s97, v2
                                        ; implicit-def: $vgpr37
	s_and_saveexec_b64 s[34:35], s[26:27]
	s_xor_b64 s[26:27], exec, s[34:35]
; %bb.951:                              ;   in Loop: Header=BB29_893 Depth=3
	v_bfe_u32 v2, v38, 16, 1
	v_add3_u32 v37, v38, v2, s46
                                        ; implicit-def: $vgpr38
; %bb.952:                              ;   in Loop: Header=BB29_893 Depth=3
	s_andn2_saveexec_b64 s[34:35], s[26:27]
; %bb.953:                              ;   in Loop: Header=BB29_893 Depth=3
	v_or_b32_e32 v2, 0x10000, v38
	v_cmp_eq_u32_sdwa s[26:27], v38, v3 src0_sel:WORD_0 src1_sel:DWORD
	s_nop 1
	v_cndmask_b32_e64 v37, v2, v38, s[26:27]
; %bb.954:                              ;   in Loop: Header=BB29_893 Depth=3
	s_or_b64 exec, exec, s[34:35]
	v_lshlrev_b32_e32 v2, 16, v36
	v_lshlrev_b32_e32 v36, 16, v35
	v_max_f32_e32 v36, v36, v36
	v_max_f32_e32 v2, v2, v2
	v_min_f32_e32 v38, v2, v36
	v_max_f32_e32 v2, v2, v36
	v_cndmask_b32_e32 v38, v2, v38, vcc
	v_and_b32_e32 v2, 0x7f800000, v38
	v_cmp_ne_u32_e64 s[26:27], s97, v2
                                        ; implicit-def: $vgpr36
	s_and_saveexec_b64 s[34:35], s[26:27]
	s_xor_b64 s[26:27], exec, s[34:35]
; %bb.955:                              ;   in Loop: Header=BB29_893 Depth=3
	v_bfe_u32 v2, v38, 16, 1
	v_add3_u32 v36, v38, v2, s46
                                        ; implicit-def: $vgpr38
; %bb.956:                              ;   in Loop: Header=BB29_893 Depth=3
	s_andn2_saveexec_b64 s[34:35], s[26:27]
; %bb.957:                              ;   in Loop: Header=BB29_893 Depth=3
	v_or_b32_e32 v2, 0x10000, v38
	v_cmp_eq_u32_sdwa s[26:27], v38, v3 src0_sel:WORD_0 src1_sel:DWORD
	s_nop 1
	v_cndmask_b32_e64 v36, v2, v38, s[26:27]
; %bb.958:                              ;   in Loop: Header=BB29_893 Depth=3
	s_or_b64 exec, exec, s[34:35]
	v_lshrrev_b32_e32 v115, 16, v6
	v_lshrrev_b32_e32 v37, 16, v37
	;; [unrolled: 1-line block ×16, first 2 shown]
	flat_store_short v[4:5], v115 nt
	flat_store_short v[4:5], v112 offset:128 nt
	flat_store_short v[4:5], v101 offset:256 nt
	;; [unrolled: 1-line block ×15, first 2 shown]
	v_lshl_add_u64 v[4:5], v[4:5], 0, v[104:105]
.LBB29_959:                             ;   in Loop: Header=BB29_893 Depth=3
	s_or_b64 exec, exec, s[36:37]
	v_sub_u32_e32 v15, v15, v60
	v_lshl_add_u64 v[8:9], v[8:9], 0, v[104:105]
	v_lshl_add_u64 v[10:11], v[10:11], 0, v[104:105]
	v_cmp_lt_i32_e64 s[34:35], 0, v15
	s_and_saveexec_b64 s[26:27], s[34:35]
	s_cbranch_execz .LBB29_961
; %bb.960:                              ;   in Loop: Header=BB29_893 Depth=3
	flat_load_ushort v115, v[8:9] nt
	flat_load_ushort v112, v[8:9] offset:128 nt
	flat_load_ushort v101, v[8:9] offset:256 nt
	;; [unrolled: 1-line block ×15, first 2 shown]
	flat_load_ushort v16, v[10:11] nt
	flat_load_ushort v17, v[10:11] offset:128 nt
	flat_load_ushort v18, v[10:11] offset:256 nt
	;; [unrolled: 1-line block ×15, first 2 shown]
	v_lshl_add_u64 v[8:9], v[8:9], 0, s[62:63]
	v_lshl_add_u64 v[10:11], v[10:11], 0, s[62:63]
.LBB29_961:                             ;   in Loop: Header=BB29_893 Depth=3
	s_or_b64 exec, exec, s[26:27]
	s_waitcnt vmcnt(0) lgkmcnt(0)
	v_lshlrev_b32_e32 v0, 16, v74
	v_lshlrev_b32_e32 v1, 16, v75
	v_max_f32_e32 v1, v1, v1
	v_max_f32_e32 v0, v0, v0
	v_min_f32_e32 v2, v0, v1
	v_max_f32_e32 v0, v0, v1
	v_cndmask_b32_e32 v0, v0, v2, vcc
	v_and_b32_e32 v1, 0x7f800000, v0
	v_cmp_ne_u32_e64 s[26:27], s97, v1
                                        ; implicit-def: $vgpr6
	s_and_saveexec_b64 s[36:37], s[26:27]
	s_xor_b64 s[26:27], exec, s[36:37]
; %bb.962:                              ;   in Loop: Header=BB29_893 Depth=3
	v_bfe_u32 v1, v0, 16, 1
	v_add3_u32 v6, v0, v1, s46
                                        ; implicit-def: $vgpr0
; %bb.963:                              ;   in Loop: Header=BB29_893 Depth=3
	s_andn2_saveexec_b64 s[36:37], s[26:27]
; %bb.964:                              ;   in Loop: Header=BB29_893 Depth=3
	v_or_b32_e32 v1, 0x10000, v0
	v_cmp_eq_u32_sdwa s[26:27], v0, v3 src0_sel:WORD_0 src1_sel:DWORD
	s_nop 1
	v_cndmask_b32_e64 v6, v1, v0, s[26:27]
; %bb.965:                              ;   in Loop: Header=BB29_893 Depth=3
	s_or_b64 exec, exec, s[36:37]
	v_lshlrev_b32_e32 v0, 16, v58
	v_lshlrev_b32_e32 v1, 16, v59
	v_max_f32_e32 v1, v1, v1
	v_max_f32_e32 v0, v0, v0
	v_min_f32_e32 v2, v0, v1
	v_max_f32_e32 v0, v0, v1
	v_cndmask_b32_e32 v0, v0, v2, vcc
	v_and_b32_e32 v1, 0x7f800000, v0
	v_cmp_ne_u32_e64 s[26:27], s97, v1
                                        ; implicit-def: $vgpr7
	s_and_saveexec_b64 s[36:37], s[26:27]
	s_xor_b64 s[26:27], exec, s[36:37]
; %bb.966:                              ;   in Loop: Header=BB29_893 Depth=3
	v_bfe_u32 v1, v0, 16, 1
	v_add3_u32 v7, v0, v1, s46
                                        ; implicit-def: $vgpr0
; %bb.967:                              ;   in Loop: Header=BB29_893 Depth=3
	s_andn2_saveexec_b64 s[36:37], s[26:27]
; %bb.968:                              ;   in Loop: Header=BB29_893 Depth=3
	v_or_b32_e32 v1, 0x10000, v0
	v_cmp_eq_u32_sdwa s[26:27], v0, v3 src0_sel:WORD_0 src1_sel:DWORD
	s_nop 1
	v_cndmask_b32_e64 v7, v1, v0, s[26:27]
; %bb.969:                              ;   in Loop: Header=BB29_893 Depth=3
	s_or_b64 exec, exec, s[36:37]
	v_lshlrev_b32_e32 v0, 16, v44
	v_lshlrev_b32_e32 v1, 16, v45
	v_max_f32_e32 v1, v1, v1
	v_max_f32_e32 v0, v0, v0
	v_min_f32_e32 v2, v0, v1
	v_max_f32_e32 v0, v0, v1
	v_cndmask_b32_e32 v0, v0, v2, vcc
	v_and_b32_e32 v1, 0x7f800000, v0
	v_cmp_ne_u32_e64 s[26:27], s97, v1
                                        ; implicit-def: $vgpr30
	s_and_saveexec_b64 s[36:37], s[26:27]
	s_xor_b64 s[26:27], exec, s[36:37]
; %bb.970:                              ;   in Loop: Header=BB29_893 Depth=3
	v_bfe_u32 v1, v0, 16, 1
	v_add3_u32 v30, v0, v1, s46
                                        ; implicit-def: $vgpr0
; %bb.971:                              ;   in Loop: Header=BB29_893 Depth=3
	s_andn2_saveexec_b64 s[36:37], s[26:27]
; %bb.972:                              ;   in Loop: Header=BB29_893 Depth=3
	v_or_b32_e32 v1, 0x10000, v0
	v_cmp_eq_u32_sdwa s[26:27], v0, v3 src0_sel:WORD_0 src1_sel:DWORD
	s_nop 1
	v_cndmask_b32_e64 v30, v1, v0, s[26:27]
; %bb.973:                              ;   in Loop: Header=BB29_893 Depth=3
	s_or_b64 exec, exec, s[36:37]
	v_lshlrev_b32_e32 v0, 16, v118
	v_lshlrev_b32_e32 v1, 16, v119
	v_max_f32_e32 v1, v1, v1
	v_max_f32_e32 v0, v0, v0
	v_min_f32_e32 v2, v0, v1
	v_max_f32_e32 v0, v0, v1
	v_cndmask_b32_e32 v0, v0, v2, vcc
	v_and_b32_e32 v1, 0x7f800000, v0
	v_cmp_ne_u32_e64 s[26:27], s97, v1
                                        ; implicit-def: $vgpr118
	s_and_saveexec_b64 s[36:37], s[26:27]
	s_xor_b64 s[26:27], exec, s[36:37]
; %bb.974:                              ;   in Loop: Header=BB29_893 Depth=3
	v_bfe_u32 v1, v0, 16, 1
	v_add3_u32 v118, v0, v1, s46
                                        ; implicit-def: $vgpr0
; %bb.975:                              ;   in Loop: Header=BB29_893 Depth=3
	s_andn2_saveexec_b64 s[36:37], s[26:27]
; %bb.976:                              ;   in Loop: Header=BB29_893 Depth=3
	v_or_b32_e32 v1, 0x10000, v0
	v_cmp_eq_u32_sdwa s[26:27], v0, v3 src0_sel:WORD_0 src1_sel:DWORD
	s_nop 1
	v_cndmask_b32_e64 v118, v1, v0, s[26:27]
; %bb.977:                              ;   in Loop: Header=BB29_893 Depth=3
	s_or_b64 exec, exec, s[36:37]
	v_lshlrev_b32_e32 v0, 16, v113
	v_lshlrev_b32_e32 v1, 16, v114
	v_max_f32_e32 v1, v1, v1
	v_max_f32_e32 v0, v0, v0
	v_min_f32_e32 v2, v0, v1
	v_max_f32_e32 v0, v0, v1
	v_cndmask_b32_e32 v1, v0, v2, vcc
	v_and_b32_e32 v0, 0x7f800000, v1
	v_cmp_ne_u32_e64 s[26:27], s97, v0
                                        ; implicit-def: $vgpr0
	s_and_saveexec_b64 s[36:37], s[26:27]
	s_xor_b64 s[26:27], exec, s[36:37]
; %bb.978:                              ;   in Loop: Header=BB29_893 Depth=3
	v_bfe_u32 v0, v1, 16, 1
	v_add3_u32 v0, v1, v0, s46
                                        ; implicit-def: $vgpr1
; %bb.979:                              ;   in Loop: Header=BB29_893 Depth=3
	s_andn2_saveexec_b64 s[36:37], s[26:27]
; %bb.980:                              ;   in Loop: Header=BB29_893 Depth=3
	v_or_b32_e32 v0, 0x10000, v1
	v_cmp_eq_u32_sdwa s[26:27], v1, v3 src0_sel:WORD_0 src1_sel:DWORD
	s_nop 1
	v_cndmask_b32_e64 v0, v0, v1, s[26:27]
; %bb.981:                              ;   in Loop: Header=BB29_893 Depth=3
	s_or_b64 exec, exec, s[36:37]
	v_lshlrev_b32_e32 v1, 16, v102
	v_lshlrev_b32_e32 v2, 16, v103
	v_max_f32_e32 v2, v2, v2
	v_max_f32_e32 v1, v1, v1
	v_min_f32_e32 v102, v1, v2
	v_max_f32_e32 v1, v1, v2
	v_cndmask_b32_e32 v1, v1, v102, vcc
	v_and_b32_e32 v2, 0x7f800000, v1
	v_cmp_ne_u32_e64 s[26:27], s97, v2
                                        ; implicit-def: $vgpr102
	s_and_saveexec_b64 s[36:37], s[26:27]
	s_xor_b64 s[26:27], exec, s[36:37]
; %bb.982:                              ;   in Loop: Header=BB29_893 Depth=3
	v_bfe_u32 v2, v1, 16, 1
	v_add3_u32 v102, v1, v2, s46
                                        ; implicit-def: $vgpr1
; %bb.983:                              ;   in Loop: Header=BB29_893 Depth=3
	s_andn2_saveexec_b64 s[36:37], s[26:27]
; %bb.984:                              ;   in Loop: Header=BB29_893 Depth=3
	v_or_b32_e32 v2, 0x10000, v1
	v_cmp_eq_u32_sdwa s[26:27], v1, v3 src0_sel:WORD_0 src1_sel:DWORD
	s_nop 1
	v_cndmask_b32_e64 v102, v2, v1, s[26:27]
; %bb.985:                              ;   in Loop: Header=BB29_893 Depth=3
	s_or_b64 exec, exec, s[36:37]
	v_lshlrev_b32_e32 v1, 16, v99
	v_lshlrev_b32_e32 v2, 16, v100
	v_max_f32_e32 v2, v2, v2
	v_max_f32_e32 v1, v1, v1
	v_min_f32_e32 v99, v1, v2
	v_max_f32_e32 v1, v1, v2
	v_cndmask_b32_e32 v1, v1, v99, vcc
	v_and_b32_e32 v2, 0x7f800000, v1
	v_cmp_ne_u32_e64 s[26:27], s97, v2
                                        ; implicit-def: $vgpr99
	s_and_saveexec_b64 s[36:37], s[26:27]
	s_xor_b64 s[26:27], exec, s[36:37]
; %bb.986:                              ;   in Loop: Header=BB29_893 Depth=3
	v_bfe_u32 v2, v1, 16, 1
	v_add3_u32 v99, v1, v2, s46
                                        ; implicit-def: $vgpr1
; %bb.987:                              ;   in Loop: Header=BB29_893 Depth=3
	s_andn2_saveexec_b64 s[36:37], s[26:27]
; %bb.988:                              ;   in Loop: Header=BB29_893 Depth=3
	v_or_b32_e32 v2, 0x10000, v1
	v_cmp_eq_u32_sdwa s[26:27], v1, v3 src0_sel:WORD_0 src1_sel:DWORD
	s_nop 1
	v_cndmask_b32_e64 v99, v2, v1, s[26:27]
; %bb.989:                              ;   in Loop: Header=BB29_893 Depth=3
	s_or_b64 exec, exec, s[36:37]
	v_lshlrev_b32_e32 v1, 16, v96
	v_lshlrev_b32_e32 v2, 16, v97
	v_max_f32_e32 v2, v2, v2
	v_max_f32_e32 v1, v1, v1
	v_min_f32_e32 v96, v1, v2
	v_max_f32_e32 v1, v1, v2
	v_cndmask_b32_e32 v1, v1, v96, vcc
	v_and_b32_e32 v2, 0x7f800000, v1
	v_cmp_ne_u32_e64 s[26:27], s97, v2
                                        ; implicit-def: $vgpr96
	s_and_saveexec_b64 s[36:37], s[26:27]
	s_xor_b64 s[26:27], exec, s[36:37]
; %bb.990:                              ;   in Loop: Header=BB29_893 Depth=3
	v_bfe_u32 v2, v1, 16, 1
	v_add3_u32 v96, v1, v2, s46
                                        ; implicit-def: $vgpr1
; %bb.991:                              ;   in Loop: Header=BB29_893 Depth=3
	s_andn2_saveexec_b64 s[36:37], s[26:27]
; %bb.992:                              ;   in Loop: Header=BB29_893 Depth=3
	v_or_b32_e32 v2, 0x10000, v1
	v_cmp_eq_u32_sdwa s[26:27], v1, v3 src0_sel:WORD_0 src1_sel:DWORD
	s_nop 1
	v_cndmask_b32_e64 v96, v2, v1, s[26:27]
; %bb.993:                              ;   in Loop: Header=BB29_893 Depth=3
	s_or_b64 exec, exec, s[36:37]
	v_lshlrev_b32_e32 v1, 16, v85
	v_lshlrev_b32_e32 v2, 16, v86
	v_max_f32_e32 v2, v2, v2
	v_max_f32_e32 v1, v1, v1
	v_min_f32_e32 v85, v1, v2
	v_max_f32_e32 v1, v1, v2
	v_cndmask_b32_e32 v1, v1, v85, vcc
	v_and_b32_e32 v2, 0x7f800000, v1
	v_cmp_ne_u32_e64 s[26:27], s97, v2
                                        ; implicit-def: $vgpr85
	s_and_saveexec_b64 s[36:37], s[26:27]
	s_xor_b64 s[26:27], exec, s[36:37]
; %bb.994:                              ;   in Loop: Header=BB29_893 Depth=3
	v_bfe_u32 v2, v1, 16, 1
	v_add3_u32 v85, v1, v2, s46
                                        ; implicit-def: $vgpr1
; %bb.995:                              ;   in Loop: Header=BB29_893 Depth=3
	s_andn2_saveexec_b64 s[36:37], s[26:27]
; %bb.996:                              ;   in Loop: Header=BB29_893 Depth=3
	v_or_b32_e32 v2, 0x10000, v1
	v_cmp_eq_u32_sdwa s[26:27], v1, v3 src0_sel:WORD_0 src1_sel:DWORD
	s_nop 1
	v_cndmask_b32_e64 v85, v2, v1, s[26:27]
; %bb.997:                              ;   in Loop: Header=BB29_893 Depth=3
	s_or_b64 exec, exec, s[36:37]
	v_lshlrev_b32_e32 v1, 16, v82
	v_lshlrev_b32_e32 v2, 16, v84
	v_max_f32_e32 v2, v2, v2
	v_max_f32_e32 v1, v1, v1
	v_min_f32_e32 v82, v1, v2
	v_max_f32_e32 v1, v1, v2
	v_cndmask_b32_e32 v1, v1, v82, vcc
	v_and_b32_e32 v2, 0x7f800000, v1
	v_cmp_ne_u32_e64 s[26:27], s97, v2
                                        ; implicit-def: $vgpr82
	s_and_saveexec_b64 s[36:37], s[26:27]
	s_xor_b64 s[26:27], exec, s[36:37]
; %bb.998:                              ;   in Loop: Header=BB29_893 Depth=3
	v_bfe_u32 v2, v1, 16, 1
	v_add3_u32 v82, v1, v2, s46
                                        ; implicit-def: $vgpr1
; %bb.999:                              ;   in Loop: Header=BB29_893 Depth=3
	s_andn2_saveexec_b64 s[36:37], s[26:27]
; %bb.1000:                             ;   in Loop: Header=BB29_893 Depth=3
	v_or_b32_e32 v2, 0x10000, v1
	v_cmp_eq_u32_sdwa s[26:27], v1, v3 src0_sel:WORD_0 src1_sel:DWORD
	s_nop 1
	v_cndmask_b32_e64 v82, v2, v1, s[26:27]
; %bb.1001:                             ;   in Loop: Header=BB29_893 Depth=3
	s_or_b64 exec, exec, s[36:37]
	v_lshlrev_b32_e32 v1, 16, v71
	v_lshlrev_b32_e32 v2, 16, v81
	v_max_f32_e32 v2, v2, v2
	v_max_f32_e32 v1, v1, v1
	v_min_f32_e32 v71, v1, v2
	v_max_f32_e32 v1, v1, v2
	v_cndmask_b32_e32 v1, v1, v71, vcc
	v_and_b32_e32 v2, 0x7f800000, v1
	v_cmp_ne_u32_e64 s[26:27], s97, v2
                                        ; implicit-def: $vgpr71
	s_and_saveexec_b64 s[36:37], s[26:27]
	s_xor_b64 s[26:27], exec, s[36:37]
; %bb.1002:                             ;   in Loop: Header=BB29_893 Depth=3
	v_bfe_u32 v2, v1, 16, 1
	v_add3_u32 v71, v1, v2, s46
                                        ; implicit-def: $vgpr1
; %bb.1003:                             ;   in Loop: Header=BB29_893 Depth=3
	s_andn2_saveexec_b64 s[36:37], s[26:27]
; %bb.1004:                             ;   in Loop: Header=BB29_893 Depth=3
	v_or_b32_e32 v2, 0x10000, v1
	v_cmp_eq_u32_sdwa s[26:27], v1, v3 src0_sel:WORD_0 src1_sel:DWORD
	s_nop 1
	v_cndmask_b32_e64 v71, v2, v1, s[26:27]
; %bb.1005:                             ;   in Loop: Header=BB29_893 Depth=3
	s_or_b64 exec, exec, s[36:37]
	v_lshlrev_b32_e32 v1, 16, v68
	v_lshlrev_b32_e32 v2, 16, v70
	v_max_f32_e32 v2, v2, v2
	v_max_f32_e32 v1, v1, v1
	v_min_f32_e32 v68, v1, v2
	v_max_f32_e32 v1, v1, v2
	v_cndmask_b32_e32 v1, v1, v68, vcc
	v_and_b32_e32 v2, 0x7f800000, v1
	v_cmp_ne_u32_e64 s[26:27], s97, v2
                                        ; implicit-def: $vgpr68
	s_and_saveexec_b64 s[36:37], s[26:27]
	s_xor_b64 s[26:27], exec, s[36:37]
; %bb.1006:                             ;   in Loop: Header=BB29_893 Depth=3
	v_bfe_u32 v2, v1, 16, 1
	v_add3_u32 v68, v1, v2, s46
                                        ; implicit-def: $vgpr1
; %bb.1007:                             ;   in Loop: Header=BB29_893 Depth=3
	s_andn2_saveexec_b64 s[36:37], s[26:27]
; %bb.1008:                             ;   in Loop: Header=BB29_893 Depth=3
	v_or_b32_e32 v2, 0x10000, v1
	v_cmp_eq_u32_sdwa s[26:27], v1, v3 src0_sel:WORD_0 src1_sel:DWORD
	s_nop 1
	v_cndmask_b32_e64 v68, v2, v1, s[26:27]
; %bb.1009:                             ;   in Loop: Header=BB29_893 Depth=3
	s_or_b64 exec, exec, s[36:37]
	v_lshlrev_b32_e32 v1, 16, v65
	v_lshlrev_b32_e32 v2, 16, v67
	v_max_f32_e32 v2, v2, v2
	v_max_f32_e32 v1, v1, v1
	v_min_f32_e32 v65, v1, v2
	v_max_f32_e32 v1, v1, v2
	v_cndmask_b32_e32 v1, v1, v65, vcc
	v_and_b32_e32 v2, 0x7f800000, v1
	v_cmp_ne_u32_e64 s[26:27], s97, v2
                                        ; implicit-def: $vgpr65
	s_and_saveexec_b64 s[36:37], s[26:27]
	s_xor_b64 s[26:27], exec, s[36:37]
; %bb.1010:                             ;   in Loop: Header=BB29_893 Depth=3
	v_bfe_u32 v2, v1, 16, 1
	v_add3_u32 v65, v1, v2, s46
                                        ; implicit-def: $vgpr1
; %bb.1011:                             ;   in Loop: Header=BB29_893 Depth=3
	s_andn2_saveexec_b64 s[36:37], s[26:27]
; %bb.1012:                             ;   in Loop: Header=BB29_893 Depth=3
	v_or_b32_e32 v2, 0x10000, v1
	v_cmp_eq_u32_sdwa s[26:27], v1, v3 src0_sel:WORD_0 src1_sel:DWORD
	s_nop 1
	v_cndmask_b32_e64 v65, v2, v1, s[26:27]
; %bb.1013:                             ;   in Loop: Header=BB29_893 Depth=3
	s_or_b64 exec, exec, s[36:37]
	v_lshlrev_b32_e32 v1, 16, v54
	v_lshlrev_b32_e32 v2, 16, v64
	v_max_f32_e32 v2, v2, v2
	v_max_f32_e32 v1, v1, v1
	v_min_f32_e32 v54, v1, v2
	v_max_f32_e32 v1, v1, v2
	v_cndmask_b32_e32 v1, v1, v54, vcc
	v_and_b32_e32 v2, 0x7f800000, v1
	v_cmp_ne_u32_e64 s[26:27], s97, v2
                                        ; implicit-def: $vgpr54
	s_and_saveexec_b64 s[36:37], s[26:27]
	s_xor_b64 s[26:27], exec, s[36:37]
; %bb.1014:                             ;   in Loop: Header=BB29_893 Depth=3
	v_bfe_u32 v2, v1, 16, 1
	v_add3_u32 v54, v1, v2, s46
                                        ; implicit-def: $vgpr1
; %bb.1015:                             ;   in Loop: Header=BB29_893 Depth=3
	s_andn2_saveexec_b64 s[36:37], s[26:27]
; %bb.1016:                             ;   in Loop: Header=BB29_893 Depth=3
	v_or_b32_e32 v2, 0x10000, v1
	v_cmp_eq_u32_sdwa s[26:27], v1, v3 src0_sel:WORD_0 src1_sel:DWORD
	s_nop 1
	v_cndmask_b32_e64 v54, v2, v1, s[26:27]
; %bb.1017:                             ;   in Loop: Header=BB29_893 Depth=3
	s_or_b64 exec, exec, s[36:37]
	v_lshlrev_b32_e32 v1, 16, v52
	v_lshlrev_b32_e32 v2, 16, v53
	v_max_f32_e32 v2, v2, v2
	v_max_f32_e32 v1, v1, v1
	v_min_f32_e32 v52, v1, v2
	v_max_f32_e32 v1, v1, v2
	v_cndmask_b32_e32 v52, v1, v52, vcc
	v_and_b32_e32 v1, 0x7f800000, v52
	v_cmp_ne_u32_e64 s[26:27], s97, v1
                                        ; implicit-def: $vgpr1
	s_and_saveexec_b64 s[36:37], s[26:27]
	s_xor_b64 s[26:27], exec, s[36:37]
; %bb.1018:                             ;   in Loop: Header=BB29_893 Depth=3
	v_bfe_u32 v1, v52, 16, 1
	v_add3_u32 v1, v52, v1, s46
                                        ; implicit-def: $vgpr52
; %bb.1019:                             ;   in Loop: Header=BB29_893 Depth=3
	s_andn2_saveexec_b64 s[36:37], s[26:27]
; %bb.1020:                             ;   in Loop: Header=BB29_893 Depth=3
	v_or_b32_e32 v1, 0x10000, v52
	v_cmp_eq_u32_sdwa s[26:27], v52, v3 src0_sel:WORD_0 src1_sel:DWORD
	s_nop 1
	v_cndmask_b32_e64 v1, v1, v52, s[26:27]
; %bb.1021:                             ;   in Loop: Header=BB29_893 Depth=3
	s_or_b64 exec, exec, s[36:37]
	v_lshlrev_b32_e32 v2, 16, v49
	v_lshlrev_b32_e32 v49, 16, v50
	v_max_f32_e32 v49, v49, v49
	v_max_f32_e32 v2, v2, v2
	v_min_f32_e32 v50, v2, v49
	v_max_f32_e32 v2, v2, v49
	v_cndmask_b32_e32 v50, v2, v50, vcc
	v_and_b32_e32 v2, 0x7f800000, v50
	v_cmp_ne_u32_e64 s[26:27], s97, v2
                                        ; implicit-def: $vgpr49
	s_and_saveexec_b64 s[36:37], s[26:27]
	s_xor_b64 s[26:27], exec, s[36:37]
; %bb.1022:                             ;   in Loop: Header=BB29_893 Depth=3
	v_bfe_u32 v2, v50, 16, 1
	v_add3_u32 v49, v50, v2, s46
                                        ; implicit-def: $vgpr50
; %bb.1023:                             ;   in Loop: Header=BB29_893 Depth=3
	s_andn2_saveexec_b64 s[36:37], s[26:27]
	s_cbranch_execz .LBB29_892
; %bb.1024:                             ;   in Loop: Header=BB29_893 Depth=3
	v_or_b32_e32 v2, 0x10000, v50
	v_cmp_eq_u32_sdwa s[26:27], v50, v3 src0_sel:WORD_0 src1_sel:DWORD
	s_nop 1
	v_cndmask_b32_e64 v49, v2, v50, s[26:27]
	s_branch .LBB29_892
.LBB29_1025:                            ;   in Loop: Header=BB29_296 Depth=2
	s_or_b64 exec, exec, s[30:31]
	v_lshlrev_b32_e32 v96, 16, v115
	v_lshlrev_b32_e32 v97, 16, v16
	v_lshlrev_b32_e32 v85, 16, v112
	v_lshlrev_b32_e32 v86, 16, v17
	v_lshlrev_b32_e32 v82, 16, v101
	v_lshlrev_b32_e32 v84, 16, v18
	v_lshlrev_b32_e32 v71, 16, v98
	v_lshlrev_b32_e32 v81, 16, v19
	v_lshlrev_b32_e32 v68, 16, v87
	v_lshlrev_b32_e32 v70, 16, v20
	v_lshlrev_b32_e32 v65, 16, v83
	v_lshlrev_b32_e32 v67, 16, v21
	v_lshlrev_b32_e32 v54, 16, v80
	v_lshlrev_b32_e32 v64, 16, v22
	v_lshlrev_b32_e32 v52, 16, v69
	v_lshlrev_b32_e32 v53, 16, v23
	v_lshlrev_b32_e32 v49, 16, v66
	v_lshlrev_b32_e32 v50, 16, v24
	v_lshlrev_b32_e32 v30, 16, v55
	v_lshlrev_b32_e32 v0, 16, v25
	v_lshlrev_b32_e32 v23, 16, v51
	v_lshlrev_b32_e32 v24, 16, v26
	v_lshlrev_b32_e32 v20, 16, v48
	v_lshlrev_b32_e32 v21, 16, v27
	v_lshlrev_b32_e32 v18, 16, v39
	v_lshlrev_b32_e32 v19, 16, v32
	v_lshlrev_b32_e32 v16, 16, v38
	v_lshlrev_b32_e32 v17, 16, v33
	v_lshlrev_b32_e32 v8, 16, v37
	v_lshlrev_b32_e32 v9, 16, v34
	v_lshlrev_b32_e32 v6, 16, v36
	v_lshlrev_b32_e32 v7, 16, v35
	s_and_b64 s[26:27], s[40:41], exec
.LBB29_1026:                            ;   in Loop: Header=BB29_296 Depth=2
	s_or_b64 exec, exec, s[28:29]
	s_and_saveexec_b64 s[28:29], s[26:27]
	s_cbranch_execz .LBB29_1092
; %bb.1027:                             ;   in Loop: Header=BB29_296 Depth=2
	s_and_b32 s13, s45, 0xff
	s_cmp_eq_u32 s13, 0
	v_max_f32_e32 v1, v97, v97
	v_max_f32_e32 v2, v96, v96
	v_min_f32_e32 v10, v2, v1
	v_max_f32_e32 v1, v2, v1
	s_cselect_b64 vcc, -1, 0
	v_cndmask_b32_e32 v1, v1, v10, vcc
	v_and_b32_e32 v2, 0x7f800000, v1
	v_cmp_ne_u32_e64 s[26:27], s97, v2
                                        ; implicit-def: $vgpr10
	s_and_saveexec_b64 s[40:41], s[26:27]
	s_xor_b64 s[26:27], exec, s[40:41]
; %bb.1028:                             ;   in Loop: Header=BB29_296 Depth=2
	v_bfe_u32 v2, v1, 16, 1
	v_add3_u32 v10, v1, v2, s46
                                        ; implicit-def: $vgpr1
; %bb.1029:                             ;   in Loop: Header=BB29_296 Depth=2
	s_andn2_saveexec_b64 s[40:41], s[26:27]
; %bb.1030:                             ;   in Loop: Header=BB29_296 Depth=2
	v_or_b32_e32 v2, 0x10000, v1
	v_cmp_eq_u32_sdwa s[26:27], v1, v3 src0_sel:WORD_0 src1_sel:DWORD
	s_nop 1
	v_cndmask_b32_e64 v10, v2, v1, s[26:27]
; %bb.1031:                             ;   in Loop: Header=BB29_296 Depth=2
	s_or_b64 exec, exec, s[40:41]
	v_max_f32_e32 v1, v86, v86
	v_max_f32_e32 v2, v85, v85
	v_min_f32_e32 v11, v2, v1
	v_max_f32_e32 v1, v2, v1
	v_cndmask_b32_e32 v1, v1, v11, vcc
	v_and_b32_e32 v2, 0x7f800000, v1
	v_cmp_ne_u32_e64 s[26:27], s97, v2
                                        ; implicit-def: $vgpr11
	s_and_saveexec_b64 s[40:41], s[26:27]
	s_xor_b64 s[26:27], exec, s[40:41]
; %bb.1032:                             ;   in Loop: Header=BB29_296 Depth=2
	v_bfe_u32 v2, v1, 16, 1
	v_add3_u32 v11, v1, v2, s46
                                        ; implicit-def: $vgpr1
; %bb.1033:                             ;   in Loop: Header=BB29_296 Depth=2
	s_andn2_saveexec_b64 s[40:41], s[26:27]
; %bb.1034:                             ;   in Loop: Header=BB29_296 Depth=2
	v_or_b32_e32 v2, 0x10000, v1
	v_cmp_eq_u32_sdwa s[26:27], v1, v3 src0_sel:WORD_0 src1_sel:DWORD
	s_nop 1
	v_cndmask_b32_e64 v11, v2, v1, s[26:27]
; %bb.1035:                             ;   in Loop: Header=BB29_296 Depth=2
	s_or_b64 exec, exec, s[40:41]
	v_max_f32_e32 v1, v84, v84
	v_max_f32_e32 v2, v82, v82
	v_min_f32_e32 v22, v2, v1
	v_max_f32_e32 v1, v2, v1
	v_cndmask_b32_e32 v1, v1, v22, vcc
	v_and_b32_e32 v2, 0x7f800000, v1
	v_cmp_ne_u32_e64 s[26:27], s97, v2
                                        ; implicit-def: $vgpr22
	s_and_saveexec_b64 s[40:41], s[26:27]
	s_xor_b64 s[26:27], exec, s[40:41]
; %bb.1036:                             ;   in Loop: Header=BB29_296 Depth=2
	v_bfe_u32 v2, v1, 16, 1
	v_add3_u32 v22, v1, v2, s46
                                        ; implicit-def: $vgpr1
; %bb.1037:                             ;   in Loop: Header=BB29_296 Depth=2
	s_andn2_saveexec_b64 s[40:41], s[26:27]
; %bb.1038:                             ;   in Loop: Header=BB29_296 Depth=2
	v_or_b32_e32 v2, 0x10000, v1
	v_cmp_eq_u32_sdwa s[26:27], v1, v3 src0_sel:WORD_0 src1_sel:DWORD
	s_nop 1
	v_cndmask_b32_e64 v22, v2, v1, s[26:27]
; %bb.1039:                             ;   in Loop: Header=BB29_296 Depth=2
	s_or_b64 exec, exec, s[40:41]
	v_max_f32_e32 v1, v81, v81
	v_max_f32_e32 v2, v71, v71
	v_min_f32_e32 v25, v2, v1
	v_max_f32_e32 v1, v2, v1
	v_cndmask_b32_e32 v1, v1, v25, vcc
	v_and_b32_e32 v2, 0x7f800000, v1
	v_cmp_ne_u32_e64 s[26:27], s97, v2
                                        ; implicit-def: $vgpr25
	s_and_saveexec_b64 s[40:41], s[26:27]
	s_xor_b64 s[26:27], exec, s[40:41]
; %bb.1040:                             ;   in Loop: Header=BB29_296 Depth=2
	v_bfe_u32 v2, v1, 16, 1
	v_add3_u32 v25, v1, v2, s46
                                        ; implicit-def: $vgpr1
; %bb.1041:                             ;   in Loop: Header=BB29_296 Depth=2
	s_andn2_saveexec_b64 s[40:41], s[26:27]
; %bb.1042:                             ;   in Loop: Header=BB29_296 Depth=2
	v_or_b32_e32 v2, 0x10000, v1
	v_cmp_eq_u32_sdwa s[26:27], v1, v3 src0_sel:WORD_0 src1_sel:DWORD
	s_nop 1
	v_cndmask_b32_e64 v25, v2, v1, s[26:27]
; %bb.1043:                             ;   in Loop: Header=BB29_296 Depth=2
	s_or_b64 exec, exec, s[40:41]
	v_max_f32_e32 v1, v70, v70
	v_max_f32_e32 v2, v68, v68
	v_min_f32_e32 v26, v2, v1
	v_max_f32_e32 v1, v2, v1
	v_cndmask_b32_e32 v1, v1, v26, vcc
	v_and_b32_e32 v2, 0x7f800000, v1
	v_cmp_ne_u32_e64 s[26:27], s97, v2
                                        ; implicit-def: $vgpr26
	s_and_saveexec_b64 s[40:41], s[26:27]
	s_xor_b64 s[26:27], exec, s[40:41]
; %bb.1044:                             ;   in Loop: Header=BB29_296 Depth=2
	v_bfe_u32 v2, v1, 16, 1
	v_add3_u32 v26, v1, v2, s46
                                        ; implicit-def: $vgpr1
; %bb.1045:                             ;   in Loop: Header=BB29_296 Depth=2
	s_andn2_saveexec_b64 s[40:41], s[26:27]
; %bb.1046:                             ;   in Loop: Header=BB29_296 Depth=2
	v_or_b32_e32 v2, 0x10000, v1
	v_cmp_eq_u32_sdwa s[26:27], v1, v3 src0_sel:WORD_0 src1_sel:DWORD
	s_nop 1
	v_cndmask_b32_e64 v26, v2, v1, s[26:27]
; %bb.1047:                             ;   in Loop: Header=BB29_296 Depth=2
	s_or_b64 exec, exec, s[40:41]
	v_max_f32_e32 v1, v67, v67
	v_max_f32_e32 v2, v65, v65
	v_min_f32_e32 v27, v2, v1
	v_max_f32_e32 v1, v2, v1
	v_cndmask_b32_e32 v1, v1, v27, vcc
	v_and_b32_e32 v2, 0x7f800000, v1
	v_cmp_ne_u32_e64 s[26:27], s97, v2
                                        ; implicit-def: $vgpr27
	s_and_saveexec_b64 s[40:41], s[26:27]
	s_xor_b64 s[26:27], exec, s[40:41]
; %bb.1048:                             ;   in Loop: Header=BB29_296 Depth=2
	v_bfe_u32 v2, v1, 16, 1
	v_add3_u32 v27, v1, v2, s46
                                        ; implicit-def: $vgpr1
; %bb.1049:                             ;   in Loop: Header=BB29_296 Depth=2
	s_andn2_saveexec_b64 s[40:41], s[26:27]
; %bb.1050:                             ;   in Loop: Header=BB29_296 Depth=2
	v_or_b32_e32 v2, 0x10000, v1
	v_cmp_eq_u32_sdwa s[26:27], v1, v3 src0_sel:WORD_0 src1_sel:DWORD
	s_nop 1
	v_cndmask_b32_e64 v27, v2, v1, s[26:27]
; %bb.1051:                             ;   in Loop: Header=BB29_296 Depth=2
	s_or_b64 exec, exec, s[40:41]
	v_max_f32_e32 v1, v64, v64
	v_max_f32_e32 v2, v54, v54
	v_min_f32_e32 v32, v2, v1
	v_max_f32_e32 v1, v2, v1
	v_cndmask_b32_e32 v1, v1, v32, vcc
	v_and_b32_e32 v2, 0x7f800000, v1
	v_cmp_ne_u32_e64 s[26:27], s97, v2
                                        ; implicit-def: $vgpr32
	s_and_saveexec_b64 s[40:41], s[26:27]
	s_xor_b64 s[26:27], exec, s[40:41]
; %bb.1052:                             ;   in Loop: Header=BB29_296 Depth=2
	v_bfe_u32 v2, v1, 16, 1
	v_add3_u32 v32, v1, v2, s46
                                        ; implicit-def: $vgpr1
; %bb.1053:                             ;   in Loop: Header=BB29_296 Depth=2
	s_andn2_saveexec_b64 s[40:41], s[26:27]
; %bb.1054:                             ;   in Loop: Header=BB29_296 Depth=2
	v_or_b32_e32 v2, 0x10000, v1
	v_cmp_eq_u32_sdwa s[26:27], v1, v3 src0_sel:WORD_0 src1_sel:DWORD
	s_nop 1
	v_cndmask_b32_e64 v32, v2, v1, s[26:27]
; %bb.1055:                             ;   in Loop: Header=BB29_296 Depth=2
	s_or_b64 exec, exec, s[40:41]
	v_max_f32_e32 v1, v53, v53
	v_max_f32_e32 v2, v52, v52
	v_min_f32_e32 v33, v2, v1
	v_max_f32_e32 v1, v2, v1
	v_cndmask_b32_e32 v1, v1, v33, vcc
	v_and_b32_e32 v2, 0x7f800000, v1
	v_cmp_ne_u32_e64 s[26:27], s97, v2
                                        ; implicit-def: $vgpr33
	s_and_saveexec_b64 s[40:41], s[26:27]
	s_xor_b64 s[26:27], exec, s[40:41]
; %bb.1056:                             ;   in Loop: Header=BB29_296 Depth=2
	v_bfe_u32 v2, v1, 16, 1
	v_add3_u32 v33, v1, v2, s46
                                        ; implicit-def: $vgpr1
; %bb.1057:                             ;   in Loop: Header=BB29_296 Depth=2
	s_andn2_saveexec_b64 s[40:41], s[26:27]
; %bb.1058:                             ;   in Loop: Header=BB29_296 Depth=2
	v_or_b32_e32 v2, 0x10000, v1
	v_cmp_eq_u32_sdwa s[26:27], v1, v3 src0_sel:WORD_0 src1_sel:DWORD
	s_nop 1
	v_cndmask_b32_e64 v33, v2, v1, s[26:27]
; %bb.1059:                             ;   in Loop: Header=BB29_296 Depth=2
	s_or_b64 exec, exec, s[40:41]
	v_max_f32_e32 v1, v50, v50
	v_max_f32_e32 v2, v49, v49
	v_min_f32_e32 v34, v2, v1
	v_max_f32_e32 v1, v2, v1
	v_cndmask_b32_e32 v1, v1, v34, vcc
	v_and_b32_e32 v2, 0x7f800000, v1
	v_cmp_ne_u32_e64 s[26:27], s97, v2
                                        ; implicit-def: $vgpr34
	s_and_saveexec_b64 s[40:41], s[26:27]
	s_xor_b64 s[26:27], exec, s[40:41]
; %bb.1060:                             ;   in Loop: Header=BB29_296 Depth=2
	v_bfe_u32 v2, v1, 16, 1
	v_add3_u32 v34, v1, v2, s46
                                        ; implicit-def: $vgpr1
; %bb.1061:                             ;   in Loop: Header=BB29_296 Depth=2
	s_andn2_saveexec_b64 s[40:41], s[26:27]
; %bb.1062:                             ;   in Loop: Header=BB29_296 Depth=2
	v_or_b32_e32 v2, 0x10000, v1
	v_cmp_eq_u32_sdwa s[26:27], v1, v3 src0_sel:WORD_0 src1_sel:DWORD
	s_nop 1
	v_cndmask_b32_e64 v34, v2, v1, s[26:27]
; %bb.1063:                             ;   in Loop: Header=BB29_296 Depth=2
	s_or_b64 exec, exec, s[40:41]
	v_max_f32_e32 v0, v0, v0
	v_max_f32_e32 v1, v30, v30
	v_min_f32_e32 v2, v1, v0
	v_max_f32_e32 v0, v1, v0
	v_cndmask_b32_e32 v1, v0, v2, vcc
	v_and_b32_e32 v0, 0x7f800000, v1
	v_cmp_ne_u32_e64 s[26:27], s97, v0
                                        ; implicit-def: $vgpr0
	s_and_saveexec_b64 s[40:41], s[26:27]
	s_xor_b64 s[26:27], exec, s[40:41]
; %bb.1064:                             ;   in Loop: Header=BB29_296 Depth=2
	v_bfe_u32 v0, v1, 16, 1
	v_add3_u32 v0, v1, v0, s46
                                        ; implicit-def: $vgpr1
; %bb.1065:                             ;   in Loop: Header=BB29_296 Depth=2
	s_andn2_saveexec_b64 s[40:41], s[26:27]
; %bb.1066:                             ;   in Loop: Header=BB29_296 Depth=2
	v_or_b32_e32 v0, 0x10000, v1
	v_cmp_eq_u32_sdwa s[26:27], v1, v3 src0_sel:WORD_0 src1_sel:DWORD
	s_nop 1
	v_cndmask_b32_e64 v0, v0, v1, s[26:27]
; %bb.1067:                             ;   in Loop: Header=BB29_296 Depth=2
	s_or_b64 exec, exec, s[40:41]
	v_max_f32_e32 v1, v24, v24
	v_max_f32_e32 v2, v23, v23
	v_min_f32_e32 v23, v2, v1
	v_max_f32_e32 v1, v2, v1
	v_cndmask_b32_e32 v1, v1, v23, vcc
	v_and_b32_e32 v2, 0x7f800000, v1
	v_cmp_ne_u32_e64 s[26:27], s97, v2
                                        ; implicit-def: $vgpr23
	s_and_saveexec_b64 s[40:41], s[26:27]
	s_xor_b64 s[26:27], exec, s[40:41]
; %bb.1068:                             ;   in Loop: Header=BB29_296 Depth=2
	v_bfe_u32 v2, v1, 16, 1
	v_add3_u32 v23, v1, v2, s46
                                        ; implicit-def: $vgpr1
; %bb.1069:                             ;   in Loop: Header=BB29_296 Depth=2
	s_andn2_saveexec_b64 s[40:41], s[26:27]
; %bb.1070:                             ;   in Loop: Header=BB29_296 Depth=2
	v_or_b32_e32 v2, 0x10000, v1
	v_cmp_eq_u32_sdwa s[26:27], v1, v3 src0_sel:WORD_0 src1_sel:DWORD
	s_nop 1
	v_cndmask_b32_e64 v23, v2, v1, s[26:27]
; %bb.1071:                             ;   in Loop: Header=BB29_296 Depth=2
	s_or_b64 exec, exec, s[40:41]
	v_max_f32_e32 v1, v21, v21
	v_max_f32_e32 v2, v20, v20
	v_min_f32_e32 v20, v2, v1
	v_max_f32_e32 v1, v2, v1
	v_cndmask_b32_e32 v1, v1, v20, vcc
	v_and_b32_e32 v2, 0x7f800000, v1
	v_cmp_ne_u32_e64 s[26:27], s97, v2
                                        ; implicit-def: $vgpr20
	s_and_saveexec_b64 s[40:41], s[26:27]
	s_xor_b64 s[26:27], exec, s[40:41]
; %bb.1072:                             ;   in Loop: Header=BB29_296 Depth=2
	v_bfe_u32 v2, v1, 16, 1
	v_add3_u32 v20, v1, v2, s46
                                        ; implicit-def: $vgpr1
; %bb.1073:                             ;   in Loop: Header=BB29_296 Depth=2
	s_andn2_saveexec_b64 s[40:41], s[26:27]
; %bb.1074:                             ;   in Loop: Header=BB29_296 Depth=2
	v_or_b32_e32 v2, 0x10000, v1
	v_cmp_eq_u32_sdwa s[26:27], v1, v3 src0_sel:WORD_0 src1_sel:DWORD
	s_nop 1
	v_cndmask_b32_e64 v20, v2, v1, s[26:27]
; %bb.1075:                             ;   in Loop: Header=BB29_296 Depth=2
	s_or_b64 exec, exec, s[40:41]
	v_max_f32_e32 v1, v19, v19
	v_max_f32_e32 v2, v18, v18
	v_min_f32_e32 v18, v2, v1
	v_max_f32_e32 v1, v2, v1
	v_cndmask_b32_e32 v1, v1, v18, vcc
	v_and_b32_e32 v2, 0x7f800000, v1
	v_cmp_ne_u32_e64 s[26:27], s97, v2
                                        ; implicit-def: $vgpr18
	s_and_saveexec_b64 s[40:41], s[26:27]
	s_xor_b64 s[26:27], exec, s[40:41]
; %bb.1076:                             ;   in Loop: Header=BB29_296 Depth=2
	v_bfe_u32 v2, v1, 16, 1
	v_add3_u32 v18, v1, v2, s46
                                        ; implicit-def: $vgpr1
; %bb.1077:                             ;   in Loop: Header=BB29_296 Depth=2
	s_andn2_saveexec_b64 s[40:41], s[26:27]
; %bb.1078:                             ;   in Loop: Header=BB29_296 Depth=2
	v_or_b32_e32 v2, 0x10000, v1
	v_cmp_eq_u32_sdwa s[26:27], v1, v3 src0_sel:WORD_0 src1_sel:DWORD
	s_nop 1
	v_cndmask_b32_e64 v18, v2, v1, s[26:27]
; %bb.1079:                             ;   in Loop: Header=BB29_296 Depth=2
	s_or_b64 exec, exec, s[40:41]
	v_max_f32_e32 v1, v17, v17
	v_max_f32_e32 v2, v16, v16
	v_min_f32_e32 v16, v2, v1
	v_max_f32_e32 v1, v2, v1
	v_cndmask_b32_e32 v16, v1, v16, vcc
	v_and_b32_e32 v1, 0x7f800000, v16
	v_cmp_ne_u32_e64 s[26:27], s97, v1
                                        ; implicit-def: $vgpr1
	s_and_saveexec_b64 s[40:41], s[26:27]
	s_xor_b64 s[26:27], exec, s[40:41]
; %bb.1080:                             ;   in Loop: Header=BB29_296 Depth=2
	v_bfe_u32 v1, v16, 16, 1
	v_add3_u32 v1, v16, v1, s46
                                        ; implicit-def: $vgpr16
; %bb.1081:                             ;   in Loop: Header=BB29_296 Depth=2
	s_andn2_saveexec_b64 s[40:41], s[26:27]
; %bb.1082:                             ;   in Loop: Header=BB29_296 Depth=2
	v_or_b32_e32 v1, 0x10000, v16
	v_cmp_eq_u32_sdwa s[26:27], v16, v3 src0_sel:WORD_0 src1_sel:DWORD
	s_nop 1
	v_cndmask_b32_e64 v1, v1, v16, s[26:27]
; %bb.1083:                             ;   in Loop: Header=BB29_296 Depth=2
	s_or_b64 exec, exec, s[40:41]
	v_max_f32_e32 v2, v9, v9
	v_max_f32_e32 v8, v8, v8
	v_min_f32_e32 v9, v8, v2
	v_max_f32_e32 v2, v8, v2
	v_cndmask_b32_e32 v9, v2, v9, vcc
	v_and_b32_e32 v2, 0x7f800000, v9
	v_cmp_ne_u32_e64 s[26:27], s97, v2
                                        ; implicit-def: $vgpr8
	s_and_saveexec_b64 s[40:41], s[26:27]
	s_xor_b64 s[26:27], exec, s[40:41]
; %bb.1084:                             ;   in Loop: Header=BB29_296 Depth=2
	v_bfe_u32 v2, v9, 16, 1
	v_add3_u32 v8, v9, v2, s46
                                        ; implicit-def: $vgpr9
; %bb.1085:                             ;   in Loop: Header=BB29_296 Depth=2
	s_andn2_saveexec_b64 s[40:41], s[26:27]
; %bb.1086:                             ;   in Loop: Header=BB29_296 Depth=2
	v_or_b32_e32 v2, 0x10000, v9
	v_cmp_eq_u32_sdwa s[26:27], v9, v3 src0_sel:WORD_0 src1_sel:DWORD
	s_nop 1
	v_cndmask_b32_e64 v8, v2, v9, s[26:27]
; %bb.1087:                             ;   in Loop: Header=BB29_296 Depth=2
	s_or_b64 exec, exec, s[40:41]
	v_max_f32_e32 v2, v7, v7
	v_max_f32_e32 v6, v6, v6
	v_min_f32_e32 v7, v6, v2
	v_max_f32_e32 v2, v6, v2
	v_cndmask_b32_e32 v7, v2, v7, vcc
	v_and_b32_e32 v2, 0x7f800000, v7
	v_cmp_ne_u32_e32 vcc, s97, v2
                                        ; implicit-def: $vgpr6
	s_and_saveexec_b64 s[26:27], vcc
	s_xor_b64 s[26:27], exec, s[26:27]
; %bb.1088:                             ;   in Loop: Header=BB29_296 Depth=2
	v_bfe_u32 v2, v7, 16, 1
	v_add3_u32 v6, v7, v2, s46
                                        ; implicit-def: $vgpr7
; %bb.1089:                             ;   in Loop: Header=BB29_296 Depth=2
	s_andn2_saveexec_b64 s[26:27], s[26:27]
; %bb.1090:                             ;   in Loop: Header=BB29_296 Depth=2
	v_or_b32_e32 v2, 0x10000, v7
	v_cmp_eq_u32_sdwa vcc, v7, v3 src0_sel:WORD_0 src1_sel:DWORD
	s_nop 1
	v_cndmask_b32_e32 v6, v2, v7, vcc
; %bb.1091:                             ;   in Loop: Header=BB29_296 Depth=2
	s_or_b64 exec, exec, s[26:27]
	flat_store_short_d16_hi v[4:5], v10 nt
	flat_store_short_d16_hi v[4:5], v11 offset:128 nt
	flat_store_short_d16_hi v[4:5], v22 offset:256 nt
	;; [unrolled: 1-line block ×15, first 2 shown]
.LBB29_1092:                            ;   in Loop: Header=BB29_296 Depth=2
	s_or_b64 exec, exec, s[28:29]
	v_lshlrev_b32_e32 v0, 11, v14
	v_cmp_ne_u32_e32 vcc, v29, v0
	s_and_b64 exec, exec, vcc
	s_cbranch_execz .LBB29_1117
; %bb.1093:                             ;   in Loop: Header=BB29_296 Depth=2
	v_lshlrev_b32_e32 v1, 6, v15
	v_sub_u32_e32 v1, v13, v1
	v_ashrrev_i32_e32 v2, 31, v1
	v_lshrrev_b32_e32 v2, 26, v2
	v_add_u32_e32 v2, v1, v2
	v_and_b32_e32 v4, 0x7fffffc0, v2
	v_sub_u32_e32 v1, v1, v4
	v_lshlrev_b32_e32 v2, 1, v2
	v_and_b32_e32 v2, 0xffffff80, v2
	v_lshlrev_b32_e32 v1, 1, v1
	v_add3_u32 v1, v2, v1, v0
	v_sub_u32_e32 v0, v29, v1
	v_cmp_lt_i32_e32 vcc, 1, v0
	s_and_b64 exec, exec, vcc
	s_cbranch_execz .LBB29_1117
; %bb.1094:                             ;   in Loop: Header=BB29_296 Depth=2
	s_trap 2
	ds_read_b64 v[6:7], v0
	v_add_u32_e32 v8, v1, v12
	s_and_b32 s13, s45, 0xff
	v_ashrrev_i32_e32 v9, 31, v8
	s_cmp_eq_u32 s13, 0
	v_lshl_add_u64 v[4:5], v[72:73], 0, v[8:9]
	v_lshl_add_u64 v[10:11], v[8:9], 0, v[62:63]
	s_waitcnt lgkmcnt(0)
	v_lshl_add_u64 v[8:9], v[6:7], 0, v[8:9]
	s_mov_b64 s[36:37], 0
	s_mov_b64 s[30:31], 0
	s_cselect_b64 s[26:27], -1, 0
                                        ; implicit-def: $sgpr34_sgpr35
	s_branch .LBB29_1096
.LBB29_1095:                            ;   in Loop: Header=BB29_1096 Depth=3
	s_or_b64 exec, exec, s[28:29]
	v_lshrrev_b32_e32 v1, 16, v6
	scratch_store_short off, v1, s33 offset:192
	flat_store_short v[4:5], v1 nt
	scratch_load_dwordx2 v[14:15], off, s33 offset:256 ; 8-byte Folded Reload
	v_mov_b32_e32 v1, 0x80
	v_lshl_add_u64 v[6:7], v[10:11], 0, v[92:93]
	v_lshl_add_u64 v[12:13], v[8:9], 0, v[92:93]
	v_cndmask_b32_e64 v9, v9, v13, s[36:37]
	v_cndmask_b32_e64 v8, v8, v12, s[36:37]
	;; [unrolled: 1-line block ×4, first 2 shown]
	s_waitcnt vmcnt(0)
	v_cndmask_b32_e64 v14, v1, v14, s[36:37]
	v_cndmask_b32_e64 v1, 0, v31, s[36:37]
	v_sub_u32_e32 v0, v0, v1
	v_cmp_gt_i32_e32 vcc, 2, v0
	s_or_b64 s[30:31], vcc, s[30:31]
	v_cndmask_b32_e64 v15, 0, v15, s[36:37]
	s_andn2_b64 s[28:29], s[34:35], exec
	s_and_b64 s[40:41], s[36:37], exec
	v_lshl_add_u64 v[4:5], v[4:5], 0, v[14:15]
	s_or_b64 s[34:35], s[28:29], s[40:41]
	s_andn2_b64 exec, exec, s[30:31]
	s_cbranch_execz .LBB29_1111
.LBB29_1096:                            ;   Parent Loop BB29_47 Depth=1
                                        ;     Parent Loop BB29_296 Depth=2
                                        ; =>    This Loop Header: Depth=3
                                        ;         Child Loop BB29_1097 Depth 4
                                        ;         Child Loop BB29_1106 Depth 4
	s_add_i32 s28, s33, 0xc0
	s_mov_b32 s13, s28
	s_mov_b64 s[38:39], -1
	s_mov_b64 s[48:49], 0
.LBB29_1097:                            ;   Parent Loop BB29_47 Depth=1
                                        ;     Parent Loop BB29_296 Depth=2
                                        ;       Parent Loop BB29_1096 Depth=3
                                        ; =>      This Inner Loop Header: Depth=4
	s_cmp_eq_u32 s48, 1
	s_cselect_b64 vcc, -1, 0
	v_cndmask_b32_e32 v7, v11, v9, vcc
	v_cndmask_b32_e32 v6, v10, v8, vcc
	flat_load_ushort v1, v[6:7] nt
	s_cmp_eq_u32 s48, 0
	v_lshl_add_u64 v[6:7], v[6:7], 0, s[72:73]
	s_cselect_b64 s[28:29], -1, 0
	s_and_b64 s[40:41], exec, s[38:39]
	v_cndmask_b32_e64 v11, v11, v7, s[28:29]
	v_cndmask_b32_e64 v10, v10, v6, s[28:29]
	s_add_i32 s28, s33, 0xe0
	s_mov_b64 s[48:49], 1
	s_mov_b64 s[38:39], 0
	v_cndmask_b32_e32 v9, v9, v7, vcc
	v_cndmask_b32_e32 v8, v8, v6, vcc
	s_mov_b64 vcc, s[40:41]
	s_waitcnt vmcnt(0) lgkmcnt(0)
	scratch_store_short off, v1, s13
	s_mov_b32 s13, s28
	s_cbranch_vccnz .LBB29_1097
; %bb.1098:                             ;   in Loop: Header=BB29_1096 Depth=3
	s_and_saveexec_b64 s[28:29], s[36:37]
	s_cbranch_execz .LBB29_1104
; %bb.1099:                             ;   in Loop: Header=BB29_1096 Depth=3
	scratch_load_ushort v1, off, s33 offset:184
	scratch_load_ushort v2, off, s33 offset:186
	s_waitcnt vmcnt(1)
	v_lshlrev_b32_e32 v1, 16, v1
	s_waitcnt vmcnt(0)
	v_lshlrev_b32_e32 v2, 16, v2
	v_max_f32_e32 v2, v2, v2
	v_max_f32_e32 v1, v1, v1
	v_min_f32_e32 v6, v1, v2
	v_max_f32_e32 v1, v1, v2
	v_cndmask_b32_e64 v1, v1, v6, s[26:27]
	v_and_b32_e32 v2, 0x7f800000, v1
	v_cmp_ne_u32_e32 vcc, s97, v2
                                        ; implicit-def: $vgpr6
	s_and_saveexec_b64 s[40:41], vcc
	s_xor_b64 s[40:41], exec, s[40:41]
; %bb.1100:                             ;   in Loop: Header=BB29_1096 Depth=3
	v_bfe_u32 v2, v1, 16, 1
	v_add3_u32 v6, v1, v2, s46
                                        ; implicit-def: $vgpr1
; %bb.1101:                             ;   in Loop: Header=BB29_1096 Depth=3
	s_andn2_saveexec_b64 s[40:41], s[40:41]
; %bb.1102:                             ;   in Loop: Header=BB29_1096 Depth=3
	v_or_b32_e32 v2, 0x10000, v1
	v_cmp_eq_u32_sdwa vcc, v1, v3 src0_sel:WORD_0 src1_sel:DWORD
	s_nop 1
	v_cndmask_b32_e32 v6, v2, v1, vcc
; %bb.1103:                             ;   in Loop: Header=BB29_1096 Depth=3
	s_or_b64 exec, exec, s[40:41]
	v_lshrrev_b32_e32 v1, 16, v6
	scratch_store_short off, v1, s33 offset:184
	flat_store_short v[4:5], v1 nt
	scratch_load_dwordx2 v[6:7], off, s33 offset:256 ; 8-byte Folded Reload
	s_waitcnt vmcnt(0)
	v_lshl_add_u64 v[4:5], v[4:5], 0, v[6:7]
.LBB29_1104:                            ;   in Loop: Header=BB29_1096 Depth=3
	s_or_b64 exec, exec, s[28:29]
	v_sub_u32_e32 v0, v0, v31
	v_lshl_add_u64 v[10:11], v[10:11], 0, v[92:93]
	v_lshl_add_u64 v[8:9], v[8:9], 0, v[92:93]
	v_cmp_lt_i32_e64 s[36:37], 1, v0
	s_and_saveexec_b64 s[38:39], s[36:37]
	s_cbranch_execz .LBB29_1107
; %bb.1105:                             ;   in Loop: Header=BB29_1096 Depth=3
	s_add_i32 s13, s33, 0xb8
	s_mov_b32 s45, s13
	s_mov_b64 s[50:51], 0
	s_mov_b64 s[48:49], -1
.LBB29_1106:                            ;   Parent Loop BB29_47 Depth=1
                                        ;     Parent Loop BB29_296 Depth=2
                                        ;       Parent Loop BB29_1096 Depth=3
                                        ; =>      This Inner Loop Header: Depth=4
	s_cmp_eq_u32 s50, 1
	s_cselect_b64 vcc, -1, 0
	v_cndmask_b32_e32 v7, v11, v9, vcc
	v_cndmask_b32_e32 v6, v10, v8, vcc
	flat_load_ushort v1, v[6:7] nt
	s_cmp_eq_u32 s50, 0
	s_cselect_b64 s[28:29], -1, 0
	s_and_b64 s[40:41], exec, s[48:49]
	v_lshl_add_u64 v[6:7], v[6:7], 0, s[72:73]
	s_add_i32 s13, s33, 0xba
	s_mov_b64 s[50:51], 1
	s_mov_b64 s[48:49], 0
	v_cndmask_b32_e64 v11, v11, v7, s[28:29]
	v_cndmask_b32_e64 v10, v10, v6, s[28:29]
	v_cndmask_b32_e32 v9, v9, v7, vcc
	v_cndmask_b32_e32 v8, v8, v6, vcc
	s_mov_b64 vcc, s[40:41]
	s_waitcnt vmcnt(0) lgkmcnt(0)
	scratch_store_short off, v1, s45
	s_mov_b32 s45, s13
	s_cbranch_vccnz .LBB29_1106
.LBB29_1107:                            ;   in Loop: Header=BB29_1096 Depth=3
	s_or_b64 exec, exec, s[38:39]
	scratch_load_ushort v1, off, s33 offset:192
	scratch_load_ushort v2, off, s33 offset:224
	s_waitcnt vmcnt(0)
	v_lshlrev_b32_e32 v1, 16, v1
	v_lshlrev_b32_e32 v2, 16, v2
	v_max_f32_e32 v2, v2, v2
	v_max_f32_e32 v1, v1, v1
	v_min_f32_e32 v6, v1, v2
	v_max_f32_e32 v1, v1, v2
	v_cndmask_b32_e64 v1, v1, v6, s[26:27]
	v_and_b32_e32 v2, 0x7f800000, v1
	v_cmp_ne_u32_e32 vcc, s97, v2
                                        ; implicit-def: $vgpr6
	s_and_saveexec_b64 s[28:29], vcc
	s_xor_b64 s[28:29], exec, s[28:29]
; %bb.1108:                             ;   in Loop: Header=BB29_1096 Depth=3
	v_bfe_u32 v2, v1, 16, 1
	v_add3_u32 v6, v1, v2, s46
                                        ; implicit-def: $vgpr1
; %bb.1109:                             ;   in Loop: Header=BB29_1096 Depth=3
	s_andn2_saveexec_b64 s[28:29], s[28:29]
	s_cbranch_execz .LBB29_1095
; %bb.1110:                             ;   in Loop: Header=BB29_1096 Depth=3
	v_or_b32_e32 v2, 0x10000, v1
	v_cmp_eq_u32_sdwa vcc, v1, v3 src0_sel:WORD_0 src1_sel:DWORD
	s_nop 1
	v_cndmask_b32_e32 v6, v2, v1, vcc
	s_branch .LBB29_1095
.LBB29_1111:                            ;   in Loop: Header=BB29_296 Depth=2
	s_or_b64 exec, exec, s[30:31]
	s_and_b64 exec, exec, s[34:35]
	s_cbranch_execz .LBB29_1117
; %bb.1112:                             ;   in Loop: Header=BB29_296 Depth=2
	scratch_load_ushort v0, off, s33 offset:184
	scratch_load_ushort v1, off, s33 offset:186
	s_waitcnt vmcnt(0)
	v_lshlrev_b32_e32 v0, 16, v0
	v_lshlrev_b32_e32 v1, 16, v1
	v_max_f32_e32 v1, v1, v1
	v_max_f32_e32 v0, v0, v0
	v_min_f32_e32 v2, v0, v1
	v_max_f32_e32 v0, v0, v1
	v_cndmask_b32_e64 v0, v0, v2, s[26:27]
	v_and_b32_e32 v1, 0x7f800000, v0
	v_cmp_ne_u32_e32 vcc, s97, v1
                                        ; implicit-def: $vgpr1
	s_and_saveexec_b64 s[26:27], vcc
	s_xor_b64 s[26:27], exec, s[26:27]
; %bb.1113:                             ;   in Loop: Header=BB29_296 Depth=2
	v_bfe_u32 v1, v0, 16, 1
	v_add3_u32 v1, v0, v1, s46
                                        ; implicit-def: $vgpr0
; %bb.1114:                             ;   in Loop: Header=BB29_296 Depth=2
	s_andn2_saveexec_b64 s[26:27], s[26:27]
; %bb.1115:                             ;   in Loop: Header=BB29_296 Depth=2
	v_or_b32_e32 v1, 0x10000, v0
	v_cmp_eq_u32_sdwa vcc, v0, v3 src0_sel:WORD_0 src1_sel:DWORD
	s_nop 1
	v_cndmask_b32_e32 v1, v1, v0, vcc
; %bb.1116:                             ;   in Loop: Header=BB29_296 Depth=2
	s_or_b64 exec, exec, s[26:27]
	flat_store_short_d16_hi v[4:5], v1 nt
.LBB29_1117:                            ;   in Loop: Header=BB29_296 Depth=2
	s_or_b64 exec, exec, s[42:43]
	v_cmp_lt_i32_e64 s[26:27], 0, v111
	s_and_saveexec_b64 s[28:29], s[6:7]
	s_cbranch_execz .LBB29_373
.LBB29_1118:                            ;   in Loop: Header=BB29_296 Depth=2
	s_and_saveexec_b64 s[40:41], s[56:57]
	s_xor_b64 s[40:41], exec, s[40:41]
	s_cbranch_execz .LBB29_1133
; %bb.1119:                             ;   in Loop: Header=BB29_296 Depth=2
	s_and_saveexec_b64 s[42:43], s[14:15]
	s_cbranch_execz .LBB29_1132
; %bb.1120:                             ;   in Loop: Header=BB29_296 Depth=2
	s_mov_b64 s[34:35], exec
	v_mbcnt_lo_u32_b32 v0, s34, 0
	v_mbcnt_hi_u32_b32 v0, s35, v0
	v_cmp_eq_u32_e32 vcc, 0, v0
	s_waitcnt lgkmcnt(0)
	s_and_saveexec_b64 s[30:31], vcc
	s_cbranch_execz .LBB29_1122
; %bb.1121:                             ;   in Loop: Header=BB29_296 Depth=2
	s_bcnt1_i32_b64 s13, s[34:35]
	v_mov_b32_e32 v2, s13
	ds_add_u64 v0, v[2:3]
	s_trap 2
.LBB29_1122:                            ;   in Loop: Header=BB29_296 Depth=2
	s_or_b64 exec, exec, s[30:31]
	s_trap 2
	ds_read_b64 v[0:1], v0
	s_waitcnt lgkmcnt(0)
	v_lshl_add_u64 v[46:47], v[46:47], 0, v[60:61]
	v_cmp_lt_u64_e32 vcc, v[0:1], v[46:47]
	s_and_saveexec_b64 s[30:31], vcc
	s_cbranch_execz .LBB29_1131
; %bb.1123:                             ;   in Loop: Header=BB29_296 Depth=2
	s_mov_b32 s45, 0
	s_mov_b64 s[34:35], 0
                                        ; implicit-def: $sgpr36_sgpr37
                                        ; implicit-def: $sgpr38_sgpr39
	s_branch .LBB29_1125
.LBB29_1124:                            ;   in Loop: Header=BB29_1125 Depth=3
	s_or_b64 exec, exec, s[50:51]
	s_and_b64 vcc, exec, vcc
	s_or_b64 s[34:35], vcc, s[34:35]
	s_andn2_b64 vcc, s[36:37], exec
	s_and_b64 s[36:37], s[38:39], exec
	s_or_b64 s[36:37], vcc, s[36:37]
	s_andn2_b64 exec, exec, s[34:35]
	s_cbranch_execz .LBB29_1129
.LBB29_1125:                            ;   Parent Loop BB29_47 Depth=1
                                        ;     Parent Loop BB29_296 Depth=2
                                        ; =>    This Inner Loop Header: Depth=3
	s_add_i32 s45, s45, 1
	s_cmpk_lg_i32 s45, 0x2710
	s_cselect_b64 s[48:49], -1, 0
	s_and_b64 vcc, exec, s[48:49]
	s_cbranch_vccz .LBB29_1127
; %bb.1126:                             ;   in Loop: Header=BB29_1125 Depth=3
	s_mov_b64 vcc, -1
	s_or_b64 s[38:39], s[38:39], exec
	s_and_saveexec_b64 s[50:51], s[48:49]
	s_cbranch_execz .LBB29_1124
	s_branch .LBB29_1128
.LBB29_1127:                            ;   in Loop: Header=BB29_1125 Depth=3
	s_trap 2
	ds_read_b64 v[0:1], v0
	s_andn2_b64 s[48:49], s[48:49], exec
	s_mov_b32 s45, 0
	s_waitcnt vmcnt(0) lgkmcnt(0)
	flat_load_dword v0, v[0:1] sc0 sc1
	s_waitcnt vmcnt(0) lgkmcnt(0)
	buffer_inv sc0 sc1
	v_cmp_eq_u32_e32 vcc, 0, v0
	s_and_b64 vcc, vcc, exec
	s_or_b64 s[48:49], s[48:49], vcc
	s_mov_b64 vcc, -1
	s_or_b64 s[38:39], s[38:39], exec
	s_and_saveexec_b64 s[50:51], s[48:49]
	s_cbranch_execz .LBB29_1124
.LBB29_1128:                            ;   in Loop: Header=BB29_1125 Depth=3
	s_sleep 1
	s_trap 2
	ds_read_b64 v[0:1], v0
	s_waitcnt lgkmcnt(0)
	s_andn2_b64 s[38:39], s[38:39], exec
	v_cmp_ge_u64_e32 vcc, v[0:1], v[46:47]
	s_orn2_b64 vcc, vcc, exec
	s_branch .LBB29_1124
.LBB29_1129:                            ;   in Loop: Header=BB29_296 Depth=2
	s_or_b64 exec, exec, s[34:35]
	s_and_saveexec_b64 vcc, s[36:37]
	s_xor_b64 vcc, exec, vcc
	s_cbranch_execz .LBB29_1131
; %bb.1130:                             ;   in Loop: Header=BB29_296 Depth=2
	v_mov_b32_e32 v0, 1
	ds_write_b32 v0, v0
	s_trap 2
.LBB29_1131:                            ;   in Loop: Header=BB29_296 Depth=2
	s_or_b64 exec, exec, s[30:31]
	;;#ASMSTART
	s_wakeup
	;;#ASMEND
.LBB29_1132:                            ;   in Loop: Header=BB29_296 Depth=2
	s_or_b64 exec, exec, s[42:43]
.LBB29_1133:                            ;   in Loop: Header=BB29_296 Depth=2
	s_andn2_saveexec_b64 s[40:41], s[40:41]
	s_cbranch_execz .LBB29_1135
; %bb.1134:                             ;   in Loop: Header=BB29_296 Depth=2
	s_waitcnt lgkmcnt(0)
	s_barrier
.LBB29_1135:                            ;   in Loop: Header=BB29_296 Depth=2
	s_or_b64 exec, exec, s[40:41]
	s_or_b64 exec, exec, s[28:29]
                                        ; implicit-def: $vgpr0
	s_and_saveexec_b64 s[28:29], s[22:23]
	s_xor_b64 s[28:29], exec, s[28:29]
	s_cbranch_execnz .LBB29_374
.LBB29_1136:                            ;   in Loop: Header=BB29_296 Depth=2
	s_andn2_saveexec_b64 s[26:27], s[28:29]
	s_cbranch_execz .LBB29_1155
.LBB29_1137:                            ;   in Loop: Header=BB29_296 Depth=2
	s_and_saveexec_b64 s[28:29], s[56:57]
	s_xor_b64 s[28:29], exec, s[28:29]
	s_cbranch_execz .LBB29_1152
; %bb.1138:                             ;   in Loop: Header=BB29_296 Depth=2
	s_and_saveexec_b64 s[40:41], s[14:15]
	s_cbranch_execz .LBB29_1151
; %bb.1139:                             ;   in Loop: Header=BB29_296 Depth=2
	s_mov_b64 s[30:31], exec
	v_mbcnt_lo_u32_b32 v0, s30, 0
	v_mbcnt_hi_u32_b32 v0, s31, v0
	v_cmp_eq_u32_e32 vcc, 0, v0
	;;#ASMSTART
	s_waitcnt lgkmcnt(0) vmcnt(0)
	;;#ASMEND
	s_and_saveexec_b64 s[42:43], vcc
	s_cbranch_execz .LBB29_1141
; %bb.1140:                             ;   in Loop: Header=BB29_296 Depth=2
	s_bcnt1_i32_b64 s13, s[30:31]
	v_mov_b32_e32 v2, s13
	s_waitcnt lgkmcnt(0)
	ds_add_u64 v0, v[2:3]
	s_trap 2
.LBB29_1141:                            ;   in Loop: Header=BB29_296 Depth=2
	s_or_b64 exec, exec, s[42:43]
	s_trap 2
	ds_read_b64 v[0:1], v0
	s_waitcnt lgkmcnt(0)
	v_lshl_add_u64 v[46:47], v[46:47], 0, v[60:61]
	v_cmp_lt_u64_e32 vcc, v[0:1], v[46:47]
	s_and_saveexec_b64 s[42:43], vcc
	s_cbranch_execz .LBB29_1150
; %bb.1142:                             ;   in Loop: Header=BB29_296 Depth=2
	s_mov_b32 s45, 0
	s_mov_b64 s[30:31], 0
                                        ; implicit-def: $sgpr34_sgpr35
                                        ; implicit-def: $sgpr36_sgpr37
	s_branch .LBB29_1144
.LBB29_1143:                            ;   in Loop: Header=BB29_1144 Depth=3
	s_or_b64 exec, exec, s[48:49]
	s_and_b64 vcc, exec, vcc
	s_or_b64 s[30:31], vcc, s[30:31]
	s_andn2_b64 vcc, s[34:35], exec
	s_and_b64 s[34:35], s[36:37], exec
	s_or_b64 s[34:35], vcc, s[34:35]
	s_andn2_b64 exec, exec, s[30:31]
	s_cbranch_execz .LBB29_1148
.LBB29_1144:                            ;   Parent Loop BB29_47 Depth=1
                                        ;     Parent Loop BB29_296 Depth=2
                                        ; =>    This Inner Loop Header: Depth=3
	s_add_i32 s45, s45, 1
	s_cmpk_lg_i32 s45, 0x2710
	s_cselect_b64 s[38:39], -1, 0
	s_and_b64 vcc, exec, s[38:39]
	s_cbranch_vccz .LBB29_1146
; %bb.1145:                             ;   in Loop: Header=BB29_1144 Depth=3
	s_mov_b64 vcc, -1
	s_or_b64 s[36:37], s[36:37], exec
	s_and_saveexec_b64 s[48:49], s[38:39]
	s_cbranch_execz .LBB29_1143
	s_branch .LBB29_1147
.LBB29_1146:                            ;   in Loop: Header=BB29_1144 Depth=3
	s_trap 2
	ds_read_b64 v[0:1], v0
	s_andn2_b64 s[38:39], s[38:39], exec
	s_mov_b32 s45, 0
	s_waitcnt vmcnt(0) lgkmcnt(0)
	flat_load_dword v0, v[0:1] sc0 sc1
	s_waitcnt vmcnt(0) lgkmcnt(0)
	buffer_inv sc0 sc1
	v_cmp_eq_u32_e32 vcc, 0, v0
	s_and_b64 vcc, vcc, exec
	s_or_b64 s[38:39], s[38:39], vcc
	s_mov_b64 vcc, -1
	s_or_b64 s[36:37], s[36:37], exec
	s_and_saveexec_b64 s[48:49], s[38:39]
	s_cbranch_execz .LBB29_1143
.LBB29_1147:                            ;   in Loop: Header=BB29_1144 Depth=3
	s_sleep 1
	s_trap 2
	ds_read_b64 v[0:1], v0
	s_waitcnt lgkmcnt(0)
	s_andn2_b64 s[36:37], s[36:37], exec
	v_cmp_ge_u64_e32 vcc, v[0:1], v[46:47]
	s_orn2_b64 vcc, vcc, exec
	s_branch .LBB29_1143
.LBB29_1148:                            ;   in Loop: Header=BB29_296 Depth=2
	s_or_b64 exec, exec, s[30:31]
	s_and_saveexec_b64 vcc, s[34:35]
	s_xor_b64 vcc, exec, vcc
	s_cbranch_execz .LBB29_1150
; %bb.1149:                             ;   in Loop: Header=BB29_296 Depth=2
	v_mov_b32_e32 v0, 1
	ds_write_b32 v0, v0
	s_trap 2
.LBB29_1150:                            ;   in Loop: Header=BB29_296 Depth=2
	s_or_b64 exec, exec, s[42:43]
	;;#ASMSTART
	s_wakeup
	;;#ASMEND
.LBB29_1151:                            ;   in Loop: Header=BB29_296 Depth=2
	s_or_b64 exec, exec, s[40:41]
.LBB29_1152:                            ;   in Loop: Header=BB29_296 Depth=2
	s_andn2_saveexec_b64 s[28:29], s[28:29]
	s_cbranch_execz .LBB29_1154
; %bb.1153:                             ;   in Loop: Header=BB29_296 Depth=2
	;;#ASMSTART
	s_waitcnt lgkmcnt(0) vmcnt(0)
	;;#ASMEND
	s_barrier
.LBB29_1154:                            ;   in Loop: Header=BB29_296 Depth=2
	s_or_b64 exec, exec, s[28:29]
	v_and_b32_e32 v0, 16, v110
.LBB29_1155:                            ;   in Loop: Header=BB29_296 Depth=2
	s_or_b64 exec, exec, s[26:27]
	v_cmp_ne_u32_e32 vcc, 0, v0
	s_xor_b64 s[26:27], s[10:11], -1
	s_and_b64 s[28:29], vcc, s[26:27]
	s_and_saveexec_b64 s[26:27], s[28:29]
	s_cbranch_execz .LBB29_1157
; %bb.1156:                             ;   in Loop: Header=BB29_296 Depth=2
	scratch_load_dwordx2 v[0:1], off, s33 offset:304 ; 8-byte Folded Reload
	v_mov_b32_e32 v2, 1
	s_waitcnt vmcnt(0)
	flat_store_dword v[0:1], v2 sc0 sc1
.LBB29_1157:                            ;   in Loop: Header=BB29_296 Depth=2
	s_or_b64 exec, exec, s[26:27]
	v_and_b32_e32 v0, 48, v110
	v_cmp_ne_u32_e32 vcc, 0, v0
	s_and_saveexec_b64 s[26:27], vcc
	s_cbranch_execz .LBB29_1159
; %bb.1158:                             ;   in Loop: Header=BB29_296 Depth=2
	v_lshl_add_u64 v[124:125], v[124:125], 0, 4
	flat_store_dwordx2 v[40:41], v[124:125] sc0 sc1
.LBB29_1159:                            ;   in Loop: Header=BB29_296 Depth=2
	s_or_b64 exec, exec, s[26:27]
	v_mov_b32_e32 v0, v28
	s_or_b64 exec, exec, s[94:95]
	s_and_saveexec_b64 s[28:29], s[92:93]
	s_cbranch_execz .LBB29_295
.LBB29_1160:                            ;   in Loop: Header=BB29_296 Depth=2
	v_sub_u32_e32 v0, v121, v0
	v_min_i32_e32 v4, v28, v0
	v_and_b32_e32 v0, 12, v110
	v_cmp_ne_u32_e32 vcc, 0, v0
	s_and_saveexec_b64 s[40:41], vcc
	s_cbranch_execz .LBB29_1170
; %bb.1161:                             ;   in Loop: Header=BB29_296 Depth=2
	v_and_b32_e32 v2, 8, v110
	s_waitcnt lgkmcnt(0)
	v_lshl_add_u64 v[0:1], v[56:57], 0, v[2:3]
	v_lshl_add_u64 v[8:9], v[124:125], 0, 4
	v_cmp_lt_u64_e32 vcc, v[0:1], v[8:9]
	s_and_saveexec_b64 s[42:43], vcc
	s_cbranch_execz .LBB29_1186
; %bb.1162:                             ;   in Loop: Header=BB29_296 Depth=2
	v_and_b32_e32 v0, 64, v110
	s_mov_b32 s45, 0
	v_cmp_eq_u32_e32 vcc, 0, v0
	s_mov_b64 s[92:93], 0
                                        ; implicit-def: $sgpr94_sgpr95
                                        ; implicit-def: $sgpr30_sgpr31
                                        ; implicit-def: $sgpr34_sgpr35
	s_branch .LBB29_1166
.LBB29_1163:                            ;   in Loop: Header=BB29_1166 Depth=3
	s_waitcnt vmcnt(0) lgkmcnt(0)
	v_lshl_add_u64 v[6:7], v[56:57], 0, v[2:3]
	v_cmp_ge_u64_e64 s[26:27], v[6:7], v[8:9]
	s_or_b64 s[48:49], s[48:49], exec
	s_orn2_b64 s[38:39], s[26:27], exec
.LBB29_1164:                            ;   in Loop: Header=BB29_1166 Depth=3
	s_or_b64 exec, exec, s[52:53]
	s_andn2_b64 s[26:27], s[34:35], exec
	s_and_b64 s[34:35], s[48:49], exec
	s_or_b64 s[34:35], s[26:27], s[34:35]
	s_andn2_b64 s[26:27], s[30:31], exec
	s_and_b64 s[30:31], s[38:39], exec
	s_or_b64 s[30:31], s[26:27], s[30:31]
.LBB29_1165:                            ;   in Loop: Header=BB29_1166 Depth=3
	s_or_b64 exec, exec, s[36:37]
	s_and_b64 s[26:27], exec, s[30:31]
	s_or_b64 s[92:93], s[26:27], s[92:93]
	s_andn2_b64 s[26:27], s[94:95], exec
	s_and_b64 s[94:95], s[34:35], exec
	s_or_b64 s[94:95], s[26:27], s[94:95]
	s_andn2_b64 exec, exec, s[92:93]
	s_cbranch_execz .LBB29_1183
.LBB29_1166:                            ;   Parent Loop BB29_47 Depth=1
                                        ;     Parent Loop BB29_296 Depth=2
                                        ; =>    This Inner Loop Header: Depth=3
	s_sleep 1
	s_waitcnt vmcnt(0) lgkmcnt(0)
	flat_load_dwordx2 v[56:57], v[40:41] sc0 sc1
	s_or_b64 s[34:35], s[34:35], exec
	s_or_b64 s[30:31], s[30:31], exec
                                        ; implicit-def: $vgpr0
	s_and_saveexec_b64 s[36:37], vcc
	s_cbranch_execz .LBB29_1165
; %bb.1167:                             ;   in Loop: Header=BB29_1166 Depth=3
	s_cmpk_lt_i32 s45, 0x270f
	s_cselect_b64 s[50:51], -1, 0
	s_cmpk_gt_i32 s45, 0x270e
	s_mov_b64 s[38:39], -1
	s_cbranch_scc0 .LBB29_1169
; %bb.1168:                             ;   in Loop: Header=BB29_1166 Depth=3
	s_trap 2
	ds_read_b64 v[0:1], v0
	s_andn2_b64 s[50:51], s[50:51], exec
	s_mov_b32 s45, 0
	s_mov_b64 s[48:49], 0
	s_waitcnt vmcnt(0) lgkmcnt(0)
	flat_load_dword v0, v[0:1] sc0 sc1
	s_waitcnt vmcnt(0) lgkmcnt(0)
	buffer_inv sc0 sc1
	v_cmp_eq_u32_e64 s[26:27], 0, v0
	s_and_b64 s[26:27], s[26:27], exec
	s_or_b64 s[50:51], s[50:51], s[26:27]
	s_and_saveexec_b64 s[52:53], s[50:51]
	s_cbranch_execz .LBB29_1164
	s_branch .LBB29_1163
.LBB29_1169:                            ;   in Loop: Header=BB29_1166 Depth=3
	s_add_i32 s45, s45, 1
	s_mov_b64 s[48:49], -1
                                        ; implicit-def: $vgpr0
	s_and_saveexec_b64 s[52:53], s[50:51]
	s_cbranch_execz .LBB29_1164
	s_branch .LBB29_1163
.LBB29_1170:                            ;   in Loop: Header=BB29_296 Depth=2
	s_or_b64 exec, exec, s[40:41]
	s_and_saveexec_b64 s[26:27], s[6:7]
	s_cbranch_execnz .LBB29_1199
.LBB29_1171:                            ;   in Loop: Header=BB29_296 Depth=2
	s_or_b64 exec, exec, s[26:27]
                                        ; implicit-def: $vgpr0
	s_and_saveexec_b64 s[26:27], s[90:91]
	s_xor_b64 s[26:27], exec, s[26:27]
	s_cbranch_execz .LBB29_1224
.LBB29_1172:                            ;   in Loop: Header=BB29_296 Depth=2
	s_and_saveexec_b64 s[40:41], s[56:57]
	s_xor_b64 s[40:41], exec, s[40:41]
	s_cbranch_execz .LBB29_1214
; %bb.1173:                             ;   in Loop: Header=BB29_296 Depth=2
	s_and_saveexec_b64 s[42:43], s[14:15]
	s_cbranch_execz .LBB29_1213
; %bb.1174:                             ;   in Loop: Header=BB29_296 Depth=2
	s_mov_b64 s[94:95], exec
	v_mbcnt_lo_u32_b32 v0, s94, 0
	v_mbcnt_hi_u32_b32 v0, s95, v0
	v_cmp_eq_u32_e32 vcc, 0, v0
	;;#ASMSTART
	s_waitcnt lgkmcnt(0) vmcnt(0)
	;;#ASMEND
	s_and_saveexec_b64 s[92:93], vcc
	s_cbranch_execz .LBB29_1176
; %bb.1175:                             ;   in Loop: Header=BB29_296 Depth=2
	s_bcnt1_i32_b64 s13, s[94:95]
	v_mov_b32_e32 v2, s13
	s_waitcnt lgkmcnt(0)
	ds_add_u64 v0, v[2:3]
	s_trap 2
.LBB29_1176:                            ;   in Loop: Header=BB29_296 Depth=2
	s_or_b64 exec, exec, s[92:93]
	s_trap 2
	ds_read_b64 v[0:1], v0
	s_waitcnt lgkmcnt(0)
	v_lshl_add_u64 v[46:47], v[46:47], 0, v[60:61]
	v_cmp_lt_u64_e32 vcc, v[0:1], v[46:47]
	s_and_saveexec_b64 s[92:93], vcc
	s_cbranch_execz .LBB29_1212
; %bb.1177:                             ;   in Loop: Header=BB29_296 Depth=2
	s_mov_b32 s45, 0
	s_mov_b64 s[94:95], 0
                                        ; implicit-def: $sgpr30_sgpr31
                                        ; implicit-def: $sgpr34_sgpr35
	s_branch .LBB29_1179
.LBB29_1178:                            ;   in Loop: Header=BB29_1179 Depth=3
	s_or_b64 exec, exec, s[38:39]
	s_and_b64 vcc, exec, vcc
	s_or_b64 s[94:95], vcc, s[94:95]
	s_andn2_b64 vcc, s[30:31], exec
	s_and_b64 s[30:31], s[34:35], exec
	s_or_b64 s[30:31], vcc, s[30:31]
	s_andn2_b64 exec, exec, s[94:95]
	s_cbranch_execz .LBB29_1210
.LBB29_1179:                            ;   Parent Loop BB29_47 Depth=1
                                        ;     Parent Loop BB29_296 Depth=2
                                        ; =>    This Inner Loop Header: Depth=3
	s_add_i32 s45, s45, 1
	s_cmpk_lg_i32 s45, 0x2710
	s_cselect_b64 s[36:37], -1, 0
	s_and_b64 vcc, exec, s[36:37]
	s_cbranch_vccz .LBB29_1181
; %bb.1180:                             ;   in Loop: Header=BB29_1179 Depth=3
	s_mov_b64 vcc, -1
	s_or_b64 s[34:35], s[34:35], exec
	s_and_saveexec_b64 s[38:39], s[36:37]
	s_cbranch_execz .LBB29_1178
	s_branch .LBB29_1182
.LBB29_1181:                            ;   in Loop: Header=BB29_1179 Depth=3
	s_trap 2
	ds_read_b64 v[0:1], v0
	s_andn2_b64 s[36:37], s[36:37], exec
	s_mov_b32 s45, 0
	s_waitcnt vmcnt(0) lgkmcnt(0)
	flat_load_dword v0, v[0:1] sc0 sc1
	s_waitcnt vmcnt(0) lgkmcnt(0)
	buffer_inv sc0 sc1
	v_cmp_eq_u32_e32 vcc, 0, v0
	s_and_b64 vcc, vcc, exec
	s_or_b64 s[36:37], s[36:37], vcc
	s_mov_b64 vcc, -1
	s_or_b64 s[34:35], s[34:35], exec
	s_and_saveexec_b64 s[38:39], s[36:37]
	s_cbranch_execz .LBB29_1178
.LBB29_1182:                            ;   in Loop: Header=BB29_1179 Depth=3
	s_sleep 1
	s_trap 2
	ds_read_b64 v[0:1], v0
	s_waitcnt lgkmcnt(0)
	s_andn2_b64 s[34:35], s[34:35], exec
	v_cmp_ge_u64_e32 vcc, v[0:1], v[46:47]
	s_orn2_b64 vcc, vcc, exec
	s_branch .LBB29_1178
.LBB29_1183:                            ;   in Loop: Header=BB29_296 Depth=2
	s_or_b64 exec, exec, s[92:93]
	s_xor_b64 s[26:27], s[94:95], -1
	s_and_saveexec_b64 s[92:93], s[26:27]
	s_xor_b64 s[26:27], exec, s[92:93]
	s_cbranch_execz .LBB29_1185
; %bb.1184:                             ;   in Loop: Header=BB29_296 Depth=2
	v_or_b32_e32 v110, 64, v110
	s_waitcnt lgkmcnt(0)
	ds_write_b32 v0, v0
	s_trap 2
.LBB29_1185:                            ;   in Loop: Header=BB29_296 Depth=2
	s_or_b64 exec, exec, s[26:27]
.LBB29_1186:                            ;   in Loop: Header=BB29_296 Depth=2
	s_or_b64 exec, exec, s[42:43]
	v_and_b32_e32 v0, 0x108, v110
	v_cmp_ne_u32_e32 vcc, s96, v0
	;;#ASMSTART
	s_wakeup
	;;#ASMEND
                                        ; implicit-def: $vgpr10_vgpr11
	s_and_saveexec_b64 s[26:27], vcc
	s_xor_b64 s[26:27], exec, s[26:27]
; %bb.1187:                             ;   in Loop: Header=BB29_296 Depth=2
	v_and_b32_e32 v10, 7, v124
	v_mov_b32_e32 v11, v3
                                        ; implicit-def: $vgpr124_vgpr125
; %bb.1188:                             ;   in Loop: Header=BB29_296 Depth=2
	s_andn2_saveexec_b64 s[26:27], s[26:27]
	s_cbranch_execz .LBB29_1190
; %bb.1189:                             ;   in Loop: Header=BB29_296 Depth=2
	scratch_load_dwordx4 v[12:15], off, s33 offset:288 ; 16-byte Folded Reload
	v_and_b32_e32 v10, 7, v124
	v_ashrrev_i32_e32 v5, 31, v4
	v_mov_b32_e32 v11, v3
	v_lshlrev_b64 v[6:7], 1, v[4:5]
	s_waitcnt vmcnt(0)
	v_mad_u64_u32 v[0:1], s[42:43], v10, 24, v[12:13]
	flat_store_dwordx2 v[0:1], v[6:7] offset:8
.LBB29_1190:                            ;   in Loop: Header=BB29_296 Depth=2
	s_or_b64 exec, exec, s[26:27]
	v_and_b32_e32 v0, 0x100, v110
	v_cmp_ne_u32_e32 vcc, 0, v0
	s_mov_b64 s[26:27], -1
                                        ; implicit-def: $vgpr12_vgpr13
	s_and_saveexec_b64 s[42:43], vcc
	s_cbranch_execz .LBB29_1194
; %bb.1191:                             ;   in Loop: Header=BB29_296 Depth=2
	scratch_load_dwordx4 v[12:15], off, s33 offset:288 ; 16-byte Folded Reload
	s_waitcnt vmcnt(0)
	v_mad_u64_u32 v[14:15], s[26:27], v10, 24, v[12:13]
	v_mov_b32_e32 v0, v15
	v_mad_u64_u32 v[0:1], s[26:27], v11, 24, v[0:1]
	v_mov_b32_e32 v15, v0
	flat_load_dword v0, v[14:15]
                                        ; implicit-def: $vgpr12_vgpr13
	s_waitcnt vmcnt(0) lgkmcnt(0)
	v_cmp_ne_u32_e32 vcc, 1, v0
	v_cmp_eq_u32_e64 s[26:27], 1, v0
	s_and_saveexec_b64 s[92:93], s[26:27]
	s_cbranch_execz .LBB29_1193
; %bb.1192:                             ;   in Loop: Header=BB29_296 Depth=2
	flat_load_dword v0, v[14:15] offset:4 sc0 sc1
	s_waitcnt vmcnt(0) lgkmcnt(0)
	v_ashrrev_i32_e32 v1, 31, v0
	v_lshrrev_b64 v[12:13], 1, v[0:1]
.LBB29_1193:                            ;   in Loop: Header=BB29_296 Depth=2
	s_or_b64 exec, exec, s[92:93]
	s_orn2_b64 s[26:27], vcc, exec
.LBB29_1194:                            ;   in Loop: Header=BB29_296 Depth=2
	s_or_b64 exec, exec, s[42:43]
	s_and_saveexec_b64 s[42:43], s[26:27]
	s_cbranch_execz .LBB29_1196
; %bb.1195:                             ;   in Loop: Header=BB29_296 Depth=2
	scratch_load_dwordx2 v[0:1], off, s33 offset:324 ; 8-byte Folded Reload
	scratch_load_dwordx2 v[12:13], off, s33 offset:332 ; 8-byte Folded Reload
	s_waitcnt vmcnt(0)
	v_mov_b32_e32 v6, v0
	v_mul_lo_u32 v0, v11, v6
	v_mul_lo_u32 v1, v10, v13
	v_mad_u64_u32 v[12:13], s[26:27], v10, v6, 0
	v_add3_u32 v13, v13, v1, v0
.LBB29_1196:                            ;   in Loop: Header=BB29_296 Depth=2
	s_or_b64 exec, exec, s[42:43]
	v_cmp_eq_u32_e32 vcc, 0, v2
	v_mov_b32_e32 v0, 0xc8
	v_mov_b32_e32 v1, 0x90
	v_cndmask_b32_e32 v2, v0, v1, vcc
	scratch_load_dwordx2 v[0:1], off, s33 offset:280 ; 8-byte Folded Reload
	s_waitcnt vmcnt(0)
	v_lshl_add_u64 v[0:1], v[12:13], 1, v[0:1]
	v_add_u32_e32 v2, v0, v2
	ds_write_b64 v2, v[0:1] offset:584
	v_and_b32_e32 v0, 0x2000, v110
	v_cmp_ne_u32_e32 vcc, 0, v0
	s_and_saveexec_b64 s[26:27], vcc
	s_cbranch_execz .LBB29_1198
; %bb.1197:                             ;   in Loop: Header=BB29_296 Depth=2
	ds_read_b64 v[0:1], v0 offset:872
	s_waitcnt lgkmcnt(0)
	v_lshl_add_u64 v[0:1], v[0:1], 0, 1
	ds_write_b64 v0, v[0:1] offset:872
.LBB29_1198:                            ;   in Loop: Header=BB29_296 Depth=2
	s_or_b64 exec, exec, s[26:27]
	v_mov_b64_e32 v[124:125], v[8:9]
	s_or_b64 exec, exec, s[40:41]
	s_and_saveexec_b64 s[26:27], s[6:7]
	s_cbranch_execz .LBB29_1171
.LBB29_1199:                            ;   in Loop: Header=BB29_296 Depth=2
	s_and_saveexec_b64 s[40:41], s[56:57]
	s_xor_b64 s[40:41], exec, s[40:41]
	s_cbranch_execz .LBB29_1221
; %bb.1200:                             ;   in Loop: Header=BB29_296 Depth=2
	s_and_saveexec_b64 s[42:43], s[14:15]
	s_cbranch_execz .LBB29_1220
; %bb.1201:                             ;   in Loop: Header=BB29_296 Depth=2
	s_mov_b64 s[94:95], exec
	v_mbcnt_lo_u32_b32 v0, s94, 0
	v_mbcnt_hi_u32_b32 v0, s95, v0
	v_cmp_eq_u32_e32 vcc, 0, v0
	s_waitcnt lgkmcnt(0)
	s_and_saveexec_b64 s[92:93], vcc
	s_cbranch_execz .LBB29_1203
; %bb.1202:                             ;   in Loop: Header=BB29_296 Depth=2
	s_bcnt1_i32_b64 s13, s[94:95]
	v_mov_b32_e32 v2, s13
	ds_add_u64 v0, v[2:3]
	s_trap 2
.LBB29_1203:                            ;   in Loop: Header=BB29_296 Depth=2
	s_or_b64 exec, exec, s[92:93]
	s_trap 2
	ds_read_b64 v[0:1], v0
	s_waitcnt lgkmcnt(0)
	v_lshl_add_u64 v[46:47], v[46:47], 0, v[60:61]
	v_cmp_lt_u64_e32 vcc, v[0:1], v[46:47]
	s_and_saveexec_b64 s[92:93], vcc
	s_cbranch_execz .LBB29_1219
; %bb.1204:                             ;   in Loop: Header=BB29_296 Depth=2
	s_mov_b32 s45, 0
	s_mov_b64 s[94:95], 0
                                        ; implicit-def: $sgpr30_sgpr31
                                        ; implicit-def: $sgpr34_sgpr35
	s_branch .LBB29_1206
.LBB29_1205:                            ;   in Loop: Header=BB29_1206 Depth=3
	s_or_b64 exec, exec, s[38:39]
	s_and_b64 vcc, exec, vcc
	s_or_b64 s[94:95], vcc, s[94:95]
	s_andn2_b64 vcc, s[30:31], exec
	s_and_b64 s[30:31], s[34:35], exec
	s_or_b64 s[30:31], vcc, s[30:31]
	s_andn2_b64 exec, exec, s[94:95]
	s_cbranch_execz .LBB29_1217
.LBB29_1206:                            ;   Parent Loop BB29_47 Depth=1
                                        ;     Parent Loop BB29_296 Depth=2
                                        ; =>    This Inner Loop Header: Depth=3
	s_add_i32 s45, s45, 1
	s_cmpk_lg_i32 s45, 0x2710
	s_cselect_b64 s[36:37], -1, 0
	s_and_b64 vcc, exec, s[36:37]
	s_cbranch_vccz .LBB29_1208
; %bb.1207:                             ;   in Loop: Header=BB29_1206 Depth=3
	s_mov_b64 vcc, -1
	s_or_b64 s[34:35], s[34:35], exec
	s_and_saveexec_b64 s[38:39], s[36:37]
	s_cbranch_execz .LBB29_1205
	s_branch .LBB29_1209
.LBB29_1208:                            ;   in Loop: Header=BB29_1206 Depth=3
	s_trap 2
	ds_read_b64 v[0:1], v0
	s_andn2_b64 s[36:37], s[36:37], exec
	s_mov_b32 s45, 0
	s_waitcnt vmcnt(0) lgkmcnt(0)
	flat_load_dword v0, v[0:1] sc0 sc1
	s_waitcnt vmcnt(0) lgkmcnt(0)
	buffer_inv sc0 sc1
	v_cmp_eq_u32_e32 vcc, 0, v0
	s_and_b64 vcc, vcc, exec
	s_or_b64 s[36:37], s[36:37], vcc
	s_mov_b64 vcc, -1
	s_or_b64 s[34:35], s[34:35], exec
	s_and_saveexec_b64 s[38:39], s[36:37]
	s_cbranch_execz .LBB29_1205
.LBB29_1209:                            ;   in Loop: Header=BB29_1206 Depth=3
	s_sleep 1
	s_trap 2
	ds_read_b64 v[0:1], v0
	s_waitcnt lgkmcnt(0)
	s_andn2_b64 s[34:35], s[34:35], exec
	v_cmp_ge_u64_e32 vcc, v[0:1], v[46:47]
	s_orn2_b64 vcc, vcc, exec
	s_branch .LBB29_1205
.LBB29_1210:                            ;   in Loop: Header=BB29_296 Depth=2
	s_or_b64 exec, exec, s[94:95]
	s_and_saveexec_b64 s[94:95], s[30:31]
	s_xor_b64 s[94:95], exec, s[94:95]
	s_cbranch_execz .LBB29_1212
; %bb.1211:                             ;   in Loop: Header=BB29_296 Depth=2
	v_mov_b32_e32 v0, 1
	ds_write_b32 v0, v0
	s_trap 2
.LBB29_1212:                            ;   in Loop: Header=BB29_296 Depth=2
	s_or_b64 exec, exec, s[92:93]
	;;#ASMSTART
	s_wakeup
	;;#ASMEND
.LBB29_1213:                            ;   in Loop: Header=BB29_296 Depth=2
	s_or_b64 exec, exec, s[42:43]
.LBB29_1214:                            ;   in Loop: Header=BB29_296 Depth=2
	s_andn2_saveexec_b64 s[40:41], s[40:41]
	s_cbranch_execz .LBB29_1216
; %bb.1215:                             ;   in Loop: Header=BB29_296 Depth=2
	;;#ASMSTART
	s_waitcnt lgkmcnt(0) vmcnt(0)
	;;#ASMEND
	s_barrier
.LBB29_1216:                            ;   in Loop: Header=BB29_296 Depth=2
	s_or_b64 exec, exec, s[40:41]
	v_and_b32_e32 v0, 16, v110
                                        ; implicit-def: $vgpr4
	s_andn2_saveexec_b64 s[26:27], s[26:27]
	s_cbranch_execz .LBB29_1228
	s_branch .LBB29_1225
.LBB29_1217:                            ;   in Loop: Header=BB29_296 Depth=2
	s_or_b64 exec, exec, s[94:95]
	s_and_saveexec_b64 s[94:95], s[30:31]
	s_xor_b64 s[94:95], exec, s[94:95]
	s_cbranch_execz .LBB29_1219
; %bb.1218:                             ;   in Loop: Header=BB29_296 Depth=2
	v_mov_b32_e32 v0, 1
	ds_write_b32 v0, v0
	s_trap 2
.LBB29_1219:                            ;   in Loop: Header=BB29_296 Depth=2
	s_or_b64 exec, exec, s[92:93]
	;;#ASMSTART
	s_wakeup
	;;#ASMEND
.LBB29_1220:                            ;   in Loop: Header=BB29_296 Depth=2
	s_or_b64 exec, exec, s[42:43]
.LBB29_1221:                            ;   in Loop: Header=BB29_296 Depth=2
	s_andn2_saveexec_b64 s[40:41], s[40:41]
	s_cbranch_execz .LBB29_1223
; %bb.1222:                             ;   in Loop: Header=BB29_296 Depth=2
	s_waitcnt lgkmcnt(0)
	s_barrier
.LBB29_1223:                            ;   in Loop: Header=BB29_296 Depth=2
	s_or_b64 exec, exec, s[40:41]
	s_or_b64 exec, exec, s[26:27]
                                        ; implicit-def: $vgpr0
	s_and_saveexec_b64 s[26:27], s[90:91]
	s_xor_b64 s[26:27], exec, s[26:27]
	s_cbranch_execnz .LBB29_1172
.LBB29_1224:                            ;   in Loop: Header=BB29_296 Depth=2
	s_andn2_saveexec_b64 s[26:27], s[26:27]
	s_cbranch_execz .LBB29_1228
.LBB29_1225:                            ;   in Loop: Header=BB29_296 Depth=2
	s_trap 2
	ds_read_b32 v1, v0
	v_cmp_lt_i32_e32 vcc, 0, v4
	v_and_b32_e32 v2, 16, v110
	v_and_b32_e32 v0, 16, v110
	s_waitcnt lgkmcnt(0)
	v_readfirstlane_b32 s13, v1
	s_cmp_eq_u32 s13, 0
	s_cselect_b64 s[40:41], -1, 0
	s_and_b64 s[40:41], vcc, s[40:41]
	v_cmp_ne_u32_e32 vcc, 0, v2
	s_and_b64 s[42:43], vcc, s[40:41]
	s_and_saveexec_b64 s[40:41], s[42:43]
	s_cbranch_execz .LBB29_1227
; %bb.1226:                             ;   in Loop: Header=BB29_296 Depth=2
	v_mov_b32_e32 v0, 1
	buffer_wbl2 sc1
	s_waitcnt vmcnt(0)
	buffer_inv sc1
.LBB29_1227:                            ;   in Loop: Header=BB29_296 Depth=2
	s_or_b64 exec, exec, s[40:41]
.LBB29_1228:                            ;   in Loop: Header=BB29_296 Depth=2
	s_or_b64 exec, exec, s[26:27]
	v_cmp_ne_u32_e32 vcc, 0, v0
	s_xor_b64 s[26:27], s[10:11], -1
	s_and_b64 s[40:41], vcc, s[26:27]
	s_and_saveexec_b64 s[26:27], s[40:41]
	s_cbranch_execz .LBB29_1230
; %bb.1229:                             ;   in Loop: Header=BB29_296 Depth=2
	scratch_load_dwordx2 v[0:1], off, s33 offset:304 ; 8-byte Folded Reload
	v_mov_b32_e32 v2, 1
	s_waitcnt vmcnt(0)
	flat_store_dword v[0:1], v2 sc0 sc1
.LBB29_1230:                            ;   in Loop: Header=BB29_296 Depth=2
	s_or_b64 exec, exec, s[26:27]
	v_and_b32_e32 v0, 48, v110
	v_cmp_ne_u32_e32 vcc, 0, v0
	s_and_saveexec_b64 s[26:27], vcc
	s_cbranch_execz .LBB29_294
; %bb.1231:                             ;   in Loop: Header=BB29_296 Depth=2
	v_lshl_add_u64 v[124:125], v[124:125], 0, 4
	flat_store_dwordx2 v[40:41], v[124:125] sc0 sc1
	s_branch .LBB29_294
.LBB29_1232:                            ;   in Loop: Header=BB29_47 Depth=1
	scratch_load_dwordx2 v[120:121], off, s33 offset:412 ; 8-byte Folded Reload
.LBB29_1233:                            ;   in Loop: Header=BB29_47 Depth=1
	v_mul_lo_u32 v0, v123, s64
	v_mul_lo_u32 v1, v122, s65
	v_mad_u64_u32 v[4:5], s[26:27], v122, s64, 0
	v_add3_u32 v5, v5, v1, v0
	v_sub_co_u32_e32 v0, vcc, v116, v4
	s_nop 1
	v_subb_co_u32_e32 v1, vcc, v117, v5, vcc
	v_cmp_lt_i64_e32 vcc, v[122:123], v[0:1]
	s_nop 1
	v_cndmask_b32_e32 v1, v0, v122, vcc
	v_max_i32_e32 v78, 0, v1
	v_add_u32_e32 v2, 15, v78
	v_ashrrev_i32_e32 v6, 31, v2
	v_lshrrev_b32_e32 v6, 28, v6
	v_add_u32_e32 v2, v2, v6
	v_cmp_gt_i32_e32 vcc, 1, v1
	v_and_b32_e32 v2, -16, v2
	s_or_b64 s[92:93], s[2:3], vcc
	v_mov_b32_e32 v0, 0
	v_max_i32_e32 v28, s69, v2
	s_xor_b64 s[26:27], s[92:93], -1
	s_and_saveexec_b64 s[94:95], s[26:27]
	s_cbranch_execz .LBB29_1239
; %bb.1234:                             ;   in Loop: Header=BB29_47 Depth=1
	s_and_saveexec_b64 s[26:27], s[0:1]
	s_cbranch_execz .LBB29_1236
; %bb.1235:                             ;   in Loop: Header=BB29_47 Depth=1
	s_trap 2
	ds_read2_b64 v[6:9], v0 offset1:1
	scratch_load_dwordx2 v[0:1], off, s33 offset:312 ; 8-byte Folded Reload
	s_waitcnt vmcnt(0)
	v_lshl_add_u64 v[0:1], v[4:5], 0, v[0:1]
	ds_read_b64 v[4:5], v0
	v_lshlrev_b64 v[0:1], 1, v[0:1]
	s_waitcnt lgkmcnt(0)
	v_lshl_add_u64 v[6:7], v[6:7], 0, v[0:1]
	ds_write_b64 v0, v[6:7]
	v_lshl_add_u64 v[6:7], v[8:9], 0, v[0:1]
	ds_write_b64 v0, v[6:7]
	v_lshl_add_u64 v[0:1], v[4:5], 0, v[0:1]
	v_cmp_ne_u64_e32 vcc, 0, v[4:5]
	s_nop 1
	v_cndmask_b32_e32 v1, 0, v1, vcc
	v_cndmask_b32_e32 v0, 0, v0, vcc
	ds_write_b64 v0, v[0:1]
.LBB29_1236:                            ;   in Loop: Header=BB29_47 Depth=1
	s_or_b64 exec, exec, s[26:27]
	v_and_b32_e32 v0, 12, v110
	v_min_i32_e32 v28, v28, v78
	v_cmp_ne_u32_e32 vcc, 0, v0
	s_and_saveexec_b64 s[28:29], vcc
	s_cbranch_execz .LBB29_1273
; %bb.1237:                             ;   in Loop: Header=BB29_47 Depth=1
	v_and_b32_e32 v2, 8, v110
	s_waitcnt lgkmcnt(0)
	v_lshl_add_u64 v[0:1], v[56:57], 0, v[2:3]
	v_lshl_add_u64 v[4:5], v[124:125], 0, 4
	v_cmp_lt_u64_e32 vcc, v[0:1], v[4:5]
	s_and_saveexec_b64 s[40:41], vcc
	s_cbranch_execz .LBB29_1260
; %bb.1238:                             ;   in Loop: Header=BB29_47 Depth=1
	v_and_b32_e32 v0, 64, v110
	s_mov_b32 s44, 0
	v_cmp_eq_u32_e32 vcc, 0, v0
	s_mov_b64 s[42:43], 0
                                        ; implicit-def: $sgpr30_sgpr31
                                        ; implicit-def: $sgpr34_sgpr35
                                        ; implicit-def: $sgpr36_sgpr37
	s_branch .LBB29_1246
.LBB29_1239:                            ;   in Loop: Header=BB29_47 Depth=1
	s_or_b64 exec, exec, s[94:95]
	s_and_saveexec_b64 s[28:29], s[92:93]
	s_cbranch_execz .LBB29_2934
.LBB29_1240:                            ;   in Loop: Header=BB29_47 Depth=1
	v_sub_u32_e32 v0, v78, v0
	v_min_i32_e32 v4, v28, v0
	v_and_b32_e32 v0, 12, v110
	v_cmp_ne_u32_e32 vcc, 0, v0
	s_and_saveexec_b64 s[40:41], vcc
	s_cbranch_execz .LBB29_1301
; %bb.1241:                             ;   in Loop: Header=BB29_47 Depth=1
	v_and_b32_e32 v2, 8, v110
	s_waitcnt lgkmcnt(0)
	v_lshl_add_u64 v[0:1], v[56:57], 0, v[2:3]
	v_lshl_add_u64 v[8:9], v[124:125], 0, 4
	v_cmp_lt_u64_e32 vcc, v[0:1], v[8:9]
	s_and_saveexec_b64 s[42:43], vcc
	s_cbranch_execz .LBB29_1288
; %bb.1242:                             ;   in Loop: Header=BB29_47 Depth=1
	v_and_b32_e32 v0, 64, v110
	s_mov_b32 s44, 0
	v_cmp_eq_u32_e32 vcc, 0, v0
	s_mov_b64 s[92:93], 0
                                        ; implicit-def: $sgpr94_sgpr95
                                        ; implicit-def: $sgpr30_sgpr31
                                        ; implicit-def: $sgpr34_sgpr35
	s_branch .LBB29_1253
.LBB29_1243:                            ;   in Loop: Header=BB29_1246 Depth=2
	s_waitcnt vmcnt(0) lgkmcnt(0)
	v_lshl_add_u64 v[6:7], v[56:57], 0, v[2:3]
	v_cmp_ge_u64_e64 s[26:27], v[6:7], v[4:5]
	s_or_b64 s[50:51], s[50:51], exec
	s_orn2_b64 s[48:49], s[26:27], exec
.LBB29_1244:                            ;   in Loop: Header=BB29_1246 Depth=2
	s_or_b64 exec, exec, s[54:55]
	s_andn2_b64 s[26:27], s[36:37], exec
	s_and_b64 s[36:37], s[50:51], exec
	s_or_b64 s[36:37], s[26:27], s[36:37]
	s_andn2_b64 s[26:27], s[34:35], exec
	s_and_b64 s[34:35], s[48:49], exec
	s_or_b64 s[34:35], s[26:27], s[34:35]
.LBB29_1245:                            ;   in Loop: Header=BB29_1246 Depth=2
	s_or_b64 exec, exec, s[38:39]
	s_and_b64 s[26:27], exec, s[34:35]
	s_or_b64 s[42:43], s[26:27], s[42:43]
	s_andn2_b64 s[26:27], s[30:31], exec
	s_and_b64 s[30:31], s[36:37], exec
	s_or_b64 s[30:31], s[26:27], s[30:31]
	s_andn2_b64 exec, exec, s[42:43]
	s_cbranch_execz .LBB29_1257
.LBB29_1246:                            ;   Parent Loop BB29_47 Depth=1
                                        ; =>  This Inner Loop Header: Depth=2
	s_sleep 1
	s_waitcnt vmcnt(0) lgkmcnt(0)
	flat_load_dwordx2 v[56:57], v[40:41] sc0 sc1
	s_or_b64 s[36:37], s[36:37], exec
	s_or_b64 s[34:35], s[34:35], exec
                                        ; implicit-def: $vgpr0
	s_and_saveexec_b64 s[38:39], vcc
	s_cbranch_execz .LBB29_1245
; %bb.1247:                             ;   in Loop: Header=BB29_1246 Depth=2
	s_cmpk_lt_i32 s44, 0x270f
	s_cselect_b64 s[52:53], -1, 0
	s_cmpk_gt_i32 s44, 0x270e
	s_mov_b64 s[48:49], -1
	s_cbranch_scc0 .LBB29_1249
; %bb.1248:                             ;   in Loop: Header=BB29_1246 Depth=2
	s_trap 2
	ds_read_b64 v[0:1], v0
	s_andn2_b64 s[52:53], s[52:53], exec
	s_mov_b32 s44, 0
	s_mov_b64 s[50:51], 0
	s_waitcnt vmcnt(0) lgkmcnt(0)
	flat_load_dword v0, v[0:1] sc0 sc1
	s_waitcnt vmcnt(0) lgkmcnt(0)
	buffer_inv sc0 sc1
	v_cmp_eq_u32_e64 s[26:27], 0, v0
	s_and_b64 s[26:27], s[26:27], exec
	s_or_b64 s[52:53], s[52:53], s[26:27]
	s_and_saveexec_b64 s[54:55], s[52:53]
	s_cbranch_execz .LBB29_1244
	s_branch .LBB29_1243
.LBB29_1249:                            ;   in Loop: Header=BB29_1246 Depth=2
	s_add_i32 s44, s44, 1
	s_mov_b64 s[50:51], -1
                                        ; implicit-def: $vgpr0
	s_and_saveexec_b64 s[54:55], s[52:53]
	s_cbranch_execz .LBB29_1244
	s_branch .LBB29_1243
.LBB29_1250:                            ;   in Loop: Header=BB29_1253 Depth=2
	s_waitcnt vmcnt(0) lgkmcnt(0)
	v_lshl_add_u64 v[6:7], v[56:57], 0, v[2:3]
	v_cmp_ge_u64_e64 s[26:27], v[6:7], v[8:9]
	s_or_b64 s[48:49], s[48:49], exec
	s_orn2_b64 s[38:39], s[26:27], exec
.LBB29_1251:                            ;   in Loop: Header=BB29_1253 Depth=2
	s_or_b64 exec, exec, s[52:53]
	s_andn2_b64 s[26:27], s[34:35], exec
	s_and_b64 s[34:35], s[48:49], exec
	s_or_b64 s[34:35], s[26:27], s[34:35]
	s_andn2_b64 s[26:27], s[30:31], exec
	s_and_b64 s[30:31], s[38:39], exec
	s_or_b64 s[30:31], s[26:27], s[30:31]
.LBB29_1252:                            ;   in Loop: Header=BB29_1253 Depth=2
	s_or_b64 exec, exec, s[36:37]
	s_and_b64 s[26:27], exec, s[30:31]
	s_or_b64 s[92:93], s[26:27], s[92:93]
	s_andn2_b64 s[26:27], s[94:95], exec
	s_and_b64 s[94:95], s[34:35], exec
	s_or_b64 s[94:95], s[26:27], s[94:95]
	s_andn2_b64 exec, exec, s[92:93]
	s_cbranch_execz .LBB29_1285
.LBB29_1253:                            ;   Parent Loop BB29_47 Depth=1
                                        ; =>  This Inner Loop Header: Depth=2
	s_sleep 1
	s_waitcnt vmcnt(0) lgkmcnt(0)
	flat_load_dwordx2 v[56:57], v[40:41] sc0 sc1
	s_or_b64 s[34:35], s[34:35], exec
	s_or_b64 s[30:31], s[30:31], exec
                                        ; implicit-def: $vgpr0
	s_and_saveexec_b64 s[36:37], vcc
	s_cbranch_execz .LBB29_1252
; %bb.1254:                             ;   in Loop: Header=BB29_1253 Depth=2
	s_cmpk_lt_i32 s44, 0x270f
	s_cselect_b64 s[50:51], -1, 0
	s_cmpk_gt_i32 s44, 0x270e
	s_mov_b64 s[38:39], -1
	s_cbranch_scc0 .LBB29_1256
; %bb.1255:                             ;   in Loop: Header=BB29_1253 Depth=2
	s_trap 2
	ds_read_b64 v[0:1], v0
	s_andn2_b64 s[50:51], s[50:51], exec
	s_mov_b32 s44, 0
	s_mov_b64 s[48:49], 0
	s_waitcnt vmcnt(0) lgkmcnt(0)
	flat_load_dword v0, v[0:1] sc0 sc1
	s_waitcnt vmcnt(0) lgkmcnt(0)
	buffer_inv sc0 sc1
	v_cmp_eq_u32_e64 s[26:27], 0, v0
	s_and_b64 s[26:27], s[26:27], exec
	s_or_b64 s[50:51], s[50:51], s[26:27]
	s_and_saveexec_b64 s[52:53], s[50:51]
	s_cbranch_execz .LBB29_1251
	s_branch .LBB29_1250
.LBB29_1256:                            ;   in Loop: Header=BB29_1253 Depth=2
	s_add_i32 s44, s44, 1
	s_mov_b64 s[48:49], -1
                                        ; implicit-def: $vgpr0
	s_and_saveexec_b64 s[52:53], s[50:51]
	s_cbranch_execz .LBB29_1251
	s_branch .LBB29_1250
.LBB29_1257:                            ;   in Loop: Header=BB29_47 Depth=1
	s_or_b64 exec, exec, s[42:43]
	s_xor_b64 s[26:27], s[30:31], -1
	s_and_saveexec_b64 s[42:43], s[26:27]
	s_xor_b64 s[26:27], exec, s[42:43]
	s_cbranch_execz .LBB29_1259
; %bb.1258:                             ;   in Loop: Header=BB29_47 Depth=1
	v_or_b32_e32 v110, 64, v110
	s_waitcnt lgkmcnt(0)
	ds_write_b32 v0, v0
	s_trap 2
.LBB29_1259:                            ;   in Loop: Header=BB29_47 Depth=1
	s_or_b64 exec, exec, s[26:27]
.LBB29_1260:                            ;   in Loop: Header=BB29_47 Depth=1
	s_or_b64 exec, exec, s[40:41]
	v_and_b32_e32 v0, 0x108, v110
	v_cmp_ne_u32_e32 vcc, s96, v0
	v_and_b32_e32 v8, 7, v124
	;;#ASMSTART
	s_wakeup
	;;#ASMEND
	s_and_saveexec_b64 s[26:27], vcc
	s_xor_b64 s[26:27], exec, s[26:27]
                                        ; implicit-def: $vgpr9
; %bb.1261:                             ;   in Loop: Header=BB29_47 Depth=1
	v_mov_b32_e32 v9, v3
; %bb.1262:                             ;   in Loop: Header=BB29_47 Depth=1
	s_andn2_saveexec_b64 s[26:27], s[26:27]
	s_cbranch_execz .LBB29_1264
; %bb.1263:                             ;   in Loop: Header=BB29_47 Depth=1
	scratch_load_dwordx4 v[10:13], off, s33 offset:288 ; 16-byte Folded Reload
	v_ashrrev_i32_e32 v29, 31, v28
	v_mov_b32_e32 v9, v3
	v_lshlrev_b64 v[6:7], 1, v[28:29]
	s_waitcnt vmcnt(0)
	v_mad_u64_u32 v[0:1], s[40:41], v8, 24, v[10:11]
	flat_store_dwordx2 v[0:1], v[6:7] offset:8
.LBB29_1264:                            ;   in Loop: Header=BB29_47 Depth=1
	s_or_b64 exec, exec, s[26:27]
	v_and_b32_e32 v0, 0x100, v110
	v_cmp_ne_u32_e32 vcc, 0, v0
	s_mov_b64 s[26:27], -1
                                        ; implicit-def: $vgpr10_vgpr11
	s_and_saveexec_b64 s[40:41], vcc
	s_cbranch_execz .LBB29_1268
; %bb.1265:                             ;   in Loop: Header=BB29_47 Depth=1
	scratch_load_dwordx4 v[10:13], off, s33 offset:288 ; 16-byte Folded Reload
	s_waitcnt vmcnt(0)
	v_mad_u64_u32 v[12:13], s[26:27], v8, 24, v[10:11]
	v_mov_b32_e32 v0, v13
	v_mad_u64_u32 v[0:1], s[26:27], v9, 24, v[0:1]
	v_mov_b32_e32 v13, v0
	flat_load_dword v0, v[12:13]
                                        ; implicit-def: $vgpr10_vgpr11
	s_waitcnt vmcnt(0) lgkmcnt(0)
	v_cmp_ne_u32_e32 vcc, 1, v0
	v_cmp_eq_u32_e64 s[26:27], 1, v0
	s_and_saveexec_b64 s[42:43], s[26:27]
	s_cbranch_execz .LBB29_1267
; %bb.1266:                             ;   in Loop: Header=BB29_47 Depth=1
	flat_load_dword v0, v[12:13] offset:4 sc0 sc1
	s_waitcnt vmcnt(0) lgkmcnt(0)
	v_ashrrev_i32_e32 v1, 31, v0
	v_lshrrev_b64 v[10:11], 1, v[0:1]
.LBB29_1267:                            ;   in Loop: Header=BB29_47 Depth=1
	s_or_b64 exec, exec, s[42:43]
	s_orn2_b64 s[26:27], vcc, exec
.LBB29_1268:                            ;   in Loop: Header=BB29_47 Depth=1
	s_or_b64 exec, exec, s[40:41]
	s_and_saveexec_b64 s[40:41], s[26:27]
	s_cbranch_execz .LBB29_1270
; %bb.1269:                             ;   in Loop: Header=BB29_47 Depth=1
	scratch_load_dwordx2 v[0:1], off, s33 offset:324 ; 8-byte Folded Reload
	scratch_load_dwordx2 v[10:11], off, s33 offset:332 ; 8-byte Folded Reload
	s_waitcnt vmcnt(0)
	v_mov_b32_e32 v6, v0
	v_mul_lo_u32 v0, v9, v6
	v_mul_lo_u32 v1, v8, v11
	v_mad_u64_u32 v[10:11], s[26:27], v8, v6, 0
	v_add3_u32 v11, v11, v1, v0
.LBB29_1270:                            ;   in Loop: Header=BB29_47 Depth=1
	s_or_b64 exec, exec, s[40:41]
	v_cmp_eq_u32_e32 vcc, 0, v2
	v_mov_b32_e32 v0, 0x90
	v_mov_b32_e32 v1, 0xd0
	v_cndmask_b32_e32 v2, v1, v0, vcc
	scratch_load_dwordx2 v[0:1], off, s33 offset:280 ; 8-byte Folded Reload
	s_waitcnt vmcnt(0)
	v_lshl_add_u64 v[0:1], v[10:11], 1, v[0:1]
	v_add_u32_e32 v2, v0, v2
	ds_write_b64 v2, v[0:1] offset:584
	v_and_b32_e32 v0, 0x2000, v110
	v_cmp_ne_u32_e32 vcc, 0, v0
	s_and_saveexec_b64 s[26:27], vcc
	s_cbranch_execz .LBB29_1272
; %bb.1271:                             ;   in Loop: Header=BB29_47 Depth=1
	ds_read_b64 v[0:1], v0 offset:872
	s_waitcnt lgkmcnt(0)
	v_lshl_add_u64 v[0:1], v[0:1], 0, 1
	ds_write_b64 v0, v[0:1] offset:872
.LBB29_1272:                            ;   in Loop: Header=BB29_47 Depth=1
	s_or_b64 exec, exec, s[26:27]
	v_mov_b64_e32 v[124:125], v[4:5]
.LBB29_1273:                            ;   in Loop: Header=BB29_47 Depth=1
	s_or_b64 exec, exec, s[28:29]
	s_and_saveexec_b64 s[26:27], s[6:7]
	s_cbranch_execz .LBB29_1320
; %bb.1274:                             ;   in Loop: Header=BB29_47 Depth=1
	s_and_saveexec_b64 s[28:29], s[56:57]
	s_xor_b64 s[28:29], exec, s[28:29]
	s_cbranch_execz .LBB29_1317
; %bb.1275:                             ;   in Loop: Header=BB29_47 Depth=1
	s_and_saveexec_b64 s[40:41], s[14:15]
	s_cbranch_execz .LBB29_1316
; %bb.1276:                             ;   in Loop: Header=BB29_47 Depth=1
	s_mov_b64 s[30:31], exec
	v_mbcnt_lo_u32_b32 v0, s30, 0
	v_mbcnt_hi_u32_b32 v0, s31, v0
	v_cmp_eq_u32_e32 vcc, 0, v0
	s_waitcnt lgkmcnt(0)
	s_and_saveexec_b64 s[42:43], vcc
	s_cbranch_execz .LBB29_1278
; %bb.1277:                             ;   in Loop: Header=BB29_47 Depth=1
	s_bcnt1_i32_b64 s13, s[30:31]
	v_mov_b32_e32 v2, s13
	ds_add_u64 v0, v[2:3]
	s_trap 2
.LBB29_1278:                            ;   in Loop: Header=BB29_47 Depth=1
	s_or_b64 exec, exec, s[42:43]
	s_trap 2
	ds_read_b64 v[0:1], v0
	s_waitcnt lgkmcnt(0)
	v_lshl_add_u64 v[46:47], v[46:47], 0, v[60:61]
	v_cmp_lt_u64_e32 vcc, v[0:1], v[46:47]
	s_and_saveexec_b64 s[42:43], vcc
	s_cbranch_execz .LBB29_1315
; %bb.1279:                             ;   in Loop: Header=BB29_47 Depth=1
	s_mov_b32 s44, 0
	s_mov_b64 s[30:31], 0
                                        ; implicit-def: $sgpr34_sgpr35
                                        ; implicit-def: $sgpr36_sgpr37
	s_branch .LBB29_1281
.LBB29_1280:                            ;   in Loop: Header=BB29_1281 Depth=2
	s_or_b64 exec, exec, s[48:49]
	s_and_b64 vcc, exec, vcc
	s_or_b64 s[30:31], vcc, s[30:31]
	s_andn2_b64 vcc, s[34:35], exec
	s_and_b64 s[34:35], s[36:37], exec
	s_or_b64 s[34:35], vcc, s[34:35]
	s_andn2_b64 exec, exec, s[30:31]
	s_cbranch_execz .LBB29_1313
.LBB29_1281:                            ;   Parent Loop BB29_47 Depth=1
                                        ; =>  This Inner Loop Header: Depth=2
	s_add_i32 s44, s44, 1
	s_cmpk_lg_i32 s44, 0x2710
	s_cselect_b64 s[38:39], -1, 0
	s_and_b64 vcc, exec, s[38:39]
	s_cbranch_vccz .LBB29_1283
; %bb.1282:                             ;   in Loop: Header=BB29_1281 Depth=2
	s_mov_b64 vcc, -1
	s_or_b64 s[36:37], s[36:37], exec
	s_and_saveexec_b64 s[48:49], s[38:39]
	s_cbranch_execz .LBB29_1280
	s_branch .LBB29_1284
.LBB29_1283:                            ;   in Loop: Header=BB29_1281 Depth=2
	s_trap 2
	ds_read_b64 v[0:1], v0
	s_andn2_b64 s[38:39], s[38:39], exec
	s_mov_b32 s44, 0
	s_waitcnt vmcnt(0) lgkmcnt(0)
	flat_load_dword v0, v[0:1] sc0 sc1
	s_waitcnt vmcnt(0) lgkmcnt(0)
	buffer_inv sc0 sc1
	v_cmp_eq_u32_e32 vcc, 0, v0
	s_and_b64 vcc, vcc, exec
	s_or_b64 s[38:39], s[38:39], vcc
	s_mov_b64 vcc, -1
	s_or_b64 s[36:37], s[36:37], exec
	s_and_saveexec_b64 s[48:49], s[38:39]
	s_cbranch_execz .LBB29_1280
.LBB29_1284:                            ;   in Loop: Header=BB29_1281 Depth=2
	s_sleep 1
	s_trap 2
	ds_read_b64 v[0:1], v0
	s_waitcnt lgkmcnt(0)
	s_andn2_b64 s[36:37], s[36:37], exec
	v_cmp_ge_u64_e32 vcc, v[0:1], v[46:47]
	s_orn2_b64 vcc, vcc, exec
	s_branch .LBB29_1280
.LBB29_1285:                            ;   in Loop: Header=BB29_47 Depth=1
	s_or_b64 exec, exec, s[92:93]
	s_xor_b64 s[26:27], s[94:95], -1
	s_and_saveexec_b64 s[44:45], s[26:27]
	s_xor_b64 s[26:27], exec, s[44:45]
	s_cbranch_execz .LBB29_1287
; %bb.1286:                             ;   in Loop: Header=BB29_47 Depth=1
	v_or_b32_e32 v110, 64, v110
	s_waitcnt lgkmcnt(0)
	ds_write_b32 v0, v0
	s_trap 2
.LBB29_1287:                            ;   in Loop: Header=BB29_47 Depth=1
	s_or_b64 exec, exec, s[26:27]
.LBB29_1288:                            ;   in Loop: Header=BB29_47 Depth=1
	s_or_b64 exec, exec, s[42:43]
	v_and_b32_e32 v0, 0x108, v110
	v_cmp_ne_u32_e32 vcc, s96, v0
	v_and_b32_e32 v10, 7, v124
	;;#ASMSTART
	s_wakeup
	;;#ASMEND
	s_and_saveexec_b64 s[26:27], vcc
	s_xor_b64 s[26:27], exec, s[26:27]
                                        ; implicit-def: $vgpr11
; %bb.1289:                             ;   in Loop: Header=BB29_47 Depth=1
	v_mov_b32_e32 v11, v3
; %bb.1290:                             ;   in Loop: Header=BB29_47 Depth=1
	s_andn2_saveexec_b64 s[26:27], s[26:27]
	s_cbranch_execz .LBB29_1292
; %bb.1291:                             ;   in Loop: Header=BB29_47 Depth=1
	scratch_load_dwordx4 v[12:15], off, s33 offset:288 ; 16-byte Folded Reload
	v_ashrrev_i32_e32 v5, 31, v4
	v_mov_b32_e32 v11, v3
	v_lshlrev_b64 v[6:7], 1, v[4:5]
	s_waitcnt vmcnt(0)
	v_mad_u64_u32 v[0:1], s[42:43], v10, 24, v[12:13]
	flat_store_dwordx2 v[0:1], v[6:7] offset:8
.LBB29_1292:                            ;   in Loop: Header=BB29_47 Depth=1
	s_or_b64 exec, exec, s[26:27]
	v_and_b32_e32 v0, 0x100, v110
	v_cmp_ne_u32_e32 vcc, 0, v0
	s_mov_b64 s[26:27], -1
                                        ; implicit-def: $vgpr12_vgpr13
	s_and_saveexec_b64 s[42:43], vcc
	s_cbranch_execz .LBB29_1296
; %bb.1293:                             ;   in Loop: Header=BB29_47 Depth=1
	scratch_load_dwordx4 v[12:15], off, s33 offset:288 ; 16-byte Folded Reload
	s_waitcnt vmcnt(0)
	v_mad_u64_u32 v[14:15], s[26:27], v10, 24, v[12:13]
	v_mov_b32_e32 v0, v15
	v_mad_u64_u32 v[0:1], s[26:27], v11, 24, v[0:1]
	v_mov_b32_e32 v15, v0
	flat_load_dword v0, v[14:15]
                                        ; implicit-def: $vgpr12_vgpr13
	s_waitcnt vmcnt(0) lgkmcnt(0)
	v_cmp_ne_u32_e32 vcc, 1, v0
	v_cmp_eq_u32_e64 s[26:27], 1, v0
	s_and_saveexec_b64 s[92:93], s[26:27]
	s_cbranch_execz .LBB29_1295
; %bb.1294:                             ;   in Loop: Header=BB29_47 Depth=1
	flat_load_dword v0, v[14:15] offset:4 sc0 sc1
	s_waitcnt vmcnt(0) lgkmcnt(0)
	v_ashrrev_i32_e32 v1, 31, v0
	v_lshrrev_b64 v[12:13], 1, v[0:1]
.LBB29_1295:                            ;   in Loop: Header=BB29_47 Depth=1
	s_or_b64 exec, exec, s[92:93]
	s_orn2_b64 s[26:27], vcc, exec
.LBB29_1296:                            ;   in Loop: Header=BB29_47 Depth=1
	s_or_b64 exec, exec, s[42:43]
	s_and_saveexec_b64 s[42:43], s[26:27]
	s_cbranch_execz .LBB29_1298
; %bb.1297:                             ;   in Loop: Header=BB29_47 Depth=1
	scratch_load_dwordx2 v[0:1], off, s33 offset:324 ; 8-byte Folded Reload
	scratch_load_dwordx2 v[12:13], off, s33 offset:332 ; 8-byte Folded Reload
	s_waitcnt vmcnt(0)
	v_mov_b32_e32 v6, v0
	v_mul_lo_u32 v0, v11, v6
	v_mul_lo_u32 v1, v10, v13
	v_mad_u64_u32 v[12:13], s[26:27], v10, v6, 0
	v_add3_u32 v13, v13, v1, v0
.LBB29_1298:                            ;   in Loop: Header=BB29_47 Depth=1
	s_or_b64 exec, exec, s[42:43]
	v_cmp_eq_u32_e32 vcc, 0, v2
	v_mov_b32_e32 v0, 0x90
	v_mov_b32_e32 v1, 0xd0
	v_cndmask_b32_e32 v2, v1, v0, vcc
	scratch_load_dwordx2 v[0:1], off, s33 offset:280 ; 8-byte Folded Reload
	s_waitcnt vmcnt(0)
	v_lshl_add_u64 v[0:1], v[12:13], 1, v[0:1]
	v_add_u32_e32 v2, v0, v2
	ds_write_b64 v2, v[0:1] offset:584
	v_and_b32_e32 v0, 0x2000, v110
	v_cmp_ne_u32_e32 vcc, 0, v0
	s_and_saveexec_b64 s[26:27], vcc
	s_cbranch_execz .LBB29_1300
; %bb.1299:                             ;   in Loop: Header=BB29_47 Depth=1
	ds_read_b64 v[0:1], v0 offset:872
	s_waitcnt lgkmcnt(0)
	v_lshl_add_u64 v[0:1], v[0:1], 0, 1
	ds_write_b64 v0, v[0:1] offset:872
.LBB29_1300:                            ;   in Loop: Header=BB29_47 Depth=1
	s_or_b64 exec, exec, s[26:27]
	v_mov_b64_e32 v[124:125], v[8:9]
.LBB29_1301:                            ;   in Loop: Header=BB29_47 Depth=1
	s_or_b64 exec, exec, s[40:41]
	s_and_saveexec_b64 s[26:27], s[6:7]
	s_cbranch_execz .LBB29_1339
; %bb.1302:                             ;   in Loop: Header=BB29_47 Depth=1
	s_and_saveexec_b64 s[40:41], s[56:57]
	s_xor_b64 s[40:41], exec, s[40:41]
	s_cbranch_execz .LBB29_1336
; %bb.1303:                             ;   in Loop: Header=BB29_47 Depth=1
	s_and_saveexec_b64 s[42:43], s[14:15]
	s_cbranch_execz .LBB29_1335
; %bb.1304:                             ;   in Loop: Header=BB29_47 Depth=1
	s_mov_b64 s[94:95], exec
	v_mbcnt_lo_u32_b32 v0, s94, 0
	v_mbcnt_hi_u32_b32 v0, s95, v0
	v_cmp_eq_u32_e32 vcc, 0, v0
	s_waitcnt lgkmcnt(0)
	s_and_saveexec_b64 s[92:93], vcc
	s_cbranch_execz .LBB29_1306
; %bb.1305:                             ;   in Loop: Header=BB29_47 Depth=1
	s_bcnt1_i32_b64 s13, s[94:95]
	v_mov_b32_e32 v2, s13
	ds_add_u64 v0, v[2:3]
	s_trap 2
.LBB29_1306:                            ;   in Loop: Header=BB29_47 Depth=1
	s_or_b64 exec, exec, s[92:93]
	s_trap 2
	ds_read_b64 v[0:1], v0
	s_waitcnt lgkmcnt(0)
	v_lshl_add_u64 v[46:47], v[46:47], 0, v[60:61]
	v_cmp_lt_u64_e32 vcc, v[0:1], v[46:47]
	s_and_saveexec_b64 s[92:93], vcc
	s_cbranch_execz .LBB29_1334
; %bb.1307:                             ;   in Loop: Header=BB29_47 Depth=1
	s_mov_b32 s44, 0
	s_mov_b64 s[94:95], 0
                                        ; implicit-def: $sgpr30_sgpr31
                                        ; implicit-def: $sgpr34_sgpr35
	s_branch .LBB29_1309
.LBB29_1308:                            ;   in Loop: Header=BB29_1309 Depth=2
	s_or_b64 exec, exec, s[38:39]
	s_and_b64 vcc, exec, vcc
	s_or_b64 s[94:95], vcc, s[94:95]
	s_andn2_b64 vcc, s[30:31], exec
	s_and_b64 s[30:31], s[34:35], exec
	s_or_b64 s[30:31], vcc, s[30:31]
	s_andn2_b64 exec, exec, s[94:95]
	s_cbranch_execz .LBB29_1332
.LBB29_1309:                            ;   Parent Loop BB29_47 Depth=1
                                        ; =>  This Inner Loop Header: Depth=2
	s_add_i32 s44, s44, 1
	s_cmpk_lg_i32 s44, 0x2710
	s_cselect_b64 s[36:37], -1, 0
	s_and_b64 vcc, exec, s[36:37]
	s_cbranch_vccz .LBB29_1311
; %bb.1310:                             ;   in Loop: Header=BB29_1309 Depth=2
	s_mov_b64 vcc, -1
	s_or_b64 s[34:35], s[34:35], exec
	s_and_saveexec_b64 s[38:39], s[36:37]
	s_cbranch_execz .LBB29_1308
	s_branch .LBB29_1312
.LBB29_1311:                            ;   in Loop: Header=BB29_1309 Depth=2
	s_trap 2
	ds_read_b64 v[0:1], v0
	s_andn2_b64 s[36:37], s[36:37], exec
	s_mov_b32 s44, 0
	s_waitcnt vmcnt(0) lgkmcnt(0)
	flat_load_dword v0, v[0:1] sc0 sc1
	s_waitcnt vmcnt(0) lgkmcnt(0)
	buffer_inv sc0 sc1
	v_cmp_eq_u32_e32 vcc, 0, v0
	s_and_b64 vcc, vcc, exec
	s_or_b64 s[36:37], s[36:37], vcc
	s_mov_b64 vcc, -1
	s_or_b64 s[34:35], s[34:35], exec
	s_and_saveexec_b64 s[38:39], s[36:37]
	s_cbranch_execz .LBB29_1308
.LBB29_1312:                            ;   in Loop: Header=BB29_1309 Depth=2
	s_sleep 1
	s_trap 2
	ds_read_b64 v[0:1], v0
	s_waitcnt lgkmcnt(0)
	s_andn2_b64 s[34:35], s[34:35], exec
	v_cmp_ge_u64_e32 vcc, v[0:1], v[46:47]
	s_orn2_b64 vcc, vcc, exec
	s_branch .LBB29_1308
.LBB29_1313:                            ;   in Loop: Header=BB29_47 Depth=1
	s_or_b64 exec, exec, s[30:31]
	s_and_saveexec_b64 s[44:45], s[34:35]
	s_xor_b64 s[44:45], exec, s[44:45]
	s_cbranch_execz .LBB29_1315
; %bb.1314:                             ;   in Loop: Header=BB29_47 Depth=1
	v_mov_b32_e32 v0, 1
	ds_write_b32 v0, v0
	s_trap 2
.LBB29_1315:                            ;   in Loop: Header=BB29_47 Depth=1
	s_or_b64 exec, exec, s[42:43]
	;;#ASMSTART
	s_wakeup
	;;#ASMEND
.LBB29_1316:                            ;   in Loop: Header=BB29_47 Depth=1
	s_or_b64 exec, exec, s[40:41]
.LBB29_1317:                            ;   in Loop: Header=BB29_47 Depth=1
	s_andn2_saveexec_b64 s[28:29], s[28:29]
	s_cbranch_execz .LBB29_1319
; %bb.1318:                             ;   in Loop: Header=BB29_47 Depth=1
	s_waitcnt lgkmcnt(0)
	s_barrier
.LBB29_1319:                            ;   in Loop: Header=BB29_47 Depth=1
	s_or_b64 exec, exec, s[28:29]
.LBB29_1320:                            ;   in Loop: Header=BB29_47 Depth=1
	s_or_b64 exec, exec, s[26:27]
	s_trap 2
	ds_read_b32 v0, v0
	v_and_b32_e32 v1, 0x4000, v110
	v_cmp_ne_u32_e32 vcc, 0, v1
	s_xor_b64 s[26:27], s[4:5], -1
	s_and_b64 s[28:29], s[26:27], vcc
	s_and_saveexec_b64 s[26:27], s[28:29]
	s_cbranch_execz .LBB29_1362
; %bb.1321:                             ;   in Loop: Header=BB29_47 Depth=1
	s_and_saveexec_b64 s[28:29], s[56:57]
	s_xor_b64 s[28:29], exec, s[28:29]
	s_cbranch_execz .LBB29_1359
; %bb.1322:                             ;   in Loop: Header=BB29_47 Depth=1
	s_and_saveexec_b64 s[40:41], s[14:15]
	s_cbranch_execz .LBB29_1358
; %bb.1323:                             ;   in Loop: Header=BB29_47 Depth=1
	s_mov_b64 s[30:31], exec
	v_mbcnt_lo_u32_b32 v1, s30, 0
	v_mbcnt_hi_u32_b32 v1, s31, v1
	v_cmp_eq_u32_e32 vcc, 0, v1
	s_waitcnt lgkmcnt(0)
	s_and_saveexec_b64 s[42:43], vcc
	s_cbranch_execz .LBB29_1325
; %bb.1324:                             ;   in Loop: Header=BB29_47 Depth=1
	s_bcnt1_i32_b64 s13, s[30:31]
	v_mov_b32_e32 v2, s13
	ds_add_u64 v0, v[2:3]
	s_trap 2
.LBB29_1325:                            ;   in Loop: Header=BB29_47 Depth=1
	s_or_b64 exec, exec, s[42:43]
	s_trap 2
	ds_read_b64 v[4:5], v0
	s_waitcnt lgkmcnt(0)
	v_lshl_add_u64 v[46:47], v[46:47], 0, v[60:61]
	v_cmp_lt_u64_e32 vcc, v[4:5], v[46:47]
	s_and_saveexec_b64 s[42:43], vcc
	s_cbranch_execz .LBB29_1357
; %bb.1326:                             ;   in Loop: Header=BB29_47 Depth=1
	s_mov_b32 s44, 0
	s_mov_b64 s[30:31], 0
                                        ; implicit-def: $sgpr34_sgpr35
                                        ; implicit-def: $sgpr36_sgpr37
	s_branch .LBB29_1328
.LBB29_1327:                            ;   in Loop: Header=BB29_1328 Depth=2
	s_or_b64 exec, exec, s[48:49]
	s_and_b64 vcc, exec, vcc
	s_or_b64 s[30:31], vcc, s[30:31]
	s_andn2_b64 vcc, s[34:35], exec
	s_and_b64 s[34:35], s[36:37], exec
	s_or_b64 s[34:35], vcc, s[34:35]
	s_andn2_b64 exec, exec, s[30:31]
	s_cbranch_execz .LBB29_1355
.LBB29_1328:                            ;   Parent Loop BB29_47 Depth=1
                                        ; =>  This Inner Loop Header: Depth=2
	s_add_i32 s44, s44, 1
	s_cmpk_lg_i32 s44, 0x2710
	s_cselect_b64 s[38:39], -1, 0
	s_and_b64 vcc, exec, s[38:39]
	s_cbranch_vccz .LBB29_1330
; %bb.1329:                             ;   in Loop: Header=BB29_1328 Depth=2
	s_mov_b64 vcc, -1
	s_or_b64 s[36:37], s[36:37], exec
	s_and_saveexec_b64 s[48:49], s[38:39]
	s_cbranch_execz .LBB29_1327
	s_branch .LBB29_1331
.LBB29_1330:                            ;   in Loop: Header=BB29_1328 Depth=2
	s_trap 2
	ds_read_b64 v[4:5], v0
	s_andn2_b64 s[38:39], s[38:39], exec
	s_mov_b32 s44, 0
	s_waitcnt vmcnt(0) lgkmcnt(0)
	flat_load_dword v1, v[4:5] sc0 sc1
	s_waitcnt vmcnt(0) lgkmcnt(0)
	buffer_inv sc0 sc1
	v_cmp_eq_u32_e32 vcc, 0, v1
	s_and_b64 vcc, vcc, exec
	s_or_b64 s[38:39], s[38:39], vcc
	s_mov_b64 vcc, -1
	s_or_b64 s[36:37], s[36:37], exec
	s_and_saveexec_b64 s[48:49], s[38:39]
	s_cbranch_execz .LBB29_1327
.LBB29_1331:                            ;   in Loop: Header=BB29_1328 Depth=2
	s_sleep 1
	s_trap 2
	ds_read_b64 v[4:5], v0
	s_waitcnt lgkmcnt(0)
	s_andn2_b64 s[36:37], s[36:37], exec
	v_cmp_ge_u64_e32 vcc, v[4:5], v[46:47]
	s_orn2_b64 vcc, vcc, exec
	s_branch .LBB29_1327
.LBB29_1332:                            ;   in Loop: Header=BB29_47 Depth=1
	s_or_b64 exec, exec, s[94:95]
	s_and_saveexec_b64 s[44:45], s[30:31]
	s_xor_b64 s[44:45], exec, s[44:45]
	s_cbranch_execz .LBB29_1334
; %bb.1333:                             ;   in Loop: Header=BB29_47 Depth=1
	v_mov_b32_e32 v0, 1
	ds_write_b32 v0, v0
	s_trap 2
.LBB29_1334:                            ;   in Loop: Header=BB29_47 Depth=1
	s_or_b64 exec, exec, s[92:93]
	;;#ASMSTART
	s_wakeup
	;;#ASMEND
.LBB29_1335:                            ;   in Loop: Header=BB29_47 Depth=1
	s_or_b64 exec, exec, s[42:43]
.LBB29_1336:                            ;   in Loop: Header=BB29_47 Depth=1
	s_andn2_saveexec_b64 s[40:41], s[40:41]
	s_cbranch_execz .LBB29_1338
; %bb.1337:                             ;   in Loop: Header=BB29_47 Depth=1
	s_waitcnt lgkmcnt(0)
	s_barrier
.LBB29_1338:                            ;   in Loop: Header=BB29_47 Depth=1
	s_or_b64 exec, exec, s[40:41]
.LBB29_1339:                            ;   in Loop: Header=BB29_47 Depth=1
	s_or_b64 exec, exec, s[26:27]
	v_and_b32_e32 v0, 16, v110
	s_and_saveexec_b64 s[26:27], s[22:23]
	s_xor_b64 s[26:27], exec, s[26:27]
	s_cbranch_execz .LBB29_1343
; %bb.1340:                             ;   in Loop: Header=BB29_47 Depth=1
	s_trap 2
	ds_read_b32 v1, v0
	v_cmp_lt_i32_e32 vcc, 0, v4
	v_and_b32_e32 v2, 16, v110
	v_and_b32_e32 v0, 16, v110
	s_waitcnt lgkmcnt(0)
	v_readfirstlane_b32 s13, v1
	s_cmp_eq_u32 s13, 0
	s_cselect_b64 s[40:41], -1, 0
	s_and_b64 s[40:41], vcc, s[40:41]
	v_cmp_ne_u32_e32 vcc, 0, v2
	s_and_b64 s[42:43], vcc, s[40:41]
	s_and_saveexec_b64 s[40:41], s[42:43]
	s_cbranch_execz .LBB29_1342
; %bb.1341:                             ;   in Loop: Header=BB29_47 Depth=1
	v_mov_b32_e32 v0, 1
	buffer_wbl2 sc1
	s_waitcnt vmcnt(0)
	buffer_inv sc1
.LBB29_1342:                            ;   in Loop: Header=BB29_47 Depth=1
	s_or_b64 exec, exec, s[40:41]
.LBB29_1343:                            ;   in Loop: Header=BB29_47 Depth=1
	s_andn2_saveexec_b64 s[26:27], s[26:27]
	s_cbranch_execz .LBB29_1646
; %bb.1344:                             ;   in Loop: Header=BB29_47 Depth=1
	s_and_saveexec_b64 s[40:41], s[56:57]
	s_xor_b64 s[40:41], exec, s[40:41]
	s_cbranch_execz .LBB29_1643
; %bb.1345:                             ;   in Loop: Header=BB29_47 Depth=1
	s_and_saveexec_b64 s[42:43], s[14:15]
	s_cbranch_execz .LBB29_1642
; %bb.1346:                             ;   in Loop: Header=BB29_47 Depth=1
	s_mov_b64 s[94:95], exec
	v_mbcnt_lo_u32_b32 v1, s94, 0
	v_mbcnt_hi_u32_b32 v1, s95, v1
	v_cmp_eq_u32_e32 vcc, 0, v1
	;;#ASMSTART
	s_waitcnt lgkmcnt(0) vmcnt(0)
	;;#ASMEND
	s_and_saveexec_b64 s[92:93], vcc
	s_cbranch_execz .LBB29_1348
; %bb.1347:                             ;   in Loop: Header=BB29_47 Depth=1
	s_bcnt1_i32_b64 s13, s[94:95]
	v_mov_b32_e32 v2, s13
	s_waitcnt lgkmcnt(0)
	ds_add_u64 v0, v[2:3]
	s_trap 2
.LBB29_1348:                            ;   in Loop: Header=BB29_47 Depth=1
	s_or_b64 exec, exec, s[92:93]
	s_trap 2
	ds_read_b64 v[4:5], v0
	s_waitcnt lgkmcnt(0)
	v_lshl_add_u64 v[46:47], v[46:47], 0, v[60:61]
	v_cmp_lt_u64_e32 vcc, v[4:5], v[46:47]
	s_and_saveexec_b64 s[92:93], vcc
	s_cbranch_execz .LBB29_1641
; %bb.1349:                             ;   in Loop: Header=BB29_47 Depth=1
	s_mov_b32 s44, 0
	s_mov_b64 s[94:95], 0
                                        ; implicit-def: $sgpr30_sgpr31
                                        ; implicit-def: $sgpr34_sgpr35
	s_branch .LBB29_1351
.LBB29_1350:                            ;   in Loop: Header=BB29_1351 Depth=2
	s_or_b64 exec, exec, s[38:39]
	s_and_b64 vcc, exec, vcc
	s_or_b64 s[94:95], vcc, s[94:95]
	s_andn2_b64 vcc, s[30:31], exec
	s_and_b64 s[30:31], s[34:35], exec
	s_or_b64 s[30:31], vcc, s[30:31]
	s_andn2_b64 exec, exec, s[94:95]
	s_cbranch_execz .LBB29_1639
.LBB29_1351:                            ;   Parent Loop BB29_47 Depth=1
                                        ; =>  This Inner Loop Header: Depth=2
	s_add_i32 s44, s44, 1
	s_cmpk_lg_i32 s44, 0x2710
	s_cselect_b64 s[36:37], -1, 0
	s_and_b64 vcc, exec, s[36:37]
	s_cbranch_vccz .LBB29_1353
; %bb.1352:                             ;   in Loop: Header=BB29_1351 Depth=2
	s_mov_b64 vcc, -1
	s_or_b64 s[34:35], s[34:35], exec
	s_and_saveexec_b64 s[38:39], s[36:37]
	s_cbranch_execz .LBB29_1350
	s_branch .LBB29_1354
.LBB29_1353:                            ;   in Loop: Header=BB29_1351 Depth=2
	s_trap 2
	ds_read_b64 v[4:5], v0
	s_andn2_b64 s[36:37], s[36:37], exec
	s_mov_b32 s44, 0
	s_waitcnt vmcnt(0) lgkmcnt(0)
	flat_load_dword v1, v[4:5] sc0 sc1
	s_waitcnt vmcnt(0) lgkmcnt(0)
	buffer_inv sc0 sc1
	v_cmp_eq_u32_e32 vcc, 0, v1
	s_and_b64 vcc, vcc, exec
	s_or_b64 s[36:37], s[36:37], vcc
	s_mov_b64 vcc, -1
	s_or_b64 s[34:35], s[34:35], exec
	s_and_saveexec_b64 s[38:39], s[36:37]
	s_cbranch_execz .LBB29_1350
.LBB29_1354:                            ;   in Loop: Header=BB29_1351 Depth=2
	s_sleep 1
	s_trap 2
	ds_read_b64 v[4:5], v0
	s_waitcnt lgkmcnt(0)
	s_andn2_b64 s[34:35], s[34:35], exec
	v_cmp_ge_u64_e32 vcc, v[4:5], v[46:47]
	s_orn2_b64 vcc, vcc, exec
	s_branch .LBB29_1350
.LBB29_1355:                            ;   in Loop: Header=BB29_47 Depth=1
	s_or_b64 exec, exec, s[30:31]
	s_and_saveexec_b64 s[44:45], s[34:35]
	s_xor_b64 s[44:45], exec, s[44:45]
	s_cbranch_execz .LBB29_1357
; %bb.1356:                             ;   in Loop: Header=BB29_47 Depth=1
	v_mov_b32_e32 v1, 1
	ds_write_b32 v0, v1
	s_trap 2
.LBB29_1357:                            ;   in Loop: Header=BB29_47 Depth=1
	s_or_b64 exec, exec, s[42:43]
	;;#ASMSTART
	s_wakeup
	;;#ASMEND
.LBB29_1358:                            ;   in Loop: Header=BB29_47 Depth=1
	s_or_b64 exec, exec, s[40:41]
.LBB29_1359:                            ;   in Loop: Header=BB29_47 Depth=1
	s_andn2_saveexec_b64 s[28:29], s[28:29]
	s_cbranch_execz .LBB29_1361
; %bb.1360:                             ;   in Loop: Header=BB29_47 Depth=1
	s_waitcnt lgkmcnt(0)
	s_barrier
.LBB29_1361:                            ;   in Loop: Header=BB29_47 Depth=1
	s_or_b64 exec, exec, s[28:29]
.LBB29_1362:                            ;   in Loop: Header=BB29_47 Depth=1
	s_or_b64 exec, exec, s[26:27]
	s_trap 2
	s_waitcnt lgkmcnt(0)
	ds_read_b64 v[4:5], v0
	s_waitcnt lgkmcnt(0)
	v_cmp_eq_u64_e32 vcc, 0, v[4:5]
	scratch_store_dwordx2 off, v[4:5], s33 offset:372 ; 8-byte Folded Spill
	s_cbranch_vccnz .LBB29_1636
; %bb.1363:                             ;   in Loop: Header=BB29_47 Depth=1
	s_trap 2
	ds_read_b64 v[112:113], v0
	s_waitcnt lgkmcnt(0)
	v_cmp_eq_u64_e32 vcc, 0, v[112:113]
	s_cbranch_vccnz .LBB29_1636
; %bb.1364:                             ;   in Loop: Header=BB29_47 Depth=1
	s_trap 2
	ds_read_b64 v[114:115], v0
	v_cmp_eq_u32_e32 vcc, 0, v0
	s_mov_b64 s[26:27], -1
	s_waitcnt lgkmcnt(0)
	v_readfirstlane_b32 s44, v114
	v_cndmask_b32_e32 v2, 0, v28, vcc
	v_cmp_ne_u64_e32 vcc, 0, v[114:115]
	v_lshlrev_b32_e32 v29, 1, v2
	s_cbranch_vccz .LBB29_2140
; %bb.1365:                             ;   in Loop: Header=BB29_47 Depth=1
	s_and_saveexec_b64 s[28:29], s[20:21]
	s_cbranch_execz .LBB29_1367
; %bb.1366:                             ;   in Loop: Header=BB29_47 Depth=1
	ds_read_b32 v0, v0 offset:720
	s_waitcnt lgkmcnt(0)
	v_and_b32_e32 v0, 15, v0
	v_cmp_eq_u32_e32 vcc, 0, v0
	s_orn2_b64 s[26:27], vcc, exec
.LBB29_1367:                            ;   in Loop: Header=BB29_47 Depth=1
	s_or_b64 exec, exec, s[28:29]
	s_and_saveexec_b64 s[28:29], s[20:21]
	s_cbranch_execz .LBB29_1369
; %bb.1368:                             ;   in Loop: Header=BB29_47 Depth=1
	ds_read_b32 v0, v0 offset:784
	s_waitcnt lgkmcnt(0)
	v_and_b32_e32 v0, 15, v0
	v_cmp_eq_u32_e32 vcc, 0, v0
	s_and_b64 s[40:41], s[26:27], vcc
	s_andn2_b64 s[26:27], s[26:27], exec
	s_and_b64 s[40:41], s[40:41], exec
	s_or_b64 s[26:27], s[26:27], s[40:41]
.LBB29_1369:                            ;   in Loop: Header=BB29_47 Depth=1
	s_or_b64 exec, exec, s[28:29]
	s_xor_b64 s[26:27], s[26:27], -1
	v_cndmask_b32_e64 v0, 0, 1, s[26:27]
	s_mov_b64 s[28:29], -1
	v_cmp_ne_u32_e32 vcc, 0, v0
	s_cbranch_vccz .LBB29_1637
; %bb.1370:                             ;   in Loop: Header=BB29_47 Depth=1
	s_and_b32 s45, s44, 1
	s_mov_b64 s[30:31], -1
	v_mov_b32_e32 v14, 0
	s_cbranch_execnz .LBB29_1638
.LBB29_1371:                            ;   in Loop: Header=BB29_47 Depth=1
	v_ashrrev_i32_e32 v0, 31, v29
	v_lshrrev_b32_e32 v0, 20, v0
	v_add_u32_e32 v0, v29, v0
	s_waitcnt vmcnt(0)
	v_ashrrev_i32_e32 v121, 12, v0
	scratch_load_dword v0, off, s33 offset:320 ; 4-byte Folded Reload
	s_and_b32 s45, s44, 1
	s_mov_b64 s[26:27], 0
                                        ; implicit-def: $vgpr80_vgpr81
                                        ; implicit-def: $vgpr36_vgpr37
                                        ; implicit-def: $vgpr24_vgpr25
                                        ; implicit-def: $vgpr12_vgpr13
                                        ; implicit-def: $vgpr32_vgpr33
                                        ; implicit-def: $vgpr20_vgpr21
                                        ; implicit-def: $vgpr16_vgpr17
                                        ; implicit-def: $vgpr8_vgpr9
	s_waitcnt vmcnt(0)
	v_lshrrev_b32_e32 v0, 6, v0
	v_sub_u32_e32 v79, v121, v0
	scratch_load_dwordx2 v[0:1], off, s33 offset:356 ; 8-byte Folded Reload
	v_cmp_lt_i32_e32 vcc, 0, v79
	s_waitcnt vmcnt(0)
	v_lshl_add_u64 v[4:5], v[112:113], 0, v[0:1]
	v_lshl_add_u64 v[72:73], v[114:115], 0, v[0:1]
	s_and_saveexec_b64 s[28:29], vcc
	s_cbranch_execz .LBB29_1652
; %bb.1372:                             ;   in Loop: Header=BB29_47 Depth=1
	scratch_store_dwordx2 off, v[114:115], s33 offset:448 ; 8-byte Folded Spill
	scratch_store_dwordx2 off, v[112:113], s33 offset:428 ; 8-byte Folded Spill
	s_trap 2
	ds_read_b64 v[0:1], v0
	scratch_load_dwordx2 v[6:7], off, s33 offset:356 ; 8-byte Folded Reload
	scratch_load_dwordx2 v[8:9], off, s33 offset:372 ; 8-byte Folded Reload
	s_and_b32 s13, 0xffff, s45
	s_cmp_eq_u32 s13, 0
	s_mov_b64 s[34:35], 0
	s_mov_b64 s[40:41], 0
	s_cselect_b64 vcc, -1, 0
                                        ; implicit-def: $sgpr42_sgpr43
                                        ; implicit-def: $vgpr80_vgpr81
                                        ; implicit-def: $vgpr36_vgpr37
                                        ; implicit-def: $vgpr24_vgpr25
                                        ; implicit-def: $vgpr12_vgpr13
                                        ; implicit-def: $vgpr32_vgpr33
                                        ; implicit-def: $vgpr20_vgpr21
                                        ; implicit-def: $vgpr16_vgpr17
	s_waitcnt vmcnt(1) lgkmcnt(0)
	v_lshl_add_u64 v[58:59], v[0:1], 0, v[6:7]
	s_waitcnt vmcnt(0)
	v_lshl_add_u64 v[62:63], v[8:9], 0, v[6:7]
                                        ; implicit-def: $vgpr8_vgpr9
	s_branch .LBB29_1374
.LBB29_1373:                            ;   in Loop: Header=BB29_1374 Depth=2
	s_or_b64 exec, exec, s[26:27]
	v_cmp_gt_i32_e64 s[26:27], 1, v79
	s_or_b64 s[40:41], s[26:27], s[40:41]
	s_andn2_b64 s[26:27], s[42:43], exec
	s_and_b64 s[42:43], s[34:35], exec
	s_or_b64 s[42:43], s[26:27], s[42:43]
	s_andn2_b64 exec, exec, s[40:41]
	s_cbranch_execz .LBB29_1651
.LBB29_1374:                            ;   Parent Loop BB29_47 Depth=1
                                        ; =>  This Inner Loop Header: Depth=2
	global_load_dwordx4 v[100:103], v[62:63], off nt
	global_load_dwordx4 v[84:87], v[62:63], off offset:1024 nt
	global_load_dwordx4 v[64:67], v[62:63], off offset:2048 nt
	;; [unrolled: 1-line block ×3, first 2 shown]
	global_load_dwordx4 v[112:115], v[58:59], off nt
	global_load_dwordx4 v[96:99], v[58:59], off offset:1024 nt
	global_load_dwordx4 v[68:71], v[58:59], off offset:2048 nt
	;; [unrolled: 1-line block ×3, first 2 shown]
	s_and_saveexec_b64 s[36:37], s[34:35]
	s_cbranch_execz .LBB29_1504
; %bb.1375:                             ;   in Loop: Header=BB29_1374 Depth=2
	v_lshlrev_b32_e32 v0, 16, v80
	v_lshlrev_b32_e32 v1, 16, v32
	v_max_f32_e32 v1, v1, v1
	v_max_f32_e32 v0, v0, v0
	v_min_f32_e32 v6, v0, v1
	v_max_f32_e32 v0, v0, v1
	v_cndmask_b32_e32 v0, v0, v6, vcc
	v_and_b32_e32 v1, 0x7f800000, v0
	v_cmp_ne_u32_e64 s[26:27], s97, v1
                                        ; implicit-def: $vgpr118
	s_and_saveexec_b64 s[34:35], s[26:27]
	s_xor_b64 s[26:27], exec, s[34:35]
; %bb.1376:                             ;   in Loop: Header=BB29_1374 Depth=2
	v_bfe_u32 v1, v0, 16, 1
	v_add3_u32 v118, v0, v1, s46
                                        ; implicit-def: $vgpr0
; %bb.1377:                             ;   in Loop: Header=BB29_1374 Depth=2
	s_andn2_saveexec_b64 s[34:35], s[26:27]
; %bb.1378:                             ;   in Loop: Header=BB29_1374 Depth=2
	v_or_b32_e32 v1, 0x10000, v0
	v_cmp_eq_u32_sdwa s[26:27], v0, v3 src0_sel:WORD_0 src1_sel:DWORD
	s_nop 1
	v_cndmask_b32_e64 v118, v1, v0, s[26:27]
; %bb.1379:                             ;   in Loop: Header=BB29_1374 Depth=2
	s_or_b64 exec, exec, s[34:35]
	v_and_b32_e32 v0, 0xffff0000, v80
	v_and_b32_e32 v1, 0xffff0000, v32
	v_max_f32_e32 v1, v1, v1
	v_max_f32_e32 v0, v0, v0
	v_min_f32_e32 v6, v0, v1
	v_max_f32_e32 v0, v0, v1
	v_cndmask_b32_e32 v0, v0, v6, vcc
	v_and_b32_e32 v1, 0x7f800000, v0
	v_cmp_ne_u32_e64 s[26:27], s97, v1
                                        ; implicit-def: $vgpr80
	s_and_saveexec_b64 s[34:35], s[26:27]
	s_xor_b64 s[26:27], exec, s[34:35]
; %bb.1380:                             ;   in Loop: Header=BB29_1374 Depth=2
	v_bfe_u32 v1, v0, 16, 1
	v_add3_u32 v80, v0, v1, s46
                                        ; implicit-def: $vgpr0
; %bb.1381:                             ;   in Loop: Header=BB29_1374 Depth=2
	s_andn2_saveexec_b64 s[34:35], s[26:27]
; %bb.1382:                             ;   in Loop: Header=BB29_1374 Depth=2
	v_or_b32_e32 v1, 0x10000, v0
	v_cmp_eq_u32_sdwa s[26:27], v0, v3 src0_sel:WORD_0 src1_sel:DWORD
	s_nop 1
	v_cndmask_b32_e64 v80, v1, v0, s[26:27]
; %bb.1383:                             ;   in Loop: Header=BB29_1374 Depth=2
	s_or_b64 exec, exec, s[34:35]
	v_lshlrev_b32_e32 v0, 16, v81
	v_lshlrev_b32_e32 v1, 16, v33
	v_max_f32_e32 v1, v1, v1
	v_max_f32_e32 v0, v0, v0
	v_min_f32_e32 v6, v0, v1
	v_max_f32_e32 v0, v0, v1
	v_cndmask_b32_e32 v0, v0, v6, vcc
	v_and_b32_e32 v1, 0x7f800000, v0
	v_cmp_ne_u32_e64 s[26:27], s97, v1
                                        ; implicit-def: $vgpr119
	s_and_saveexec_b64 s[34:35], s[26:27]
	s_xor_b64 s[26:27], exec, s[34:35]
; %bb.1384:                             ;   in Loop: Header=BB29_1374 Depth=2
	v_bfe_u32 v1, v0, 16, 1
	v_add3_u32 v119, v0, v1, s46
                                        ; implicit-def: $vgpr0
; %bb.1385:                             ;   in Loop: Header=BB29_1374 Depth=2
	s_andn2_saveexec_b64 s[34:35], s[26:27]
; %bb.1386:                             ;   in Loop: Header=BB29_1374 Depth=2
	v_or_b32_e32 v1, 0x10000, v0
	v_cmp_eq_u32_sdwa s[26:27], v0, v3 src0_sel:WORD_0 src1_sel:DWORD
	s_nop 1
	v_cndmask_b32_e64 v119, v1, v0, s[26:27]
; %bb.1387:                             ;   in Loop: Header=BB29_1374 Depth=2
	s_or_b64 exec, exec, s[34:35]
	v_and_b32_e32 v0, 0xffff0000, v81
	v_and_b32_e32 v1, 0xffff0000, v33
	v_max_f32_e32 v1, v1, v1
	v_max_f32_e32 v0, v0, v0
	v_min_f32_e32 v6, v0, v1
	v_max_f32_e32 v0, v0, v1
	v_cndmask_b32_e32 v0, v0, v6, vcc
	v_and_b32_e32 v1, 0x7f800000, v0
	v_cmp_ne_u32_e64 s[26:27], s97, v1
                                        ; implicit-def: $vgpr81
	s_and_saveexec_b64 s[34:35], s[26:27]
	s_xor_b64 s[26:27], exec, s[34:35]
; %bb.1388:                             ;   in Loop: Header=BB29_1374 Depth=2
	v_bfe_u32 v1, v0, 16, 1
	v_add3_u32 v81, v0, v1, s46
                                        ; implicit-def: $vgpr0
; %bb.1389:                             ;   in Loop: Header=BB29_1374 Depth=2
	s_andn2_saveexec_b64 s[34:35], s[26:27]
; %bb.1390:                             ;   in Loop: Header=BB29_1374 Depth=2
	v_or_b32_e32 v1, 0x10000, v0
	v_cmp_eq_u32_sdwa s[26:27], v0, v3 src0_sel:WORD_0 src1_sel:DWORD
	s_nop 1
	v_cndmask_b32_e64 v81, v1, v0, s[26:27]
; %bb.1391:                             ;   in Loop: Header=BB29_1374 Depth=2
	s_or_b64 exec, exec, s[34:35]
	v_lshlrev_b32_e32 v0, 16, v82
	v_lshlrev_b32_e32 v1, 16, v34
	v_max_f32_e32 v1, v1, v1
	v_max_f32_e32 v0, v0, v0
	v_min_f32_e32 v6, v0, v1
	v_max_f32_e32 v0, v0, v1
	v_cndmask_b32_e32 v0, v0, v6, vcc
	v_and_b32_e32 v1, 0x7f800000, v0
	v_cmp_ne_u32_e64 s[26:27], s97, v1
                                        ; implicit-def: $vgpr74
	s_and_saveexec_b64 s[34:35], s[26:27]
	s_xor_b64 s[26:27], exec, s[34:35]
; %bb.1392:                             ;   in Loop: Header=BB29_1374 Depth=2
	v_bfe_u32 v1, v0, 16, 1
	v_add3_u32 v74, v0, v1, s46
                                        ; implicit-def: $vgpr0
; %bb.1393:                             ;   in Loop: Header=BB29_1374 Depth=2
	s_andn2_saveexec_b64 s[34:35], s[26:27]
; %bb.1394:                             ;   in Loop: Header=BB29_1374 Depth=2
	v_or_b32_e32 v1, 0x10000, v0
	v_cmp_eq_u32_sdwa s[26:27], v0, v3 src0_sel:WORD_0 src1_sel:DWORD
	s_nop 1
	v_cndmask_b32_e64 v74, v1, v0, s[26:27]
; %bb.1395:                             ;   in Loop: Header=BB29_1374 Depth=2
	s_or_b64 exec, exec, s[34:35]
	v_and_b32_e32 v0, 0xffff0000, v82
	v_and_b32_e32 v1, 0xffff0000, v34
	v_max_f32_e32 v1, v1, v1
	v_max_f32_e32 v0, v0, v0
	v_min_f32_e32 v6, v0, v1
	v_max_f32_e32 v0, v0, v1
	v_cndmask_b32_e32 v0, v0, v6, vcc
	v_and_b32_e32 v1, 0x7f800000, v0
	v_cmp_ne_u32_e64 s[26:27], s97, v1
                                        ; implicit-def: $vgpr82
	s_and_saveexec_b64 s[34:35], s[26:27]
	s_xor_b64 s[26:27], exec, s[34:35]
; %bb.1396:                             ;   in Loop: Header=BB29_1374 Depth=2
	v_bfe_u32 v1, v0, 16, 1
	v_add3_u32 v82, v0, v1, s46
                                        ; implicit-def: $vgpr0
; %bb.1397:                             ;   in Loop: Header=BB29_1374 Depth=2
	s_andn2_saveexec_b64 s[34:35], s[26:27]
; %bb.1398:                             ;   in Loop: Header=BB29_1374 Depth=2
	v_or_b32_e32 v1, 0x10000, v0
	v_cmp_eq_u32_sdwa s[26:27], v0, v3 src0_sel:WORD_0 src1_sel:DWORD
	s_nop 1
	v_cndmask_b32_e64 v82, v1, v0, s[26:27]
; %bb.1399:                             ;   in Loop: Header=BB29_1374 Depth=2
	s_or_b64 exec, exec, s[34:35]
	v_lshlrev_b32_e32 v0, 16, v83
	v_lshlrev_b32_e32 v1, 16, v35
	v_max_f32_e32 v1, v1, v1
	v_max_f32_e32 v0, v0, v0
	v_min_f32_e32 v6, v0, v1
	v_max_f32_e32 v0, v0, v1
	v_cndmask_b32_e32 v0, v0, v6, vcc
	v_and_b32_e32 v1, 0x7f800000, v0
	v_cmp_ne_u32_e64 s[26:27], s97, v1
                                        ; implicit-def: $vgpr75
	s_and_saveexec_b64 s[34:35], s[26:27]
	s_xor_b64 s[26:27], exec, s[34:35]
; %bb.1400:                             ;   in Loop: Header=BB29_1374 Depth=2
	v_bfe_u32 v1, v0, 16, 1
	v_add3_u32 v75, v0, v1, s46
                                        ; implicit-def: $vgpr0
; %bb.1401:                             ;   in Loop: Header=BB29_1374 Depth=2
	s_andn2_saveexec_b64 s[34:35], s[26:27]
; %bb.1402:                             ;   in Loop: Header=BB29_1374 Depth=2
	v_or_b32_e32 v1, 0x10000, v0
	v_cmp_eq_u32_sdwa s[26:27], v0, v3 src0_sel:WORD_0 src1_sel:DWORD
	s_nop 1
	v_cndmask_b32_e64 v75, v1, v0, s[26:27]
; %bb.1403:                             ;   in Loop: Header=BB29_1374 Depth=2
	s_or_b64 exec, exec, s[34:35]
	v_and_b32_e32 v0, 0xffff0000, v83
	v_and_b32_e32 v1, 0xffff0000, v35
	v_max_f32_e32 v1, v1, v1
	v_max_f32_e32 v0, v0, v0
	v_min_f32_e32 v6, v0, v1
	v_max_f32_e32 v0, v0, v1
	v_cndmask_b32_e32 v0, v0, v6, vcc
	v_and_b32_e32 v1, 0x7f800000, v0
	v_cmp_ne_u32_e64 s[26:27], s97, v1
                                        ; implicit-def: $vgpr83
	s_and_saveexec_b64 s[34:35], s[26:27]
	s_xor_b64 s[26:27], exec, s[34:35]
; %bb.1404:                             ;   in Loop: Header=BB29_1374 Depth=2
	v_bfe_u32 v1, v0, 16, 1
	v_add3_u32 v83, v0, v1, s46
                                        ; implicit-def: $vgpr0
; %bb.1405:                             ;   in Loop: Header=BB29_1374 Depth=2
	s_andn2_saveexec_b64 s[34:35], s[26:27]
; %bb.1406:                             ;   in Loop: Header=BB29_1374 Depth=2
	v_or_b32_e32 v1, 0x10000, v0
	v_cmp_eq_u32_sdwa s[26:27], v0, v3 src0_sel:WORD_0 src1_sel:DWORD
	s_nop 1
	v_cndmask_b32_e64 v83, v1, v0, s[26:27]
; %bb.1407:                             ;   in Loop: Header=BB29_1374 Depth=2
	s_or_b64 exec, exec, s[34:35]
	v_lshlrev_b32_e32 v0, 16, v36
	v_lshlrev_b32_e32 v1, 16, v20
	v_max_f32_e32 v1, v1, v1
	v_max_f32_e32 v0, v0, v0
	v_min_f32_e32 v6, v0, v1
	v_max_f32_e32 v0, v0, v1
	v_cndmask_b32_e32 v0, v0, v6, vcc
	v_and_b32_e32 v1, 0x7f800000, v0
	v_cmp_ne_u32_e64 s[26:27], s97, v1
                                        ; implicit-def: $vgpr44
	s_and_saveexec_b64 s[34:35], s[26:27]
	s_xor_b64 s[26:27], exec, s[34:35]
; %bb.1408:                             ;   in Loop: Header=BB29_1374 Depth=2
	v_bfe_u32 v1, v0, 16, 1
	v_add3_u32 v44, v0, v1, s46
                                        ; implicit-def: $vgpr0
; %bb.1409:                             ;   in Loop: Header=BB29_1374 Depth=2
	s_andn2_saveexec_b64 s[34:35], s[26:27]
; %bb.1410:                             ;   in Loop: Header=BB29_1374 Depth=2
	v_or_b32_e32 v1, 0x10000, v0
	v_cmp_eq_u32_sdwa s[26:27], v0, v3 src0_sel:WORD_0 src1_sel:DWORD
	s_nop 1
	v_cndmask_b32_e64 v44, v1, v0, s[26:27]
; %bb.1411:                             ;   in Loop: Header=BB29_1374 Depth=2
	s_or_b64 exec, exec, s[34:35]
	v_and_b32_e32 v0, 0xffff0000, v36
	v_and_b32_e32 v1, 0xffff0000, v20
	v_max_f32_e32 v1, v1, v1
	v_max_f32_e32 v0, v0, v0
	v_min_f32_e32 v6, v0, v1
	v_max_f32_e32 v0, v0, v1
	v_cndmask_b32_e32 v0, v0, v6, vcc
	v_and_b32_e32 v1, 0x7f800000, v0
	v_cmp_ne_u32_e64 s[26:27], s97, v1
                                        ; implicit-def: $vgpr36
	s_and_saveexec_b64 s[34:35], s[26:27]
	s_xor_b64 s[26:27], exec, s[34:35]
; %bb.1412:                             ;   in Loop: Header=BB29_1374 Depth=2
	v_bfe_u32 v1, v0, 16, 1
	v_add3_u32 v36, v0, v1, s46
                                        ; implicit-def: $vgpr0
; %bb.1413:                             ;   in Loop: Header=BB29_1374 Depth=2
	s_andn2_saveexec_b64 s[34:35], s[26:27]
; %bb.1414:                             ;   in Loop: Header=BB29_1374 Depth=2
	v_or_b32_e32 v1, 0x10000, v0
	v_cmp_eq_u32_sdwa s[26:27], v0, v3 src0_sel:WORD_0 src1_sel:DWORD
	s_nop 1
	v_cndmask_b32_e64 v36, v1, v0, s[26:27]
; %bb.1415:                             ;   in Loop: Header=BB29_1374 Depth=2
	s_or_b64 exec, exec, s[34:35]
	v_lshlrev_b32_e32 v0, 16, v37
	v_lshlrev_b32_e32 v1, 16, v21
	v_max_f32_e32 v1, v1, v1
	v_max_f32_e32 v0, v0, v0
	v_min_f32_e32 v6, v0, v1
	v_max_f32_e32 v0, v0, v1
	v_cndmask_b32_e32 v0, v0, v6, vcc
	v_and_b32_e32 v1, 0x7f800000, v0
	v_cmp_ne_u32_e64 s[26:27], s97, v1
                                        ; implicit-def: $vgpr45
	s_and_saveexec_b64 s[34:35], s[26:27]
	s_xor_b64 s[26:27], exec, s[34:35]
; %bb.1416:                             ;   in Loop: Header=BB29_1374 Depth=2
	v_bfe_u32 v1, v0, 16, 1
	v_add3_u32 v45, v0, v1, s46
                                        ; implicit-def: $vgpr0
; %bb.1417:                             ;   in Loop: Header=BB29_1374 Depth=2
	s_andn2_saveexec_b64 s[34:35], s[26:27]
; %bb.1418:                             ;   in Loop: Header=BB29_1374 Depth=2
	v_or_b32_e32 v1, 0x10000, v0
	v_cmp_eq_u32_sdwa s[26:27], v0, v3 src0_sel:WORD_0 src1_sel:DWORD
	s_nop 1
	v_cndmask_b32_e64 v45, v1, v0, s[26:27]
; %bb.1419:                             ;   in Loop: Header=BB29_1374 Depth=2
	s_or_b64 exec, exec, s[34:35]
	v_and_b32_e32 v0, 0xffff0000, v37
	v_and_b32_e32 v1, 0xffff0000, v21
	v_max_f32_e32 v1, v1, v1
	v_max_f32_e32 v0, v0, v0
	v_min_f32_e32 v6, v0, v1
	v_max_f32_e32 v0, v0, v1
	v_cndmask_b32_e32 v0, v0, v6, vcc
	v_and_b32_e32 v1, 0x7f800000, v0
	v_cmp_ne_u32_e64 s[26:27], s97, v1
                                        ; implicit-def: $vgpr30
	s_and_saveexec_b64 s[34:35], s[26:27]
	s_xor_b64 s[26:27], exec, s[34:35]
; %bb.1420:                             ;   in Loop: Header=BB29_1374 Depth=2
	v_bfe_u32 v1, v0, 16, 1
	v_add3_u32 v30, v0, v1, s46
                                        ; implicit-def: $vgpr0
; %bb.1421:                             ;   in Loop: Header=BB29_1374 Depth=2
	s_andn2_saveexec_b64 s[34:35], s[26:27]
; %bb.1422:                             ;   in Loop: Header=BB29_1374 Depth=2
	v_or_b32_e32 v1, 0x10000, v0
	v_cmp_eq_u32_sdwa s[26:27], v0, v3 src0_sel:WORD_0 src1_sel:DWORD
	s_nop 1
	v_cndmask_b32_e64 v30, v1, v0, s[26:27]
; %bb.1423:                             ;   in Loop: Header=BB29_1374 Depth=2
	s_or_b64 exec, exec, s[34:35]
	v_lshlrev_b32_e32 v0, 16, v38
	v_lshlrev_b32_e32 v1, 16, v22
	v_max_f32_e32 v1, v1, v1
	v_max_f32_e32 v0, v0, v0
	v_min_f32_e32 v6, v0, v1
	v_max_f32_e32 v0, v0, v1
	v_cndmask_b32_e32 v0, v0, v6, vcc
	v_and_b32_e32 v1, 0x7f800000, v0
	v_cmp_ne_u32_e64 s[26:27], s97, v1
                                        ; implicit-def: $vgpr120
	s_and_saveexec_b64 s[34:35], s[26:27]
	s_xor_b64 s[26:27], exec, s[34:35]
; %bb.1424:                             ;   in Loop: Header=BB29_1374 Depth=2
	v_bfe_u32 v1, v0, 16, 1
	v_add3_u32 v120, v0, v1, s46
                                        ; implicit-def: $vgpr0
; %bb.1425:                             ;   in Loop: Header=BB29_1374 Depth=2
	s_andn2_saveexec_b64 s[34:35], s[26:27]
; %bb.1426:                             ;   in Loop: Header=BB29_1374 Depth=2
	v_or_b32_e32 v1, 0x10000, v0
	v_cmp_eq_u32_sdwa s[26:27], v0, v3 src0_sel:WORD_0 src1_sel:DWORD
	s_nop 1
	v_cndmask_b32_e64 v120, v1, v0, s[26:27]
; %bb.1427:                             ;   in Loop: Header=BB29_1374 Depth=2
	s_or_b64 exec, exec, s[34:35]
	v_and_b32_e32 v0, 0xffff0000, v38
	v_and_b32_e32 v1, 0xffff0000, v22
	v_max_f32_e32 v1, v1, v1
	v_max_f32_e32 v0, v0, v0
	v_min_f32_e32 v6, v0, v1
	v_max_f32_e32 v0, v0, v1
	v_cndmask_b32_e32 v0, v0, v6, vcc
	v_and_b32_e32 v1, 0x7f800000, v0
	v_cmp_ne_u32_e64 s[26:27], s97, v1
                                        ; implicit-def: $vgpr6
	s_and_saveexec_b64 s[34:35], s[26:27]
	s_xor_b64 s[26:27], exec, s[34:35]
; %bb.1428:                             ;   in Loop: Header=BB29_1374 Depth=2
	v_bfe_u32 v1, v0, 16, 1
	v_add3_u32 v6, v0, v1, s46
                                        ; implicit-def: $vgpr0
; %bb.1429:                             ;   in Loop: Header=BB29_1374 Depth=2
	s_andn2_saveexec_b64 s[34:35], s[26:27]
; %bb.1430:                             ;   in Loop: Header=BB29_1374 Depth=2
	v_or_b32_e32 v1, 0x10000, v0
	v_cmp_eq_u32_sdwa s[26:27], v0, v3 src0_sel:WORD_0 src1_sel:DWORD
	s_nop 1
	v_cndmask_b32_e64 v6, v1, v0, s[26:27]
; %bb.1431:                             ;   in Loop: Header=BB29_1374 Depth=2
	s_or_b64 exec, exec, s[34:35]
	v_lshlrev_b32_e32 v0, 16, v39
	v_lshlrev_b32_e32 v1, 16, v23
	v_max_f32_e32 v1, v1, v1
	v_max_f32_e32 v0, v0, v0
	v_min_f32_e32 v7, v0, v1
	v_max_f32_e32 v0, v0, v1
	v_cndmask_b32_e32 v0, v0, v7, vcc
	v_and_b32_e32 v1, 0x7f800000, v0
	v_cmp_ne_u32_e64 s[26:27], s97, v1
                                        ; implicit-def: $vgpr7
	s_and_saveexec_b64 s[34:35], s[26:27]
	s_xor_b64 s[26:27], exec, s[34:35]
; %bb.1432:                             ;   in Loop: Header=BB29_1374 Depth=2
	v_bfe_u32 v1, v0, 16, 1
	v_add3_u32 v7, v0, v1, s46
                                        ; implicit-def: $vgpr0
; %bb.1433:                             ;   in Loop: Header=BB29_1374 Depth=2
	s_andn2_saveexec_b64 s[34:35], s[26:27]
; %bb.1434:                             ;   in Loop: Header=BB29_1374 Depth=2
	v_or_b32_e32 v1, 0x10000, v0
	v_cmp_eq_u32_sdwa s[26:27], v0, v3 src0_sel:WORD_0 src1_sel:DWORD
	s_nop 1
	v_cndmask_b32_e64 v7, v1, v0, s[26:27]
; %bb.1435:                             ;   in Loop: Header=BB29_1374 Depth=2
	s_or_b64 exec, exec, s[34:35]
	v_and_b32_e32 v0, 0xffff0000, v39
	v_and_b32_e32 v1, 0xffff0000, v23
	v_max_f32_e32 v1, v1, v1
	v_max_f32_e32 v0, v0, v0
	v_min_f32_e32 v37, v0, v1
	v_max_f32_e32 v0, v0, v1
	v_cndmask_b32_e32 v0, v0, v37, vcc
	v_and_b32_e32 v1, 0x7f800000, v0
	v_cmp_ne_u32_e64 s[26:27], s97, v1
                                        ; implicit-def: $vgpr39
	s_and_saveexec_b64 s[34:35], s[26:27]
	s_xor_b64 s[26:27], exec, s[34:35]
; %bb.1436:                             ;   in Loop: Header=BB29_1374 Depth=2
	v_bfe_u32 v1, v0, 16, 1
	v_add3_u32 v39, v0, v1, s46
                                        ; implicit-def: $vgpr0
; %bb.1437:                             ;   in Loop: Header=BB29_1374 Depth=2
	s_andn2_saveexec_b64 s[34:35], s[26:27]
; %bb.1438:                             ;   in Loop: Header=BB29_1374 Depth=2
	v_or_b32_e32 v1, 0x10000, v0
	v_cmp_eq_u32_sdwa s[26:27], v0, v3 src0_sel:WORD_0 src1_sel:DWORD
	s_nop 1
	v_cndmask_b32_e64 v39, v1, v0, s[26:27]
; %bb.1439:                             ;   in Loop: Header=BB29_1374 Depth=2
	s_or_b64 exec, exec, s[34:35]
	v_lshlrev_b32_e32 v0, 16, v24
	v_lshlrev_b32_e32 v1, 16, v16
	v_max_f32_e32 v1, v1, v1
	v_max_f32_e32 v0, v0, v0
	v_min_f32_e32 v37, v0, v1
	v_max_f32_e32 v0, v0, v1
	v_cndmask_b32_e32 v0, v0, v37, vcc
	v_and_b32_e32 v1, 0x7f800000, v0
	v_cmp_ne_u32_e64 s[26:27], s97, v1
                                        ; implicit-def: $vgpr37
	s_and_saveexec_b64 s[34:35], s[26:27]
	s_xor_b64 s[26:27], exec, s[34:35]
; %bb.1440:                             ;   in Loop: Header=BB29_1374 Depth=2
	v_bfe_u32 v1, v0, 16, 1
	v_add3_u32 v37, v0, v1, s46
                                        ; implicit-def: $vgpr0
; %bb.1441:                             ;   in Loop: Header=BB29_1374 Depth=2
	s_andn2_saveexec_b64 s[34:35], s[26:27]
; %bb.1442:                             ;   in Loop: Header=BB29_1374 Depth=2
	v_or_b32_e32 v1, 0x10000, v0
	v_cmp_eq_u32_sdwa s[26:27], v0, v3 src0_sel:WORD_0 src1_sel:DWORD
	s_nop 1
	v_cndmask_b32_e64 v37, v1, v0, s[26:27]
; %bb.1443:                             ;   in Loop: Header=BB29_1374 Depth=2
	s_or_b64 exec, exec, s[34:35]
	v_and_b32_e32 v0, 0xffff0000, v24
	v_and_b32_e32 v1, 0xffff0000, v16
	v_max_f32_e32 v1, v1, v1
	v_max_f32_e32 v0, v0, v0
	v_min_f32_e32 v24, v0, v1
	v_max_f32_e32 v0, v0, v1
	v_cndmask_b32_e32 v0, v0, v24, vcc
	v_and_b32_e32 v1, 0x7f800000, v0
	v_cmp_ne_u32_e64 s[26:27], s97, v1
                                        ; implicit-def: $vgpr24
	s_and_saveexec_b64 s[34:35], s[26:27]
	s_xor_b64 s[26:27], exec, s[34:35]
; %bb.1444:                             ;   in Loop: Header=BB29_1374 Depth=2
	v_bfe_u32 v1, v0, 16, 1
	v_add3_u32 v24, v0, v1, s46
                                        ; implicit-def: $vgpr0
; %bb.1445:                             ;   in Loop: Header=BB29_1374 Depth=2
	s_andn2_saveexec_b64 s[34:35], s[26:27]
; %bb.1446:                             ;   in Loop: Header=BB29_1374 Depth=2
	v_or_b32_e32 v1, 0x10000, v0
	v_cmp_eq_u32_sdwa s[26:27], v0, v3 src0_sel:WORD_0 src1_sel:DWORD
	s_nop 1
	v_cndmask_b32_e64 v24, v1, v0, s[26:27]
; %bb.1447:                             ;   in Loop: Header=BB29_1374 Depth=2
	s_or_b64 exec, exec, s[34:35]
	v_lshlrev_b32_e32 v0, 16, v25
	v_lshlrev_b32_e32 v1, 16, v17
	v_max_f32_e32 v1, v1, v1
	v_max_f32_e32 v0, v0, v0
	v_min_f32_e32 v38, v0, v1
	v_max_f32_e32 v0, v0, v1
	v_cndmask_b32_e32 v0, v0, v38, vcc
	v_and_b32_e32 v1, 0x7f800000, v0
	v_cmp_ne_u32_e64 s[26:27], s97, v1
                                        ; implicit-def: $vgpr38
	s_and_saveexec_b64 s[34:35], s[26:27]
	s_xor_b64 s[26:27], exec, s[34:35]
; %bb.1448:                             ;   in Loop: Header=BB29_1374 Depth=2
	v_bfe_u32 v1, v0, 16, 1
	v_add3_u32 v38, v0, v1, s46
                                        ; implicit-def: $vgpr0
; %bb.1449:                             ;   in Loop: Header=BB29_1374 Depth=2
	s_andn2_saveexec_b64 s[34:35], s[26:27]
; %bb.1450:                             ;   in Loop: Header=BB29_1374 Depth=2
	v_or_b32_e32 v1, 0x10000, v0
	v_cmp_eq_u32_sdwa s[26:27], v0, v3 src0_sel:WORD_0 src1_sel:DWORD
	s_nop 1
	v_cndmask_b32_e64 v38, v1, v0, s[26:27]
; %bb.1451:                             ;   in Loop: Header=BB29_1374 Depth=2
	s_or_b64 exec, exec, s[34:35]
	v_and_b32_e32 v0, 0xffff0000, v25
	v_and_b32_e32 v1, 0xffff0000, v17
	v_max_f32_e32 v1, v1, v1
	v_max_f32_e32 v0, v0, v0
	v_min_f32_e32 v25, v0, v1
	v_max_f32_e32 v0, v0, v1
	v_cndmask_b32_e32 v0, v0, v25, vcc
	v_and_b32_e32 v1, 0x7f800000, v0
	v_cmp_ne_u32_e64 s[26:27], s97, v1
                                        ; implicit-def: $vgpr25
	s_and_saveexec_b64 s[34:35], s[26:27]
	s_xor_b64 s[26:27], exec, s[34:35]
; %bb.1452:                             ;   in Loop: Header=BB29_1374 Depth=2
	v_bfe_u32 v1, v0, 16, 1
	v_add3_u32 v25, v0, v1, s46
                                        ; implicit-def: $vgpr0
; %bb.1453:                             ;   in Loop: Header=BB29_1374 Depth=2
	s_andn2_saveexec_b64 s[34:35], s[26:27]
; %bb.1454:                             ;   in Loop: Header=BB29_1374 Depth=2
	v_or_b32_e32 v1, 0x10000, v0
	v_cmp_eq_u32_sdwa s[26:27], v0, v3 src0_sel:WORD_0 src1_sel:DWORD
	s_nop 1
	v_cndmask_b32_e64 v25, v1, v0, s[26:27]
; %bb.1455:                             ;   in Loop: Header=BB29_1374 Depth=2
	s_or_b64 exec, exec, s[34:35]
	v_lshlrev_b32_e32 v0, 16, v26
	v_lshlrev_b32_e32 v1, 16, v18
	v_max_f32_e32 v1, v1, v1
	v_max_f32_e32 v0, v0, v0
	v_min_f32_e32 v42, v0, v1
	v_max_f32_e32 v0, v0, v1
	v_cndmask_b32_e32 v0, v0, v42, vcc
	v_and_b32_e32 v1, 0x7f800000, v0
	v_cmp_ne_u32_e64 s[26:27], s97, v1
                                        ; implicit-def: $vgpr42
	s_and_saveexec_b64 s[34:35], s[26:27]
	s_xor_b64 s[26:27], exec, s[34:35]
; %bb.1456:                             ;   in Loop: Header=BB29_1374 Depth=2
	v_bfe_u32 v1, v0, 16, 1
	v_add3_u32 v42, v0, v1, s46
                                        ; implicit-def: $vgpr0
; %bb.1457:                             ;   in Loop: Header=BB29_1374 Depth=2
	s_andn2_saveexec_b64 s[34:35], s[26:27]
; %bb.1458:                             ;   in Loop: Header=BB29_1374 Depth=2
	v_or_b32_e32 v1, 0x10000, v0
	v_cmp_eq_u32_sdwa s[26:27], v0, v3 src0_sel:WORD_0 src1_sel:DWORD
	s_nop 1
	v_cndmask_b32_e64 v42, v1, v0, s[26:27]
; %bb.1459:                             ;   in Loop: Header=BB29_1374 Depth=2
	s_or_b64 exec, exec, s[34:35]
	v_and_b32_e32 v0, 0xffff0000, v26
	v_and_b32_e32 v1, 0xffff0000, v18
	v_max_f32_e32 v1, v1, v1
	v_max_f32_e32 v0, v0, v0
	v_min_f32_e32 v26, v0, v1
	v_max_f32_e32 v0, v0, v1
	v_cndmask_b32_e32 v1, v0, v26, vcc
	v_and_b32_e32 v0, 0x7f800000, v1
	v_cmp_ne_u32_e64 s[26:27], s97, v0
                                        ; implicit-def: $vgpr0
	s_and_saveexec_b64 s[34:35], s[26:27]
	s_xor_b64 s[26:27], exec, s[34:35]
; %bb.1460:                             ;   in Loop: Header=BB29_1374 Depth=2
	v_bfe_u32 v0, v1, 16, 1
	v_add3_u32 v0, v1, v0, s46
                                        ; implicit-def: $vgpr1
; %bb.1461:                             ;   in Loop: Header=BB29_1374 Depth=2
	s_andn2_saveexec_b64 s[34:35], s[26:27]
; %bb.1462:                             ;   in Loop: Header=BB29_1374 Depth=2
	v_or_b32_e32 v0, 0x10000, v1
	v_cmp_eq_u32_sdwa s[26:27], v1, v3 src0_sel:WORD_0 src1_sel:DWORD
	s_nop 1
	v_cndmask_b32_e64 v0, v0, v1, s[26:27]
; %bb.1463:                             ;   in Loop: Header=BB29_1374 Depth=2
	s_or_b64 exec, exec, s[34:35]
	v_lshlrev_b32_e32 v1, 16, v27
	v_lshlrev_b32_e32 v26, 16, v19
	v_max_f32_e32 v26, v26, v26
	v_max_f32_e32 v1, v1, v1
	v_min_f32_e32 v43, v1, v26
	v_max_f32_e32 v1, v1, v26
	v_cndmask_b32_e32 v1, v1, v43, vcc
	v_and_b32_e32 v26, 0x7f800000, v1
	v_cmp_ne_u32_e64 s[26:27], s97, v26
                                        ; implicit-def: $vgpr43
	s_and_saveexec_b64 s[34:35], s[26:27]
	s_xor_b64 s[26:27], exec, s[34:35]
; %bb.1464:                             ;   in Loop: Header=BB29_1374 Depth=2
	v_bfe_u32 v26, v1, 16, 1
	v_add3_u32 v43, v1, v26, s46
                                        ; implicit-def: $vgpr1
; %bb.1465:                             ;   in Loop: Header=BB29_1374 Depth=2
	s_andn2_saveexec_b64 s[34:35], s[26:27]
; %bb.1466:                             ;   in Loop: Header=BB29_1374 Depth=2
	v_or_b32_e32 v26, 0x10000, v1
	v_cmp_eq_u32_sdwa s[26:27], v1, v3 src0_sel:WORD_0 src1_sel:DWORD
	s_nop 1
	v_cndmask_b32_e64 v43, v26, v1, s[26:27]
; %bb.1467:                             ;   in Loop: Header=BB29_1374 Depth=2
	s_or_b64 exec, exec, s[34:35]
	v_and_b32_e32 v1, 0xffff0000, v27
	v_and_b32_e32 v26, 0xffff0000, v19
	v_max_f32_e32 v26, v26, v26
	v_max_f32_e32 v1, v1, v1
	v_min_f32_e32 v27, v1, v26
	v_max_f32_e32 v1, v1, v26
	v_cndmask_b32_e32 v1, v1, v27, vcc
	v_and_b32_e32 v26, 0x7f800000, v1
	v_cmp_ne_u32_e64 s[26:27], s97, v26
                                        ; implicit-def: $vgpr27
	s_and_saveexec_b64 s[34:35], s[26:27]
	s_xor_b64 s[26:27], exec, s[34:35]
; %bb.1468:                             ;   in Loop: Header=BB29_1374 Depth=2
	v_bfe_u32 v26, v1, 16, 1
	v_add3_u32 v27, v1, v26, s46
                                        ; implicit-def: $vgpr1
; %bb.1469:                             ;   in Loop: Header=BB29_1374 Depth=2
	s_andn2_saveexec_b64 s[34:35], s[26:27]
; %bb.1470:                             ;   in Loop: Header=BB29_1374 Depth=2
	v_or_b32_e32 v26, 0x10000, v1
	v_cmp_eq_u32_sdwa s[26:27], v1, v3 src0_sel:WORD_0 src1_sel:DWORD
	s_nop 1
	v_cndmask_b32_e64 v27, v26, v1, s[26:27]
; %bb.1471:                             ;   in Loop: Header=BB29_1374 Depth=2
	s_or_b64 exec, exec, s[34:35]
	v_lshlrev_b32_e32 v1, 16, v12
	v_lshlrev_b32_e32 v26, 16, v8
	v_max_f32_e32 v26, v26, v26
	v_max_f32_e32 v1, v1, v1
	v_min_f32_e32 v94, v1, v26
	v_max_f32_e32 v1, v1, v26
	v_cndmask_b32_e32 v1, v1, v94, vcc
	v_and_b32_e32 v26, 0x7f800000, v1
	v_cmp_ne_u32_e64 s[26:27], s97, v26
                                        ; implicit-def: $vgpr94
	s_and_saveexec_b64 s[34:35], s[26:27]
	s_xor_b64 s[26:27], exec, s[34:35]
; %bb.1472:                             ;   in Loop: Header=BB29_1374 Depth=2
	v_bfe_u32 v26, v1, 16, 1
	v_add3_u32 v94, v1, v26, s46
                                        ; implicit-def: $vgpr1
; %bb.1473:                             ;   in Loop: Header=BB29_1374 Depth=2
	s_andn2_saveexec_b64 s[34:35], s[26:27]
; %bb.1474:                             ;   in Loop: Header=BB29_1374 Depth=2
	v_or_b32_e32 v26, 0x10000, v1
	v_cmp_eq_u32_sdwa s[26:27], v1, v3 src0_sel:WORD_0 src1_sel:DWORD
	s_nop 1
	v_cndmask_b32_e64 v94, v26, v1, s[26:27]
; %bb.1475:                             ;   in Loop: Header=BB29_1374 Depth=2
	s_or_b64 exec, exec, s[34:35]
	v_and_b32_e32 v1, 0xffff0000, v12
	v_and_b32_e32 v12, 0xffff0000, v8
	v_max_f32_e32 v12, v12, v12
	v_max_f32_e32 v1, v1, v1
	v_min_f32_e32 v26, v1, v12
	v_max_f32_e32 v1, v1, v12
	v_cndmask_b32_e32 v1, v1, v26, vcc
	v_and_b32_e32 v12, 0x7f800000, v1
	v_cmp_ne_u32_e64 s[26:27], s97, v12
                                        ; implicit-def: $vgpr12
	s_and_saveexec_b64 s[34:35], s[26:27]
	s_xor_b64 s[26:27], exec, s[34:35]
; %bb.1476:                             ;   in Loop: Header=BB29_1374 Depth=2
	v_bfe_u32 v12, v1, 16, 1
	v_add3_u32 v12, v1, v12, s46
                                        ; implicit-def: $vgpr1
; %bb.1477:                             ;   in Loop: Header=BB29_1374 Depth=2
	s_andn2_saveexec_b64 s[34:35], s[26:27]
; %bb.1478:                             ;   in Loop: Header=BB29_1374 Depth=2
	v_or_b32_e32 v12, 0x10000, v1
	v_cmp_eq_u32_sdwa s[26:27], v1, v3 src0_sel:WORD_0 src1_sel:DWORD
	s_nop 1
	v_cndmask_b32_e64 v12, v12, v1, s[26:27]
; %bb.1479:                             ;   in Loop: Header=BB29_1374 Depth=2
	s_or_b64 exec, exec, s[34:35]
	v_lshlrev_b32_e32 v1, 16, v13
	v_lshlrev_b32_e32 v26, 16, v9
	v_max_f32_e32 v26, v26, v26
	v_max_f32_e32 v1, v1, v1
	v_min_f32_e32 v95, v1, v26
	v_max_f32_e32 v1, v1, v26
	v_cndmask_b32_e32 v1, v1, v95, vcc
	v_and_b32_e32 v26, 0x7f800000, v1
	v_cmp_ne_u32_e64 s[26:27], s97, v26
                                        ; implicit-def: $vgpr95
	s_and_saveexec_b64 s[34:35], s[26:27]
	s_xor_b64 s[26:27], exec, s[34:35]
; %bb.1480:                             ;   in Loop: Header=BB29_1374 Depth=2
	v_bfe_u32 v26, v1, 16, 1
	v_add3_u32 v95, v1, v26, s46
                                        ; implicit-def: $vgpr1
; %bb.1481:                             ;   in Loop: Header=BB29_1374 Depth=2
	s_andn2_saveexec_b64 s[34:35], s[26:27]
; %bb.1482:                             ;   in Loop: Header=BB29_1374 Depth=2
	v_or_b32_e32 v26, 0x10000, v1
	v_cmp_eq_u32_sdwa s[26:27], v1, v3 src0_sel:WORD_0 src1_sel:DWORD
	s_nop 1
	v_cndmask_b32_e64 v95, v26, v1, s[26:27]
; %bb.1483:                             ;   in Loop: Header=BB29_1374 Depth=2
	s_or_b64 exec, exec, s[34:35]
	v_and_b32_e32 v1, 0xffff0000, v13
	v_and_b32_e32 v13, 0xffff0000, v9
	v_max_f32_e32 v13, v13, v13
	v_max_f32_e32 v1, v1, v1
	v_min_f32_e32 v26, v1, v13
	v_max_f32_e32 v1, v1, v13
	v_cndmask_b32_e32 v1, v1, v26, vcc
	v_and_b32_e32 v13, 0x7f800000, v1
	v_cmp_ne_u32_e64 s[26:27], s97, v13
                                        ; implicit-def: $vgpr13
	s_and_saveexec_b64 s[34:35], s[26:27]
	s_xor_b64 s[26:27], exec, s[34:35]
; %bb.1484:                             ;   in Loop: Header=BB29_1374 Depth=2
	v_bfe_u32 v13, v1, 16, 1
	v_add3_u32 v13, v1, v13, s46
                                        ; implicit-def: $vgpr1
; %bb.1485:                             ;   in Loop: Header=BB29_1374 Depth=2
	s_andn2_saveexec_b64 s[34:35], s[26:27]
; %bb.1486:                             ;   in Loop: Header=BB29_1374 Depth=2
	v_or_b32_e32 v13, 0x10000, v1
	v_cmp_eq_u32_sdwa s[26:27], v1, v3 src0_sel:WORD_0 src1_sel:DWORD
	s_nop 1
	v_cndmask_b32_e64 v13, v13, v1, s[26:27]
; %bb.1487:                             ;   in Loop: Header=BB29_1374 Depth=2
	s_or_b64 exec, exec, s[34:35]
	v_lshlrev_b32_e32 v1, 16, v14
	v_lshlrev_b32_e32 v26, 16, v10
	v_max_f32_e32 v26, v26, v26
	v_max_f32_e32 v1, v1, v1
	v_min_f32_e32 v108, v1, v26
	v_max_f32_e32 v1, v1, v26
	v_cndmask_b32_e32 v1, v1, v108, vcc
	v_and_b32_e32 v26, 0x7f800000, v1
	v_cmp_ne_u32_e64 s[26:27], s97, v26
                                        ; implicit-def: $vgpr108
	s_and_saveexec_b64 s[34:35], s[26:27]
	s_xor_b64 s[26:27], exec, s[34:35]
; %bb.1488:                             ;   in Loop: Header=BB29_1374 Depth=2
	v_bfe_u32 v26, v1, 16, 1
	v_add3_u32 v108, v1, v26, s46
                                        ; implicit-def: $vgpr1
; %bb.1489:                             ;   in Loop: Header=BB29_1374 Depth=2
	s_andn2_saveexec_b64 s[34:35], s[26:27]
; %bb.1490:                             ;   in Loop: Header=BB29_1374 Depth=2
	v_or_b32_e32 v26, 0x10000, v1
	v_cmp_eq_u32_sdwa s[26:27], v1, v3 src0_sel:WORD_0 src1_sel:DWORD
	s_nop 1
	v_cndmask_b32_e64 v108, v26, v1, s[26:27]
; %bb.1491:                             ;   in Loop: Header=BB29_1374 Depth=2
	s_or_b64 exec, exec, s[34:35]
	v_and_b32_e32 v1, 0xffff0000, v14
	v_and_b32_e32 v14, 0xffff0000, v10
	v_max_f32_e32 v14, v14, v14
	v_max_f32_e32 v1, v1, v1
	v_min_f32_e32 v26, v1, v14
	v_max_f32_e32 v1, v1, v14
	v_cndmask_b32_e32 v1, v1, v26, vcc
	v_and_b32_e32 v14, 0x7f800000, v1
	v_cmp_ne_u32_e64 s[26:27], s97, v14
                                        ; implicit-def: $vgpr14
	s_and_saveexec_b64 s[34:35], s[26:27]
	s_xor_b64 s[26:27], exec, s[34:35]
; %bb.1492:                             ;   in Loop: Header=BB29_1374 Depth=2
	v_bfe_u32 v14, v1, 16, 1
	v_add3_u32 v14, v1, v14, s46
                                        ; implicit-def: $vgpr1
; %bb.1493:                             ;   in Loop: Header=BB29_1374 Depth=2
	s_andn2_saveexec_b64 s[34:35], s[26:27]
; %bb.1494:                             ;   in Loop: Header=BB29_1374 Depth=2
	v_or_b32_e32 v14, 0x10000, v1
	v_cmp_eq_u32_sdwa s[26:27], v1, v3 src0_sel:WORD_0 src1_sel:DWORD
	s_nop 1
	v_cndmask_b32_e64 v14, v14, v1, s[26:27]
; %bb.1495:                             ;   in Loop: Header=BB29_1374 Depth=2
	s_or_b64 exec, exec, s[34:35]
	v_lshlrev_b32_e32 v1, 16, v15
	v_lshlrev_b32_e32 v26, 16, v11
	v_max_f32_e32 v26, v26, v26
	v_max_f32_e32 v1, v1, v1
	v_min_f32_e32 v109, v1, v26
	v_max_f32_e32 v1, v1, v26
	v_cndmask_b32_e32 v1, v1, v109, vcc
	v_and_b32_e32 v26, 0x7f800000, v1
	v_cmp_ne_u32_e64 s[26:27], s97, v26
                                        ; implicit-def: $vgpr109
	s_and_saveexec_b64 s[34:35], s[26:27]
	s_xor_b64 s[26:27], exec, s[34:35]
; %bb.1496:                             ;   in Loop: Header=BB29_1374 Depth=2
	v_bfe_u32 v26, v1, 16, 1
	v_add3_u32 v109, v1, v26, s46
                                        ; implicit-def: $vgpr1
; %bb.1497:                             ;   in Loop: Header=BB29_1374 Depth=2
	s_andn2_saveexec_b64 s[34:35], s[26:27]
; %bb.1498:                             ;   in Loop: Header=BB29_1374 Depth=2
	v_or_b32_e32 v26, 0x10000, v1
	v_cmp_eq_u32_sdwa s[26:27], v1, v3 src0_sel:WORD_0 src1_sel:DWORD
	s_nop 1
	v_cndmask_b32_e64 v109, v26, v1, s[26:27]
; %bb.1499:                             ;   in Loop: Header=BB29_1374 Depth=2
	s_or_b64 exec, exec, s[34:35]
	v_and_b32_e32 v1, 0xffff0000, v15
	v_and_b32_e32 v15, 0xffff0000, v11
	v_max_f32_e32 v15, v15, v15
	v_max_f32_e32 v1, v1, v1
	v_min_f32_e32 v26, v1, v15
	v_max_f32_e32 v1, v1, v15
	v_cndmask_b32_e32 v15, v1, v26, vcc
	v_and_b32_e32 v1, 0x7f800000, v15
	v_cmp_ne_u32_e64 s[26:27], s97, v1
                                        ; implicit-def: $vgpr1
	s_and_saveexec_b64 s[34:35], s[26:27]
	s_xor_b64 s[26:27], exec, s[34:35]
; %bb.1500:                             ;   in Loop: Header=BB29_1374 Depth=2
	v_bfe_u32 v1, v15, 16, 1
	v_add3_u32 v1, v15, v1, s46
                                        ; implicit-def: $vgpr15
; %bb.1501:                             ;   in Loop: Header=BB29_1374 Depth=2
	s_andn2_saveexec_b64 s[34:35], s[26:27]
; %bb.1502:                             ;   in Loop: Header=BB29_1374 Depth=2
	v_or_b32_e32 v1, 0x10000, v15
	v_cmp_eq_u32_sdwa s[26:27], v15, v3 src0_sel:WORD_0 src1_sel:DWORD
	s_nop 1
	v_cndmask_b32_e64 v1, v1, v15, s[26:27]
; %bb.1503:                             ;   in Loop: Header=BB29_1374 Depth=2
	s_or_b64 exec, exec, s[34:35]
	v_lshrrev_b32_e32 v15, 16, v38
	v_and_or_b32 v25, v25, s47, v15
	v_lshrrev_b32_e32 v15, 16, v37
	v_and_or_b32 v24, v24, s47, v15
	;; [unrolled: 2-line block ×16, first 2 shown]
	global_store_dwordx4 v[4:5], v[80:83], off
	global_store_dwordx4 v[4:5], v[36:39], off offset:1024
	global_store_dwordx4 v[4:5], v[24:27], off offset:2048
	;; [unrolled: 1-line block ×3, first 2 shown]
	global_store_dwordx4 v[72:73], v[80:83], off
	global_store_dwordx4 v[72:73], v[36:39], off offset:1024
	global_store_dwordx4 v[72:73], v[24:27], off offset:2048
	;; [unrolled: 1-line block ×3, first 2 shown]
	v_lshl_add_u64 v[4:5], v[4:5], 0, v[106:107]
	v_lshl_add_u64 v[72:73], v[72:73], 0, v[106:107]
.LBB29_1504:                            ;   in Loop: Header=BB29_1374 Depth=2
	s_or_b64 exec, exec, s[36:37]
	v_sub_u32_e32 v79, v79, v60
	v_lshl_add_u64 v[62:63], v[62:63], 0, v[106:107]
	v_lshl_add_u64 v[58:59], v[58:59], 0, v[106:107]
	v_cmp_lt_i32_e64 s[34:35], 0, v79
	s_and_saveexec_b64 s[26:27], s[34:35]
	s_cbranch_execz .LBB29_1506
; %bb.1505:                             ;   in Loop: Header=BB29_1374 Depth=2
	global_load_dwordx4 v[80:83], v[62:63], off nt
	global_load_dwordx4 v[36:39], v[62:63], off offset:1024 nt
	global_load_dwordx4 v[24:27], v[62:63], off offset:2048 nt
	global_load_dwordx4 v[12:15], v[62:63], off offset:3072 nt
	global_load_dwordx4 v[32:35], v[58:59], off nt
	global_load_dwordx4 v[20:23], v[58:59], off offset:1024 nt
	global_load_dwordx4 v[16:19], v[58:59], off offset:2048 nt
	global_load_dwordx4 v[8:11], v[58:59], off offset:3072 nt
	v_lshl_add_u64 v[62:63], v[62:63], 0, s[76:77]
	v_lshl_add_u64 v[58:59], v[58:59], 0, s[76:77]
.LBB29_1506:                            ;   in Loop: Header=BB29_1374 Depth=2
	s_or_b64 exec, exec, s[26:27]
	s_waitcnt vmcnt(7)
	v_lshlrev_b32_e32 v0, 16, v100
	s_waitcnt vmcnt(3)
	v_lshlrev_b32_e32 v1, 16, v112
	v_max_f32_e32 v1, v1, v1
	v_max_f32_e32 v0, v0, v0
	v_min_f32_e32 v6, v0, v1
	v_max_f32_e32 v0, v0, v1
	v_cndmask_b32_e32 v0, v0, v6, vcc
	v_and_b32_e32 v1, 0x7f800000, v0
	v_cmp_ne_u32_e64 s[26:27], s97, v1
                                        ; implicit-def: $vgpr118
	s_and_saveexec_b64 s[36:37], s[26:27]
	s_xor_b64 s[26:27], exec, s[36:37]
; %bb.1507:                             ;   in Loop: Header=BB29_1374 Depth=2
	v_bfe_u32 v1, v0, 16, 1
	v_add3_u32 v118, v0, v1, s46
                                        ; implicit-def: $vgpr0
; %bb.1508:                             ;   in Loop: Header=BB29_1374 Depth=2
	s_andn2_saveexec_b64 s[36:37], s[26:27]
; %bb.1509:                             ;   in Loop: Header=BB29_1374 Depth=2
	v_or_b32_e32 v1, 0x10000, v0
	v_cmp_eq_u32_sdwa s[26:27], v0, v3 src0_sel:WORD_0 src1_sel:DWORD
	s_nop 1
	v_cndmask_b32_e64 v118, v1, v0, s[26:27]
; %bb.1510:                             ;   in Loop: Header=BB29_1374 Depth=2
	s_or_b64 exec, exec, s[36:37]
	v_and_b32_e32 v0, 0xffff0000, v100
	v_and_b32_e32 v1, 0xffff0000, v112
	v_max_f32_e32 v1, v1, v1
	v_max_f32_e32 v0, v0, v0
	v_min_f32_e32 v6, v0, v1
	v_max_f32_e32 v0, v0, v1
	v_cndmask_b32_e32 v0, v0, v6, vcc
	v_and_b32_e32 v1, 0x7f800000, v0
	v_cmp_ne_u32_e64 s[26:27], s97, v1
                                        ; implicit-def: $vgpr100
	s_and_saveexec_b64 s[36:37], s[26:27]
	s_xor_b64 s[26:27], exec, s[36:37]
; %bb.1511:                             ;   in Loop: Header=BB29_1374 Depth=2
	v_bfe_u32 v1, v0, 16, 1
	v_add3_u32 v100, v0, v1, s46
                                        ; implicit-def: $vgpr0
; %bb.1512:                             ;   in Loop: Header=BB29_1374 Depth=2
	s_andn2_saveexec_b64 s[36:37], s[26:27]
; %bb.1513:                             ;   in Loop: Header=BB29_1374 Depth=2
	v_or_b32_e32 v1, 0x10000, v0
	v_cmp_eq_u32_sdwa s[26:27], v0, v3 src0_sel:WORD_0 src1_sel:DWORD
	s_nop 1
	v_cndmask_b32_e64 v100, v1, v0, s[26:27]
; %bb.1514:                             ;   in Loop: Header=BB29_1374 Depth=2
	s_or_b64 exec, exec, s[36:37]
	v_lshlrev_b32_e32 v0, 16, v101
	v_lshlrev_b32_e32 v1, 16, v113
	v_max_f32_e32 v1, v1, v1
	v_max_f32_e32 v0, v0, v0
	v_min_f32_e32 v6, v0, v1
	v_max_f32_e32 v0, v0, v1
	v_cndmask_b32_e32 v0, v0, v6, vcc
	v_and_b32_e32 v1, 0x7f800000, v0
	v_cmp_ne_u32_e64 s[26:27], s97, v1
                                        ; implicit-def: $vgpr112
	s_and_saveexec_b64 s[36:37], s[26:27]
	s_xor_b64 s[26:27], exec, s[36:37]
; %bb.1515:                             ;   in Loop: Header=BB29_1374 Depth=2
	v_bfe_u32 v1, v0, 16, 1
	v_add3_u32 v112, v0, v1, s46
                                        ; implicit-def: $vgpr0
; %bb.1516:                             ;   in Loop: Header=BB29_1374 Depth=2
	s_andn2_saveexec_b64 s[36:37], s[26:27]
; %bb.1517:                             ;   in Loop: Header=BB29_1374 Depth=2
	v_or_b32_e32 v1, 0x10000, v0
	v_cmp_eq_u32_sdwa s[26:27], v0, v3 src0_sel:WORD_0 src1_sel:DWORD
	s_nop 1
	v_cndmask_b32_e64 v112, v1, v0, s[26:27]
; %bb.1518:                             ;   in Loop: Header=BB29_1374 Depth=2
	s_or_b64 exec, exec, s[36:37]
	v_and_b32_e32 v0, 0xffff0000, v101
	v_and_b32_e32 v1, 0xffff0000, v113
	v_max_f32_e32 v1, v1, v1
	v_max_f32_e32 v0, v0, v0
	v_min_f32_e32 v6, v0, v1
	v_max_f32_e32 v0, v0, v1
	v_cndmask_b32_e32 v0, v0, v6, vcc
	v_and_b32_e32 v1, 0x7f800000, v0
	v_cmp_ne_u32_e64 s[26:27], s97, v1
                                        ; implicit-def: $vgpr101
	s_and_saveexec_b64 s[36:37], s[26:27]
	s_xor_b64 s[26:27], exec, s[36:37]
; %bb.1519:                             ;   in Loop: Header=BB29_1374 Depth=2
	v_bfe_u32 v1, v0, 16, 1
	v_add3_u32 v101, v0, v1, s46
                                        ; implicit-def: $vgpr0
; %bb.1520:                             ;   in Loop: Header=BB29_1374 Depth=2
	s_andn2_saveexec_b64 s[36:37], s[26:27]
; %bb.1521:                             ;   in Loop: Header=BB29_1374 Depth=2
	v_or_b32_e32 v1, 0x10000, v0
	v_cmp_eq_u32_sdwa s[26:27], v0, v3 src0_sel:WORD_0 src1_sel:DWORD
	s_nop 1
	v_cndmask_b32_e64 v101, v1, v0, s[26:27]
; %bb.1522:                             ;   in Loop: Header=BB29_1374 Depth=2
	s_or_b64 exec, exec, s[36:37]
	v_lshlrev_b32_e32 v0, 16, v102
	v_lshlrev_b32_e32 v1, 16, v114
	v_max_f32_e32 v1, v1, v1
	v_max_f32_e32 v0, v0, v0
	v_min_f32_e32 v6, v0, v1
	v_max_f32_e32 v0, v0, v1
	v_cndmask_b32_e32 v0, v0, v6, vcc
	v_and_b32_e32 v1, 0x7f800000, v0
	v_cmp_ne_u32_e64 s[26:27], s97, v1
                                        ; implicit-def: $vgpr113
	s_and_saveexec_b64 s[36:37], s[26:27]
	s_xor_b64 s[26:27], exec, s[36:37]
; %bb.1523:                             ;   in Loop: Header=BB29_1374 Depth=2
	v_bfe_u32 v1, v0, 16, 1
	v_add3_u32 v113, v0, v1, s46
                                        ; implicit-def: $vgpr0
; %bb.1524:                             ;   in Loop: Header=BB29_1374 Depth=2
	s_andn2_saveexec_b64 s[36:37], s[26:27]
; %bb.1525:                             ;   in Loop: Header=BB29_1374 Depth=2
	v_or_b32_e32 v1, 0x10000, v0
	v_cmp_eq_u32_sdwa s[26:27], v0, v3 src0_sel:WORD_0 src1_sel:DWORD
	s_nop 1
	v_cndmask_b32_e64 v113, v1, v0, s[26:27]
; %bb.1526:                             ;   in Loop: Header=BB29_1374 Depth=2
	s_or_b64 exec, exec, s[36:37]
	v_and_b32_e32 v0, 0xffff0000, v102
	v_and_b32_e32 v1, 0xffff0000, v114
	v_max_f32_e32 v1, v1, v1
	v_max_f32_e32 v0, v0, v0
	v_min_f32_e32 v6, v0, v1
	v_max_f32_e32 v0, v0, v1
	v_cndmask_b32_e32 v0, v0, v6, vcc
	v_and_b32_e32 v1, 0x7f800000, v0
	v_cmp_ne_u32_e64 s[26:27], s97, v1
                                        ; implicit-def: $vgpr102
	s_and_saveexec_b64 s[36:37], s[26:27]
	s_xor_b64 s[26:27], exec, s[36:37]
; %bb.1527:                             ;   in Loop: Header=BB29_1374 Depth=2
	v_bfe_u32 v1, v0, 16, 1
	v_add3_u32 v102, v0, v1, s46
                                        ; implicit-def: $vgpr0
; %bb.1528:                             ;   in Loop: Header=BB29_1374 Depth=2
	s_andn2_saveexec_b64 s[36:37], s[26:27]
; %bb.1529:                             ;   in Loop: Header=BB29_1374 Depth=2
	v_or_b32_e32 v1, 0x10000, v0
	v_cmp_eq_u32_sdwa s[26:27], v0, v3 src0_sel:WORD_0 src1_sel:DWORD
	s_nop 1
	v_cndmask_b32_e64 v102, v1, v0, s[26:27]
; %bb.1530:                             ;   in Loop: Header=BB29_1374 Depth=2
	s_or_b64 exec, exec, s[36:37]
	v_lshlrev_b32_e32 v0, 16, v103
	v_lshlrev_b32_e32 v1, 16, v115
	v_max_f32_e32 v1, v1, v1
	v_max_f32_e32 v0, v0, v0
	v_min_f32_e32 v6, v0, v1
	v_max_f32_e32 v0, v0, v1
	v_cndmask_b32_e32 v0, v0, v6, vcc
	v_and_b32_e32 v1, 0x7f800000, v0
	v_cmp_ne_u32_e64 s[26:27], s97, v1
                                        ; implicit-def: $vgpr114
	s_and_saveexec_b64 s[36:37], s[26:27]
	s_xor_b64 s[26:27], exec, s[36:37]
; %bb.1531:                             ;   in Loop: Header=BB29_1374 Depth=2
	v_bfe_u32 v1, v0, 16, 1
	v_add3_u32 v114, v0, v1, s46
                                        ; implicit-def: $vgpr0
; %bb.1532:                             ;   in Loop: Header=BB29_1374 Depth=2
	s_andn2_saveexec_b64 s[36:37], s[26:27]
; %bb.1533:                             ;   in Loop: Header=BB29_1374 Depth=2
	v_or_b32_e32 v1, 0x10000, v0
	v_cmp_eq_u32_sdwa s[26:27], v0, v3 src0_sel:WORD_0 src1_sel:DWORD
	s_nop 1
	v_cndmask_b32_e64 v114, v1, v0, s[26:27]
; %bb.1534:                             ;   in Loop: Header=BB29_1374 Depth=2
	s_or_b64 exec, exec, s[36:37]
	v_and_b32_e32 v0, 0xffff0000, v103
	v_and_b32_e32 v1, 0xffff0000, v115
	v_max_f32_e32 v1, v1, v1
	v_max_f32_e32 v0, v0, v0
	v_min_f32_e32 v6, v0, v1
	v_max_f32_e32 v0, v0, v1
	v_cndmask_b32_e32 v0, v0, v6, vcc
	v_and_b32_e32 v1, 0x7f800000, v0
	v_cmp_ne_u32_e64 s[26:27], s97, v1
                                        ; implicit-def: $vgpr103
	s_and_saveexec_b64 s[36:37], s[26:27]
	s_xor_b64 s[26:27], exec, s[36:37]
; %bb.1535:                             ;   in Loop: Header=BB29_1374 Depth=2
	v_bfe_u32 v1, v0, 16, 1
	v_add3_u32 v103, v0, v1, s46
                                        ; implicit-def: $vgpr0
; %bb.1536:                             ;   in Loop: Header=BB29_1374 Depth=2
	s_andn2_saveexec_b64 s[36:37], s[26:27]
; %bb.1537:                             ;   in Loop: Header=BB29_1374 Depth=2
	v_or_b32_e32 v1, 0x10000, v0
	v_cmp_eq_u32_sdwa s[26:27], v0, v3 src0_sel:WORD_0 src1_sel:DWORD
	s_nop 1
	v_cndmask_b32_e64 v103, v1, v0, s[26:27]
; %bb.1538:                             ;   in Loop: Header=BB29_1374 Depth=2
	s_or_b64 exec, exec, s[36:37]
	v_lshlrev_b32_e32 v0, 16, v84
	s_waitcnt vmcnt(2)
	v_lshlrev_b32_e32 v1, 16, v96
	v_max_f32_e32 v1, v1, v1
	v_max_f32_e32 v0, v0, v0
	v_min_f32_e32 v6, v0, v1
	v_max_f32_e32 v0, v0, v1
	v_cndmask_b32_e32 v0, v0, v6, vcc
	v_and_b32_e32 v1, 0x7f800000, v0
	v_cmp_ne_u32_e64 s[26:27], s97, v1
                                        ; implicit-def: $vgpr115
	s_and_saveexec_b64 s[36:37], s[26:27]
	s_xor_b64 s[26:27], exec, s[36:37]
; %bb.1539:                             ;   in Loop: Header=BB29_1374 Depth=2
	v_bfe_u32 v1, v0, 16, 1
	v_add3_u32 v115, v0, v1, s46
                                        ; implicit-def: $vgpr0
; %bb.1540:                             ;   in Loop: Header=BB29_1374 Depth=2
	s_andn2_saveexec_b64 s[36:37], s[26:27]
; %bb.1541:                             ;   in Loop: Header=BB29_1374 Depth=2
	v_or_b32_e32 v1, 0x10000, v0
	v_cmp_eq_u32_sdwa s[26:27], v0, v3 src0_sel:WORD_0 src1_sel:DWORD
	s_nop 1
	v_cndmask_b32_e64 v115, v1, v0, s[26:27]
; %bb.1542:                             ;   in Loop: Header=BB29_1374 Depth=2
	s_or_b64 exec, exec, s[36:37]
	v_and_b32_e32 v0, 0xffff0000, v84
	v_and_b32_e32 v1, 0xffff0000, v96
	v_max_f32_e32 v1, v1, v1
	v_max_f32_e32 v0, v0, v0
	v_min_f32_e32 v6, v0, v1
	v_max_f32_e32 v0, v0, v1
	v_cndmask_b32_e32 v0, v0, v6, vcc
	v_and_b32_e32 v1, 0x7f800000, v0
	v_cmp_ne_u32_e64 s[26:27], s97, v1
                                        ; implicit-def: $vgpr84
	s_and_saveexec_b64 s[36:37], s[26:27]
	s_xor_b64 s[26:27], exec, s[36:37]
; %bb.1543:                             ;   in Loop: Header=BB29_1374 Depth=2
	v_bfe_u32 v1, v0, 16, 1
	v_add3_u32 v84, v0, v1, s46
                                        ; implicit-def: $vgpr0
; %bb.1544:                             ;   in Loop: Header=BB29_1374 Depth=2
	s_andn2_saveexec_b64 s[36:37], s[26:27]
; %bb.1545:                             ;   in Loop: Header=BB29_1374 Depth=2
	v_or_b32_e32 v1, 0x10000, v0
	v_cmp_eq_u32_sdwa s[26:27], v0, v3 src0_sel:WORD_0 src1_sel:DWORD
	s_nop 1
	v_cndmask_b32_e64 v84, v1, v0, s[26:27]
; %bb.1546:                             ;   in Loop: Header=BB29_1374 Depth=2
	s_or_b64 exec, exec, s[36:37]
	v_lshlrev_b32_e32 v0, 16, v85
	v_lshlrev_b32_e32 v1, 16, v97
	v_max_f32_e32 v1, v1, v1
	v_max_f32_e32 v0, v0, v0
	v_min_f32_e32 v6, v0, v1
	v_max_f32_e32 v0, v0, v1
	v_cndmask_b32_e32 v0, v0, v6, vcc
	v_and_b32_e32 v1, 0x7f800000, v0
	v_cmp_ne_u32_e64 s[26:27], s97, v1
                                        ; implicit-def: $vgpr30
	s_and_saveexec_b64 s[36:37], s[26:27]
	s_xor_b64 s[26:27], exec, s[36:37]
; %bb.1547:                             ;   in Loop: Header=BB29_1374 Depth=2
	v_bfe_u32 v1, v0, 16, 1
	v_add3_u32 v30, v0, v1, s46
                                        ; implicit-def: $vgpr0
; %bb.1548:                             ;   in Loop: Header=BB29_1374 Depth=2
	s_andn2_saveexec_b64 s[36:37], s[26:27]
; %bb.1549:                             ;   in Loop: Header=BB29_1374 Depth=2
	v_or_b32_e32 v1, 0x10000, v0
	v_cmp_eq_u32_sdwa s[26:27], v0, v3 src0_sel:WORD_0 src1_sel:DWORD
	s_nop 1
	v_cndmask_b32_e64 v30, v1, v0, s[26:27]
; %bb.1550:                             ;   in Loop: Header=BB29_1374 Depth=2
	s_or_b64 exec, exec, s[36:37]
	v_and_b32_e32 v0, 0xffff0000, v85
	v_and_b32_e32 v1, 0xffff0000, v97
	v_max_f32_e32 v1, v1, v1
	v_max_f32_e32 v0, v0, v0
	v_min_f32_e32 v6, v0, v1
	v_max_f32_e32 v0, v0, v1
	v_cndmask_b32_e32 v0, v0, v6, vcc
	v_and_b32_e32 v1, 0x7f800000, v0
	v_cmp_ne_u32_e64 s[26:27], s97, v1
                                        ; implicit-def: $vgpr85
	s_and_saveexec_b64 s[36:37], s[26:27]
	s_xor_b64 s[26:27], exec, s[36:37]
; %bb.1551:                             ;   in Loop: Header=BB29_1374 Depth=2
	v_bfe_u32 v1, v0, 16, 1
	v_add3_u32 v85, v0, v1, s46
                                        ; implicit-def: $vgpr0
; %bb.1552:                             ;   in Loop: Header=BB29_1374 Depth=2
	s_andn2_saveexec_b64 s[36:37], s[26:27]
; %bb.1553:                             ;   in Loop: Header=BB29_1374 Depth=2
	v_or_b32_e32 v1, 0x10000, v0
	v_cmp_eq_u32_sdwa s[26:27], v0, v3 src0_sel:WORD_0 src1_sel:DWORD
	s_nop 1
	v_cndmask_b32_e64 v85, v1, v0, s[26:27]
; %bb.1554:                             ;   in Loop: Header=BB29_1374 Depth=2
	s_or_b64 exec, exec, s[36:37]
	v_lshlrev_b32_e32 v0, 16, v86
	v_lshlrev_b32_e32 v1, 16, v98
	v_max_f32_e32 v1, v1, v1
	v_max_f32_e32 v0, v0, v0
	v_min_f32_e32 v6, v0, v1
	v_max_f32_e32 v0, v0, v1
	v_cndmask_b32_e32 v0, v0, v6, vcc
	v_and_b32_e32 v1, 0x7f800000, v0
	v_cmp_ne_u32_e64 s[26:27], s97, v1
                                        ; implicit-def: $vgpr6
	s_and_saveexec_b64 s[36:37], s[26:27]
	s_xor_b64 s[26:27], exec, s[36:37]
; %bb.1555:                             ;   in Loop: Header=BB29_1374 Depth=2
	v_bfe_u32 v1, v0, 16, 1
	v_add3_u32 v6, v0, v1, s46
                                        ; implicit-def: $vgpr0
; %bb.1556:                             ;   in Loop: Header=BB29_1374 Depth=2
	s_andn2_saveexec_b64 s[36:37], s[26:27]
; %bb.1557:                             ;   in Loop: Header=BB29_1374 Depth=2
	v_or_b32_e32 v1, 0x10000, v0
	v_cmp_eq_u32_sdwa s[26:27], v0, v3 src0_sel:WORD_0 src1_sel:DWORD
	s_nop 1
	v_cndmask_b32_e64 v6, v1, v0, s[26:27]
; %bb.1558:                             ;   in Loop: Header=BB29_1374 Depth=2
	s_or_b64 exec, exec, s[36:37]
	v_and_b32_e32 v0, 0xffff0000, v86
	v_and_b32_e32 v1, 0xffff0000, v98
	v_max_f32_e32 v1, v1, v1
	v_max_f32_e32 v0, v0, v0
	v_min_f32_e32 v7, v0, v1
	v_max_f32_e32 v0, v0, v1
	v_cndmask_b32_e32 v0, v0, v7, vcc
	v_and_b32_e32 v1, 0x7f800000, v0
	v_cmp_ne_u32_e64 s[26:27], s97, v1
                                        ; implicit-def: $vgpr7
	s_and_saveexec_b64 s[36:37], s[26:27]
	s_xor_b64 s[26:27], exec, s[36:37]
; %bb.1559:                             ;   in Loop: Header=BB29_1374 Depth=2
	v_bfe_u32 v1, v0, 16, 1
	v_add3_u32 v7, v0, v1, s46
                                        ; implicit-def: $vgpr0
; %bb.1560:                             ;   in Loop: Header=BB29_1374 Depth=2
	s_andn2_saveexec_b64 s[36:37], s[26:27]
; %bb.1561:                             ;   in Loop: Header=BB29_1374 Depth=2
	v_or_b32_e32 v1, 0x10000, v0
	v_cmp_eq_u32_sdwa s[26:27], v0, v3 src0_sel:WORD_0 src1_sel:DWORD
	s_nop 1
	v_cndmask_b32_e64 v7, v1, v0, s[26:27]
; %bb.1562:                             ;   in Loop: Header=BB29_1374 Depth=2
	s_or_b64 exec, exec, s[36:37]
	v_lshlrev_b32_e32 v0, 16, v87
	v_lshlrev_b32_e32 v1, 16, v99
	v_max_f32_e32 v1, v1, v1
	v_max_f32_e32 v0, v0, v0
	v_min_f32_e32 v86, v0, v1
	v_max_f32_e32 v0, v0, v1
	v_cndmask_b32_e32 v0, v0, v86, vcc
	v_and_b32_e32 v1, 0x7f800000, v0
	v_cmp_ne_u32_e64 s[26:27], s97, v1
                                        ; implicit-def: $vgpr86
	s_and_saveexec_b64 s[36:37], s[26:27]
	s_xor_b64 s[26:27], exec, s[36:37]
; %bb.1563:                             ;   in Loop: Header=BB29_1374 Depth=2
	v_bfe_u32 v1, v0, 16, 1
	v_add3_u32 v86, v0, v1, s46
                                        ; implicit-def: $vgpr0
; %bb.1564:                             ;   in Loop: Header=BB29_1374 Depth=2
	s_andn2_saveexec_b64 s[36:37], s[26:27]
; %bb.1565:                             ;   in Loop: Header=BB29_1374 Depth=2
	v_or_b32_e32 v1, 0x10000, v0
	v_cmp_eq_u32_sdwa s[26:27], v0, v3 src0_sel:WORD_0 src1_sel:DWORD
	s_nop 1
	v_cndmask_b32_e64 v86, v1, v0, s[26:27]
; %bb.1566:                             ;   in Loop: Header=BB29_1374 Depth=2
	s_or_b64 exec, exec, s[36:37]
	v_and_b32_e32 v0, 0xffff0000, v87
	v_and_b32_e32 v1, 0xffff0000, v99
	v_max_f32_e32 v1, v1, v1
	v_max_f32_e32 v0, v0, v0
	v_min_f32_e32 v87, v0, v1
	v_max_f32_e32 v0, v0, v1
	v_cndmask_b32_e32 v0, v0, v87, vcc
	v_and_b32_e32 v1, 0x7f800000, v0
	v_cmp_ne_u32_e64 s[26:27], s97, v1
                                        ; implicit-def: $vgpr87
	s_and_saveexec_b64 s[36:37], s[26:27]
	s_xor_b64 s[26:27], exec, s[36:37]
; %bb.1567:                             ;   in Loop: Header=BB29_1374 Depth=2
	v_bfe_u32 v1, v0, 16, 1
	v_add3_u32 v87, v0, v1, s46
                                        ; implicit-def: $vgpr0
; %bb.1568:                             ;   in Loop: Header=BB29_1374 Depth=2
	s_andn2_saveexec_b64 s[36:37], s[26:27]
; %bb.1569:                             ;   in Loop: Header=BB29_1374 Depth=2
	v_or_b32_e32 v1, 0x10000, v0
	v_cmp_eq_u32_sdwa s[26:27], v0, v3 src0_sel:WORD_0 src1_sel:DWORD
	s_nop 1
	v_cndmask_b32_e64 v87, v1, v0, s[26:27]
; %bb.1570:                             ;   in Loop: Header=BB29_1374 Depth=2
	s_or_b64 exec, exec, s[36:37]
	v_lshlrev_b32_e32 v0, 16, v64
	s_waitcnt vmcnt(1)
	v_lshlrev_b32_e32 v1, 16, v68
	v_max_f32_e32 v1, v1, v1
	v_max_f32_e32 v0, v0, v0
	v_min_f32_e32 v96, v0, v1
	v_max_f32_e32 v0, v0, v1
	v_cndmask_b32_e32 v0, v0, v96, vcc
	v_and_b32_e32 v1, 0x7f800000, v0
	v_cmp_ne_u32_e64 s[26:27], s97, v1
                                        ; implicit-def: $vgpr96
	s_and_saveexec_b64 s[36:37], s[26:27]
	s_xor_b64 s[26:27], exec, s[36:37]
; %bb.1571:                             ;   in Loop: Header=BB29_1374 Depth=2
	v_bfe_u32 v1, v0, 16, 1
	v_add3_u32 v96, v0, v1, s46
                                        ; implicit-def: $vgpr0
; %bb.1572:                             ;   in Loop: Header=BB29_1374 Depth=2
	s_andn2_saveexec_b64 s[36:37], s[26:27]
; %bb.1573:                             ;   in Loop: Header=BB29_1374 Depth=2
	v_or_b32_e32 v1, 0x10000, v0
	v_cmp_eq_u32_sdwa s[26:27], v0, v3 src0_sel:WORD_0 src1_sel:DWORD
	s_nop 1
	v_cndmask_b32_e64 v96, v1, v0, s[26:27]
; %bb.1574:                             ;   in Loop: Header=BB29_1374 Depth=2
	s_or_b64 exec, exec, s[36:37]
	v_and_b32_e32 v0, 0xffff0000, v64
	v_and_b32_e32 v1, 0xffff0000, v68
	v_max_f32_e32 v1, v1, v1
	v_max_f32_e32 v0, v0, v0
	v_min_f32_e32 v64, v0, v1
	v_max_f32_e32 v0, v0, v1
	v_cndmask_b32_e32 v0, v0, v64, vcc
	v_and_b32_e32 v1, 0x7f800000, v0
	v_cmp_ne_u32_e64 s[26:27], s97, v1
                                        ; implicit-def: $vgpr64
	s_and_saveexec_b64 s[36:37], s[26:27]
	s_xor_b64 s[26:27], exec, s[36:37]
; %bb.1575:                             ;   in Loop: Header=BB29_1374 Depth=2
	v_bfe_u32 v1, v0, 16, 1
	v_add3_u32 v64, v0, v1, s46
                                        ; implicit-def: $vgpr0
; %bb.1576:                             ;   in Loop: Header=BB29_1374 Depth=2
	s_andn2_saveexec_b64 s[36:37], s[26:27]
; %bb.1577:                             ;   in Loop: Header=BB29_1374 Depth=2
	v_or_b32_e32 v1, 0x10000, v0
	v_cmp_eq_u32_sdwa s[26:27], v0, v3 src0_sel:WORD_0 src1_sel:DWORD
	s_nop 1
	v_cndmask_b32_e64 v64, v1, v0, s[26:27]
; %bb.1578:                             ;   in Loop: Header=BB29_1374 Depth=2
	s_or_b64 exec, exec, s[36:37]
	v_lshlrev_b32_e32 v0, 16, v65
	v_lshlrev_b32_e32 v1, 16, v69
	v_max_f32_e32 v1, v1, v1
	v_max_f32_e32 v0, v0, v0
	v_min_f32_e32 v68, v0, v1
	v_max_f32_e32 v0, v0, v1
	v_cndmask_b32_e32 v0, v0, v68, vcc
	v_and_b32_e32 v1, 0x7f800000, v0
	v_cmp_ne_u32_e64 s[26:27], s97, v1
                                        ; implicit-def: $vgpr68
	s_and_saveexec_b64 s[36:37], s[26:27]
	s_xor_b64 s[26:27], exec, s[36:37]
; %bb.1579:                             ;   in Loop: Header=BB29_1374 Depth=2
	v_bfe_u32 v1, v0, 16, 1
	v_add3_u32 v68, v0, v1, s46
                                        ; implicit-def: $vgpr0
; %bb.1580:                             ;   in Loop: Header=BB29_1374 Depth=2
	s_andn2_saveexec_b64 s[36:37], s[26:27]
; %bb.1581:                             ;   in Loop: Header=BB29_1374 Depth=2
	v_or_b32_e32 v1, 0x10000, v0
	v_cmp_eq_u32_sdwa s[26:27], v0, v3 src0_sel:WORD_0 src1_sel:DWORD
	s_nop 1
	v_cndmask_b32_e64 v68, v1, v0, s[26:27]
; %bb.1582:                             ;   in Loop: Header=BB29_1374 Depth=2
	s_or_b64 exec, exec, s[36:37]
	v_and_b32_e32 v0, 0xffff0000, v65
	v_and_b32_e32 v1, 0xffff0000, v69
	v_max_f32_e32 v1, v1, v1
	v_max_f32_e32 v0, v0, v0
	v_min_f32_e32 v65, v0, v1
	v_max_f32_e32 v0, v0, v1
	v_cndmask_b32_e32 v0, v0, v65, vcc
	v_and_b32_e32 v1, 0x7f800000, v0
	v_cmp_ne_u32_e64 s[26:27], s97, v1
                                        ; implicit-def: $vgpr65
	s_and_saveexec_b64 s[36:37], s[26:27]
	s_xor_b64 s[26:27], exec, s[36:37]
; %bb.1583:                             ;   in Loop: Header=BB29_1374 Depth=2
	v_bfe_u32 v1, v0, 16, 1
	v_add3_u32 v65, v0, v1, s46
                                        ; implicit-def: $vgpr0
; %bb.1584:                             ;   in Loop: Header=BB29_1374 Depth=2
	s_andn2_saveexec_b64 s[36:37], s[26:27]
; %bb.1585:                             ;   in Loop: Header=BB29_1374 Depth=2
	v_or_b32_e32 v1, 0x10000, v0
	v_cmp_eq_u32_sdwa s[26:27], v0, v3 src0_sel:WORD_0 src1_sel:DWORD
	s_nop 1
	v_cndmask_b32_e64 v65, v1, v0, s[26:27]
; %bb.1586:                             ;   in Loop: Header=BB29_1374 Depth=2
	s_or_b64 exec, exec, s[36:37]
	v_lshlrev_b32_e32 v0, 16, v66
	v_lshlrev_b32_e32 v1, 16, v70
	v_max_f32_e32 v1, v1, v1
	v_max_f32_e32 v0, v0, v0
	v_min_f32_e32 v69, v0, v1
	v_max_f32_e32 v0, v0, v1
	v_cndmask_b32_e32 v1, v0, v69, vcc
	v_and_b32_e32 v0, 0x7f800000, v1
	v_cmp_ne_u32_e64 s[26:27], s97, v0
                                        ; implicit-def: $vgpr0
	s_and_saveexec_b64 s[36:37], s[26:27]
	s_xor_b64 s[26:27], exec, s[36:37]
; %bb.1587:                             ;   in Loop: Header=BB29_1374 Depth=2
	v_bfe_u32 v0, v1, 16, 1
	v_add3_u32 v0, v1, v0, s46
                                        ; implicit-def: $vgpr1
; %bb.1588:                             ;   in Loop: Header=BB29_1374 Depth=2
	s_andn2_saveexec_b64 s[36:37], s[26:27]
; %bb.1589:                             ;   in Loop: Header=BB29_1374 Depth=2
	v_or_b32_e32 v0, 0x10000, v1
	v_cmp_eq_u32_sdwa s[26:27], v1, v3 src0_sel:WORD_0 src1_sel:DWORD
	s_nop 1
	v_cndmask_b32_e64 v0, v0, v1, s[26:27]
; %bb.1590:                             ;   in Loop: Header=BB29_1374 Depth=2
	s_or_b64 exec, exec, s[36:37]
	v_and_b32_e32 v1, 0xffff0000, v66
	v_and_b32_e32 v66, 0xffff0000, v70
	v_max_f32_e32 v66, v66, v66
	v_max_f32_e32 v1, v1, v1
	v_min_f32_e32 v69, v1, v66
	v_max_f32_e32 v1, v1, v66
	v_cndmask_b32_e32 v1, v1, v69, vcc
	v_and_b32_e32 v66, 0x7f800000, v1
	v_cmp_ne_u32_e64 s[26:27], s97, v66
                                        ; implicit-def: $vgpr66
	s_and_saveexec_b64 s[36:37], s[26:27]
	s_xor_b64 s[26:27], exec, s[36:37]
; %bb.1591:                             ;   in Loop: Header=BB29_1374 Depth=2
	v_bfe_u32 v66, v1, 16, 1
	v_add3_u32 v66, v1, v66, s46
                                        ; implicit-def: $vgpr1
; %bb.1592:                             ;   in Loop: Header=BB29_1374 Depth=2
	s_andn2_saveexec_b64 s[36:37], s[26:27]
; %bb.1593:                             ;   in Loop: Header=BB29_1374 Depth=2
	v_or_b32_e32 v66, 0x10000, v1
	v_cmp_eq_u32_sdwa s[26:27], v1, v3 src0_sel:WORD_0 src1_sel:DWORD
	s_nop 1
	v_cndmask_b32_e64 v66, v66, v1, s[26:27]
; %bb.1594:                             ;   in Loop: Header=BB29_1374 Depth=2
	s_or_b64 exec, exec, s[36:37]
	v_lshlrev_b32_e32 v1, 16, v67
	v_lshlrev_b32_e32 v69, 16, v71
	v_max_f32_e32 v69, v69, v69
	v_max_f32_e32 v1, v1, v1
	v_min_f32_e32 v70, v1, v69
	v_max_f32_e32 v1, v1, v69
	v_cndmask_b32_e32 v1, v1, v70, vcc
	v_and_b32_e32 v69, 0x7f800000, v1
	v_cmp_ne_u32_e64 s[26:27], s97, v69
                                        ; implicit-def: $vgpr69
	s_and_saveexec_b64 s[36:37], s[26:27]
	s_xor_b64 s[26:27], exec, s[36:37]
; %bb.1595:                             ;   in Loop: Header=BB29_1374 Depth=2
	v_bfe_u32 v69, v1, 16, 1
	v_add3_u32 v69, v1, v69, s46
                                        ; implicit-def: $vgpr1
; %bb.1596:                             ;   in Loop: Header=BB29_1374 Depth=2
	s_andn2_saveexec_b64 s[36:37], s[26:27]
; %bb.1597:                             ;   in Loop: Header=BB29_1374 Depth=2
	v_or_b32_e32 v69, 0x10000, v1
	v_cmp_eq_u32_sdwa s[26:27], v1, v3 src0_sel:WORD_0 src1_sel:DWORD
	s_nop 1
	v_cndmask_b32_e64 v69, v69, v1, s[26:27]
; %bb.1598:                             ;   in Loop: Header=BB29_1374 Depth=2
	s_or_b64 exec, exec, s[36:37]
	v_and_b32_e32 v1, 0xffff0000, v67
	v_and_b32_e32 v67, 0xffff0000, v71
	v_max_f32_e32 v67, v67, v67
	v_max_f32_e32 v1, v1, v1
	v_min_f32_e32 v70, v1, v67
	v_max_f32_e32 v1, v1, v67
	v_cndmask_b32_e32 v1, v1, v70, vcc
	v_and_b32_e32 v67, 0x7f800000, v1
	v_cmp_ne_u32_e64 s[26:27], s97, v67
                                        ; implicit-def: $vgpr67
	s_and_saveexec_b64 s[36:37], s[26:27]
	s_xor_b64 s[26:27], exec, s[36:37]
; %bb.1599:                             ;   in Loop: Header=BB29_1374 Depth=2
	v_bfe_u32 v67, v1, 16, 1
	v_add3_u32 v67, v1, v67, s46
                                        ; implicit-def: $vgpr1
; %bb.1600:                             ;   in Loop: Header=BB29_1374 Depth=2
	s_andn2_saveexec_b64 s[36:37], s[26:27]
; %bb.1601:                             ;   in Loop: Header=BB29_1374 Depth=2
	v_or_b32_e32 v67, 0x10000, v1
	v_cmp_eq_u32_sdwa s[26:27], v1, v3 src0_sel:WORD_0 src1_sel:DWORD
	s_nop 1
	v_cndmask_b32_e64 v67, v67, v1, s[26:27]
; %bb.1602:                             ;   in Loop: Header=BB29_1374 Depth=2
	s_or_b64 exec, exec, s[36:37]
	v_lshlrev_b32_e32 v1, 16, v48
	s_waitcnt vmcnt(0)
	v_lshlrev_b32_e32 v70, 16, v52
	v_max_f32_e32 v70, v70, v70
	v_max_f32_e32 v1, v1, v1
	v_min_f32_e32 v71, v1, v70
	v_max_f32_e32 v1, v1, v70
	v_cndmask_b32_e32 v1, v1, v71, vcc
	v_and_b32_e32 v70, 0x7f800000, v1
	v_cmp_ne_u32_e64 s[26:27], s97, v70
                                        ; implicit-def: $vgpr70
	s_and_saveexec_b64 s[36:37], s[26:27]
	s_xor_b64 s[26:27], exec, s[36:37]
; %bb.1603:                             ;   in Loop: Header=BB29_1374 Depth=2
	v_bfe_u32 v70, v1, 16, 1
	v_add3_u32 v70, v1, v70, s46
                                        ; implicit-def: $vgpr1
; %bb.1604:                             ;   in Loop: Header=BB29_1374 Depth=2
	s_andn2_saveexec_b64 s[36:37], s[26:27]
; %bb.1605:                             ;   in Loop: Header=BB29_1374 Depth=2
	v_or_b32_e32 v70, 0x10000, v1
	v_cmp_eq_u32_sdwa s[26:27], v1, v3 src0_sel:WORD_0 src1_sel:DWORD
	s_nop 1
	v_cndmask_b32_e64 v70, v70, v1, s[26:27]
; %bb.1606:                             ;   in Loop: Header=BB29_1374 Depth=2
	s_or_b64 exec, exec, s[36:37]
	v_and_b32_e32 v1, 0xffff0000, v48
	v_and_b32_e32 v48, 0xffff0000, v52
	v_max_f32_e32 v48, v48, v48
	v_max_f32_e32 v1, v1, v1
	v_min_f32_e32 v52, v1, v48
	v_max_f32_e32 v1, v1, v48
	v_cndmask_b32_e32 v1, v1, v52, vcc
	v_and_b32_e32 v48, 0x7f800000, v1
	v_cmp_ne_u32_e64 s[26:27], s97, v48
                                        ; implicit-def: $vgpr48
	s_and_saveexec_b64 s[36:37], s[26:27]
	s_xor_b64 s[26:27], exec, s[36:37]
; %bb.1607:                             ;   in Loop: Header=BB29_1374 Depth=2
	v_bfe_u32 v48, v1, 16, 1
	v_add3_u32 v48, v1, v48, s46
                                        ; implicit-def: $vgpr1
; %bb.1608:                             ;   in Loop: Header=BB29_1374 Depth=2
	s_andn2_saveexec_b64 s[36:37], s[26:27]
; %bb.1609:                             ;   in Loop: Header=BB29_1374 Depth=2
	v_or_b32_e32 v48, 0x10000, v1
	v_cmp_eq_u32_sdwa s[26:27], v1, v3 src0_sel:WORD_0 src1_sel:DWORD
	s_nop 1
	v_cndmask_b32_e64 v48, v48, v1, s[26:27]
; %bb.1610:                             ;   in Loop: Header=BB29_1374 Depth=2
	s_or_b64 exec, exec, s[36:37]
	v_lshlrev_b32_e32 v1, 16, v49
	v_lshlrev_b32_e32 v52, 16, v53
	v_max_f32_e32 v52, v52, v52
	v_max_f32_e32 v1, v1, v1
	v_min_f32_e32 v71, v1, v52
	v_max_f32_e32 v1, v1, v52
	v_cndmask_b32_e32 v1, v1, v71, vcc
	v_and_b32_e32 v52, 0x7f800000, v1
	v_cmp_ne_u32_e64 s[26:27], s97, v52
                                        ; implicit-def: $vgpr52
	s_and_saveexec_b64 s[36:37], s[26:27]
	s_xor_b64 s[26:27], exec, s[36:37]
; %bb.1611:                             ;   in Loop: Header=BB29_1374 Depth=2
	v_bfe_u32 v52, v1, 16, 1
	v_add3_u32 v52, v1, v52, s46
                                        ; implicit-def: $vgpr1
; %bb.1612:                             ;   in Loop: Header=BB29_1374 Depth=2
	s_andn2_saveexec_b64 s[36:37], s[26:27]
; %bb.1613:                             ;   in Loop: Header=BB29_1374 Depth=2
	v_or_b32_e32 v52, 0x10000, v1
	v_cmp_eq_u32_sdwa s[26:27], v1, v3 src0_sel:WORD_0 src1_sel:DWORD
	s_nop 1
	v_cndmask_b32_e64 v52, v52, v1, s[26:27]
; %bb.1614:                             ;   in Loop: Header=BB29_1374 Depth=2
	s_or_b64 exec, exec, s[36:37]
	v_and_b32_e32 v1, 0xffff0000, v49
	v_and_b32_e32 v49, 0xffff0000, v53
	v_max_f32_e32 v49, v49, v49
	v_max_f32_e32 v1, v1, v1
	v_min_f32_e32 v53, v1, v49
	v_max_f32_e32 v1, v1, v49
	v_cndmask_b32_e32 v1, v1, v53, vcc
	v_and_b32_e32 v49, 0x7f800000, v1
	v_cmp_ne_u32_e64 s[26:27], s97, v49
                                        ; implicit-def: $vgpr49
	s_and_saveexec_b64 s[36:37], s[26:27]
	s_xor_b64 s[26:27], exec, s[36:37]
; %bb.1615:                             ;   in Loop: Header=BB29_1374 Depth=2
	v_bfe_u32 v49, v1, 16, 1
	v_add3_u32 v49, v1, v49, s46
                                        ; implicit-def: $vgpr1
; %bb.1616:                             ;   in Loop: Header=BB29_1374 Depth=2
	s_andn2_saveexec_b64 s[36:37], s[26:27]
; %bb.1617:                             ;   in Loop: Header=BB29_1374 Depth=2
	v_or_b32_e32 v49, 0x10000, v1
	v_cmp_eq_u32_sdwa s[26:27], v1, v3 src0_sel:WORD_0 src1_sel:DWORD
	s_nop 1
	v_cndmask_b32_e64 v49, v49, v1, s[26:27]
; %bb.1618:                             ;   in Loop: Header=BB29_1374 Depth=2
	s_or_b64 exec, exec, s[36:37]
	v_lshlrev_b32_e32 v1, 16, v50
	v_lshlrev_b32_e32 v53, 16, v54
	v_max_f32_e32 v53, v53, v53
	v_max_f32_e32 v1, v1, v1
	v_min_f32_e32 v71, v1, v53
	v_max_f32_e32 v1, v1, v53
	v_cndmask_b32_e32 v1, v1, v71, vcc
	v_and_b32_e32 v53, 0x7f800000, v1
	v_cmp_ne_u32_e64 s[26:27], s97, v53
                                        ; implicit-def: $vgpr53
	s_and_saveexec_b64 s[36:37], s[26:27]
	s_xor_b64 s[26:27], exec, s[36:37]
; %bb.1619:                             ;   in Loop: Header=BB29_1374 Depth=2
	v_bfe_u32 v53, v1, 16, 1
	v_add3_u32 v53, v1, v53, s46
                                        ; implicit-def: $vgpr1
; %bb.1620:                             ;   in Loop: Header=BB29_1374 Depth=2
	s_andn2_saveexec_b64 s[36:37], s[26:27]
; %bb.1621:                             ;   in Loop: Header=BB29_1374 Depth=2
	v_or_b32_e32 v53, 0x10000, v1
	v_cmp_eq_u32_sdwa s[26:27], v1, v3 src0_sel:WORD_0 src1_sel:DWORD
	s_nop 1
	v_cndmask_b32_e64 v53, v53, v1, s[26:27]
; %bb.1622:                             ;   in Loop: Header=BB29_1374 Depth=2
	s_or_b64 exec, exec, s[36:37]
	v_and_b32_e32 v1, 0xffff0000, v50
	v_and_b32_e32 v50, 0xffff0000, v54
	v_max_f32_e32 v50, v50, v50
	v_max_f32_e32 v1, v1, v1
	v_min_f32_e32 v54, v1, v50
	v_max_f32_e32 v1, v1, v50
	v_cndmask_b32_e32 v1, v1, v54, vcc
	v_and_b32_e32 v50, 0x7f800000, v1
	v_cmp_ne_u32_e64 s[26:27], s97, v50
                                        ; implicit-def: $vgpr50
	s_and_saveexec_b64 s[36:37], s[26:27]
	s_xor_b64 s[26:27], exec, s[36:37]
; %bb.1623:                             ;   in Loop: Header=BB29_1374 Depth=2
	v_bfe_u32 v50, v1, 16, 1
	v_add3_u32 v50, v1, v50, s46
                                        ; implicit-def: $vgpr1
; %bb.1624:                             ;   in Loop: Header=BB29_1374 Depth=2
	s_andn2_saveexec_b64 s[36:37], s[26:27]
; %bb.1625:                             ;   in Loop: Header=BB29_1374 Depth=2
	v_or_b32_e32 v50, 0x10000, v1
	v_cmp_eq_u32_sdwa s[26:27], v1, v3 src0_sel:WORD_0 src1_sel:DWORD
	s_nop 1
	v_cndmask_b32_e64 v50, v50, v1, s[26:27]
; %bb.1626:                             ;   in Loop: Header=BB29_1374 Depth=2
	s_or_b64 exec, exec, s[36:37]
	v_lshlrev_b32_e32 v1, 16, v51
	v_lshlrev_b32_e32 v54, 16, v55
	v_max_f32_e32 v54, v54, v54
	v_max_f32_e32 v1, v1, v1
	v_min_f32_e32 v71, v1, v54
	v_max_f32_e32 v1, v1, v54
	v_cndmask_b32_e32 v54, v1, v71, vcc
	v_and_b32_e32 v1, 0x7f800000, v54
	v_cmp_ne_u32_e64 s[26:27], s97, v1
                                        ; implicit-def: $vgpr1
	s_and_saveexec_b64 s[36:37], s[26:27]
	s_xor_b64 s[26:27], exec, s[36:37]
; %bb.1627:                             ;   in Loop: Header=BB29_1374 Depth=2
	v_bfe_u32 v1, v54, 16, 1
	v_add3_u32 v1, v54, v1, s46
                                        ; implicit-def: $vgpr54
; %bb.1628:                             ;   in Loop: Header=BB29_1374 Depth=2
	s_andn2_saveexec_b64 s[36:37], s[26:27]
; %bb.1629:                             ;   in Loop: Header=BB29_1374 Depth=2
	v_or_b32_e32 v1, 0x10000, v54
	v_cmp_eq_u32_sdwa s[26:27], v54, v3 src0_sel:WORD_0 src1_sel:DWORD
	s_nop 1
	v_cndmask_b32_e64 v1, v1, v54, s[26:27]
; %bb.1630:                             ;   in Loop: Header=BB29_1374 Depth=2
	s_or_b64 exec, exec, s[36:37]
	v_and_b32_e32 v51, 0xffff0000, v51
	v_and_b32_e32 v54, 0xffff0000, v55
	v_max_f32_e32 v54, v54, v54
	v_max_f32_e32 v51, v51, v51
	v_min_f32_e32 v55, v51, v54
	v_max_f32_e32 v51, v51, v54
	v_cndmask_b32_e32 v54, v51, v55, vcc
	v_and_b32_e32 v51, 0x7f800000, v54
	v_cmp_ne_u32_e64 s[26:27], s97, v51
                                        ; implicit-def: $vgpr51
	s_and_saveexec_b64 s[36:37], s[26:27]
	s_xor_b64 s[26:27], exec, s[36:37]
; %bb.1631:                             ;   in Loop: Header=BB29_1374 Depth=2
	v_bfe_u32 v51, v54, 16, 1
	v_add3_u32 v51, v54, v51, s46
                                        ; implicit-def: $vgpr54
; %bb.1632:                             ;   in Loop: Header=BB29_1374 Depth=2
	s_andn2_saveexec_b64 s[36:37], s[26:27]
; %bb.1633:                             ;   in Loop: Header=BB29_1374 Depth=2
	v_or_b32_e32 v51, 0x10000, v54
	v_cmp_eq_u32_sdwa s[26:27], v54, v3 src0_sel:WORD_0 src1_sel:DWORD
	s_nop 1
	v_cndmask_b32_e64 v51, v51, v54, s[26:27]
; %bb.1634:                             ;   in Loop: Header=BB29_1374 Depth=2
	s_or_b64 exec, exec, s[36:37]
	v_lshrrev_b32_e32 v0, 16, v0
	v_and_or_b32 v66, v66, s47, v0
	v_lshrrev_b32_e32 v0, 16, v69
	v_and_or_b32 v67, v67, s47, v0
	v_lshrrev_b32_e32 v0, 16, v30
	v_lshrrev_b32_e32 v54, 16, v68
	v_and_or_b32 v97, v85, s47, v0
	v_lshrrev_b32_e32 v0, 16, v115
	v_and_or_b32 v65, v65, s47, v54
	;; [unrolled: 2-line block ×13, first 2 shown]
	v_and_or_b32 v51, v51, s47, v0
	global_store_dwordx4 v[4:5], v[84:87], off
	global_store_dwordx4 v[4:5], v[96:99], off offset:1024
	global_store_dwordx4 v[4:5], v[64:67], off offset:2048
	;; [unrolled: 1-line block ×3, first 2 shown]
	v_lshl_add_u64 v[4:5], v[4:5], 0, s[76:77]
	global_store_dwordx4 v[72:73], v[84:87], off
	global_store_dwordx4 v[72:73], v[96:99], off offset:1024
	global_store_dwordx4 v[72:73], v[64:67], off offset:2048
	;; [unrolled: 1-line block ×3, first 2 shown]
	v_lshl_add_u64 v[72:73], v[72:73], 0, s[76:77]
	s_and_saveexec_b64 s[26:27], s[34:35]
	s_cbranch_execz .LBB29_1373
; %bb.1635:                             ;   in Loop: Header=BB29_1374 Depth=2
	v_lshl_add_u64 v[4:5], v[4:5], 0, v[88:89]
	v_lshl_add_u64 v[72:73], v[72:73], 0, v[88:89]
	;; [unrolled: 1-line block ×4, first 2 shown]
	v_sub_u32_e32 v79, v79, v60
	s_branch .LBB29_1373
.LBB29_1636:                            ;   in Loop: Header=BB29_47 Depth=1
	s_mov_b64 s[26:27], 0
	s_and_saveexec_b64 s[28:29], s[6:7]
	s_cbranch_execnz .LBB29_2888
	s_branch .LBB29_2906
.LBB29_1637:                            ;   in Loop: Header=BB29_47 Depth=1
	s_mov_b64 s[30:31], 0
                                        ; implicit-def: $sgpr45
	s_andn2_b64 vcc, exec, s[28:29]
	v_mov_b32_e32 v14, 0
	s_cbranch_vccz .LBB29_1371
.LBB29_1638:                            ;   in Loop: Header=BB29_47 Depth=1
	scratch_load_dword v1, off, s33 offset:320 ; 4-byte Folded Reload
	v_mov_b32_e32 v15, v29
	s_waitcnt vmcnt(0)
	v_mov_b32_e32 v0, v1
	v_and_b32_e32 v16, 63, v1
	s_and_saveexec_b64 s[42:43], s[30:31]
	s_cbranch_execnz .LBB29_1903
	s_branch .LBB29_2139
.LBB29_1639:                            ;   in Loop: Header=BB29_47 Depth=1
	s_or_b64 exec, exec, s[94:95]
	s_and_saveexec_b64 s[44:45], s[30:31]
	s_xor_b64 s[44:45], exec, s[44:45]
	s_cbranch_execz .LBB29_1641
; %bb.1640:                             ;   in Loop: Header=BB29_47 Depth=1
	v_mov_b32_e32 v1, 1
	ds_write_b32 v0, v1
	s_trap 2
.LBB29_1641:                            ;   in Loop: Header=BB29_47 Depth=1
	s_or_b64 exec, exec, s[92:93]
	;;#ASMSTART
	s_wakeup
	;;#ASMEND
.LBB29_1642:                            ;   in Loop: Header=BB29_47 Depth=1
	s_or_b64 exec, exec, s[42:43]
.LBB29_1643:                            ;   in Loop: Header=BB29_47 Depth=1
	s_andn2_saveexec_b64 s[40:41], s[40:41]
	s_cbranch_execz .LBB29_1645
; %bb.1644:                             ;   in Loop: Header=BB29_47 Depth=1
	;;#ASMSTART
	s_waitcnt lgkmcnt(0) vmcnt(0)
	;;#ASMEND
	s_barrier
.LBB29_1645:                            ;   in Loop: Header=BB29_47 Depth=1
	s_or_b64 exec, exec, s[40:41]
.LBB29_1646:                            ;   in Loop: Header=BB29_47 Depth=1
	s_or_b64 exec, exec, s[26:27]
	v_cmp_ne_u32_e32 vcc, 0, v0
	s_xor_b64 s[26:27], s[10:11], -1
	s_and_b64 s[40:41], vcc, s[26:27]
	s_and_saveexec_b64 s[26:27], s[40:41]
	s_cbranch_execz .LBB29_1648
; %bb.1647:                             ;   in Loop: Header=BB29_47 Depth=1
	scratch_load_dwordx2 v[0:1], off, s33 offset:304 ; 8-byte Folded Reload
	v_mov_b32_e32 v2, 1
	s_waitcnt vmcnt(0)
	flat_store_dword v[0:1], v2 sc0 sc1
.LBB29_1648:                            ;   in Loop: Header=BB29_47 Depth=1
	s_or_b64 exec, exec, s[26:27]
	v_and_b32_e32 v0, 48, v110
	v_cmp_ne_u32_e32 vcc, 0, v0
	s_and_saveexec_b64 s[26:27], vcc
	s_cbranch_execz .LBB29_1650
; %bb.1649:                             ;   in Loop: Header=BB29_47 Depth=1
	v_lshl_add_u64 v[124:125], v[124:125], 0, 4
	flat_store_dwordx2 v[40:41], v[124:125] sc0 sc1
.LBB29_1650:                            ;   in Loop: Header=BB29_47 Depth=1
	s_or_b64 exec, exec, s[26:27]
	s_or_b64 exec, exec, s[28:29]
	s_and_b64 vcc, exec, s[24:25]
	s_cbranch_vccnz .LBB29_3253
	s_branch .LBB29_2935
.LBB29_1651:                            ;   in Loop: Header=BB29_47 Depth=1
	s_or_b64 exec, exec, s[40:41]
	scratch_load_dwordx2 v[112:113], off, s33 offset:428 ; 8-byte Folded Reload
	scratch_load_dwordx2 v[114:115], off, s33 offset:448 ; 8-byte Folded Reload
	s_and_b64 s[26:27], s[42:43], exec
.LBB29_1652:                            ;   in Loop: Header=BB29_47 Depth=1
	s_or_b64 exec, exec, s[28:29]
	s_and_saveexec_b64 s[28:29], s[26:27]
	s_cbranch_execz .LBB29_1782
; %bb.1653:                             ;   in Loop: Header=BB29_47 Depth=1
	s_and_b32 s13, 0xffff, s45
	v_lshlrev_b32_e32 v0, 16, v80
	v_lshlrev_b32_e32 v1, 16, v32
	s_cmp_eq_u32 s13, 0
	v_max_f32_e32 v1, v1, v1
	v_max_f32_e32 v0, v0, v0
	v_min_f32_e32 v6, v0, v1
	v_max_f32_e32 v0, v0, v1
	s_cselect_b64 vcc, -1, 0
	v_cndmask_b32_e32 v0, v0, v6, vcc
	v_and_b32_e32 v1, 0x7f800000, v0
	v_cmp_ne_u32_e64 s[26:27], s97, v1
                                        ; implicit-def: $vgpr48
	s_and_saveexec_b64 s[40:41], s[26:27]
	s_xor_b64 s[26:27], exec, s[40:41]
; %bb.1654:                             ;   in Loop: Header=BB29_47 Depth=1
	v_bfe_u32 v1, v0, 16, 1
	v_add3_u32 v48, v0, v1, s46
                                        ; implicit-def: $vgpr0
; %bb.1655:                             ;   in Loop: Header=BB29_47 Depth=1
	s_andn2_saveexec_b64 s[40:41], s[26:27]
; %bb.1656:                             ;   in Loop: Header=BB29_47 Depth=1
	v_or_b32_e32 v1, 0x10000, v0
	v_cmp_eq_u32_sdwa s[26:27], v0, v3 src0_sel:WORD_0 src1_sel:DWORD
	s_nop 1
	v_cndmask_b32_e64 v48, v1, v0, s[26:27]
; %bb.1657:                             ;   in Loop: Header=BB29_47 Depth=1
	s_or_b64 exec, exec, s[40:41]
	v_and_b32_e32 v0, 0xffff0000, v80
	v_and_b32_e32 v1, 0xffff0000, v32
	v_max_f32_e32 v1, v1, v1
	v_max_f32_e32 v0, v0, v0
	v_min_f32_e32 v6, v0, v1
	v_max_f32_e32 v0, v0, v1
	v_cndmask_b32_e32 v0, v0, v6, vcc
	v_and_b32_e32 v1, 0x7f800000, v0
	v_cmp_ne_u32_e64 s[26:27], s97, v1
                                        ; implicit-def: $vgpr32
	s_and_saveexec_b64 s[40:41], s[26:27]
	s_xor_b64 s[26:27], exec, s[40:41]
; %bb.1658:                             ;   in Loop: Header=BB29_47 Depth=1
	v_bfe_u32 v1, v0, 16, 1
	v_add3_u32 v32, v0, v1, s46
                                        ; implicit-def: $vgpr0
; %bb.1659:                             ;   in Loop: Header=BB29_47 Depth=1
	s_andn2_saveexec_b64 s[40:41], s[26:27]
; %bb.1660:                             ;   in Loop: Header=BB29_47 Depth=1
	v_or_b32_e32 v1, 0x10000, v0
	v_cmp_eq_u32_sdwa s[26:27], v0, v3 src0_sel:WORD_0 src1_sel:DWORD
	s_nop 1
	v_cndmask_b32_e64 v32, v1, v0, s[26:27]
; %bb.1661:                             ;   in Loop: Header=BB29_47 Depth=1
	s_or_b64 exec, exec, s[40:41]
	v_lshlrev_b32_e32 v0, 16, v81
	v_lshlrev_b32_e32 v1, 16, v33
	v_max_f32_e32 v1, v1, v1
	v_max_f32_e32 v0, v0, v0
	v_min_f32_e32 v6, v0, v1
	v_max_f32_e32 v0, v0, v1
	v_cndmask_b32_e32 v0, v0, v6, vcc
	v_and_b32_e32 v1, 0x7f800000, v0
	v_cmp_ne_u32_e64 s[26:27], s97, v1
                                        ; implicit-def: $vgpr49
	s_and_saveexec_b64 s[40:41], s[26:27]
	s_xor_b64 s[26:27], exec, s[40:41]
; %bb.1662:                             ;   in Loop: Header=BB29_47 Depth=1
	v_bfe_u32 v1, v0, 16, 1
	v_add3_u32 v49, v0, v1, s46
                                        ; implicit-def: $vgpr0
; %bb.1663:                             ;   in Loop: Header=BB29_47 Depth=1
	s_andn2_saveexec_b64 s[40:41], s[26:27]
; %bb.1664:                             ;   in Loop: Header=BB29_47 Depth=1
	v_or_b32_e32 v1, 0x10000, v0
	v_cmp_eq_u32_sdwa s[26:27], v0, v3 src0_sel:WORD_0 src1_sel:DWORD
	s_nop 1
	v_cndmask_b32_e64 v49, v1, v0, s[26:27]
; %bb.1665:                             ;   in Loop: Header=BB29_47 Depth=1
	s_or_b64 exec, exec, s[40:41]
	v_and_b32_e32 v0, 0xffff0000, v81
	v_and_b32_e32 v1, 0xffff0000, v33
	v_max_f32_e32 v1, v1, v1
	v_max_f32_e32 v0, v0, v0
	v_min_f32_e32 v6, v0, v1
	v_max_f32_e32 v0, v0, v1
	v_cndmask_b32_e32 v0, v0, v6, vcc
	v_and_b32_e32 v1, 0x7f800000, v0
	v_cmp_ne_u32_e64 s[26:27], s97, v1
                                        ; implicit-def: $vgpr33
	s_and_saveexec_b64 s[40:41], s[26:27]
	s_xor_b64 s[26:27], exec, s[40:41]
; %bb.1666:                             ;   in Loop: Header=BB29_47 Depth=1
	v_bfe_u32 v1, v0, 16, 1
	v_add3_u32 v33, v0, v1, s46
                                        ; implicit-def: $vgpr0
; %bb.1667:                             ;   in Loop: Header=BB29_47 Depth=1
	s_andn2_saveexec_b64 s[40:41], s[26:27]
; %bb.1668:                             ;   in Loop: Header=BB29_47 Depth=1
	v_or_b32_e32 v1, 0x10000, v0
	v_cmp_eq_u32_sdwa s[26:27], v0, v3 src0_sel:WORD_0 src1_sel:DWORD
	s_nop 1
	v_cndmask_b32_e64 v33, v1, v0, s[26:27]
; %bb.1669:                             ;   in Loop: Header=BB29_47 Depth=1
	s_or_b64 exec, exec, s[40:41]
	v_lshlrev_b32_e32 v0, 16, v82
	v_lshlrev_b32_e32 v1, 16, v34
	v_max_f32_e32 v1, v1, v1
	v_max_f32_e32 v0, v0, v0
	v_min_f32_e32 v6, v0, v1
	v_max_f32_e32 v0, v0, v1
	v_cndmask_b32_e32 v0, v0, v6, vcc
	v_and_b32_e32 v1, 0x7f800000, v0
	v_cmp_ne_u32_e64 s[26:27], s97, v1
                                        ; implicit-def: $vgpr50
	s_and_saveexec_b64 s[40:41], s[26:27]
	s_xor_b64 s[26:27], exec, s[40:41]
; %bb.1670:                             ;   in Loop: Header=BB29_47 Depth=1
	v_bfe_u32 v1, v0, 16, 1
	v_add3_u32 v50, v0, v1, s46
                                        ; implicit-def: $vgpr0
; %bb.1671:                             ;   in Loop: Header=BB29_47 Depth=1
	s_andn2_saveexec_b64 s[40:41], s[26:27]
; %bb.1672:                             ;   in Loop: Header=BB29_47 Depth=1
	v_or_b32_e32 v1, 0x10000, v0
	v_cmp_eq_u32_sdwa s[26:27], v0, v3 src0_sel:WORD_0 src1_sel:DWORD
	s_nop 1
	v_cndmask_b32_e64 v50, v1, v0, s[26:27]
; %bb.1673:                             ;   in Loop: Header=BB29_47 Depth=1
	s_or_b64 exec, exec, s[40:41]
	v_and_b32_e32 v0, 0xffff0000, v82
	v_and_b32_e32 v1, 0xffff0000, v34
	v_max_f32_e32 v1, v1, v1
	v_max_f32_e32 v0, v0, v0
	v_min_f32_e32 v6, v0, v1
	v_max_f32_e32 v0, v0, v1
	v_cndmask_b32_e32 v0, v0, v6, vcc
	v_and_b32_e32 v1, 0x7f800000, v0
	v_cmp_ne_u32_e64 s[26:27], s97, v1
                                        ; implicit-def: $vgpr34
	s_and_saveexec_b64 s[40:41], s[26:27]
	s_xor_b64 s[26:27], exec, s[40:41]
; %bb.1674:                             ;   in Loop: Header=BB29_47 Depth=1
	v_bfe_u32 v1, v0, 16, 1
	v_add3_u32 v34, v0, v1, s46
                                        ; implicit-def: $vgpr0
; %bb.1675:                             ;   in Loop: Header=BB29_47 Depth=1
	s_andn2_saveexec_b64 s[40:41], s[26:27]
; %bb.1676:                             ;   in Loop: Header=BB29_47 Depth=1
	v_or_b32_e32 v1, 0x10000, v0
	v_cmp_eq_u32_sdwa s[26:27], v0, v3 src0_sel:WORD_0 src1_sel:DWORD
	s_nop 1
	v_cndmask_b32_e64 v34, v1, v0, s[26:27]
; %bb.1677:                             ;   in Loop: Header=BB29_47 Depth=1
	s_or_b64 exec, exec, s[40:41]
	v_lshlrev_b32_e32 v0, 16, v83
	v_lshlrev_b32_e32 v1, 16, v35
	v_max_f32_e32 v1, v1, v1
	v_max_f32_e32 v0, v0, v0
	v_min_f32_e32 v6, v0, v1
	v_max_f32_e32 v0, v0, v1
	v_cndmask_b32_e32 v0, v0, v6, vcc
	v_and_b32_e32 v1, 0x7f800000, v0
	v_cmp_ne_u32_e64 s[26:27], s97, v1
                                        ; implicit-def: $vgpr51
	s_and_saveexec_b64 s[40:41], s[26:27]
	s_xor_b64 s[26:27], exec, s[40:41]
; %bb.1678:                             ;   in Loop: Header=BB29_47 Depth=1
	v_bfe_u32 v1, v0, 16, 1
	v_add3_u32 v51, v0, v1, s46
                                        ; implicit-def: $vgpr0
; %bb.1679:                             ;   in Loop: Header=BB29_47 Depth=1
	s_andn2_saveexec_b64 s[40:41], s[26:27]
; %bb.1680:                             ;   in Loop: Header=BB29_47 Depth=1
	v_or_b32_e32 v1, 0x10000, v0
	v_cmp_eq_u32_sdwa s[26:27], v0, v3 src0_sel:WORD_0 src1_sel:DWORD
	s_nop 1
	v_cndmask_b32_e64 v51, v1, v0, s[26:27]
; %bb.1681:                             ;   in Loop: Header=BB29_47 Depth=1
	s_or_b64 exec, exec, s[40:41]
	v_and_b32_e32 v0, 0xffff0000, v83
	v_and_b32_e32 v1, 0xffff0000, v35
	v_max_f32_e32 v1, v1, v1
	v_max_f32_e32 v0, v0, v0
	v_min_f32_e32 v6, v0, v1
	v_max_f32_e32 v0, v0, v1
	v_cndmask_b32_e32 v0, v0, v6, vcc
	v_and_b32_e32 v1, 0x7f800000, v0
	v_cmp_ne_u32_e64 s[26:27], s97, v1
                                        ; implicit-def: $vgpr35
	s_and_saveexec_b64 s[40:41], s[26:27]
	s_xor_b64 s[26:27], exec, s[40:41]
; %bb.1682:                             ;   in Loop: Header=BB29_47 Depth=1
	v_bfe_u32 v1, v0, 16, 1
	v_add3_u32 v35, v0, v1, s46
                                        ; implicit-def: $vgpr0
; %bb.1683:                             ;   in Loop: Header=BB29_47 Depth=1
	s_andn2_saveexec_b64 s[40:41], s[26:27]
; %bb.1684:                             ;   in Loop: Header=BB29_47 Depth=1
	v_or_b32_e32 v1, 0x10000, v0
	v_cmp_eq_u32_sdwa s[26:27], v0, v3 src0_sel:WORD_0 src1_sel:DWORD
	s_nop 1
	v_cndmask_b32_e64 v35, v1, v0, s[26:27]
; %bb.1685:                             ;   in Loop: Header=BB29_47 Depth=1
	s_or_b64 exec, exec, s[40:41]
	v_lshlrev_b32_e32 v0, 16, v36
	v_lshlrev_b32_e32 v1, 16, v20
	v_max_f32_e32 v1, v1, v1
	v_max_f32_e32 v0, v0, v0
	v_min_f32_e32 v6, v0, v1
	v_max_f32_e32 v0, v0, v1
	v_cndmask_b32_e32 v0, v0, v6, vcc
	v_and_b32_e32 v1, 0x7f800000, v0
	v_cmp_ne_u32_e64 s[26:27], s97, v1
                                        ; implicit-def: $vgpr52
	s_and_saveexec_b64 s[40:41], s[26:27]
	s_xor_b64 s[26:27], exec, s[40:41]
; %bb.1686:                             ;   in Loop: Header=BB29_47 Depth=1
	v_bfe_u32 v1, v0, 16, 1
	v_add3_u32 v52, v0, v1, s46
                                        ; implicit-def: $vgpr0
; %bb.1687:                             ;   in Loop: Header=BB29_47 Depth=1
	s_andn2_saveexec_b64 s[40:41], s[26:27]
; %bb.1688:                             ;   in Loop: Header=BB29_47 Depth=1
	v_or_b32_e32 v1, 0x10000, v0
	v_cmp_eq_u32_sdwa s[26:27], v0, v3 src0_sel:WORD_0 src1_sel:DWORD
	s_nop 1
	v_cndmask_b32_e64 v52, v1, v0, s[26:27]
; %bb.1689:                             ;   in Loop: Header=BB29_47 Depth=1
	s_or_b64 exec, exec, s[40:41]
	v_and_b32_e32 v0, 0xffff0000, v36
	v_and_b32_e32 v1, 0xffff0000, v20
	v_max_f32_e32 v1, v1, v1
	v_max_f32_e32 v0, v0, v0
	v_min_f32_e32 v6, v0, v1
	v_max_f32_e32 v0, v0, v1
	v_cndmask_b32_e32 v0, v0, v6, vcc
	v_and_b32_e32 v1, 0x7f800000, v0
	v_cmp_ne_u32_e64 s[26:27], s97, v1
                                        ; implicit-def: $vgpr20
	s_and_saveexec_b64 s[40:41], s[26:27]
	s_xor_b64 s[26:27], exec, s[40:41]
; %bb.1690:                             ;   in Loop: Header=BB29_47 Depth=1
	v_bfe_u32 v1, v0, 16, 1
	v_add3_u32 v20, v0, v1, s46
                                        ; implicit-def: $vgpr0
; %bb.1691:                             ;   in Loop: Header=BB29_47 Depth=1
	s_andn2_saveexec_b64 s[40:41], s[26:27]
; %bb.1692:                             ;   in Loop: Header=BB29_47 Depth=1
	v_or_b32_e32 v1, 0x10000, v0
	v_cmp_eq_u32_sdwa s[26:27], v0, v3 src0_sel:WORD_0 src1_sel:DWORD
	s_nop 1
	v_cndmask_b32_e64 v20, v1, v0, s[26:27]
; %bb.1693:                             ;   in Loop: Header=BB29_47 Depth=1
	s_or_b64 exec, exec, s[40:41]
	v_lshlrev_b32_e32 v0, 16, v37
	v_lshlrev_b32_e32 v1, 16, v21
	v_max_f32_e32 v1, v1, v1
	v_max_f32_e32 v0, v0, v0
	v_min_f32_e32 v6, v0, v1
	v_max_f32_e32 v0, v0, v1
	v_cndmask_b32_e32 v0, v0, v6, vcc
	v_and_b32_e32 v1, 0x7f800000, v0
	v_cmp_ne_u32_e64 s[26:27], s97, v1
                                        ; implicit-def: $vgpr30
	s_and_saveexec_b64 s[40:41], s[26:27]
	s_xor_b64 s[26:27], exec, s[40:41]
; %bb.1694:                             ;   in Loop: Header=BB29_47 Depth=1
	v_bfe_u32 v1, v0, 16, 1
	v_add3_u32 v30, v0, v1, s46
                                        ; implicit-def: $vgpr0
; %bb.1695:                             ;   in Loop: Header=BB29_47 Depth=1
	s_andn2_saveexec_b64 s[40:41], s[26:27]
; %bb.1696:                             ;   in Loop: Header=BB29_47 Depth=1
	v_or_b32_e32 v1, 0x10000, v0
	v_cmp_eq_u32_sdwa s[26:27], v0, v3 src0_sel:WORD_0 src1_sel:DWORD
	s_nop 1
	v_cndmask_b32_e64 v30, v1, v0, s[26:27]
; %bb.1697:                             ;   in Loop: Header=BB29_47 Depth=1
	s_or_b64 exec, exec, s[40:41]
	v_and_b32_e32 v0, 0xffff0000, v37
	v_and_b32_e32 v1, 0xffff0000, v21
	v_max_f32_e32 v1, v1, v1
	v_max_f32_e32 v0, v0, v0
	v_min_f32_e32 v6, v0, v1
	v_max_f32_e32 v0, v0, v1
	v_cndmask_b32_e32 v0, v0, v6, vcc
	v_and_b32_e32 v1, 0x7f800000, v0
	v_cmp_ne_u32_e64 s[26:27], s97, v1
                                        ; implicit-def: $vgpr21
	s_and_saveexec_b64 s[40:41], s[26:27]
	s_xor_b64 s[26:27], exec, s[40:41]
; %bb.1698:                             ;   in Loop: Header=BB29_47 Depth=1
	v_bfe_u32 v1, v0, 16, 1
	v_add3_u32 v21, v0, v1, s46
                                        ; implicit-def: $vgpr0
; %bb.1699:                             ;   in Loop: Header=BB29_47 Depth=1
	s_andn2_saveexec_b64 s[40:41], s[26:27]
; %bb.1700:                             ;   in Loop: Header=BB29_47 Depth=1
	v_or_b32_e32 v1, 0x10000, v0
	v_cmp_eq_u32_sdwa s[26:27], v0, v3 src0_sel:WORD_0 src1_sel:DWORD
	s_nop 1
	v_cndmask_b32_e64 v21, v1, v0, s[26:27]
; %bb.1701:                             ;   in Loop: Header=BB29_47 Depth=1
	s_or_b64 exec, exec, s[40:41]
	v_lshlrev_b32_e32 v0, 16, v38
	v_lshlrev_b32_e32 v1, 16, v22
	v_max_f32_e32 v1, v1, v1
	v_max_f32_e32 v0, v0, v0
	v_min_f32_e32 v6, v0, v1
	v_max_f32_e32 v0, v0, v1
	v_cndmask_b32_e32 v0, v0, v6, vcc
	v_and_b32_e32 v1, 0x7f800000, v0
	v_cmp_ne_u32_e64 s[26:27], s97, v1
                                        ; implicit-def: $vgpr6
	s_and_saveexec_b64 s[40:41], s[26:27]
	s_xor_b64 s[26:27], exec, s[40:41]
; %bb.1702:                             ;   in Loop: Header=BB29_47 Depth=1
	v_bfe_u32 v1, v0, 16, 1
	v_add3_u32 v6, v0, v1, s46
                                        ; implicit-def: $vgpr0
; %bb.1703:                             ;   in Loop: Header=BB29_47 Depth=1
	s_andn2_saveexec_b64 s[40:41], s[26:27]
; %bb.1704:                             ;   in Loop: Header=BB29_47 Depth=1
	v_or_b32_e32 v1, 0x10000, v0
	v_cmp_eq_u32_sdwa s[26:27], v0, v3 src0_sel:WORD_0 src1_sel:DWORD
	s_nop 1
	v_cndmask_b32_e64 v6, v1, v0, s[26:27]
; %bb.1705:                             ;   in Loop: Header=BB29_47 Depth=1
	s_or_b64 exec, exec, s[40:41]
	v_and_b32_e32 v0, 0xffff0000, v38
	v_and_b32_e32 v1, 0xffff0000, v22
	v_max_f32_e32 v1, v1, v1
	v_max_f32_e32 v0, v0, v0
	v_min_f32_e32 v7, v0, v1
	v_max_f32_e32 v0, v0, v1
	v_cndmask_b32_e32 v0, v0, v7, vcc
	v_and_b32_e32 v1, 0x7f800000, v0
	v_cmp_ne_u32_e64 s[26:27], s97, v1
                                        ; implicit-def: $vgpr7
	s_and_saveexec_b64 s[40:41], s[26:27]
	s_xor_b64 s[26:27], exec, s[40:41]
; %bb.1706:                             ;   in Loop: Header=BB29_47 Depth=1
	v_bfe_u32 v1, v0, 16, 1
	v_add3_u32 v7, v0, v1, s46
                                        ; implicit-def: $vgpr0
; %bb.1707:                             ;   in Loop: Header=BB29_47 Depth=1
	s_andn2_saveexec_b64 s[40:41], s[26:27]
; %bb.1708:                             ;   in Loop: Header=BB29_47 Depth=1
	v_or_b32_e32 v1, 0x10000, v0
	v_cmp_eq_u32_sdwa s[26:27], v0, v3 src0_sel:WORD_0 src1_sel:DWORD
	s_nop 1
	v_cndmask_b32_e64 v7, v1, v0, s[26:27]
; %bb.1709:                             ;   in Loop: Header=BB29_47 Depth=1
	s_or_b64 exec, exec, s[40:41]
	v_lshlrev_b32_e32 v0, 16, v39
	v_lshlrev_b32_e32 v1, 16, v23
	v_max_f32_e32 v1, v1, v1
	v_max_f32_e32 v0, v0, v0
	v_min_f32_e32 v22, v0, v1
	v_max_f32_e32 v0, v0, v1
	v_cndmask_b32_e32 v0, v0, v22, vcc
	v_and_b32_e32 v1, 0x7f800000, v0
	v_cmp_ne_u32_e64 s[26:27], s97, v1
                                        ; implicit-def: $vgpr22
	s_and_saveexec_b64 s[40:41], s[26:27]
	s_xor_b64 s[26:27], exec, s[40:41]
; %bb.1710:                             ;   in Loop: Header=BB29_47 Depth=1
	v_bfe_u32 v1, v0, 16, 1
	v_add3_u32 v22, v0, v1, s46
                                        ; implicit-def: $vgpr0
; %bb.1711:                             ;   in Loop: Header=BB29_47 Depth=1
	s_andn2_saveexec_b64 s[40:41], s[26:27]
; %bb.1712:                             ;   in Loop: Header=BB29_47 Depth=1
	v_or_b32_e32 v1, 0x10000, v0
	v_cmp_eq_u32_sdwa s[26:27], v0, v3 src0_sel:WORD_0 src1_sel:DWORD
	s_nop 1
	v_cndmask_b32_e64 v22, v1, v0, s[26:27]
; %bb.1713:                             ;   in Loop: Header=BB29_47 Depth=1
	s_or_b64 exec, exec, s[40:41]
	v_and_b32_e32 v0, 0xffff0000, v39
	v_and_b32_e32 v1, 0xffff0000, v23
	v_max_f32_e32 v1, v1, v1
	v_max_f32_e32 v0, v0, v0
	v_min_f32_e32 v23, v0, v1
	v_max_f32_e32 v0, v0, v1
	v_cndmask_b32_e32 v0, v0, v23, vcc
	v_and_b32_e32 v1, 0x7f800000, v0
	v_cmp_ne_u32_e64 s[26:27], s97, v1
                                        ; implicit-def: $vgpr23
	s_and_saveexec_b64 s[40:41], s[26:27]
	s_xor_b64 s[26:27], exec, s[40:41]
; %bb.1714:                             ;   in Loop: Header=BB29_47 Depth=1
	v_bfe_u32 v1, v0, 16, 1
	v_add3_u32 v23, v0, v1, s46
                                        ; implicit-def: $vgpr0
; %bb.1715:                             ;   in Loop: Header=BB29_47 Depth=1
	s_andn2_saveexec_b64 s[40:41], s[26:27]
; %bb.1716:                             ;   in Loop: Header=BB29_47 Depth=1
	v_or_b32_e32 v1, 0x10000, v0
	v_cmp_eq_u32_sdwa s[26:27], v0, v3 src0_sel:WORD_0 src1_sel:DWORD
	s_nop 1
	v_cndmask_b32_e64 v23, v1, v0, s[26:27]
; %bb.1717:                             ;   in Loop: Header=BB29_47 Depth=1
	s_or_b64 exec, exec, s[40:41]
	v_lshlrev_b32_e32 v0, 16, v24
	v_lshlrev_b32_e32 v1, 16, v16
	v_max_f32_e32 v1, v1, v1
	v_max_f32_e32 v0, v0, v0
	v_min_f32_e32 v36, v0, v1
	v_max_f32_e32 v0, v0, v1
	v_cndmask_b32_e32 v0, v0, v36, vcc
	v_and_b32_e32 v1, 0x7f800000, v0
	v_cmp_ne_u32_e64 s[26:27], s97, v1
                                        ; implicit-def: $vgpr36
	s_and_saveexec_b64 s[40:41], s[26:27]
	s_xor_b64 s[26:27], exec, s[40:41]
; %bb.1718:                             ;   in Loop: Header=BB29_47 Depth=1
	v_bfe_u32 v1, v0, 16, 1
	v_add3_u32 v36, v0, v1, s46
                                        ; implicit-def: $vgpr0
; %bb.1719:                             ;   in Loop: Header=BB29_47 Depth=1
	s_andn2_saveexec_b64 s[40:41], s[26:27]
; %bb.1720:                             ;   in Loop: Header=BB29_47 Depth=1
	v_or_b32_e32 v1, 0x10000, v0
	v_cmp_eq_u32_sdwa s[26:27], v0, v3 src0_sel:WORD_0 src1_sel:DWORD
	s_nop 1
	v_cndmask_b32_e64 v36, v1, v0, s[26:27]
; %bb.1721:                             ;   in Loop: Header=BB29_47 Depth=1
	s_or_b64 exec, exec, s[40:41]
	v_and_b32_e32 v0, 0xffff0000, v24
	v_and_b32_e32 v1, 0xffff0000, v16
	v_max_f32_e32 v1, v1, v1
	v_max_f32_e32 v0, v0, v0
	v_min_f32_e32 v16, v0, v1
	v_max_f32_e32 v0, v0, v1
	v_cndmask_b32_e32 v0, v0, v16, vcc
	v_and_b32_e32 v1, 0x7f800000, v0
	v_cmp_ne_u32_e64 s[26:27], s97, v1
                                        ; implicit-def: $vgpr16
	s_and_saveexec_b64 s[40:41], s[26:27]
	s_xor_b64 s[26:27], exec, s[40:41]
; %bb.1722:                             ;   in Loop: Header=BB29_47 Depth=1
	v_bfe_u32 v1, v0, 16, 1
	v_add3_u32 v16, v0, v1, s46
                                        ; implicit-def: $vgpr0
; %bb.1723:                             ;   in Loop: Header=BB29_47 Depth=1
	s_andn2_saveexec_b64 s[40:41], s[26:27]
; %bb.1724:                             ;   in Loop: Header=BB29_47 Depth=1
	v_or_b32_e32 v1, 0x10000, v0
	v_cmp_eq_u32_sdwa s[26:27], v0, v3 src0_sel:WORD_0 src1_sel:DWORD
	s_nop 1
	v_cndmask_b32_e64 v16, v1, v0, s[26:27]
; %bb.1725:                             ;   in Loop: Header=BB29_47 Depth=1
	s_or_b64 exec, exec, s[40:41]
	v_lshlrev_b32_e32 v0, 16, v25
	v_lshlrev_b32_e32 v1, 16, v17
	v_max_f32_e32 v1, v1, v1
	v_max_f32_e32 v0, v0, v0
	v_min_f32_e32 v24, v0, v1
	v_max_f32_e32 v0, v0, v1
	v_cndmask_b32_e32 v0, v0, v24, vcc
	v_and_b32_e32 v1, 0x7f800000, v0
	v_cmp_ne_u32_e64 s[26:27], s97, v1
                                        ; implicit-def: $vgpr24
	s_and_saveexec_b64 s[40:41], s[26:27]
	s_xor_b64 s[26:27], exec, s[40:41]
; %bb.1726:                             ;   in Loop: Header=BB29_47 Depth=1
	v_bfe_u32 v1, v0, 16, 1
	v_add3_u32 v24, v0, v1, s46
                                        ; implicit-def: $vgpr0
; %bb.1727:                             ;   in Loop: Header=BB29_47 Depth=1
	s_andn2_saveexec_b64 s[40:41], s[26:27]
; %bb.1728:                             ;   in Loop: Header=BB29_47 Depth=1
	v_or_b32_e32 v1, 0x10000, v0
	v_cmp_eq_u32_sdwa s[26:27], v0, v3 src0_sel:WORD_0 src1_sel:DWORD
	s_nop 1
	v_cndmask_b32_e64 v24, v1, v0, s[26:27]
; %bb.1729:                             ;   in Loop: Header=BB29_47 Depth=1
	s_or_b64 exec, exec, s[40:41]
	v_and_b32_e32 v0, 0xffff0000, v25
	v_and_b32_e32 v1, 0xffff0000, v17
	v_max_f32_e32 v1, v1, v1
	v_max_f32_e32 v0, v0, v0
	v_min_f32_e32 v17, v0, v1
	v_max_f32_e32 v0, v0, v1
	v_cndmask_b32_e32 v0, v0, v17, vcc
	v_and_b32_e32 v1, 0x7f800000, v0
	v_cmp_ne_u32_e64 s[26:27], s97, v1
                                        ; implicit-def: $vgpr17
	s_and_saveexec_b64 s[40:41], s[26:27]
	s_xor_b64 s[26:27], exec, s[40:41]
; %bb.1730:                             ;   in Loop: Header=BB29_47 Depth=1
	v_bfe_u32 v1, v0, 16, 1
	v_add3_u32 v17, v0, v1, s46
                                        ; implicit-def: $vgpr0
; %bb.1731:                             ;   in Loop: Header=BB29_47 Depth=1
	s_andn2_saveexec_b64 s[40:41], s[26:27]
; %bb.1732:                             ;   in Loop: Header=BB29_47 Depth=1
	v_or_b32_e32 v1, 0x10000, v0
	v_cmp_eq_u32_sdwa s[26:27], v0, v3 src0_sel:WORD_0 src1_sel:DWORD
	s_nop 1
	v_cndmask_b32_e64 v17, v1, v0, s[26:27]
; %bb.1733:                             ;   in Loop: Header=BB29_47 Depth=1
	s_or_b64 exec, exec, s[40:41]
	v_lshlrev_b32_e32 v0, 16, v26
	v_lshlrev_b32_e32 v1, 16, v18
	v_max_f32_e32 v1, v1, v1
	v_max_f32_e32 v0, v0, v0
	v_min_f32_e32 v25, v0, v1
	v_max_f32_e32 v0, v0, v1
	v_cndmask_b32_e32 v1, v0, v25, vcc
	v_and_b32_e32 v0, 0x7f800000, v1
	v_cmp_ne_u32_e64 s[26:27], s97, v0
                                        ; implicit-def: $vgpr0
	s_and_saveexec_b64 s[40:41], s[26:27]
	s_xor_b64 s[26:27], exec, s[40:41]
; %bb.1734:                             ;   in Loop: Header=BB29_47 Depth=1
	v_bfe_u32 v0, v1, 16, 1
	v_add3_u32 v0, v1, v0, s46
                                        ; implicit-def: $vgpr1
; %bb.1735:                             ;   in Loop: Header=BB29_47 Depth=1
	s_andn2_saveexec_b64 s[40:41], s[26:27]
; %bb.1736:                             ;   in Loop: Header=BB29_47 Depth=1
	v_or_b32_e32 v0, 0x10000, v1
	v_cmp_eq_u32_sdwa s[26:27], v1, v3 src0_sel:WORD_0 src1_sel:DWORD
	s_nop 1
	v_cndmask_b32_e64 v0, v0, v1, s[26:27]
; %bb.1737:                             ;   in Loop: Header=BB29_47 Depth=1
	s_or_b64 exec, exec, s[40:41]
	v_and_b32_e32 v1, 0xffff0000, v26
	v_and_b32_e32 v18, 0xffff0000, v18
	v_max_f32_e32 v18, v18, v18
	v_max_f32_e32 v1, v1, v1
	v_min_f32_e32 v25, v1, v18
	v_max_f32_e32 v1, v1, v18
	v_cndmask_b32_e32 v1, v1, v25, vcc
	v_and_b32_e32 v18, 0x7f800000, v1
	v_cmp_ne_u32_e64 s[26:27], s97, v18
                                        ; implicit-def: $vgpr18
	s_and_saveexec_b64 s[40:41], s[26:27]
	s_xor_b64 s[26:27], exec, s[40:41]
; %bb.1738:                             ;   in Loop: Header=BB29_47 Depth=1
	v_bfe_u32 v18, v1, 16, 1
	v_add3_u32 v18, v1, v18, s46
                                        ; implicit-def: $vgpr1
; %bb.1739:                             ;   in Loop: Header=BB29_47 Depth=1
	s_andn2_saveexec_b64 s[40:41], s[26:27]
; %bb.1740:                             ;   in Loop: Header=BB29_47 Depth=1
	v_or_b32_e32 v18, 0x10000, v1
	v_cmp_eq_u32_sdwa s[26:27], v1, v3 src0_sel:WORD_0 src1_sel:DWORD
	s_nop 1
	v_cndmask_b32_e64 v18, v18, v1, s[26:27]
; %bb.1741:                             ;   in Loop: Header=BB29_47 Depth=1
	s_or_b64 exec, exec, s[40:41]
	v_lshlrev_b32_e32 v1, 16, v27
	v_lshlrev_b32_e32 v25, 16, v19
	v_max_f32_e32 v25, v25, v25
	v_max_f32_e32 v1, v1, v1
	v_min_f32_e32 v26, v1, v25
	v_max_f32_e32 v1, v1, v25
	v_cndmask_b32_e32 v1, v1, v26, vcc
	v_and_b32_e32 v25, 0x7f800000, v1
	v_cmp_ne_u32_e64 s[26:27], s97, v25
                                        ; implicit-def: $vgpr25
	s_and_saveexec_b64 s[40:41], s[26:27]
	s_xor_b64 s[26:27], exec, s[40:41]
; %bb.1742:                             ;   in Loop: Header=BB29_47 Depth=1
	v_bfe_u32 v25, v1, 16, 1
	v_add3_u32 v25, v1, v25, s46
                                        ; implicit-def: $vgpr1
; %bb.1743:                             ;   in Loop: Header=BB29_47 Depth=1
	s_andn2_saveexec_b64 s[40:41], s[26:27]
; %bb.1744:                             ;   in Loop: Header=BB29_47 Depth=1
	v_or_b32_e32 v25, 0x10000, v1
	v_cmp_eq_u32_sdwa s[26:27], v1, v3 src0_sel:WORD_0 src1_sel:DWORD
	s_nop 1
	v_cndmask_b32_e64 v25, v25, v1, s[26:27]
; %bb.1745:                             ;   in Loop: Header=BB29_47 Depth=1
	s_or_b64 exec, exec, s[40:41]
	v_and_b32_e32 v1, 0xffff0000, v27
	v_and_b32_e32 v19, 0xffff0000, v19
	v_max_f32_e32 v19, v19, v19
	v_max_f32_e32 v1, v1, v1
	v_min_f32_e32 v26, v1, v19
	v_max_f32_e32 v1, v1, v19
	v_cndmask_b32_e32 v1, v1, v26, vcc
	v_and_b32_e32 v19, 0x7f800000, v1
	v_cmp_ne_u32_e64 s[26:27], s97, v19
                                        ; implicit-def: $vgpr19
	s_and_saveexec_b64 s[40:41], s[26:27]
	s_xor_b64 s[26:27], exec, s[40:41]
; %bb.1746:                             ;   in Loop: Header=BB29_47 Depth=1
	v_bfe_u32 v19, v1, 16, 1
	v_add3_u32 v19, v1, v19, s46
                                        ; implicit-def: $vgpr1
; %bb.1747:                             ;   in Loop: Header=BB29_47 Depth=1
	s_andn2_saveexec_b64 s[40:41], s[26:27]
; %bb.1748:                             ;   in Loop: Header=BB29_47 Depth=1
	v_or_b32_e32 v19, 0x10000, v1
	v_cmp_eq_u32_sdwa s[26:27], v1, v3 src0_sel:WORD_0 src1_sel:DWORD
	s_nop 1
	v_cndmask_b32_e64 v19, v19, v1, s[26:27]
; %bb.1749:                             ;   in Loop: Header=BB29_47 Depth=1
	s_or_b64 exec, exec, s[40:41]
	v_lshlrev_b32_e32 v1, 16, v12
	v_lshlrev_b32_e32 v26, 16, v8
	v_max_f32_e32 v26, v26, v26
	v_max_f32_e32 v1, v1, v1
	v_min_f32_e32 v27, v1, v26
	v_max_f32_e32 v1, v1, v26
	v_cndmask_b32_e32 v1, v1, v27, vcc
	v_and_b32_e32 v26, 0x7f800000, v1
	v_cmp_ne_u32_e64 s[26:27], s97, v26
                                        ; implicit-def: $vgpr26
	s_and_saveexec_b64 s[40:41], s[26:27]
	s_xor_b64 s[26:27], exec, s[40:41]
; %bb.1750:                             ;   in Loop: Header=BB29_47 Depth=1
	v_bfe_u32 v26, v1, 16, 1
	v_add3_u32 v26, v1, v26, s46
                                        ; implicit-def: $vgpr1
; %bb.1751:                             ;   in Loop: Header=BB29_47 Depth=1
	s_andn2_saveexec_b64 s[40:41], s[26:27]
; %bb.1752:                             ;   in Loop: Header=BB29_47 Depth=1
	v_or_b32_e32 v26, 0x10000, v1
	v_cmp_eq_u32_sdwa s[26:27], v1, v3 src0_sel:WORD_0 src1_sel:DWORD
	s_nop 1
	v_cndmask_b32_e64 v26, v26, v1, s[26:27]
; %bb.1753:                             ;   in Loop: Header=BB29_47 Depth=1
	s_or_b64 exec, exec, s[40:41]
	v_and_b32_e32 v1, 0xffff0000, v12
	v_and_b32_e32 v8, 0xffff0000, v8
	v_max_f32_e32 v8, v8, v8
	v_max_f32_e32 v1, v1, v1
	v_min_f32_e32 v12, v1, v8
	v_max_f32_e32 v1, v1, v8
	v_cndmask_b32_e32 v1, v1, v12, vcc
	v_and_b32_e32 v8, 0x7f800000, v1
	v_cmp_ne_u32_e64 s[26:27], s97, v8
                                        ; implicit-def: $vgpr8
	s_and_saveexec_b64 s[40:41], s[26:27]
	s_xor_b64 s[26:27], exec, s[40:41]
; %bb.1754:                             ;   in Loop: Header=BB29_47 Depth=1
	v_bfe_u32 v8, v1, 16, 1
	v_add3_u32 v8, v1, v8, s46
                                        ; implicit-def: $vgpr1
; %bb.1755:                             ;   in Loop: Header=BB29_47 Depth=1
	s_andn2_saveexec_b64 s[40:41], s[26:27]
; %bb.1756:                             ;   in Loop: Header=BB29_47 Depth=1
	v_or_b32_e32 v8, 0x10000, v1
	v_cmp_eq_u32_sdwa s[26:27], v1, v3 src0_sel:WORD_0 src1_sel:DWORD
	s_nop 1
	v_cndmask_b32_e64 v8, v8, v1, s[26:27]
; %bb.1757:                             ;   in Loop: Header=BB29_47 Depth=1
	s_or_b64 exec, exec, s[40:41]
	v_lshlrev_b32_e32 v1, 16, v13
	v_lshlrev_b32_e32 v12, 16, v9
	v_max_f32_e32 v12, v12, v12
	v_max_f32_e32 v1, v1, v1
	v_min_f32_e32 v27, v1, v12
	v_max_f32_e32 v1, v1, v12
	v_cndmask_b32_e32 v1, v1, v27, vcc
	v_and_b32_e32 v12, 0x7f800000, v1
	v_cmp_ne_u32_e64 s[26:27], s97, v12
                                        ; implicit-def: $vgpr12
	s_and_saveexec_b64 s[40:41], s[26:27]
	s_xor_b64 s[26:27], exec, s[40:41]
; %bb.1758:                             ;   in Loop: Header=BB29_47 Depth=1
	v_bfe_u32 v12, v1, 16, 1
	v_add3_u32 v12, v1, v12, s46
                                        ; implicit-def: $vgpr1
; %bb.1759:                             ;   in Loop: Header=BB29_47 Depth=1
	s_andn2_saveexec_b64 s[40:41], s[26:27]
; %bb.1760:                             ;   in Loop: Header=BB29_47 Depth=1
	v_or_b32_e32 v12, 0x10000, v1
	v_cmp_eq_u32_sdwa s[26:27], v1, v3 src0_sel:WORD_0 src1_sel:DWORD
	s_nop 1
	v_cndmask_b32_e64 v12, v12, v1, s[26:27]
; %bb.1761:                             ;   in Loop: Header=BB29_47 Depth=1
	s_or_b64 exec, exec, s[40:41]
	v_and_b32_e32 v1, 0xffff0000, v13
	v_and_b32_e32 v9, 0xffff0000, v9
	v_max_f32_e32 v9, v9, v9
	v_max_f32_e32 v1, v1, v1
	v_min_f32_e32 v13, v1, v9
	v_max_f32_e32 v1, v1, v9
	v_cndmask_b32_e32 v1, v1, v13, vcc
	v_and_b32_e32 v9, 0x7f800000, v1
	v_cmp_ne_u32_e64 s[26:27], s97, v9
                                        ; implicit-def: $vgpr9
	s_and_saveexec_b64 s[40:41], s[26:27]
	s_xor_b64 s[26:27], exec, s[40:41]
; %bb.1762:                             ;   in Loop: Header=BB29_47 Depth=1
	v_bfe_u32 v9, v1, 16, 1
	v_add3_u32 v9, v1, v9, s46
                                        ; implicit-def: $vgpr1
; %bb.1763:                             ;   in Loop: Header=BB29_47 Depth=1
	s_andn2_saveexec_b64 s[40:41], s[26:27]
; %bb.1764:                             ;   in Loop: Header=BB29_47 Depth=1
	v_or_b32_e32 v9, 0x10000, v1
	v_cmp_eq_u32_sdwa s[26:27], v1, v3 src0_sel:WORD_0 src1_sel:DWORD
	s_nop 1
	v_cndmask_b32_e64 v9, v9, v1, s[26:27]
; %bb.1765:                             ;   in Loop: Header=BB29_47 Depth=1
	s_or_b64 exec, exec, s[40:41]
	v_lshlrev_b32_e32 v1, 16, v14
	v_lshlrev_b32_e32 v13, 16, v10
	v_max_f32_e32 v13, v13, v13
	v_max_f32_e32 v1, v1, v1
	v_min_f32_e32 v27, v1, v13
	v_max_f32_e32 v1, v1, v13
	v_cndmask_b32_e32 v1, v1, v27, vcc
	v_and_b32_e32 v13, 0x7f800000, v1
	v_cmp_ne_u32_e64 s[26:27], s97, v13
                                        ; implicit-def: $vgpr13
	s_and_saveexec_b64 s[40:41], s[26:27]
	s_xor_b64 s[26:27], exec, s[40:41]
; %bb.1766:                             ;   in Loop: Header=BB29_47 Depth=1
	v_bfe_u32 v13, v1, 16, 1
	v_add3_u32 v13, v1, v13, s46
                                        ; implicit-def: $vgpr1
; %bb.1767:                             ;   in Loop: Header=BB29_47 Depth=1
	s_andn2_saveexec_b64 s[40:41], s[26:27]
; %bb.1768:                             ;   in Loop: Header=BB29_47 Depth=1
	v_or_b32_e32 v13, 0x10000, v1
	v_cmp_eq_u32_sdwa s[26:27], v1, v3 src0_sel:WORD_0 src1_sel:DWORD
	s_nop 1
	v_cndmask_b32_e64 v13, v13, v1, s[26:27]
; %bb.1769:                             ;   in Loop: Header=BB29_47 Depth=1
	s_or_b64 exec, exec, s[40:41]
	v_and_b32_e32 v1, 0xffff0000, v14
	v_and_b32_e32 v10, 0xffff0000, v10
	v_max_f32_e32 v10, v10, v10
	v_max_f32_e32 v1, v1, v1
	v_min_f32_e32 v14, v1, v10
	v_max_f32_e32 v1, v1, v10
	v_cndmask_b32_e32 v1, v1, v14, vcc
	v_and_b32_e32 v10, 0x7f800000, v1
	v_cmp_ne_u32_e64 s[26:27], s97, v10
                                        ; implicit-def: $vgpr10
	s_and_saveexec_b64 s[40:41], s[26:27]
	s_xor_b64 s[26:27], exec, s[40:41]
; %bb.1770:                             ;   in Loop: Header=BB29_47 Depth=1
	v_bfe_u32 v10, v1, 16, 1
	v_add3_u32 v10, v1, v10, s46
                                        ; implicit-def: $vgpr1
; %bb.1771:                             ;   in Loop: Header=BB29_47 Depth=1
	s_andn2_saveexec_b64 s[40:41], s[26:27]
; %bb.1772:                             ;   in Loop: Header=BB29_47 Depth=1
	v_or_b32_e32 v10, 0x10000, v1
	v_cmp_eq_u32_sdwa s[26:27], v1, v3 src0_sel:WORD_0 src1_sel:DWORD
	s_nop 1
	v_cndmask_b32_e64 v10, v10, v1, s[26:27]
; %bb.1773:                             ;   in Loop: Header=BB29_47 Depth=1
	s_or_b64 exec, exec, s[40:41]
	v_lshlrev_b32_e32 v1, 16, v15
	v_lshlrev_b32_e32 v14, 16, v11
	v_max_f32_e32 v14, v14, v14
	v_max_f32_e32 v1, v1, v1
	v_min_f32_e32 v27, v1, v14
	v_max_f32_e32 v1, v1, v14
	v_cndmask_b32_e32 v14, v1, v27, vcc
	v_and_b32_e32 v1, 0x7f800000, v14
	v_cmp_ne_u32_e64 s[26:27], s97, v1
                                        ; implicit-def: $vgpr1
	s_and_saveexec_b64 s[40:41], s[26:27]
	s_xor_b64 s[26:27], exec, s[40:41]
; %bb.1774:                             ;   in Loop: Header=BB29_47 Depth=1
	v_bfe_u32 v1, v14, 16, 1
	v_add3_u32 v1, v14, v1, s46
                                        ; implicit-def: $vgpr14
; %bb.1775:                             ;   in Loop: Header=BB29_47 Depth=1
	s_andn2_saveexec_b64 s[40:41], s[26:27]
; %bb.1776:                             ;   in Loop: Header=BB29_47 Depth=1
	v_or_b32_e32 v1, 0x10000, v14
	v_cmp_eq_u32_sdwa s[26:27], v14, v3 src0_sel:WORD_0 src1_sel:DWORD
	s_nop 1
	v_cndmask_b32_e64 v1, v1, v14, s[26:27]
; %bb.1777:                             ;   in Loop: Header=BB29_47 Depth=1
	s_or_b64 exec, exec, s[40:41]
	v_and_b32_e32 v14, 0xffff0000, v15
	v_and_b32_e32 v11, 0xffff0000, v11
	v_max_f32_e32 v11, v11, v11
	v_max_f32_e32 v14, v14, v14
	v_min_f32_e32 v15, v14, v11
	v_max_f32_e32 v11, v14, v11
	v_cndmask_b32_e32 v14, v11, v15, vcc
	v_and_b32_e32 v11, 0x7f800000, v14
	v_cmp_ne_u32_e32 vcc, s97, v11
                                        ; implicit-def: $vgpr11
	s_and_saveexec_b64 s[26:27], vcc
	s_xor_b64 s[26:27], exec, s[26:27]
; %bb.1778:                             ;   in Loop: Header=BB29_47 Depth=1
	v_bfe_u32 v11, v14, 16, 1
	v_add3_u32 v11, v14, v11, s46
                                        ; implicit-def: $vgpr14
; %bb.1779:                             ;   in Loop: Header=BB29_47 Depth=1
	s_andn2_saveexec_b64 s[26:27], s[26:27]
; %bb.1780:                             ;   in Loop: Header=BB29_47 Depth=1
	v_or_b32_e32 v11, 0x10000, v14
	v_cmp_eq_u32_sdwa vcc, v14, v3 src0_sel:WORD_0 src1_sel:DWORD
	s_nop 1
	v_cndmask_b32_e32 v11, v11, v14, vcc
; %bb.1781:                             ;   in Loop: Header=BB29_47 Depth=1
	s_or_b64 exec, exec, s[26:27]
	v_lshrrev_b32_e32 v14, 16, v24
	v_and_or_b32 v15, v17, s47, v14
	v_lshrrev_b32_e32 v14, 16, v36
	v_lshrrev_b32_e32 v0, 16, v0
	v_and_or_b32 v14, v16, s47, v14
	v_and_or_b32 v16, v18, s47, v0
	v_lshrrev_b32_e32 v0, 16, v25
	v_and_or_b32 v17, v19, s47, v0
	v_lshrrev_b32_e32 v0, 16, v30
	;; [unrolled: 2-line block ×13, first 2 shown]
	v_and_or_b32 v9, v11, s47, v0
	global_store_dwordx4 v[4:5], v[22:25], off
	global_store_dwordx4 v[4:5], v[18:21], off offset:1024
	global_store_dwordx4 v[4:5], v[14:17], off offset:2048
	;; [unrolled: 1-line block ×3, first 2 shown]
	global_store_dwordx4 v[72:73], v[22:25], off
	global_store_dwordx4 v[72:73], v[18:21], off offset:1024
	global_store_dwordx4 v[72:73], v[14:17], off offset:2048
	;; [unrolled: 1-line block ×3, first 2 shown]
.LBB29_1782:                            ;   in Loop: Header=BB29_47 Depth=1
	s_or_b64 exec, exec, s[28:29]
	v_lshlrev_b32_e32 v22, 12, v121
	v_cmp_ne_u32_e32 vcc, v29, v22
                                        ; implicit-def: $vgpr15
                                        ; implicit-def: $vgpr14
                                        ; implicit-def: $vgpr0
                                        ; implicit-def: $vgpr16
	s_mov_b64 s[34:35], exec
	scratch_load_dwordx2 v[120:121], off, s33 offset:412 ; 8-byte Folded Reload
	s_and_b64 s[26:27], s[34:35], vcc
	s_mov_b64 exec, s[26:27]
	s_cbranch_execz .LBB29_1902
; %bb.1783:                             ;   in Loop: Header=BB29_47 Depth=1
	scratch_load_dword v4, off, s33 offset:320 ; 4-byte Folded Reload
	v_lshlrev_b32_e32 v1, 6, v79
	v_sub_u32_e32 v0, v29, v22
	s_mov_b64 s[28:29], 0
	s_waitcnt vmcnt(0)
	v_and_b32_e32 v4, 63, v4
	v_sub_u32_e32 v1, v4, v1
	v_ashrrev_i32_e32 v4, 31, v1
	v_lshrrev_b32_e32 v4, 26, v4
	v_add_u32_e32 v4, v1, v4
	v_ashrrev_i32_e32 v5, 6, v4
	v_and_b32_e32 v4, 0xffffffc0, v4
	v_sub_u32_e32 v23, v1, v4
	v_lshlrev_b32_e32 v1, 4, v23
	v_lshl_add_u32 v1, v5, 10, v1
	v_add_u32_e32 v8, v1, v22
	v_sub_u32_e32 v27, v0, v1
	v_ashrrev_i32_e32 v1, 31, v0
	v_lshrrev_b32_e32 v1, 22, v1
	v_add_u32_e32 v1, v0, v1
	v_and_b32_e32 v24, 0xfffffc00, v1
	v_sub_u32_e32 v25, v0, v24
	v_ashrrev_i32_e32 v4, 10, v1
	v_cmp_lt_i32_e64 s[26:27], 15, v25
	v_ashrrev_i32_e32 v9, 31, v8
	v_lshl_add_u64 v[16:17], v[8:9], 0, v[114:115]
	v_addc_co_u32_e64 v0, vcc, 0, v4, s[26:27]
	v_sub_u32_e32 v26, v0, v5
	v_lshl_add_u64 v[4:5], v[8:9], 0, v[112:113]
	v_cmp_lt_i32_e32 vcc, 15, v27
	s_and_saveexec_b64 s[36:37], vcc
	s_cbranch_execz .LBB29_1864
; %bb.1784:                             ;   in Loop: Header=BB29_47 Depth=1
	s_trap 2
	scratch_load_dwordx2 v[6:7], off, s33 offset:372 ; 8-byte Folded Reload
	ds_read_b64 v[0:1], v0
	s_and_b32 s13, 0xffff, s45
	s_cmp_eq_u32 s13, 0
	s_mov_b64 s[50:51], 0
	s_mov_b64 s[38:39], 0
	s_waitcnt lgkmcnt(0)
	v_lshl_add_u64 v[20:21], v[0:1], 0, v[8:9]
	s_cselect_b64 s[28:29], -1, 0
                                        ; implicit-def: $sgpr48_sgpr49
	s_waitcnt vmcnt(0)
	v_lshl_add_u64 v[18:19], v[8:9], 0, v[6:7]
	s_branch .LBB29_1786
.LBB29_1785:                            ;   in Loop: Header=BB29_1786 Depth=2
	s_or_b64 exec, exec, s[40:41]
	v_cmp_gt_i32_e32 vcc, 16, v27
	s_or_b64 s[38:39], vcc, s[38:39]
	s_andn2_b64 s[40:41], s[48:49], exec
	s_and_b64 s[42:43], s[50:51], exec
	s_or_b64 s[48:49], s[40:41], s[42:43]
	s_andn2_b64 exec, exec, s[38:39]
	s_cbranch_execz .LBB29_1863
.LBB29_1786:                            ;   Parent Loop BB29_47 Depth=1
                                        ; =>  This Loop Header: Depth=2
                                        ;       Child Loop BB29_1787 Depth 3
                                        ;       Child Loop BB29_1822 Depth 3
	;; [unrolled: 1-line block ×4, first 2 shown]
	s_add_i32 s13, s33, 0xc0
	s_mov_b32 s81, s13
	s_mov_b64 s[52:53], -1
	s_mov_b64 s[54:55], 0
.LBB29_1787:                            ;   Parent Loop BB29_47 Depth=1
                                        ;     Parent Loop BB29_1786 Depth=2
                                        ; =>    This Inner Loop Header: Depth=3
	s_cmp_eq_u32 s54, 1
	s_cselect_b64 vcc, -1, 0
	v_cndmask_b32_e32 v1, v19, v21, vcc
	v_cndmask_b32_e32 v0, v18, v20, vcc
	global_load_dwordx4 v[6:9], v[0:1], off nt
	s_cmp_eq_u32 s54, 0
	v_lshl_add_u64 v[0:1], v[0:1], 0, s[60:61]
	s_cselect_b64 s[40:41], -1, 0
	s_and_b64 s[42:43], exec, s[52:53]
	s_mov_b64 s[54:55], 1
	s_mov_b64 s[52:53], 0
	v_cndmask_b32_e64 v19, v19, v1, s[40:41]
	v_cndmask_b32_e64 v18, v18, v0, s[40:41]
	v_cndmask_b32_e32 v21, v21, v1, vcc
	v_cndmask_b32_e32 v20, v20, v0, vcc
	s_mov_b64 vcc, s[42:43]
	s_waitcnt vmcnt(0)
	scratch_store_dwordx4 off, v[6:9], s81
	s_mov_b32 s81, s12
	s_cbranch_vccnz .LBB29_1787
; %bb.1788:                             ;   in Loop: Header=BB29_1786 Depth=2
	s_and_saveexec_b64 s[52:53], s[50:51]
	s_cbranch_execz .LBB29_1824
; %bb.1789:                             ;   in Loop: Header=BB29_1786 Depth=2
	scratch_load_dwordx4 v[8:11], off, s33 offset:224
	scratch_load_dwordx4 v[12:15], off, s33 offset:240
	s_waitcnt vmcnt(1)
	v_lshlrev_b32_e32 v0, 16, v8
	s_waitcnt vmcnt(0)
	v_lshlrev_b32_e32 v1, 16, v12
	v_max_f32_e32 v1, v1, v1
	v_max_f32_e32 v0, v0, v0
	v_min_f32_e32 v6, v0, v1
	v_max_f32_e32 v0, v0, v1
	v_cndmask_b32_e64 v1, v0, v6, s[28:29]
	v_and_b32_e32 v0, 0x7f800000, v1
	v_cmp_ne_u32_e32 vcc, s97, v0
                                        ; implicit-def: $vgpr0
	s_and_saveexec_b64 s[40:41], vcc
	s_xor_b64 s[40:41], exec, s[40:41]
; %bb.1790:                             ;   in Loop: Header=BB29_1786 Depth=2
	v_bfe_u32 v0, v1, 16, 1
	v_add3_u32 v0, v1, v0, s46
                                        ; implicit-def: $vgpr1
; %bb.1791:                             ;   in Loop: Header=BB29_1786 Depth=2
	s_andn2_saveexec_b64 s[40:41], s[40:41]
; %bb.1792:                             ;   in Loop: Header=BB29_1786 Depth=2
	v_or_b32_e32 v0, 0x10000, v1
	v_cmp_eq_u32_sdwa vcc, v1, v3 src0_sel:WORD_0 src1_sel:DWORD
	s_nop 1
	v_cndmask_b32_e32 v0, v0, v1, vcc
; %bb.1793:                             ;   in Loop: Header=BB29_1786 Depth=2
	s_or_b64 exec, exec, s[40:41]
	v_and_b32_e32 v1, 0xffff0000, v8
	v_and_b32_e32 v6, 0xffff0000, v12
	v_max_f32_e32 v6, v6, v6
	v_max_f32_e32 v1, v1, v1
	v_min_f32_e32 v7, v1, v6
	v_max_f32_e32 v1, v1, v6
	v_cndmask_b32_e64 v1, v1, v7, s[28:29]
	v_and_b32_e32 v6, 0x7f800000, v1
	v_cmp_ne_u32_e32 vcc, s97, v6
                                        ; implicit-def: $vgpr6
	s_and_saveexec_b64 s[40:41], vcc
	s_xor_b64 s[40:41], exec, s[40:41]
; %bb.1794:                             ;   in Loop: Header=BB29_1786 Depth=2
	v_bfe_u32 v6, v1, 16, 1
	v_add3_u32 v6, v1, v6, s46
                                        ; implicit-def: $vgpr1
; %bb.1795:                             ;   in Loop: Header=BB29_1786 Depth=2
	s_andn2_saveexec_b64 s[40:41], s[40:41]
; %bb.1796:                             ;   in Loop: Header=BB29_1786 Depth=2
	v_or_b32_e32 v6, 0x10000, v1
	v_cmp_eq_u32_sdwa vcc, v1, v3 src0_sel:WORD_0 src1_sel:DWORD
	s_nop 1
	v_cndmask_b32_e32 v6, v6, v1, vcc
; %bb.1797:                             ;   in Loop: Header=BB29_1786 Depth=2
	s_or_b64 exec, exec, s[40:41]
	v_lshlrev_b32_e32 v1, 16, v9
	v_lshlrev_b32_e32 v7, 16, v13
	v_max_f32_e32 v7, v7, v7
	v_max_f32_e32 v1, v1, v1
	v_min_f32_e32 v8, v1, v7
	v_max_f32_e32 v1, v1, v7
	v_cndmask_b32_e64 v1, v1, v8, s[28:29]
	v_and_b32_e32 v7, 0x7f800000, v1
	v_cmp_ne_u32_e32 vcc, s97, v7
                                        ; implicit-def: $vgpr7
	s_and_saveexec_b64 s[40:41], vcc
	s_xor_b64 s[40:41], exec, s[40:41]
; %bb.1798:                             ;   in Loop: Header=BB29_1786 Depth=2
	v_bfe_u32 v7, v1, 16, 1
	v_add3_u32 v7, v1, v7, s46
                                        ; implicit-def: $vgpr1
; %bb.1799:                             ;   in Loop: Header=BB29_1786 Depth=2
	s_andn2_saveexec_b64 s[40:41], s[40:41]
; %bb.1800:                             ;   in Loop: Header=BB29_1786 Depth=2
	v_or_b32_e32 v7, 0x10000, v1
	v_cmp_eq_u32_sdwa vcc, v1, v3 src0_sel:WORD_0 src1_sel:DWORD
	s_nop 1
	v_cndmask_b32_e32 v7, v7, v1, vcc
; %bb.1801:                             ;   in Loop: Header=BB29_1786 Depth=2
	s_or_b64 exec, exec, s[40:41]
	v_and_b32_e32 v1, 0xffff0000, v9
	v_and_b32_e32 v8, 0xffff0000, v13
	v_max_f32_e32 v8, v8, v8
	v_max_f32_e32 v1, v1, v1
	v_min_f32_e32 v9, v1, v8
	v_max_f32_e32 v1, v1, v8
	v_cndmask_b32_e64 v1, v1, v9, s[28:29]
	v_and_b32_e32 v8, 0x7f800000, v1
	v_cmp_ne_u32_e32 vcc, s97, v8
                                        ; implicit-def: $vgpr8
	s_and_saveexec_b64 s[40:41], vcc
	s_xor_b64 s[40:41], exec, s[40:41]
; %bb.1802:                             ;   in Loop: Header=BB29_1786 Depth=2
	v_bfe_u32 v8, v1, 16, 1
	v_add3_u32 v8, v1, v8, s46
                                        ; implicit-def: $vgpr1
; %bb.1803:                             ;   in Loop: Header=BB29_1786 Depth=2
	s_andn2_saveexec_b64 s[40:41], s[40:41]
; %bb.1804:                             ;   in Loop: Header=BB29_1786 Depth=2
	v_or_b32_e32 v8, 0x10000, v1
	v_cmp_eq_u32_sdwa vcc, v1, v3 src0_sel:WORD_0 src1_sel:DWORD
	s_nop 1
	v_cndmask_b32_e32 v8, v8, v1, vcc
; %bb.1805:                             ;   in Loop: Header=BB29_1786 Depth=2
	s_or_b64 exec, exec, s[40:41]
	v_lshlrev_b32_e32 v1, 16, v10
	v_lshlrev_b32_e32 v9, 16, v14
	v_max_f32_e32 v9, v9, v9
	v_max_f32_e32 v1, v1, v1
	v_min_f32_e32 v12, v1, v9
	v_max_f32_e32 v1, v1, v9
	v_cndmask_b32_e64 v1, v1, v12, s[28:29]
	v_and_b32_e32 v9, 0x7f800000, v1
	v_cmp_ne_u32_e32 vcc, s97, v9
                                        ; implicit-def: $vgpr12
	s_and_saveexec_b64 s[40:41], vcc
	s_xor_b64 s[40:41], exec, s[40:41]
; %bb.1806:                             ;   in Loop: Header=BB29_1786 Depth=2
	v_bfe_u32 v9, v1, 16, 1
	v_add3_u32 v12, v1, v9, s46
                                        ; implicit-def: $vgpr1
; %bb.1807:                             ;   in Loop: Header=BB29_1786 Depth=2
	s_andn2_saveexec_b64 s[40:41], s[40:41]
; %bb.1808:                             ;   in Loop: Header=BB29_1786 Depth=2
	v_or_b32_e32 v9, 0x10000, v1
	v_cmp_eq_u32_sdwa vcc, v1, v3 src0_sel:WORD_0 src1_sel:DWORD
	s_nop 1
	v_cndmask_b32_e32 v12, v9, v1, vcc
; %bb.1809:                             ;   in Loop: Header=BB29_1786 Depth=2
	s_or_b64 exec, exec, s[40:41]
	v_and_b32_e32 v1, 0xffff0000, v10
	v_and_b32_e32 v9, 0xffff0000, v14
	v_max_f32_e32 v9, v9, v9
	v_max_f32_e32 v1, v1, v1
	v_min_f32_e32 v10, v1, v9
	v_max_f32_e32 v1, v1, v9
	v_cndmask_b32_e64 v9, v1, v10, s[28:29]
	v_and_b32_e32 v1, 0x7f800000, v9
	v_cmp_ne_u32_e32 vcc, s97, v1
                                        ; implicit-def: $vgpr1
	s_and_saveexec_b64 s[40:41], vcc
	s_xor_b64 s[40:41], exec, s[40:41]
; %bb.1810:                             ;   in Loop: Header=BB29_1786 Depth=2
	v_bfe_u32 v1, v9, 16, 1
	v_add3_u32 v1, v9, v1, s46
                                        ; implicit-def: $vgpr9
; %bb.1811:                             ;   in Loop: Header=BB29_1786 Depth=2
	s_andn2_saveexec_b64 s[40:41], s[40:41]
; %bb.1812:                             ;   in Loop: Header=BB29_1786 Depth=2
	v_or_b32_e32 v1, 0x10000, v9
	v_cmp_eq_u32_sdwa vcc, v9, v3 src0_sel:WORD_0 src1_sel:DWORD
	s_nop 1
	v_cndmask_b32_e32 v1, v1, v9, vcc
; %bb.1813:                             ;   in Loop: Header=BB29_1786 Depth=2
	s_or_b64 exec, exec, s[40:41]
	v_lshlrev_b32_e32 v9, 16, v11
	v_lshlrev_b32_e32 v10, 16, v15
	v_max_f32_e32 v10, v10, v10
	v_max_f32_e32 v9, v9, v9
	v_min_f32_e32 v13, v9, v10
	v_max_f32_e32 v9, v9, v10
	v_cndmask_b32_e64 v9, v9, v13, s[28:29]
	v_and_b32_e32 v10, 0x7f800000, v9
	v_cmp_ne_u32_e32 vcc, s97, v10
                                        ; implicit-def: $vgpr13
	s_and_saveexec_b64 s[40:41], vcc
	s_xor_b64 s[40:41], exec, s[40:41]
; %bb.1814:                             ;   in Loop: Header=BB29_1786 Depth=2
	v_bfe_u32 v10, v9, 16, 1
	v_add3_u32 v13, v9, v10, s46
                                        ; implicit-def: $vgpr9
; %bb.1815:                             ;   in Loop: Header=BB29_1786 Depth=2
	s_andn2_saveexec_b64 s[40:41], s[40:41]
; %bb.1816:                             ;   in Loop: Header=BB29_1786 Depth=2
	v_or_b32_e32 v10, 0x10000, v9
	v_cmp_eq_u32_sdwa vcc, v9, v3 src0_sel:WORD_0 src1_sel:DWORD
	s_nop 1
	v_cndmask_b32_e32 v13, v10, v9, vcc
; %bb.1817:                             ;   in Loop: Header=BB29_1786 Depth=2
	s_or_b64 exec, exec, s[40:41]
	v_and_b32_e32 v9, 0xffff0000, v11
	v_and_b32_e32 v10, 0xffff0000, v15
	v_max_f32_e32 v10, v10, v10
	v_max_f32_e32 v9, v9, v9
	v_min_f32_e32 v11, v9, v10
	v_max_f32_e32 v9, v9, v10
	v_cndmask_b32_e64 v9, v9, v11, s[28:29]
	v_and_b32_e32 v10, 0x7f800000, v9
	v_cmp_ne_u32_e32 vcc, s97, v10
                                        ; implicit-def: $vgpr11
	s_and_saveexec_b64 s[40:41], vcc
	s_xor_b64 s[40:41], exec, s[40:41]
; %bb.1818:                             ;   in Loop: Header=BB29_1786 Depth=2
	v_bfe_u32 v10, v9, 16, 1
	v_add3_u32 v11, v9, v10, s46
                                        ; implicit-def: $vgpr9
; %bb.1819:                             ;   in Loop: Header=BB29_1786 Depth=2
	s_andn2_saveexec_b64 s[40:41], s[40:41]
; %bb.1820:                             ;   in Loop: Header=BB29_1786 Depth=2
	v_or_b32_e32 v10, 0x10000, v9
	v_cmp_eq_u32_sdwa vcc, v9, v3 src0_sel:WORD_0 src1_sel:DWORD
	s_nop 1
	v_cndmask_b32_e32 v11, v10, v9, vcc
; %bb.1821:                             ;   in Loop: Header=BB29_1786 Depth=2
	s_or_b64 exec, exec, s[40:41]
	v_lshrrev_b32_e32 v7, 16, v7
	v_lshrrev_b32_e32 v0, 16, v0
	v_and_or_b32 v9, v8, s47, v7
	v_and_or_b32 v8, v6, s47, v0
	v_lshrrev_b32_e32 v0, 16, v12
	v_and_or_b32 v10, v1, s47, v0
	v_lshrrev_b32_e32 v0, 16, v13
	v_and_or_b32 v11, v11, s47, v0
	s_mov_b64 s[54:55], 0
	s_mov_b64 s[50:51], -1
	scratch_store_dwordx4 off, v[8:11], s33 offset:224
.LBB29_1822:                            ;   Parent Loop BB29_47 Depth=1
                                        ;     Parent Loop BB29_1786 Depth=2
                                        ; =>    This Inner Loop Header: Depth=3
	s_cmp_eq_u32 s54, 1
	s_cselect_b64 vcc, -1, 0
	v_cndmask_b32_e32 v1, v5, v17, vcc
	s_cmp_eq_u32 s54, 0
	v_cndmask_b32_e32 v0, v4, v16, vcc
	global_store_dwordx4 v[0:1], v[8:11], off
	v_lshl_add_u64 v[0:1], v[0:1], 0, s[60:61]
	s_cselect_b64 s[40:41], -1, 0
	s_and_b64 s[42:43], exec, s[50:51]
	s_mov_b64 s[54:55], 1
	s_mov_b64 s[50:51], 0
	v_cndmask_b32_e32 v17, v17, v1, vcc
	v_cndmask_b32_e32 v16, v16, v0, vcc
	v_cndmask_b32_e64 v5, v5, v1, s[40:41]
	v_cndmask_b32_e64 v4, v4, v0, s[40:41]
	s_mov_b64 vcc, s[42:43]
	s_cbranch_vccnz .LBB29_1822
; %bb.1823:                             ;   in Loop: Header=BB29_1786 Depth=2
	v_lshl_add_u64 v[4:5], v[4:5], 0, v[90:91]
	v_lshl_add_u64 v[16:17], v[16:17], 0, v[90:91]
.LBB29_1824:                            ;   in Loop: Header=BB29_1786 Depth=2
	s_or_b64 exec, exec, s[52:53]
	v_lshlrev_b32_e32 v0, 10, v60
	v_sub_u32_e32 v27, v27, v0
	v_lshl_add_u64 v[18:19], v[18:19], 0, v[90:91]
	v_lshl_add_u64 v[20:21], v[20:21], 0, v[90:91]
	v_cmp_lt_i32_e64 s[50:51], 15, v27
	s_and_saveexec_b64 s[42:43], s[50:51]
	s_cbranch_execz .LBB29_1827
; %bb.1825:                             ;   in Loop: Header=BB29_1786 Depth=2
	s_add_i32 s40, s33, 0xe0
	s_mov_b32 s13, s40
	s_mov_b64 s[40:41], 0
	s_mov_b64 s[52:53], -1
.LBB29_1826:                            ;   Parent Loop BB29_47 Depth=1
                                        ;     Parent Loop BB29_1786 Depth=2
                                        ; =>    This Inner Loop Header: Depth=3
	s_cmp_eq_u32 s40, 1
	s_cselect_b64 vcc, -1, 0
	v_cndmask_b32_e32 v1, v19, v21, vcc
	v_cndmask_b32_e32 v0, v18, v20, vcc
	global_load_dwordx4 v[6:9], v[0:1], off nt
	s_cmp_eq_u32 s40, 0
	v_lshl_add_u64 v[0:1], v[0:1], 0, s[60:61]
	s_cselect_b64 s[40:41], -1, 0
	v_cndmask_b32_e64 v19, v19, v1, s[40:41]
	v_cndmask_b32_e64 v18, v18, v0, s[40:41]
	v_cndmask_b32_e32 v21, v21, v1, vcc
	v_cndmask_b32_e32 v20, v20, v0, vcc
	s_mov_b64 s[40:41], 1
	s_and_b64 vcc, exec, s[52:53]
	s_mov_b64 s[52:53], 0
	s_waitcnt vmcnt(0)
	scratch_store_dwordx4 off, v[6:9], s13
	s_mov_b32 s13, s80
	s_cbranch_vccnz .LBB29_1826
.LBB29_1827:                            ;   in Loop: Header=BB29_1786 Depth=2
	s_or_b64 exec, exec, s[42:43]
	scratch_load_dwordx4 v[8:11], off, s33 offset:192
	scratch_load_dwordx4 v[12:15], off, s33 offset:208
	s_waitcnt vmcnt(1)
	v_lshlrev_b32_e32 v0, 16, v8
	s_waitcnt vmcnt(0)
	v_lshlrev_b32_e32 v1, 16, v12
	v_max_f32_e32 v1, v1, v1
	v_max_f32_e32 v0, v0, v0
	v_min_f32_e32 v6, v0, v1
	v_max_f32_e32 v0, v0, v1
	v_cndmask_b32_e64 v1, v0, v6, s[28:29]
	v_and_b32_e32 v0, 0x7f800000, v1
	v_cmp_ne_u32_e32 vcc, s97, v0
                                        ; implicit-def: $vgpr0
	s_and_saveexec_b64 s[40:41], vcc
	s_xor_b64 s[40:41], exec, s[40:41]
; %bb.1828:                             ;   in Loop: Header=BB29_1786 Depth=2
	v_bfe_u32 v0, v1, 16, 1
	v_add3_u32 v0, v1, v0, s46
                                        ; implicit-def: $vgpr1
; %bb.1829:                             ;   in Loop: Header=BB29_1786 Depth=2
	s_andn2_saveexec_b64 s[40:41], s[40:41]
; %bb.1830:                             ;   in Loop: Header=BB29_1786 Depth=2
	v_or_b32_e32 v0, 0x10000, v1
	v_cmp_eq_u32_sdwa vcc, v1, v3 src0_sel:WORD_0 src1_sel:DWORD
	s_nop 1
	v_cndmask_b32_e32 v0, v0, v1, vcc
; %bb.1831:                             ;   in Loop: Header=BB29_1786 Depth=2
	s_or_b64 exec, exec, s[40:41]
	v_and_b32_e32 v1, 0xffff0000, v8
	v_and_b32_e32 v6, 0xffff0000, v12
	v_max_f32_e32 v6, v6, v6
	v_max_f32_e32 v1, v1, v1
	v_min_f32_e32 v7, v1, v6
	v_max_f32_e32 v1, v1, v6
	v_cndmask_b32_e64 v1, v1, v7, s[28:29]
	v_and_b32_e32 v6, 0x7f800000, v1
	v_cmp_ne_u32_e32 vcc, s97, v6
                                        ; implicit-def: $vgpr6
	s_and_saveexec_b64 s[40:41], vcc
	s_xor_b64 s[40:41], exec, s[40:41]
; %bb.1832:                             ;   in Loop: Header=BB29_1786 Depth=2
	v_bfe_u32 v6, v1, 16, 1
	v_add3_u32 v6, v1, v6, s46
                                        ; implicit-def: $vgpr1
; %bb.1833:                             ;   in Loop: Header=BB29_1786 Depth=2
	s_andn2_saveexec_b64 s[40:41], s[40:41]
; %bb.1834:                             ;   in Loop: Header=BB29_1786 Depth=2
	v_or_b32_e32 v6, 0x10000, v1
	v_cmp_eq_u32_sdwa vcc, v1, v3 src0_sel:WORD_0 src1_sel:DWORD
	s_nop 1
	v_cndmask_b32_e32 v6, v6, v1, vcc
; %bb.1835:                             ;   in Loop: Header=BB29_1786 Depth=2
	s_or_b64 exec, exec, s[40:41]
	v_lshlrev_b32_e32 v1, 16, v9
	v_lshlrev_b32_e32 v7, 16, v13
	v_max_f32_e32 v7, v7, v7
	v_max_f32_e32 v1, v1, v1
	v_min_f32_e32 v8, v1, v7
	v_max_f32_e32 v1, v1, v7
	v_cndmask_b32_e64 v1, v1, v8, s[28:29]
	v_and_b32_e32 v7, 0x7f800000, v1
	v_cmp_ne_u32_e32 vcc, s97, v7
                                        ; implicit-def: $vgpr7
	s_and_saveexec_b64 s[40:41], vcc
	s_xor_b64 s[40:41], exec, s[40:41]
; %bb.1836:                             ;   in Loop: Header=BB29_1786 Depth=2
	v_bfe_u32 v7, v1, 16, 1
	v_add3_u32 v7, v1, v7, s46
                                        ; implicit-def: $vgpr1
; %bb.1837:                             ;   in Loop: Header=BB29_1786 Depth=2
	s_andn2_saveexec_b64 s[40:41], s[40:41]
; %bb.1838:                             ;   in Loop: Header=BB29_1786 Depth=2
	v_or_b32_e32 v7, 0x10000, v1
	v_cmp_eq_u32_sdwa vcc, v1, v3 src0_sel:WORD_0 src1_sel:DWORD
	s_nop 1
	v_cndmask_b32_e32 v7, v7, v1, vcc
; %bb.1839:                             ;   in Loop: Header=BB29_1786 Depth=2
	s_or_b64 exec, exec, s[40:41]
	v_and_b32_e32 v1, 0xffff0000, v9
	v_and_b32_e32 v8, 0xffff0000, v13
	v_max_f32_e32 v8, v8, v8
	v_max_f32_e32 v1, v1, v1
	v_min_f32_e32 v9, v1, v8
	v_max_f32_e32 v1, v1, v8
	v_cndmask_b32_e64 v1, v1, v9, s[28:29]
	v_and_b32_e32 v8, 0x7f800000, v1
	v_cmp_ne_u32_e32 vcc, s97, v8
                                        ; implicit-def: $vgpr8
	s_and_saveexec_b64 s[40:41], vcc
	s_xor_b64 s[40:41], exec, s[40:41]
; %bb.1840:                             ;   in Loop: Header=BB29_1786 Depth=2
	v_bfe_u32 v8, v1, 16, 1
	v_add3_u32 v8, v1, v8, s46
                                        ; implicit-def: $vgpr1
; %bb.1841:                             ;   in Loop: Header=BB29_1786 Depth=2
	s_andn2_saveexec_b64 s[40:41], s[40:41]
; %bb.1842:                             ;   in Loop: Header=BB29_1786 Depth=2
	v_or_b32_e32 v8, 0x10000, v1
	v_cmp_eq_u32_sdwa vcc, v1, v3 src0_sel:WORD_0 src1_sel:DWORD
	s_nop 1
	v_cndmask_b32_e32 v8, v8, v1, vcc
; %bb.1843:                             ;   in Loop: Header=BB29_1786 Depth=2
	s_or_b64 exec, exec, s[40:41]
	v_lshlrev_b32_e32 v1, 16, v10
	v_lshlrev_b32_e32 v9, 16, v14
	v_max_f32_e32 v9, v9, v9
	v_max_f32_e32 v1, v1, v1
	v_min_f32_e32 v12, v1, v9
	v_max_f32_e32 v1, v1, v9
	v_cndmask_b32_e64 v1, v1, v12, s[28:29]
	v_and_b32_e32 v9, 0x7f800000, v1
	v_cmp_ne_u32_e32 vcc, s97, v9
                                        ; implicit-def: $vgpr12
	s_and_saveexec_b64 s[40:41], vcc
	s_xor_b64 s[40:41], exec, s[40:41]
; %bb.1844:                             ;   in Loop: Header=BB29_1786 Depth=2
	v_bfe_u32 v9, v1, 16, 1
	v_add3_u32 v12, v1, v9, s46
                                        ; implicit-def: $vgpr1
; %bb.1845:                             ;   in Loop: Header=BB29_1786 Depth=2
	s_andn2_saveexec_b64 s[40:41], s[40:41]
; %bb.1846:                             ;   in Loop: Header=BB29_1786 Depth=2
	v_or_b32_e32 v9, 0x10000, v1
	v_cmp_eq_u32_sdwa vcc, v1, v3 src0_sel:WORD_0 src1_sel:DWORD
	s_nop 1
	v_cndmask_b32_e32 v12, v9, v1, vcc
; %bb.1847:                             ;   in Loop: Header=BB29_1786 Depth=2
	s_or_b64 exec, exec, s[40:41]
	v_and_b32_e32 v1, 0xffff0000, v10
	v_and_b32_e32 v9, 0xffff0000, v14
	v_max_f32_e32 v9, v9, v9
	v_max_f32_e32 v1, v1, v1
	v_min_f32_e32 v10, v1, v9
	v_max_f32_e32 v1, v1, v9
	v_cndmask_b32_e64 v9, v1, v10, s[28:29]
	v_and_b32_e32 v1, 0x7f800000, v9
	v_cmp_ne_u32_e32 vcc, s97, v1
                                        ; implicit-def: $vgpr1
	s_and_saveexec_b64 s[40:41], vcc
	s_xor_b64 s[40:41], exec, s[40:41]
; %bb.1848:                             ;   in Loop: Header=BB29_1786 Depth=2
	v_bfe_u32 v1, v9, 16, 1
	v_add3_u32 v1, v9, v1, s46
                                        ; implicit-def: $vgpr9
; %bb.1849:                             ;   in Loop: Header=BB29_1786 Depth=2
	s_andn2_saveexec_b64 s[40:41], s[40:41]
; %bb.1850:                             ;   in Loop: Header=BB29_1786 Depth=2
	v_or_b32_e32 v1, 0x10000, v9
	v_cmp_eq_u32_sdwa vcc, v9, v3 src0_sel:WORD_0 src1_sel:DWORD
	s_nop 1
	v_cndmask_b32_e32 v1, v1, v9, vcc
; %bb.1851:                             ;   in Loop: Header=BB29_1786 Depth=2
	s_or_b64 exec, exec, s[40:41]
	v_lshlrev_b32_e32 v9, 16, v11
	v_lshlrev_b32_e32 v10, 16, v15
	v_max_f32_e32 v10, v10, v10
	v_max_f32_e32 v9, v9, v9
	v_min_f32_e32 v13, v9, v10
	v_max_f32_e32 v9, v9, v10
	v_cndmask_b32_e64 v9, v9, v13, s[28:29]
	v_and_b32_e32 v10, 0x7f800000, v9
	v_cmp_ne_u32_e32 vcc, s97, v10
                                        ; implicit-def: $vgpr13
	s_and_saveexec_b64 s[40:41], vcc
	s_xor_b64 s[40:41], exec, s[40:41]
; %bb.1852:                             ;   in Loop: Header=BB29_1786 Depth=2
	v_bfe_u32 v10, v9, 16, 1
	v_add3_u32 v13, v9, v10, s46
                                        ; implicit-def: $vgpr9
; %bb.1853:                             ;   in Loop: Header=BB29_1786 Depth=2
	s_andn2_saveexec_b64 s[40:41], s[40:41]
; %bb.1854:                             ;   in Loop: Header=BB29_1786 Depth=2
	v_or_b32_e32 v10, 0x10000, v9
	v_cmp_eq_u32_sdwa vcc, v9, v3 src0_sel:WORD_0 src1_sel:DWORD
	s_nop 1
	v_cndmask_b32_e32 v13, v10, v9, vcc
; %bb.1855:                             ;   in Loop: Header=BB29_1786 Depth=2
	s_or_b64 exec, exec, s[40:41]
	v_and_b32_e32 v9, 0xffff0000, v11
	v_and_b32_e32 v10, 0xffff0000, v15
	v_max_f32_e32 v10, v10, v10
	v_max_f32_e32 v9, v9, v9
	v_min_f32_e32 v11, v9, v10
	v_max_f32_e32 v9, v9, v10
	v_cndmask_b32_e64 v9, v9, v11, s[28:29]
	v_and_b32_e32 v10, 0x7f800000, v9
	v_cmp_ne_u32_e32 vcc, s97, v10
                                        ; implicit-def: $vgpr11
	s_and_saveexec_b64 s[40:41], vcc
	s_xor_b64 s[40:41], exec, s[40:41]
; %bb.1856:                             ;   in Loop: Header=BB29_1786 Depth=2
	v_bfe_u32 v10, v9, 16, 1
	v_add3_u32 v11, v9, v10, s46
                                        ; implicit-def: $vgpr9
; %bb.1857:                             ;   in Loop: Header=BB29_1786 Depth=2
	s_andn2_saveexec_b64 s[40:41], s[40:41]
; %bb.1858:                             ;   in Loop: Header=BB29_1786 Depth=2
	v_or_b32_e32 v10, 0x10000, v9
	v_cmp_eq_u32_sdwa vcc, v9, v3 src0_sel:WORD_0 src1_sel:DWORD
	s_nop 1
	v_cndmask_b32_e32 v11, v10, v9, vcc
; %bb.1859:                             ;   in Loop: Header=BB29_1786 Depth=2
	s_or_b64 exec, exec, s[40:41]
	v_lshrrev_b32_e32 v7, 16, v7
	v_lshrrev_b32_e32 v0, 16, v0
	v_and_or_b32 v9, v8, s47, v7
	v_and_or_b32 v8, v6, s47, v0
	v_lshrrev_b32_e32 v0, 16, v12
	v_and_or_b32 v10, v1, s47, v0
	v_lshrrev_b32_e32 v0, 16, v13
	v_and_or_b32 v11, v11, s47, v0
	s_mov_b64 s[54:55], 0
	s_mov_b64 s[52:53], -1
	scratch_store_dwordx4 off, v[8:11], s33 offset:192
.LBB29_1860:                            ;   Parent Loop BB29_47 Depth=1
                                        ;     Parent Loop BB29_1786 Depth=2
                                        ; =>    This Inner Loop Header: Depth=3
	s_cmp_eq_u32 s54, 1
	s_cselect_b64 vcc, -1, 0
	v_cndmask_b32_e32 v1, v5, v17, vcc
	s_cmp_eq_u32 s54, 0
	v_cndmask_b32_e32 v0, v4, v16, vcc
	global_store_dwordx4 v[0:1], v[8:11], off
	v_lshl_add_u64 v[0:1], v[0:1], 0, s[60:61]
	s_cselect_b64 s[40:41], -1, 0
	s_and_b64 s[42:43], exec, s[52:53]
	s_mov_b64 s[54:55], 1
	s_mov_b64 s[52:53], 0
	v_cndmask_b32_e32 v17, v17, v1, vcc
	v_cndmask_b32_e32 v16, v16, v0, vcc
	v_cndmask_b32_e64 v5, v5, v1, s[40:41]
	v_cndmask_b32_e64 v4, v4, v0, s[40:41]
	s_mov_b64 vcc, s[42:43]
	s_cbranch_vccnz .LBB29_1860
; %bb.1861:                             ;   in Loop: Header=BB29_1786 Depth=2
	v_sub_u32_e32 v26, v26, v60
	s_and_saveexec_b64 s[40:41], s[50:51]
	s_cbranch_execz .LBB29_1785
; %bb.1862:                             ;   in Loop: Header=BB29_1786 Depth=2
	v_lshlrev_b32_e32 v0, 10, v60
	v_lshl_add_u64 v[4:5], v[4:5], 0, v[90:91]
	v_lshl_add_u64 v[16:17], v[16:17], 0, v[90:91]
	;; [unrolled: 1-line block ×4, first 2 shown]
	v_sub_u32_e32 v27, v27, v0
	v_sub_u32_e32 v26, v26, v60
	s_branch .LBB29_1785
.LBB29_1863:                            ;   in Loop: Header=BB29_47 Depth=1
	s_or_b64 exec, exec, s[38:39]
	s_and_b64 s[28:29], s[48:49], exec
.LBB29_1864:                            ;   in Loop: Header=BB29_47 Depth=1
	s_or_b64 exec, exec, s[36:37]
	s_and_saveexec_b64 s[42:43], s[28:29]
	s_cbranch_execz .LBB29_1899
; %bb.1865:                             ;   in Loop: Header=BB29_47 Depth=1
	scratch_load_dwordx4 v[8:11], off, s33 offset:224
	scratch_load_dwordx4 v[12:15], off, s33 offset:240
	s_and_b32 s13, 0xffff, s45
	s_cmp_eq_u32 s13, 0
	s_cselect_b64 vcc, -1, 0
	s_waitcnt vmcnt(1)
	v_lshlrev_b32_e32 v0, 16, v8
	s_waitcnt vmcnt(0)
	v_lshlrev_b32_e32 v1, 16, v12
	v_max_f32_e32 v1, v1, v1
	v_max_f32_e32 v0, v0, v0
	v_min_f32_e32 v6, v0, v1
	v_max_f32_e32 v0, v0, v1
	v_cndmask_b32_e32 v1, v0, v6, vcc
	v_and_b32_e32 v0, 0x7f800000, v1
	v_cmp_ne_u32_e64 s[28:29], s97, v0
                                        ; implicit-def: $vgpr0
	s_and_saveexec_b64 s[40:41], s[28:29]
	s_xor_b64 s[28:29], exec, s[40:41]
; %bb.1866:                             ;   in Loop: Header=BB29_47 Depth=1
	v_bfe_u32 v0, v1, 16, 1
	v_add3_u32 v0, v1, v0, s46
                                        ; implicit-def: $vgpr1
; %bb.1867:                             ;   in Loop: Header=BB29_47 Depth=1
	s_andn2_saveexec_b64 s[40:41], s[28:29]
; %bb.1868:                             ;   in Loop: Header=BB29_47 Depth=1
	v_or_b32_e32 v0, 0x10000, v1
	v_cmp_eq_u32_sdwa s[28:29], v1, v3 src0_sel:WORD_0 src1_sel:DWORD
	s_nop 1
	v_cndmask_b32_e64 v0, v0, v1, s[28:29]
; %bb.1869:                             ;   in Loop: Header=BB29_47 Depth=1
	s_or_b64 exec, exec, s[40:41]
	v_and_b32_e32 v1, 0xffff0000, v8
	v_and_b32_e32 v6, 0xffff0000, v12
	v_max_f32_e32 v6, v6, v6
	v_max_f32_e32 v1, v1, v1
	v_min_f32_e32 v7, v1, v6
	v_max_f32_e32 v1, v1, v6
	v_cndmask_b32_e32 v1, v1, v7, vcc
	v_and_b32_e32 v6, 0x7f800000, v1
	v_cmp_ne_u32_e64 s[28:29], s97, v6
                                        ; implicit-def: $vgpr6
	s_and_saveexec_b64 s[40:41], s[28:29]
	s_xor_b64 s[28:29], exec, s[40:41]
; %bb.1870:                             ;   in Loop: Header=BB29_47 Depth=1
	v_bfe_u32 v6, v1, 16, 1
	v_add3_u32 v6, v1, v6, s46
                                        ; implicit-def: $vgpr1
; %bb.1871:                             ;   in Loop: Header=BB29_47 Depth=1
	s_andn2_saveexec_b64 s[40:41], s[28:29]
; %bb.1872:                             ;   in Loop: Header=BB29_47 Depth=1
	v_or_b32_e32 v6, 0x10000, v1
	v_cmp_eq_u32_sdwa s[28:29], v1, v3 src0_sel:WORD_0 src1_sel:DWORD
	s_nop 1
	v_cndmask_b32_e64 v6, v6, v1, s[28:29]
; %bb.1873:                             ;   in Loop: Header=BB29_47 Depth=1
	s_or_b64 exec, exec, s[40:41]
	v_lshlrev_b32_e32 v1, 16, v9
	v_lshlrev_b32_e32 v7, 16, v13
	v_max_f32_e32 v7, v7, v7
	v_max_f32_e32 v1, v1, v1
	v_min_f32_e32 v8, v1, v7
	v_max_f32_e32 v1, v1, v7
	v_cndmask_b32_e32 v1, v1, v8, vcc
	v_and_b32_e32 v7, 0x7f800000, v1
	v_cmp_ne_u32_e64 s[28:29], s97, v7
                                        ; implicit-def: $vgpr7
	s_and_saveexec_b64 s[40:41], s[28:29]
	s_xor_b64 s[28:29], exec, s[40:41]
; %bb.1874:                             ;   in Loop: Header=BB29_47 Depth=1
	v_bfe_u32 v7, v1, 16, 1
	v_add3_u32 v7, v1, v7, s46
                                        ; implicit-def: $vgpr1
; %bb.1875:                             ;   in Loop: Header=BB29_47 Depth=1
	s_andn2_saveexec_b64 s[40:41], s[28:29]
; %bb.1876:                             ;   in Loop: Header=BB29_47 Depth=1
	v_or_b32_e32 v7, 0x10000, v1
	v_cmp_eq_u32_sdwa s[28:29], v1, v3 src0_sel:WORD_0 src1_sel:DWORD
	s_nop 1
	v_cndmask_b32_e64 v7, v7, v1, s[28:29]
; %bb.1877:                             ;   in Loop: Header=BB29_47 Depth=1
	s_or_b64 exec, exec, s[40:41]
	v_and_b32_e32 v1, 0xffff0000, v9
	v_and_b32_e32 v8, 0xffff0000, v13
	v_max_f32_e32 v8, v8, v8
	v_max_f32_e32 v1, v1, v1
	v_min_f32_e32 v9, v1, v8
	v_max_f32_e32 v1, v1, v8
	v_cndmask_b32_e32 v1, v1, v9, vcc
	v_and_b32_e32 v8, 0x7f800000, v1
	v_cmp_ne_u32_e64 s[28:29], s97, v8
                                        ; implicit-def: $vgpr8
	s_and_saveexec_b64 s[40:41], s[28:29]
	s_xor_b64 s[28:29], exec, s[40:41]
; %bb.1878:                             ;   in Loop: Header=BB29_47 Depth=1
	v_bfe_u32 v8, v1, 16, 1
	v_add3_u32 v8, v1, v8, s46
                                        ; implicit-def: $vgpr1
; %bb.1879:                             ;   in Loop: Header=BB29_47 Depth=1
	s_andn2_saveexec_b64 s[40:41], s[28:29]
; %bb.1880:                             ;   in Loop: Header=BB29_47 Depth=1
	v_or_b32_e32 v8, 0x10000, v1
	v_cmp_eq_u32_sdwa s[28:29], v1, v3 src0_sel:WORD_0 src1_sel:DWORD
	s_nop 1
	v_cndmask_b32_e64 v8, v8, v1, s[28:29]
; %bb.1881:                             ;   in Loop: Header=BB29_47 Depth=1
	s_or_b64 exec, exec, s[40:41]
	v_lshlrev_b32_e32 v1, 16, v10
	v_lshlrev_b32_e32 v9, 16, v14
	v_max_f32_e32 v9, v9, v9
	v_max_f32_e32 v1, v1, v1
	v_min_f32_e32 v12, v1, v9
	v_max_f32_e32 v1, v1, v9
	v_cndmask_b32_e32 v1, v1, v12, vcc
	v_and_b32_e32 v9, 0x7f800000, v1
	v_cmp_ne_u32_e64 s[28:29], s97, v9
                                        ; implicit-def: $vgpr12
	s_and_saveexec_b64 s[40:41], s[28:29]
	s_xor_b64 s[28:29], exec, s[40:41]
; %bb.1882:                             ;   in Loop: Header=BB29_47 Depth=1
	v_bfe_u32 v9, v1, 16, 1
	v_add3_u32 v12, v1, v9, s46
                                        ; implicit-def: $vgpr1
; %bb.1883:                             ;   in Loop: Header=BB29_47 Depth=1
	s_andn2_saveexec_b64 s[40:41], s[28:29]
; %bb.1884:                             ;   in Loop: Header=BB29_47 Depth=1
	v_or_b32_e32 v9, 0x10000, v1
	v_cmp_eq_u32_sdwa s[28:29], v1, v3 src0_sel:WORD_0 src1_sel:DWORD
	s_nop 1
	v_cndmask_b32_e64 v12, v9, v1, s[28:29]
; %bb.1885:                             ;   in Loop: Header=BB29_47 Depth=1
	s_or_b64 exec, exec, s[40:41]
	v_and_b32_e32 v1, 0xffff0000, v10
	v_and_b32_e32 v9, 0xffff0000, v14
	v_max_f32_e32 v9, v9, v9
	v_max_f32_e32 v1, v1, v1
	v_min_f32_e32 v10, v1, v9
	v_max_f32_e32 v1, v1, v9
	v_cndmask_b32_e32 v9, v1, v10, vcc
	v_and_b32_e32 v1, 0x7f800000, v9
	v_cmp_ne_u32_e64 s[28:29], s97, v1
                                        ; implicit-def: $vgpr1
	s_and_saveexec_b64 s[40:41], s[28:29]
	s_xor_b64 s[28:29], exec, s[40:41]
; %bb.1886:                             ;   in Loop: Header=BB29_47 Depth=1
	v_bfe_u32 v1, v9, 16, 1
	v_add3_u32 v1, v9, v1, s46
                                        ; implicit-def: $vgpr9
; %bb.1887:                             ;   in Loop: Header=BB29_47 Depth=1
	s_andn2_saveexec_b64 s[40:41], s[28:29]
; %bb.1888:                             ;   in Loop: Header=BB29_47 Depth=1
	v_or_b32_e32 v1, 0x10000, v9
	v_cmp_eq_u32_sdwa s[28:29], v9, v3 src0_sel:WORD_0 src1_sel:DWORD
	s_nop 1
	v_cndmask_b32_e64 v1, v1, v9, s[28:29]
; %bb.1889:                             ;   in Loop: Header=BB29_47 Depth=1
	s_or_b64 exec, exec, s[40:41]
	v_lshlrev_b32_e32 v9, 16, v11
	v_lshlrev_b32_e32 v10, 16, v15
	v_max_f32_e32 v10, v10, v10
	v_max_f32_e32 v9, v9, v9
	v_min_f32_e32 v13, v9, v10
	v_max_f32_e32 v9, v9, v10
	v_cndmask_b32_e32 v9, v9, v13, vcc
	v_and_b32_e32 v10, 0x7f800000, v9
	v_cmp_ne_u32_e64 s[28:29], s97, v10
                                        ; implicit-def: $vgpr13
	s_and_saveexec_b64 s[40:41], s[28:29]
	s_xor_b64 s[28:29], exec, s[40:41]
; %bb.1890:                             ;   in Loop: Header=BB29_47 Depth=1
	v_bfe_u32 v10, v9, 16, 1
	v_add3_u32 v13, v9, v10, s46
                                        ; implicit-def: $vgpr9
; %bb.1891:                             ;   in Loop: Header=BB29_47 Depth=1
	s_andn2_saveexec_b64 s[40:41], s[28:29]
; %bb.1892:                             ;   in Loop: Header=BB29_47 Depth=1
	v_or_b32_e32 v10, 0x10000, v9
	v_cmp_eq_u32_sdwa s[28:29], v9, v3 src0_sel:WORD_0 src1_sel:DWORD
	s_nop 1
	v_cndmask_b32_e64 v13, v10, v9, s[28:29]
; %bb.1893:                             ;   in Loop: Header=BB29_47 Depth=1
	s_or_b64 exec, exec, s[40:41]
	v_and_b32_e32 v9, 0xffff0000, v11
	v_and_b32_e32 v10, 0xffff0000, v15
	v_max_f32_e32 v10, v10, v10
	v_max_f32_e32 v9, v9, v9
	v_min_f32_e32 v11, v9, v10
	v_max_f32_e32 v9, v9, v10
	v_cndmask_b32_e32 v9, v9, v11, vcc
	v_and_b32_e32 v10, 0x7f800000, v9
	v_cmp_ne_u32_e32 vcc, s97, v10
                                        ; implicit-def: $vgpr11
	s_and_saveexec_b64 s[28:29], vcc
	s_xor_b64 s[28:29], exec, s[28:29]
; %bb.1894:                             ;   in Loop: Header=BB29_47 Depth=1
	v_bfe_u32 v10, v9, 16, 1
	v_add3_u32 v11, v9, v10, s46
                                        ; implicit-def: $vgpr9
; %bb.1895:                             ;   in Loop: Header=BB29_47 Depth=1
	s_andn2_saveexec_b64 s[28:29], s[28:29]
; %bb.1896:                             ;   in Loop: Header=BB29_47 Depth=1
	v_or_b32_e32 v10, 0x10000, v9
	v_cmp_eq_u32_sdwa vcc, v9, v3 src0_sel:WORD_0 src1_sel:DWORD
	s_nop 1
	v_cndmask_b32_e32 v11, v10, v9, vcc
; %bb.1897:                             ;   in Loop: Header=BB29_47 Depth=1
	s_or_b64 exec, exec, s[28:29]
	v_lshrrev_b32_e32 v7, 16, v7
	v_lshrrev_b32_e32 v0, 16, v0
	v_and_or_b32 v9, v8, s47, v7
	v_and_or_b32 v8, v6, s47, v0
	v_lshrrev_b32_e32 v0, 16, v12
	v_and_or_b32 v10, v1, s47, v0
	v_lshrrev_b32_e32 v0, 16, v13
	v_and_or_b32 v11, v11, s47, v0
	s_mov_b64 s[38:39], 0
	s_mov_b64 s[36:37], -1
.LBB29_1898:                            ;   Parent Loop BB29_47 Depth=1
                                        ; =>  This Inner Loop Header: Depth=2
	s_cmp_eq_u32 s38, 1
	s_cselect_b64 vcc, -1, 0
	v_cndmask_b32_e32 v1, v5, v17, vcc
	s_cmp_eq_u32 s38, 0
	v_cndmask_b32_e32 v0, v4, v16, vcc
	global_store_dwordx4 v[0:1], v[8:11], off
	v_lshl_add_u64 v[0:1], v[0:1], 0, s[60:61]
	s_cselect_b64 s[28:29], -1, 0
	s_and_b64 s[40:41], exec, s[36:37]
	s_mov_b64 s[38:39], 1
	s_mov_b64 s[36:37], 0
	v_cndmask_b32_e32 v17, v17, v1, vcc
	v_cndmask_b32_e32 v16, v16, v0, vcc
	v_cndmask_b32_e64 v5, v5, v1, s[28:29]
	v_cndmask_b32_e64 v4, v4, v0, s[28:29]
	s_mov_b64 vcc, s[40:41]
	s_cbranch_vccnz .LBB29_1898
.LBB29_1899:                            ;   in Loop: Header=BB29_47 Depth=1
	s_or_b64 exec, exec, s[42:43]
	v_and_b32_e32 v1, 14, v29
	v_cndmask_b32_e64 v15, v25, v1, s[26:27]
	v_cmp_ne_u32_e32 vcc, 0, v15
	s_mov_b64 s[28:29], s[30:31]
                                        ; implicit-def: $vgpr14
                                        ; implicit-def: $vgpr0
                                        ; implicit-def: $vgpr16
	s_and_saveexec_b64 s[40:41], vcc
	s_cbranch_execz .LBB29_1901
; %bb.1900:                             ;   in Loop: Header=BB29_47 Depth=1
	v_sub_u32_e32 v0, v25, v1
	v_cndmask_b32_e64 v0, 0, v0, s[26:27]
	v_cmp_lt_i32_e32 vcc, 0, v26
	v_add3_u32 v14, v24, v22, v0
	s_or_b64 s[28:29], s[30:31], exec
	v_cndmask_b32_e32 v0, 0, v60, vcc
	v_sub_u32_e32 v0, v0, v26
	v_lshl_add_u32 v0, v0, 6, v23
	v_ashrrev_i32_e32 v1, 31, v0
	v_lshrrev_b32_e32 v1, 26, v1
	v_add_u32_e32 v1, v0, v1
	v_and_b32_e32 v1, 0xffffffc0, v1
	v_sub_u32_e32 v16, v0, v1
.LBB29_1901:                            ;   in Loop: Header=BB29_47 Depth=1
	s_or_b64 exec, exec, s[40:41]
	s_andn2_b64 s[26:27], s[30:31], exec
	s_and_b64 s[28:29], s[28:29], exec
	s_or_b64 s[30:31], s[26:27], s[28:29]
.LBB29_1902:                            ;   in Loop: Header=BB29_47 Depth=1
	s_or_b64 exec, exec, s[34:35]
	s_and_saveexec_b64 s[42:43], s[30:31]
	s_cbranch_execz .LBB29_2139
.LBB29_1903:                            ;   in Loop: Header=BB29_47 Depth=1
	v_ashrrev_i32_e32 v1, 31, v0
	v_lshrrev_b32_e32 v1, 26, v1
	v_add_u32_e32 v0, v0, v1
	v_ashrrev_i32_e32 v0, 6, v0
	v_lshlrev_b32_e32 v1, 11, v0
	v_lshlrev_b32_e32 v4, 1, v16
	v_add3_u32 v12, v14, v4, v1
	v_ashrrev_i32_e32 v1, 31, v15
	v_lshrrev_b32_e32 v1, 21, v1
	v_add_u32_e32 v1, v15, v1
	v_ashrrev_i32_e32 v18, 11, v1
	v_ashrrev_i32_e32 v13, 31, v12
	v_sub_u32_e32 v17, v18, v0
	s_waitcnt vmcnt(2)
	v_lshl_add_u64 v[8:9], v[112:113], 0, v[12:13]
	s_waitcnt vmcnt(1)
	v_lshl_add_u64 v[4:5], v[114:115], 0, v[12:13]
	v_cmp_lt_i32_e32 vcc, 0, v17
	v_mov_b32_e32 v100, 0
	s_mov_b64 s[26:27], 0
	v_mov_b32_e32 v97, 0
	v_mov_b32_e32 v86, 0
	;; [unrolled: 1-line block ×31, first 2 shown]
	s_and_saveexec_b64 s[28:29], vcc
	s_cbranch_execz .LBB29_2041
; %bb.1904:                             ;   in Loop: Header=BB29_47 Depth=1
	s_trap 2
	scratch_load_dwordx2 v[6:7], off, s33 offset:372 ; 8-byte Folded Reload
	ds_read_b64 v[0:1], v0
	s_and_b32 s13, s45, 0xff
	s_cmp_eq_u32 s13, 0
	v_mov_b64_e32 v[108:109], v[114:115]
	v_mov_b64_e32 v[94:95], v[112:113]
	s_mov_b64 s[34:35], 0
	s_mov_b64 s[30:31], 0
	s_cselect_b64 vcc, -1, 0
                                        ; implicit-def: $sgpr40_sgpr41
                                        ; implicit-def: $vgpr118
                                        ; implicit-def: $vgpr113
                                        ; implicit-def: $vgpr101
                                        ; implicit-def: $vgpr98
                                        ; implicit-def: $vgpr87
                                        ; implicit-def: $vgpr84
                                        ; implicit-def: $vgpr81
                                        ; implicit-def: $vgpr69
                                        ; implicit-def: $vgpr66
                                        ; implicit-def: $vgpr55
                                        ; implicit-def: $vgpr52
                                        ; implicit-def: $vgpr51
                                        ; implicit-def: $vgpr50
                                        ; implicit-def: $vgpr49
                                        ; implicit-def: $vgpr48
                                        ; implicit-def: $vgpr39
                                        ; implicit-def: $vgpr19
                                        ; implicit-def: $vgpr20
                                        ; implicit-def: $vgpr21
                                        ; implicit-def: $vgpr22
                                        ; implicit-def: $vgpr23
                                        ; implicit-def: $vgpr24
                                        ; implicit-def: $vgpr25
                                        ; implicit-def: $vgpr26
                                        ; implicit-def: $vgpr27
                                        ; implicit-def: $vgpr32
                                        ; implicit-def: $vgpr33
                                        ; implicit-def: $vgpr34
                                        ; implicit-def: $vgpr35
                                        ; implicit-def: $vgpr36
                                        ; implicit-def: $vgpr37
                                        ; implicit-def: $vgpr38
	s_waitcnt vmcnt(0)
	v_lshl_add_u64 v[10:11], v[12:13], 0, v[6:7]
	s_waitcnt lgkmcnt(0)
	v_lshl_add_u64 v[12:13], v[0:1], 0, v[12:13]
	s_branch .LBB29_1906
.LBB29_1905:                            ;   in Loop: Header=BB29_1906 Depth=2
	s_or_b64 exec, exec, s[26:27]
	v_cmp_gt_i32_e64 s[26:27], 1, v17
	s_or_b64 s[30:31], s[26:27], s[30:31]
	s_andn2_b64 s[26:27], s[40:41], exec
	s_and_b64 s[40:41], s[34:35], exec
	s_or_b64 s[40:41], s[26:27], s[40:41]
	s_andn2_b64 exec, exec, s[30:31]
	s_cbranch_execz .LBB29_2040
.LBB29_1906:                            ;   Parent Loop BB29_47 Depth=1
                                        ; =>  This Inner Loop Header: Depth=2
	flat_load_ushort v73, v[10:11] nt
	flat_load_ushort v63, v[10:11] offset:128 nt
	flat_load_ushort v45, v[10:11] offset:256 nt
	;; [unrolled: 1-line block ×15, first 2 shown]
	flat_load_ushort v74, v[12:13] nt
	flat_load_ushort v72, v[12:13] offset:128 nt
	flat_load_ushort v62, v[12:13] offset:256 nt
	flat_load_ushort v44, v[12:13] offset:384 nt
	flat_load_ushort v58, v[12:13] offset:512 nt
	flat_load_ushort v115, v[12:13] offset:640 nt
	flat_load_ushort v112, v[12:13] offset:768 nt
	flat_load_ushort v102, v[12:13] offset:896 nt
	flat_load_ushort v99, v[12:13] offset:1024 nt
	flat_load_ushort v96, v[12:13] offset:1152 nt
	flat_load_ushort v85, v[12:13] offset:1280 nt
	flat_load_ushort v82, v[12:13] offset:1408 nt
	flat_load_ushort v71, v[12:13] offset:1536 nt
	flat_load_ushort v68, v[12:13] offset:1664 nt
	flat_load_ushort v65, v[12:13] offset:1792 nt
	flat_load_ushort v54, v[12:13] offset:1920 nt
	s_and_saveexec_b64 s[36:37], s[34:35]
	s_cbranch_execz .LBB29_1972
; %bb.1907:                             ;   in Loop: Header=BB29_1906 Depth=2
	v_lshlrev_b32_e32 v0, 16, v118
	v_lshlrev_b32_e32 v1, 16, v19
	v_max_f32_e32 v1, v1, v1
	v_max_f32_e32 v0, v0, v0
	v_min_f32_e32 v6, v0, v1
	v_max_f32_e32 v0, v0, v1
	v_cndmask_b32_e32 v0, v0, v6, vcc
	v_and_b32_e32 v1, 0x7f800000, v0
	v_cmp_ne_u32_e64 s[26:27], s97, v1
                                        ; implicit-def: $vgpr6
	s_and_saveexec_b64 s[34:35], s[26:27]
	s_xor_b64 s[26:27], exec, s[34:35]
; %bb.1908:                             ;   in Loop: Header=BB29_1906 Depth=2
	v_bfe_u32 v1, v0, 16, 1
	v_add3_u32 v6, v0, v1, s46
                                        ; implicit-def: $vgpr0
; %bb.1909:                             ;   in Loop: Header=BB29_1906 Depth=2
	s_andn2_saveexec_b64 s[34:35], s[26:27]
; %bb.1910:                             ;   in Loop: Header=BB29_1906 Depth=2
	v_or_b32_e32 v1, 0x10000, v0
	v_cmp_eq_u32_sdwa s[26:27], v0, v3 src0_sel:WORD_0 src1_sel:DWORD
	s_nop 1
	v_cndmask_b32_e64 v6, v1, v0, s[26:27]
; %bb.1911:                             ;   in Loop: Header=BB29_1906 Depth=2
	s_or_b64 exec, exec, s[34:35]
	v_lshlrev_b32_e32 v0, 16, v113
	v_lshlrev_b32_e32 v1, 16, v20
	v_max_f32_e32 v1, v1, v1
	v_max_f32_e32 v0, v0, v0
	v_min_f32_e32 v7, v0, v1
	v_max_f32_e32 v0, v0, v1
	v_cndmask_b32_e32 v0, v0, v7, vcc
	v_and_b32_e32 v1, 0x7f800000, v0
	v_cmp_ne_u32_e64 s[26:27], s97, v1
                                        ; implicit-def: $vgpr7
	s_and_saveexec_b64 s[34:35], s[26:27]
	s_xor_b64 s[26:27], exec, s[34:35]
; %bb.1912:                             ;   in Loop: Header=BB29_1906 Depth=2
	v_bfe_u32 v1, v0, 16, 1
	v_add3_u32 v7, v0, v1, s46
                                        ; implicit-def: $vgpr0
; %bb.1913:                             ;   in Loop: Header=BB29_1906 Depth=2
	s_andn2_saveexec_b64 s[34:35], s[26:27]
; %bb.1914:                             ;   in Loop: Header=BB29_1906 Depth=2
	v_or_b32_e32 v1, 0x10000, v0
	v_cmp_eq_u32_sdwa s[26:27], v0, v3 src0_sel:WORD_0 src1_sel:DWORD
	s_nop 1
	v_cndmask_b32_e64 v7, v1, v0, s[26:27]
; %bb.1915:                             ;   in Loop: Header=BB29_1906 Depth=2
	s_or_b64 exec, exec, s[34:35]
	v_lshlrev_b32_e32 v0, 16, v101
	v_lshlrev_b32_e32 v1, 16, v21
	v_max_f32_e32 v1, v1, v1
	v_max_f32_e32 v0, v0, v0
	v_min_f32_e32 v30, v0, v1
	v_max_f32_e32 v0, v0, v1
	v_cndmask_b32_e32 v0, v0, v30, vcc
	v_and_b32_e32 v1, 0x7f800000, v0
	v_cmp_ne_u32_e64 s[26:27], s97, v1
                                        ; implicit-def: $vgpr30
	s_and_saveexec_b64 s[34:35], s[26:27]
	s_xor_b64 s[26:27], exec, s[34:35]
; %bb.1916:                             ;   in Loop: Header=BB29_1906 Depth=2
	v_bfe_u32 v1, v0, 16, 1
	v_add3_u32 v30, v0, v1, s46
                                        ; implicit-def: $vgpr0
; %bb.1917:                             ;   in Loop: Header=BB29_1906 Depth=2
	s_andn2_saveexec_b64 s[34:35], s[26:27]
; %bb.1918:                             ;   in Loop: Header=BB29_1906 Depth=2
	v_or_b32_e32 v1, 0x10000, v0
	v_cmp_eq_u32_sdwa s[26:27], v0, v3 src0_sel:WORD_0 src1_sel:DWORD
	s_nop 1
	v_cndmask_b32_e64 v30, v1, v0, s[26:27]
; %bb.1919:                             ;   in Loop: Header=BB29_1906 Depth=2
	s_or_b64 exec, exec, s[34:35]
	v_lshlrev_b32_e32 v0, 16, v98
	v_lshlrev_b32_e32 v1, 16, v22
	v_max_f32_e32 v1, v1, v1
	v_max_f32_e32 v0, v0, v0
	v_min_f32_e32 v98, v0, v1
	v_max_f32_e32 v0, v0, v1
	v_cndmask_b32_e32 v0, v0, v98, vcc
	v_and_b32_e32 v1, 0x7f800000, v0
	v_cmp_ne_u32_e64 s[26:27], s97, v1
                                        ; implicit-def: $vgpr98
	s_and_saveexec_b64 s[34:35], s[26:27]
	s_xor_b64 s[26:27], exec, s[34:35]
; %bb.1920:                             ;   in Loop: Header=BB29_1906 Depth=2
	v_bfe_u32 v1, v0, 16, 1
	v_add3_u32 v98, v0, v1, s46
                                        ; implicit-def: $vgpr0
; %bb.1921:                             ;   in Loop: Header=BB29_1906 Depth=2
	s_andn2_saveexec_b64 s[34:35], s[26:27]
; %bb.1922:                             ;   in Loop: Header=BB29_1906 Depth=2
	v_or_b32_e32 v1, 0x10000, v0
	v_cmp_eq_u32_sdwa s[26:27], v0, v3 src0_sel:WORD_0 src1_sel:DWORD
	s_nop 1
	v_cndmask_b32_e64 v98, v1, v0, s[26:27]
; %bb.1923:                             ;   in Loop: Header=BB29_1906 Depth=2
	s_or_b64 exec, exec, s[34:35]
	v_lshlrev_b32_e32 v0, 16, v87
	v_lshlrev_b32_e32 v1, 16, v23
	v_max_f32_e32 v1, v1, v1
	v_max_f32_e32 v0, v0, v0
	v_min_f32_e32 v87, v0, v1
	v_max_f32_e32 v0, v0, v1
	v_cndmask_b32_e32 v0, v0, v87, vcc
	v_and_b32_e32 v1, 0x7f800000, v0
	v_cmp_ne_u32_e64 s[26:27], s97, v1
                                        ; implicit-def: $vgpr87
	s_and_saveexec_b64 s[34:35], s[26:27]
	s_xor_b64 s[26:27], exec, s[34:35]
; %bb.1924:                             ;   in Loop: Header=BB29_1906 Depth=2
	v_bfe_u32 v1, v0, 16, 1
	v_add3_u32 v87, v0, v1, s46
                                        ; implicit-def: $vgpr0
; %bb.1925:                             ;   in Loop: Header=BB29_1906 Depth=2
	s_andn2_saveexec_b64 s[34:35], s[26:27]
; %bb.1926:                             ;   in Loop: Header=BB29_1906 Depth=2
	v_or_b32_e32 v1, 0x10000, v0
	v_cmp_eq_u32_sdwa s[26:27], v0, v3 src0_sel:WORD_0 src1_sel:DWORD
	s_nop 1
	v_cndmask_b32_e64 v87, v1, v0, s[26:27]
; %bb.1927:                             ;   in Loop: Header=BB29_1906 Depth=2
	s_or_b64 exec, exec, s[34:35]
	v_lshlrev_b32_e32 v0, 16, v84
	v_lshlrev_b32_e32 v1, 16, v24
	v_max_f32_e32 v1, v1, v1
	v_max_f32_e32 v0, v0, v0
	v_min_f32_e32 v84, v0, v1
	v_max_f32_e32 v0, v0, v1
	v_cndmask_b32_e32 v1, v0, v84, vcc
	v_and_b32_e32 v0, 0x7f800000, v1
	v_cmp_ne_u32_e64 s[26:27], s97, v0
                                        ; implicit-def: $vgpr0
	s_and_saveexec_b64 s[34:35], s[26:27]
	s_xor_b64 s[26:27], exec, s[34:35]
; %bb.1928:                             ;   in Loop: Header=BB29_1906 Depth=2
	v_bfe_u32 v0, v1, 16, 1
	v_add3_u32 v0, v1, v0, s46
                                        ; implicit-def: $vgpr1
; %bb.1929:                             ;   in Loop: Header=BB29_1906 Depth=2
	s_andn2_saveexec_b64 s[34:35], s[26:27]
; %bb.1930:                             ;   in Loop: Header=BB29_1906 Depth=2
	v_or_b32_e32 v0, 0x10000, v1
	v_cmp_eq_u32_sdwa s[26:27], v1, v3 src0_sel:WORD_0 src1_sel:DWORD
	s_nop 1
	v_cndmask_b32_e64 v0, v0, v1, s[26:27]
; %bb.1931:                             ;   in Loop: Header=BB29_1906 Depth=2
	s_or_b64 exec, exec, s[34:35]
	v_lshlrev_b32_e32 v1, 16, v81
	v_lshlrev_b32_e32 v81, 16, v25
	v_max_f32_e32 v81, v81, v81
	v_max_f32_e32 v1, v1, v1
	v_min_f32_e32 v84, v1, v81
	v_max_f32_e32 v1, v1, v81
	v_cndmask_b32_e32 v1, v1, v84, vcc
	v_and_b32_e32 v81, 0x7f800000, v1
	v_cmp_ne_u32_e64 s[26:27], s97, v81
                                        ; implicit-def: $vgpr81
	s_and_saveexec_b64 s[34:35], s[26:27]
	s_xor_b64 s[26:27], exec, s[34:35]
; %bb.1932:                             ;   in Loop: Header=BB29_1906 Depth=2
	v_bfe_u32 v81, v1, 16, 1
	v_add3_u32 v81, v1, v81, s46
                                        ; implicit-def: $vgpr1
; %bb.1933:                             ;   in Loop: Header=BB29_1906 Depth=2
	s_andn2_saveexec_b64 s[34:35], s[26:27]
; %bb.1934:                             ;   in Loop: Header=BB29_1906 Depth=2
	v_or_b32_e32 v81, 0x10000, v1
	v_cmp_eq_u32_sdwa s[26:27], v1, v3 src0_sel:WORD_0 src1_sel:DWORD
	s_nop 1
	v_cndmask_b32_e64 v81, v81, v1, s[26:27]
; %bb.1935:                             ;   in Loop: Header=BB29_1906 Depth=2
	s_or_b64 exec, exec, s[34:35]
	v_lshlrev_b32_e32 v1, 16, v69
	v_lshlrev_b32_e32 v69, 16, v26
	v_max_f32_e32 v69, v69, v69
	v_max_f32_e32 v1, v1, v1
	v_min_f32_e32 v84, v1, v69
	v_max_f32_e32 v1, v1, v69
	v_cndmask_b32_e32 v1, v1, v84, vcc
	v_and_b32_e32 v69, 0x7f800000, v1
	v_cmp_ne_u32_e64 s[26:27], s97, v69
                                        ; implicit-def: $vgpr69
	s_and_saveexec_b64 s[34:35], s[26:27]
	s_xor_b64 s[26:27], exec, s[34:35]
; %bb.1936:                             ;   in Loop: Header=BB29_1906 Depth=2
	v_bfe_u32 v69, v1, 16, 1
	v_add3_u32 v69, v1, v69, s46
                                        ; implicit-def: $vgpr1
; %bb.1937:                             ;   in Loop: Header=BB29_1906 Depth=2
	s_andn2_saveexec_b64 s[34:35], s[26:27]
; %bb.1938:                             ;   in Loop: Header=BB29_1906 Depth=2
	v_or_b32_e32 v69, 0x10000, v1
	v_cmp_eq_u32_sdwa s[26:27], v1, v3 src0_sel:WORD_0 src1_sel:DWORD
	s_nop 1
	v_cndmask_b32_e64 v69, v69, v1, s[26:27]
; %bb.1939:                             ;   in Loop: Header=BB29_1906 Depth=2
	s_or_b64 exec, exec, s[34:35]
	v_lshlrev_b32_e32 v1, 16, v66
	v_lshlrev_b32_e32 v66, 16, v27
	v_max_f32_e32 v66, v66, v66
	v_max_f32_e32 v1, v1, v1
	v_min_f32_e32 v84, v1, v66
	v_max_f32_e32 v1, v1, v66
	v_cndmask_b32_e32 v1, v1, v84, vcc
	v_and_b32_e32 v66, 0x7f800000, v1
	v_cmp_ne_u32_e64 s[26:27], s97, v66
                                        ; implicit-def: $vgpr66
	s_and_saveexec_b64 s[34:35], s[26:27]
	s_xor_b64 s[26:27], exec, s[34:35]
; %bb.1940:                             ;   in Loop: Header=BB29_1906 Depth=2
	v_bfe_u32 v66, v1, 16, 1
	v_add3_u32 v66, v1, v66, s46
                                        ; implicit-def: $vgpr1
; %bb.1941:                             ;   in Loop: Header=BB29_1906 Depth=2
	s_andn2_saveexec_b64 s[34:35], s[26:27]
; %bb.1942:                             ;   in Loop: Header=BB29_1906 Depth=2
	v_or_b32_e32 v66, 0x10000, v1
	v_cmp_eq_u32_sdwa s[26:27], v1, v3 src0_sel:WORD_0 src1_sel:DWORD
	s_nop 1
	v_cndmask_b32_e64 v66, v66, v1, s[26:27]
; %bb.1943:                             ;   in Loop: Header=BB29_1906 Depth=2
	s_or_b64 exec, exec, s[34:35]
	v_lshlrev_b32_e32 v1, 16, v55
	v_lshlrev_b32_e32 v55, 16, v32
	v_max_f32_e32 v55, v55, v55
	v_max_f32_e32 v1, v1, v1
	v_min_f32_e32 v84, v1, v55
	v_max_f32_e32 v1, v1, v55
	v_cndmask_b32_e32 v1, v1, v84, vcc
	v_and_b32_e32 v55, 0x7f800000, v1
	v_cmp_ne_u32_e64 s[26:27], s97, v55
                                        ; implicit-def: $vgpr55
	s_and_saveexec_b64 s[34:35], s[26:27]
	s_xor_b64 s[26:27], exec, s[34:35]
; %bb.1944:                             ;   in Loop: Header=BB29_1906 Depth=2
	v_bfe_u32 v55, v1, 16, 1
	v_add3_u32 v55, v1, v55, s46
                                        ; implicit-def: $vgpr1
; %bb.1945:                             ;   in Loop: Header=BB29_1906 Depth=2
	s_andn2_saveexec_b64 s[34:35], s[26:27]
; %bb.1946:                             ;   in Loop: Header=BB29_1906 Depth=2
	v_or_b32_e32 v55, 0x10000, v1
	v_cmp_eq_u32_sdwa s[26:27], v1, v3 src0_sel:WORD_0 src1_sel:DWORD
	s_nop 1
	v_cndmask_b32_e64 v55, v55, v1, s[26:27]
; %bb.1947:                             ;   in Loop: Header=BB29_1906 Depth=2
	s_or_b64 exec, exec, s[34:35]
	v_lshlrev_b32_e32 v1, 16, v52
	v_lshlrev_b32_e32 v52, 16, v33
	v_max_f32_e32 v52, v52, v52
	v_max_f32_e32 v1, v1, v1
	v_min_f32_e32 v84, v1, v52
	v_max_f32_e32 v1, v1, v52
	v_cndmask_b32_e32 v1, v1, v84, vcc
	v_and_b32_e32 v52, 0x7f800000, v1
	v_cmp_ne_u32_e64 s[26:27], s97, v52
                                        ; implicit-def: $vgpr52
	s_and_saveexec_b64 s[34:35], s[26:27]
	s_xor_b64 s[26:27], exec, s[34:35]
; %bb.1948:                             ;   in Loop: Header=BB29_1906 Depth=2
	v_bfe_u32 v52, v1, 16, 1
	v_add3_u32 v52, v1, v52, s46
                                        ; implicit-def: $vgpr1
; %bb.1949:                             ;   in Loop: Header=BB29_1906 Depth=2
	s_andn2_saveexec_b64 s[34:35], s[26:27]
; %bb.1950:                             ;   in Loop: Header=BB29_1906 Depth=2
	v_or_b32_e32 v52, 0x10000, v1
	v_cmp_eq_u32_sdwa s[26:27], v1, v3 src0_sel:WORD_0 src1_sel:DWORD
	s_nop 1
	v_cndmask_b32_e64 v52, v52, v1, s[26:27]
; %bb.1951:                             ;   in Loop: Header=BB29_1906 Depth=2
	s_or_b64 exec, exec, s[34:35]
	v_lshlrev_b32_e32 v1, 16, v51
	v_lshlrev_b32_e32 v51, 16, v34
	v_max_f32_e32 v51, v51, v51
	v_max_f32_e32 v1, v1, v1
	v_min_f32_e32 v84, v1, v51
	v_max_f32_e32 v1, v1, v51
	v_cndmask_b32_e32 v1, v1, v84, vcc
	v_and_b32_e32 v51, 0x7f800000, v1
	v_cmp_ne_u32_e64 s[26:27], s97, v51
                                        ; implicit-def: $vgpr51
	s_and_saveexec_b64 s[34:35], s[26:27]
	s_xor_b64 s[26:27], exec, s[34:35]
; %bb.1952:                             ;   in Loop: Header=BB29_1906 Depth=2
	v_bfe_u32 v51, v1, 16, 1
	v_add3_u32 v51, v1, v51, s46
                                        ; implicit-def: $vgpr1
; %bb.1953:                             ;   in Loop: Header=BB29_1906 Depth=2
	s_andn2_saveexec_b64 s[34:35], s[26:27]
; %bb.1954:                             ;   in Loop: Header=BB29_1906 Depth=2
	v_or_b32_e32 v51, 0x10000, v1
	v_cmp_eq_u32_sdwa s[26:27], v1, v3 src0_sel:WORD_0 src1_sel:DWORD
	s_nop 1
	v_cndmask_b32_e64 v51, v51, v1, s[26:27]
; %bb.1955:                             ;   in Loop: Header=BB29_1906 Depth=2
	s_or_b64 exec, exec, s[34:35]
	v_lshlrev_b32_e32 v1, 16, v50
	v_lshlrev_b32_e32 v50, 16, v35
	v_max_f32_e32 v50, v50, v50
	v_max_f32_e32 v1, v1, v1
	v_min_f32_e32 v84, v1, v50
	v_max_f32_e32 v1, v1, v50
	v_cndmask_b32_e32 v1, v1, v84, vcc
	v_and_b32_e32 v50, 0x7f800000, v1
	v_cmp_ne_u32_e64 s[26:27], s97, v50
                                        ; implicit-def: $vgpr50
	s_and_saveexec_b64 s[34:35], s[26:27]
	s_xor_b64 s[26:27], exec, s[34:35]
; %bb.1956:                             ;   in Loop: Header=BB29_1906 Depth=2
	v_bfe_u32 v50, v1, 16, 1
	v_add3_u32 v50, v1, v50, s46
                                        ; implicit-def: $vgpr1
; %bb.1957:                             ;   in Loop: Header=BB29_1906 Depth=2
	s_andn2_saveexec_b64 s[34:35], s[26:27]
; %bb.1958:                             ;   in Loop: Header=BB29_1906 Depth=2
	v_or_b32_e32 v50, 0x10000, v1
	v_cmp_eq_u32_sdwa s[26:27], v1, v3 src0_sel:WORD_0 src1_sel:DWORD
	s_nop 1
	v_cndmask_b32_e64 v50, v50, v1, s[26:27]
; %bb.1959:                             ;   in Loop: Header=BB29_1906 Depth=2
	s_or_b64 exec, exec, s[34:35]
	v_lshlrev_b32_e32 v1, 16, v49
	v_lshlrev_b32_e32 v49, 16, v36
	v_max_f32_e32 v49, v49, v49
	v_max_f32_e32 v1, v1, v1
	v_min_f32_e32 v84, v1, v49
	v_max_f32_e32 v1, v1, v49
	v_cndmask_b32_e32 v49, v1, v84, vcc
	v_and_b32_e32 v1, 0x7f800000, v49
	v_cmp_ne_u32_e64 s[26:27], s97, v1
                                        ; implicit-def: $vgpr1
	s_and_saveexec_b64 s[34:35], s[26:27]
	s_xor_b64 s[26:27], exec, s[34:35]
; %bb.1960:                             ;   in Loop: Header=BB29_1906 Depth=2
	v_bfe_u32 v1, v49, 16, 1
	v_add3_u32 v1, v49, v1, s46
                                        ; implicit-def: $vgpr49
; %bb.1961:                             ;   in Loop: Header=BB29_1906 Depth=2
	s_andn2_saveexec_b64 s[34:35], s[26:27]
; %bb.1962:                             ;   in Loop: Header=BB29_1906 Depth=2
	v_or_b32_e32 v1, 0x10000, v49
	v_cmp_eq_u32_sdwa s[26:27], v49, v3 src0_sel:WORD_0 src1_sel:DWORD
	s_nop 1
	v_cndmask_b32_e64 v1, v1, v49, s[26:27]
; %bb.1963:                             ;   in Loop: Header=BB29_1906 Depth=2
	s_or_b64 exec, exec, s[34:35]
	v_lshlrev_b32_e32 v48, 16, v48
	v_lshlrev_b32_e32 v49, 16, v37
	v_max_f32_e32 v49, v49, v49
	v_max_f32_e32 v48, v48, v48
	v_min_f32_e32 v84, v48, v49
	v_max_f32_e32 v48, v48, v49
	v_cndmask_b32_e32 v49, v48, v84, vcc
	v_and_b32_e32 v48, 0x7f800000, v49
	v_cmp_ne_u32_e64 s[26:27], s97, v48
                                        ; implicit-def: $vgpr48
	s_and_saveexec_b64 s[34:35], s[26:27]
	s_xor_b64 s[26:27], exec, s[34:35]
; %bb.1964:                             ;   in Loop: Header=BB29_1906 Depth=2
	v_bfe_u32 v48, v49, 16, 1
	v_add3_u32 v48, v49, v48, s46
                                        ; implicit-def: $vgpr49
; %bb.1965:                             ;   in Loop: Header=BB29_1906 Depth=2
	s_andn2_saveexec_b64 s[34:35], s[26:27]
; %bb.1966:                             ;   in Loop: Header=BB29_1906 Depth=2
	v_or_b32_e32 v48, 0x10000, v49
	v_cmp_eq_u32_sdwa s[26:27], v49, v3 src0_sel:WORD_0 src1_sel:DWORD
	s_nop 1
	v_cndmask_b32_e64 v48, v48, v49, s[26:27]
; %bb.1967:                             ;   in Loop: Header=BB29_1906 Depth=2
	s_or_b64 exec, exec, s[34:35]
	v_lshlrev_b32_e32 v39, 16, v39
	v_lshlrev_b32_e32 v49, 16, v38
	v_max_f32_e32 v49, v49, v49
	v_max_f32_e32 v39, v39, v39
	v_min_f32_e32 v84, v39, v49
	v_max_f32_e32 v39, v39, v49
	v_cndmask_b32_e32 v49, v39, v84, vcc
	v_and_b32_e32 v39, 0x7f800000, v49
	v_cmp_ne_u32_e64 s[26:27], s97, v39
                                        ; implicit-def: $vgpr39
	s_and_saveexec_b64 s[34:35], s[26:27]
	s_xor_b64 s[26:27], exec, s[34:35]
; %bb.1968:                             ;   in Loop: Header=BB29_1906 Depth=2
	v_bfe_u32 v39, v49, 16, 1
	v_add3_u32 v39, v49, v39, s46
                                        ; implicit-def: $vgpr49
; %bb.1969:                             ;   in Loop: Header=BB29_1906 Depth=2
	s_andn2_saveexec_b64 s[34:35], s[26:27]
; %bb.1970:                             ;   in Loop: Header=BB29_1906 Depth=2
	v_or_b32_e32 v39, 0x10000, v49
	v_cmp_eq_u32_sdwa s[26:27], v49, v3 src0_sel:WORD_0 src1_sel:DWORD
	s_nop 1
	v_cndmask_b32_e64 v39, v39, v49, s[26:27]
; %bb.1971:                             ;   in Loop: Header=BB29_1906 Depth=2
	s_or_b64 exec, exec, s[34:35]
	v_lshrrev_b32_e32 v118, 16, v6
	v_lshrrev_b32_e32 v48, 16, v48
	;; [unrolled: 1-line block ×16, first 2 shown]
	flat_store_short v[8:9], v118 nt
	flat_store_short v[8:9], v113 offset:128 nt
	flat_store_short v[8:9], v101 offset:256 nt
	;; [unrolled: 1-line block ×15, first 2 shown]
	flat_store_short v[4:5], v118 nt
	flat_store_short v[4:5], v113 offset:128 nt
	flat_store_short v[4:5], v101 offset:256 nt
	;; [unrolled: 1-line block ×15, first 2 shown]
	v_lshl_add_u64 v[8:9], v[8:9], 0, v[104:105]
	v_lshl_add_u64 v[4:5], v[4:5], 0, v[104:105]
.LBB29_1972:                            ;   in Loop: Header=BB29_1906 Depth=2
	s_or_b64 exec, exec, s[36:37]
	v_sub_u32_e32 v17, v17, v60
	v_lshl_add_u64 v[10:11], v[10:11], 0, v[104:105]
	v_lshl_add_u64 v[12:13], v[12:13], 0, v[104:105]
	v_cmp_lt_i32_e64 s[34:35], 0, v17
	s_and_saveexec_b64 s[26:27], s[34:35]
	s_cbranch_execz .LBB29_1974
; %bb.1973:                             ;   in Loop: Header=BB29_1906 Depth=2
	flat_load_ushort v118, v[10:11] nt
	flat_load_ushort v113, v[10:11] offset:128 nt
	flat_load_ushort v101, v[10:11] offset:256 nt
	;; [unrolled: 1-line block ×15, first 2 shown]
	flat_load_ushort v19, v[12:13] nt
	flat_load_ushort v20, v[12:13] offset:128 nt
	flat_load_ushort v21, v[12:13] offset:256 nt
	;; [unrolled: 1-line block ×15, first 2 shown]
	v_lshl_add_u64 v[10:11], v[10:11], 0, s[62:63]
	v_lshl_add_u64 v[12:13], v[12:13], 0, s[62:63]
.LBB29_1974:                            ;   in Loop: Header=BB29_1906 Depth=2
	s_or_b64 exec, exec, s[26:27]
	s_waitcnt vmcnt(0) lgkmcnt(0)
	v_lshlrev_b32_e32 v0, 16, v73
	v_lshlrev_b32_e32 v1, 16, v74
	v_max_f32_e32 v1, v1, v1
	v_max_f32_e32 v0, v0, v0
	v_min_f32_e32 v6, v0, v1
	v_max_f32_e32 v0, v0, v1
	v_cndmask_b32_e32 v0, v0, v6, vcc
	v_and_b32_e32 v1, 0x7f800000, v0
	v_cmp_ne_u32_e64 s[26:27], s97, v1
                                        ; implicit-def: $vgpr6
	s_and_saveexec_b64 s[36:37], s[26:27]
	s_xor_b64 s[26:27], exec, s[36:37]
; %bb.1975:                             ;   in Loop: Header=BB29_1906 Depth=2
	v_bfe_u32 v1, v0, 16, 1
	v_add3_u32 v6, v0, v1, s46
                                        ; implicit-def: $vgpr0
; %bb.1976:                             ;   in Loop: Header=BB29_1906 Depth=2
	s_andn2_saveexec_b64 s[36:37], s[26:27]
; %bb.1977:                             ;   in Loop: Header=BB29_1906 Depth=2
	v_or_b32_e32 v1, 0x10000, v0
	v_cmp_eq_u32_sdwa s[26:27], v0, v3 src0_sel:WORD_0 src1_sel:DWORD
	s_nop 1
	v_cndmask_b32_e64 v6, v1, v0, s[26:27]
; %bb.1978:                             ;   in Loop: Header=BB29_1906 Depth=2
	s_or_b64 exec, exec, s[36:37]
	v_lshlrev_b32_e32 v0, 16, v63
	v_lshlrev_b32_e32 v1, 16, v72
	v_max_f32_e32 v1, v1, v1
	v_max_f32_e32 v0, v0, v0
	v_min_f32_e32 v7, v0, v1
	v_max_f32_e32 v0, v0, v1
	v_cndmask_b32_e32 v0, v0, v7, vcc
	v_and_b32_e32 v1, 0x7f800000, v0
	v_cmp_ne_u32_e64 s[26:27], s97, v1
                                        ; implicit-def: $vgpr7
	s_and_saveexec_b64 s[36:37], s[26:27]
	s_xor_b64 s[26:27], exec, s[36:37]
; %bb.1979:                             ;   in Loop: Header=BB29_1906 Depth=2
	v_bfe_u32 v1, v0, 16, 1
	v_add3_u32 v7, v0, v1, s46
                                        ; implicit-def: $vgpr0
; %bb.1980:                             ;   in Loop: Header=BB29_1906 Depth=2
	s_andn2_saveexec_b64 s[36:37], s[26:27]
; %bb.1981:                             ;   in Loop: Header=BB29_1906 Depth=2
	v_or_b32_e32 v1, 0x10000, v0
	v_cmp_eq_u32_sdwa s[26:27], v0, v3 src0_sel:WORD_0 src1_sel:DWORD
	s_nop 1
	v_cndmask_b32_e64 v7, v1, v0, s[26:27]
; %bb.1982:                             ;   in Loop: Header=BB29_1906 Depth=2
	s_or_b64 exec, exec, s[36:37]
	v_lshlrev_b32_e32 v0, 16, v45
	v_lshlrev_b32_e32 v1, 16, v62
	v_max_f32_e32 v1, v1, v1
	v_max_f32_e32 v0, v0, v0
	v_min_f32_e32 v30, v0, v1
	v_max_f32_e32 v0, v0, v1
	v_cndmask_b32_e32 v0, v0, v30, vcc
	v_and_b32_e32 v1, 0x7f800000, v0
	v_cmp_ne_u32_e64 s[26:27], s97, v1
                                        ; implicit-def: $vgpr30
	s_and_saveexec_b64 s[36:37], s[26:27]
	s_xor_b64 s[26:27], exec, s[36:37]
; %bb.1983:                             ;   in Loop: Header=BB29_1906 Depth=2
	v_bfe_u32 v1, v0, 16, 1
	v_add3_u32 v30, v0, v1, s46
                                        ; implicit-def: $vgpr0
; %bb.1984:                             ;   in Loop: Header=BB29_1906 Depth=2
	s_andn2_saveexec_b64 s[36:37], s[26:27]
; %bb.1985:                             ;   in Loop: Header=BB29_1906 Depth=2
	v_or_b32_e32 v1, 0x10000, v0
	v_cmp_eq_u32_sdwa s[26:27], v0, v3 src0_sel:WORD_0 src1_sel:DWORD
	s_nop 1
	v_cndmask_b32_e64 v30, v1, v0, s[26:27]
; %bb.1986:                             ;   in Loop: Header=BB29_1906 Depth=2
	s_or_b64 exec, exec, s[36:37]
	v_lshlrev_b32_e32 v0, 16, v59
	v_lshlrev_b32_e32 v1, 16, v44
	v_max_f32_e32 v1, v1, v1
	v_max_f32_e32 v0, v0, v0
	v_min_f32_e32 v42, v0, v1
	v_max_f32_e32 v0, v0, v1
	v_cndmask_b32_e32 v0, v0, v42, vcc
	v_and_b32_e32 v1, 0x7f800000, v0
	v_cmp_ne_u32_e64 s[26:27], s97, v1
                                        ; implicit-def: $vgpr42
	s_and_saveexec_b64 s[36:37], s[26:27]
	s_xor_b64 s[26:27], exec, s[36:37]
; %bb.1987:                             ;   in Loop: Header=BB29_1906 Depth=2
	v_bfe_u32 v1, v0, 16, 1
	v_add3_u32 v42, v0, v1, s46
                                        ; implicit-def: $vgpr0
; %bb.1988:                             ;   in Loop: Header=BB29_1906 Depth=2
	s_andn2_saveexec_b64 s[36:37], s[26:27]
; %bb.1989:                             ;   in Loop: Header=BB29_1906 Depth=2
	v_or_b32_e32 v1, 0x10000, v0
	v_cmp_eq_u32_sdwa s[26:27], v0, v3 src0_sel:WORD_0 src1_sel:DWORD
	s_nop 1
	v_cndmask_b32_e64 v42, v1, v0, s[26:27]
; %bb.1990:                             ;   in Loop: Header=BB29_1906 Depth=2
	s_or_b64 exec, exec, s[36:37]
	v_lshlrev_b32_e32 v0, 16, v119
	v_lshlrev_b32_e32 v1, 16, v58
	v_max_f32_e32 v1, v1, v1
	v_max_f32_e32 v0, v0, v0
	v_min_f32_e32 v119, v0, v1
	v_max_f32_e32 v0, v0, v1
	v_cndmask_b32_e32 v0, v0, v119, vcc
	v_and_b32_e32 v1, 0x7f800000, v0
	v_cmp_ne_u32_e64 s[26:27], s97, v1
                                        ; implicit-def: $vgpr119
	s_and_saveexec_b64 s[36:37], s[26:27]
	s_xor_b64 s[26:27], exec, s[36:37]
; %bb.1991:                             ;   in Loop: Header=BB29_1906 Depth=2
	v_bfe_u32 v1, v0, 16, 1
	v_add3_u32 v119, v0, v1, s46
                                        ; implicit-def: $vgpr0
; %bb.1992:                             ;   in Loop: Header=BB29_1906 Depth=2
	s_andn2_saveexec_b64 s[36:37], s[26:27]
; %bb.1993:                             ;   in Loop: Header=BB29_1906 Depth=2
	v_or_b32_e32 v1, 0x10000, v0
	v_cmp_eq_u32_sdwa s[26:27], v0, v3 src0_sel:WORD_0 src1_sel:DWORD
	s_nop 1
	v_cndmask_b32_e64 v119, v1, v0, s[26:27]
; %bb.1994:                             ;   in Loop: Header=BB29_1906 Depth=2
	s_or_b64 exec, exec, s[36:37]
	v_lshlrev_b32_e32 v0, 16, v114
	v_lshlrev_b32_e32 v1, 16, v115
	v_max_f32_e32 v1, v1, v1
	v_max_f32_e32 v0, v0, v0
	v_min_f32_e32 v114, v0, v1
	v_max_f32_e32 v0, v0, v1
	v_cndmask_b32_e32 v1, v0, v114, vcc
	v_and_b32_e32 v0, 0x7f800000, v1
	v_cmp_ne_u32_e64 s[26:27], s97, v0
                                        ; implicit-def: $vgpr0
	s_and_saveexec_b64 s[36:37], s[26:27]
	s_xor_b64 s[26:27], exec, s[36:37]
; %bb.1995:                             ;   in Loop: Header=BB29_1906 Depth=2
	v_bfe_u32 v0, v1, 16, 1
	v_add3_u32 v0, v1, v0, s46
                                        ; implicit-def: $vgpr1
; %bb.1996:                             ;   in Loop: Header=BB29_1906 Depth=2
	s_andn2_saveexec_b64 s[36:37], s[26:27]
; %bb.1997:                             ;   in Loop: Header=BB29_1906 Depth=2
	v_or_b32_e32 v0, 0x10000, v1
	v_cmp_eq_u32_sdwa s[26:27], v1, v3 src0_sel:WORD_0 src1_sel:DWORD
	s_nop 1
	v_cndmask_b32_e64 v0, v0, v1, s[26:27]
; %bb.1998:                             ;   in Loop: Header=BB29_1906 Depth=2
	s_or_b64 exec, exec, s[36:37]
	v_lshlrev_b32_e32 v1, 16, v103
	v_lshlrev_b32_e32 v103, 16, v112
	v_max_f32_e32 v103, v103, v103
	v_max_f32_e32 v1, v1, v1
	v_min_f32_e32 v112, v1, v103
	v_max_f32_e32 v1, v1, v103
	v_cndmask_b32_e32 v1, v1, v112, vcc
	v_and_b32_e32 v103, 0x7f800000, v1
	v_cmp_ne_u32_e64 s[26:27], s97, v103
                                        ; implicit-def: $vgpr103
	s_and_saveexec_b64 s[36:37], s[26:27]
	s_xor_b64 s[26:27], exec, s[36:37]
; %bb.1999:                             ;   in Loop: Header=BB29_1906 Depth=2
	v_bfe_u32 v103, v1, 16, 1
	v_add3_u32 v103, v1, v103, s46
                                        ; implicit-def: $vgpr1
; %bb.2000:                             ;   in Loop: Header=BB29_1906 Depth=2
	s_andn2_saveexec_b64 s[36:37], s[26:27]
; %bb.2001:                             ;   in Loop: Header=BB29_1906 Depth=2
	v_or_b32_e32 v103, 0x10000, v1
	v_cmp_eq_u32_sdwa s[26:27], v1, v3 src0_sel:WORD_0 src1_sel:DWORD
	s_nop 1
	v_cndmask_b32_e64 v103, v103, v1, s[26:27]
; %bb.2002:                             ;   in Loop: Header=BB29_1906 Depth=2
	s_or_b64 exec, exec, s[36:37]
	v_lshlrev_b32_e32 v1, 16, v100
	v_lshlrev_b32_e32 v100, 16, v102
	v_max_f32_e32 v100, v100, v100
	v_max_f32_e32 v1, v1, v1
	v_min_f32_e32 v102, v1, v100
	v_max_f32_e32 v1, v1, v100
	v_cndmask_b32_e32 v1, v1, v102, vcc
	v_and_b32_e32 v100, 0x7f800000, v1
	v_cmp_ne_u32_e64 s[26:27], s97, v100
                                        ; implicit-def: $vgpr100
	s_and_saveexec_b64 s[36:37], s[26:27]
	s_xor_b64 s[26:27], exec, s[36:37]
; %bb.2003:                             ;   in Loop: Header=BB29_1906 Depth=2
	v_bfe_u32 v100, v1, 16, 1
	v_add3_u32 v100, v1, v100, s46
                                        ; implicit-def: $vgpr1
; %bb.2004:                             ;   in Loop: Header=BB29_1906 Depth=2
	s_andn2_saveexec_b64 s[36:37], s[26:27]
; %bb.2005:                             ;   in Loop: Header=BB29_1906 Depth=2
	v_or_b32_e32 v100, 0x10000, v1
	v_cmp_eq_u32_sdwa s[26:27], v1, v3 src0_sel:WORD_0 src1_sel:DWORD
	s_nop 1
	v_cndmask_b32_e64 v100, v100, v1, s[26:27]
; %bb.2006:                             ;   in Loop: Header=BB29_1906 Depth=2
	s_or_b64 exec, exec, s[36:37]
	v_lshlrev_b32_e32 v1, 16, v97
	v_lshlrev_b32_e32 v97, 16, v99
	v_max_f32_e32 v97, v97, v97
	v_max_f32_e32 v1, v1, v1
	v_min_f32_e32 v99, v1, v97
	v_max_f32_e32 v1, v1, v97
	v_cndmask_b32_e32 v1, v1, v99, vcc
	v_and_b32_e32 v97, 0x7f800000, v1
	v_cmp_ne_u32_e64 s[26:27], s97, v97
                                        ; implicit-def: $vgpr97
	s_and_saveexec_b64 s[36:37], s[26:27]
	s_xor_b64 s[26:27], exec, s[36:37]
; %bb.2007:                             ;   in Loop: Header=BB29_1906 Depth=2
	v_bfe_u32 v97, v1, 16, 1
	v_add3_u32 v97, v1, v97, s46
                                        ; implicit-def: $vgpr1
; %bb.2008:                             ;   in Loop: Header=BB29_1906 Depth=2
	s_andn2_saveexec_b64 s[36:37], s[26:27]
; %bb.2009:                             ;   in Loop: Header=BB29_1906 Depth=2
	v_or_b32_e32 v97, 0x10000, v1
	v_cmp_eq_u32_sdwa s[26:27], v1, v3 src0_sel:WORD_0 src1_sel:DWORD
	s_nop 1
	v_cndmask_b32_e64 v97, v97, v1, s[26:27]
; %bb.2010:                             ;   in Loop: Header=BB29_1906 Depth=2
	s_or_b64 exec, exec, s[36:37]
	v_lshlrev_b32_e32 v1, 16, v86
	v_lshlrev_b32_e32 v86, 16, v96
	v_max_f32_e32 v86, v86, v86
	v_max_f32_e32 v1, v1, v1
	v_min_f32_e32 v96, v1, v86
	v_max_f32_e32 v1, v1, v86
	v_cndmask_b32_e32 v1, v1, v96, vcc
	v_and_b32_e32 v86, 0x7f800000, v1
	v_cmp_ne_u32_e64 s[26:27], s97, v86
                                        ; implicit-def: $vgpr86
	s_and_saveexec_b64 s[36:37], s[26:27]
	s_xor_b64 s[26:27], exec, s[36:37]
; %bb.2011:                             ;   in Loop: Header=BB29_1906 Depth=2
	v_bfe_u32 v86, v1, 16, 1
	v_add3_u32 v86, v1, v86, s46
                                        ; implicit-def: $vgpr1
; %bb.2012:                             ;   in Loop: Header=BB29_1906 Depth=2
	s_andn2_saveexec_b64 s[36:37], s[26:27]
; %bb.2013:                             ;   in Loop: Header=BB29_1906 Depth=2
	v_or_b32_e32 v86, 0x10000, v1
	v_cmp_eq_u32_sdwa s[26:27], v1, v3 src0_sel:WORD_0 src1_sel:DWORD
	s_nop 1
	v_cndmask_b32_e64 v86, v86, v1, s[26:27]
; %bb.2014:                             ;   in Loop: Header=BB29_1906 Depth=2
	s_or_b64 exec, exec, s[36:37]
	v_lshlrev_b32_e32 v1, 16, v83
	v_lshlrev_b32_e32 v83, 16, v85
	v_max_f32_e32 v83, v83, v83
	v_max_f32_e32 v1, v1, v1
	v_min_f32_e32 v85, v1, v83
	v_max_f32_e32 v1, v1, v83
	v_cndmask_b32_e32 v1, v1, v85, vcc
	v_and_b32_e32 v83, 0x7f800000, v1
	v_cmp_ne_u32_e64 s[26:27], s97, v83
                                        ; implicit-def: $vgpr83
	s_and_saveexec_b64 s[36:37], s[26:27]
	s_xor_b64 s[26:27], exec, s[36:37]
; %bb.2015:                             ;   in Loop: Header=BB29_1906 Depth=2
	v_bfe_u32 v83, v1, 16, 1
	v_add3_u32 v83, v1, v83, s46
                                        ; implicit-def: $vgpr1
; %bb.2016:                             ;   in Loop: Header=BB29_1906 Depth=2
	s_andn2_saveexec_b64 s[36:37], s[26:27]
; %bb.2017:                             ;   in Loop: Header=BB29_1906 Depth=2
	v_or_b32_e32 v83, 0x10000, v1
	v_cmp_eq_u32_sdwa s[26:27], v1, v3 src0_sel:WORD_0 src1_sel:DWORD
	s_nop 1
	v_cndmask_b32_e64 v83, v83, v1, s[26:27]
; %bb.2018:                             ;   in Loop: Header=BB29_1906 Depth=2
	s_or_b64 exec, exec, s[36:37]
	v_lshlrev_b32_e32 v1, 16, v80
	v_lshlrev_b32_e32 v80, 16, v82
	v_max_f32_e32 v80, v80, v80
	v_max_f32_e32 v1, v1, v1
	v_min_f32_e32 v82, v1, v80
	v_max_f32_e32 v1, v1, v80
	v_cndmask_b32_e32 v1, v1, v82, vcc
	v_and_b32_e32 v80, 0x7f800000, v1
	v_cmp_ne_u32_e64 s[26:27], s97, v80
                                        ; implicit-def: $vgpr80
	s_and_saveexec_b64 s[36:37], s[26:27]
	s_xor_b64 s[26:27], exec, s[36:37]
; %bb.2019:                             ;   in Loop: Header=BB29_1906 Depth=2
	v_bfe_u32 v80, v1, 16, 1
	v_add3_u32 v80, v1, v80, s46
                                        ; implicit-def: $vgpr1
; %bb.2020:                             ;   in Loop: Header=BB29_1906 Depth=2
	s_andn2_saveexec_b64 s[36:37], s[26:27]
; %bb.2021:                             ;   in Loop: Header=BB29_1906 Depth=2
	v_or_b32_e32 v80, 0x10000, v1
	v_cmp_eq_u32_sdwa s[26:27], v1, v3 src0_sel:WORD_0 src1_sel:DWORD
	s_nop 1
	v_cndmask_b32_e64 v80, v80, v1, s[26:27]
; %bb.2022:                             ;   in Loop: Header=BB29_1906 Depth=2
	s_or_b64 exec, exec, s[36:37]
	v_lshlrev_b32_e32 v1, 16, v70
	v_lshlrev_b32_e32 v70, 16, v71
	v_max_f32_e32 v70, v70, v70
	v_max_f32_e32 v1, v1, v1
	v_min_f32_e32 v71, v1, v70
	v_max_f32_e32 v1, v1, v70
	v_cndmask_b32_e32 v1, v1, v71, vcc
	v_and_b32_e32 v70, 0x7f800000, v1
	v_cmp_ne_u32_e64 s[26:27], s97, v70
                                        ; implicit-def: $vgpr70
	s_and_saveexec_b64 s[36:37], s[26:27]
	s_xor_b64 s[26:27], exec, s[36:37]
; %bb.2023:                             ;   in Loop: Header=BB29_1906 Depth=2
	v_bfe_u32 v70, v1, 16, 1
	v_add3_u32 v70, v1, v70, s46
                                        ; implicit-def: $vgpr1
; %bb.2024:                             ;   in Loop: Header=BB29_1906 Depth=2
	s_andn2_saveexec_b64 s[36:37], s[26:27]
; %bb.2025:                             ;   in Loop: Header=BB29_1906 Depth=2
	v_or_b32_e32 v70, 0x10000, v1
	v_cmp_eq_u32_sdwa s[26:27], v1, v3 src0_sel:WORD_0 src1_sel:DWORD
	s_nop 1
	v_cndmask_b32_e64 v70, v70, v1, s[26:27]
; %bb.2026:                             ;   in Loop: Header=BB29_1906 Depth=2
	s_or_b64 exec, exec, s[36:37]
	v_lshlrev_b32_e32 v1, 16, v67
	v_lshlrev_b32_e32 v67, 16, v68
	v_max_f32_e32 v67, v67, v67
	v_max_f32_e32 v1, v1, v1
	v_min_f32_e32 v68, v1, v67
	v_max_f32_e32 v1, v1, v67
	v_cndmask_b32_e32 v67, v1, v68, vcc
	v_and_b32_e32 v1, 0x7f800000, v67
	v_cmp_ne_u32_e64 s[26:27], s97, v1
                                        ; implicit-def: $vgpr1
	s_and_saveexec_b64 s[36:37], s[26:27]
	s_xor_b64 s[26:27], exec, s[36:37]
; %bb.2027:                             ;   in Loop: Header=BB29_1906 Depth=2
	v_bfe_u32 v1, v67, 16, 1
	v_add3_u32 v1, v67, v1, s46
                                        ; implicit-def: $vgpr67
; %bb.2028:                             ;   in Loop: Header=BB29_1906 Depth=2
	s_andn2_saveexec_b64 s[36:37], s[26:27]
; %bb.2029:                             ;   in Loop: Header=BB29_1906 Depth=2
	v_or_b32_e32 v1, 0x10000, v67
	v_cmp_eq_u32_sdwa s[26:27], v67, v3 src0_sel:WORD_0 src1_sel:DWORD
	s_nop 1
	v_cndmask_b32_e64 v1, v1, v67, s[26:27]
; %bb.2030:                             ;   in Loop: Header=BB29_1906 Depth=2
	s_or_b64 exec, exec, s[36:37]
	v_lshlrev_b32_e32 v64, 16, v64
	v_lshlrev_b32_e32 v65, 16, v65
	v_max_f32_e32 v65, v65, v65
	v_max_f32_e32 v64, v64, v64
	v_min_f32_e32 v67, v64, v65
	v_max_f32_e32 v64, v64, v65
	v_cndmask_b32_e32 v65, v64, v67, vcc
	v_and_b32_e32 v64, 0x7f800000, v65
	v_cmp_ne_u32_e64 s[26:27], s97, v64
                                        ; implicit-def: $vgpr64
	s_and_saveexec_b64 s[36:37], s[26:27]
	s_xor_b64 s[26:27], exec, s[36:37]
; %bb.2031:                             ;   in Loop: Header=BB29_1906 Depth=2
	v_bfe_u32 v64, v65, 16, 1
	v_add3_u32 v64, v65, v64, s46
                                        ; implicit-def: $vgpr65
; %bb.2032:                             ;   in Loop: Header=BB29_1906 Depth=2
	s_andn2_saveexec_b64 s[36:37], s[26:27]
; %bb.2033:                             ;   in Loop: Header=BB29_1906 Depth=2
	v_or_b32_e32 v64, 0x10000, v65
	v_cmp_eq_u32_sdwa s[26:27], v65, v3 src0_sel:WORD_0 src1_sel:DWORD
	s_nop 1
	v_cndmask_b32_e64 v64, v64, v65, s[26:27]
; %bb.2034:                             ;   in Loop: Header=BB29_1906 Depth=2
	s_or_b64 exec, exec, s[36:37]
	v_lshlrev_b32_e32 v53, 16, v53
	v_lshlrev_b32_e32 v54, 16, v54
	v_max_f32_e32 v54, v54, v54
	v_max_f32_e32 v53, v53, v53
	v_min_f32_e32 v65, v53, v54
	v_max_f32_e32 v53, v53, v54
	v_cndmask_b32_e32 v54, v53, v65, vcc
	v_and_b32_e32 v53, 0x7f800000, v54
	v_cmp_ne_u32_e64 s[26:27], s97, v53
                                        ; implicit-def: $vgpr53
	s_and_saveexec_b64 s[36:37], s[26:27]
	s_xor_b64 s[26:27], exec, s[36:37]
; %bb.2035:                             ;   in Loop: Header=BB29_1906 Depth=2
	v_bfe_u32 v53, v54, 16, 1
	v_add3_u32 v53, v54, v53, s46
                                        ; implicit-def: $vgpr54
; %bb.2036:                             ;   in Loop: Header=BB29_1906 Depth=2
	s_andn2_saveexec_b64 s[36:37], s[26:27]
; %bb.2037:                             ;   in Loop: Header=BB29_1906 Depth=2
	v_or_b32_e32 v53, 0x10000, v54
	v_cmp_eq_u32_sdwa s[26:27], v54, v3 src0_sel:WORD_0 src1_sel:DWORD
	s_nop 1
	v_cndmask_b32_e64 v53, v53, v54, s[26:27]
; %bb.2038:                             ;   in Loop: Header=BB29_1906 Depth=2
	s_or_b64 exec, exec, s[36:37]
	v_lshrrev_b32_e32 v6, 16, v6
	v_lshrrev_b32_e32 v54, 16, v64
	;; [unrolled: 1-line block ×16, first 2 shown]
	flat_store_short v[8:9], v6 nt
	flat_store_short v[8:9], v7 offset:128 nt
	flat_store_short v[8:9], v30 offset:256 nt
	;; [unrolled: 1-line block ×15, first 2 shown]
	v_lshl_add_u64 v[8:9], v[8:9], 0, s[62:63]
	flat_store_short v[4:5], v6 nt
	flat_store_short v[4:5], v7 offset:128 nt
	flat_store_short v[4:5], v30 offset:256 nt
	;; [unrolled: 1-line block ×15, first 2 shown]
	v_lshl_add_u64 v[4:5], v[4:5], 0, s[62:63]
	s_and_saveexec_b64 s[26:27], s[34:35]
	s_cbranch_execz .LBB29_1905
; %bb.2039:                             ;   in Loop: Header=BB29_1906 Depth=2
	v_lshl_add_u64 v[8:9], v[8:9], 0, v[76:77]
	v_lshl_add_u64 v[4:5], v[4:5], 0, v[76:77]
	;; [unrolled: 1-line block ×4, first 2 shown]
	v_sub_u32_e32 v17, v17, v60
	s_branch .LBB29_1905
.LBB29_2040:                            ;   in Loop: Header=BB29_47 Depth=1
	s_or_b64 exec, exec, s[30:31]
	v_lshlrev_b32_e32 v100, 16, v118
	v_lshlrev_b32_e32 v102, 16, v19
	;; [unrolled: 1-line block ×32, first 2 shown]
	s_and_b64 s[26:27], s[40:41], exec
	v_mov_b64_e32 v[112:113], v[94:95]
	v_mov_b64_e32 v[114:115], v[108:109]
.LBB29_2041:                            ;   in Loop: Header=BB29_47 Depth=1
	s_or_b64 exec, exec, s[28:29]
	s_and_saveexec_b64 s[28:29], s[26:27]
	s_cbranch_execz .LBB29_2107
; %bb.2042:                             ;   in Loop: Header=BB29_47 Depth=1
	s_and_b32 s13, s45, 0xff
	s_cmp_eq_u32 s13, 0
	v_max_f32_e32 v1, v102, v102
	v_max_f32_e32 v12, v100, v100
	v_min_f32_e32 v13, v12, v1
	v_max_f32_e32 v1, v12, v1
	s_cselect_b64 vcc, -1, 0
	v_cndmask_b32_e32 v1, v1, v13, vcc
	v_and_b32_e32 v12, 0x7f800000, v1
	v_cmp_ne_u32_e64 s[26:27], s97, v12
                                        ; implicit-def: $vgpr12
	s_and_saveexec_b64 s[40:41], s[26:27]
	s_xor_b64 s[26:27], exec, s[40:41]
; %bb.2043:                             ;   in Loop: Header=BB29_47 Depth=1
	v_bfe_u32 v12, v1, 16, 1
	v_add3_u32 v12, v1, v12, s46
                                        ; implicit-def: $vgpr1
; %bb.2044:                             ;   in Loop: Header=BB29_47 Depth=1
	s_andn2_saveexec_b64 s[40:41], s[26:27]
; %bb.2045:                             ;   in Loop: Header=BB29_47 Depth=1
	v_or_b32_e32 v12, 0x10000, v1
	v_cmp_eq_u32_sdwa s[26:27], v1, v3 src0_sel:WORD_0 src1_sel:DWORD
	s_nop 1
	v_cndmask_b32_e64 v12, v12, v1, s[26:27]
; %bb.2046:                             ;   in Loop: Header=BB29_47 Depth=1
	s_or_b64 exec, exec, s[40:41]
	v_max_f32_e32 v1, v99, v99
	v_max_f32_e32 v13, v97, v97
	v_min_f32_e32 v24, v13, v1
	v_max_f32_e32 v1, v13, v1
	v_cndmask_b32_e32 v1, v1, v24, vcc
	v_and_b32_e32 v13, 0x7f800000, v1
	v_cmp_ne_u32_e64 s[26:27], s97, v13
                                        ; implicit-def: $vgpr13
	s_and_saveexec_b64 s[40:41], s[26:27]
	s_xor_b64 s[26:27], exec, s[40:41]
; %bb.2047:                             ;   in Loop: Header=BB29_47 Depth=1
	v_bfe_u32 v13, v1, 16, 1
	v_add3_u32 v13, v1, v13, s46
                                        ; implicit-def: $vgpr1
; %bb.2048:                             ;   in Loop: Header=BB29_47 Depth=1
	s_andn2_saveexec_b64 s[40:41], s[26:27]
; %bb.2049:                             ;   in Loop: Header=BB29_47 Depth=1
	v_or_b32_e32 v13, 0x10000, v1
	v_cmp_eq_u32_sdwa s[26:27], v1, v3 src0_sel:WORD_0 src1_sel:DWORD
	s_nop 1
	v_cndmask_b32_e64 v13, v13, v1, s[26:27]
; %bb.2050:                             ;   in Loop: Header=BB29_47 Depth=1
	s_or_b64 exec, exec, s[40:41]
	v_max_f32_e32 v1, v96, v96
	v_max_f32_e32 v24, v86, v86
	v_min_f32_e32 v32, v24, v1
	v_max_f32_e32 v1, v24, v1
	v_cndmask_b32_e32 v1, v1, v32, vcc
	v_and_b32_e32 v24, 0x7f800000, v1
	v_cmp_ne_u32_e64 s[26:27], s97, v24
                                        ; implicit-def: $vgpr24
	s_and_saveexec_b64 s[40:41], s[26:27]
	s_xor_b64 s[26:27], exec, s[40:41]
; %bb.2051:                             ;   in Loop: Header=BB29_47 Depth=1
	v_bfe_u32 v24, v1, 16, 1
	v_add3_u32 v24, v1, v24, s46
                                        ; implicit-def: $vgpr1
; %bb.2052:                             ;   in Loop: Header=BB29_47 Depth=1
	s_andn2_saveexec_b64 s[40:41], s[26:27]
; %bb.2053:                             ;   in Loop: Header=BB29_47 Depth=1
	v_or_b32_e32 v24, 0x10000, v1
	v_cmp_eq_u32_sdwa s[26:27], v1, v3 src0_sel:WORD_0 src1_sel:DWORD
	s_nop 1
	v_cndmask_b32_e64 v24, v24, v1, s[26:27]
; %bb.2054:                             ;   in Loop: Header=BB29_47 Depth=1
	s_or_b64 exec, exec, s[40:41]
	v_max_f32_e32 v1, v85, v85
	v_max_f32_e32 v30, v30, v30
	v_min_f32_e32 v32, v30, v1
	v_max_f32_e32 v1, v30, v1
	v_cndmask_b32_e32 v1, v1, v32, vcc
	v_and_b32_e32 v30, 0x7f800000, v1
	v_cmp_ne_u32_e64 s[26:27], s97, v30
                                        ; implicit-def: $vgpr30
	s_and_saveexec_b64 s[40:41], s[26:27]
	s_xor_b64 s[26:27], exec, s[40:41]
; %bb.2055:                             ;   in Loop: Header=BB29_47 Depth=1
	v_bfe_u32 v30, v1, 16, 1
	v_add3_u32 v30, v1, v30, s46
                                        ; implicit-def: $vgpr1
; %bb.2056:                             ;   in Loop: Header=BB29_47 Depth=1
	s_andn2_saveexec_b64 s[40:41], s[26:27]
; %bb.2057:                             ;   in Loop: Header=BB29_47 Depth=1
	v_or_b32_e32 v30, 0x10000, v1
	v_cmp_eq_u32_sdwa s[26:27], v1, v3 src0_sel:WORD_0 src1_sel:DWORD
	s_nop 1
	v_cndmask_b32_e64 v30, v30, v1, s[26:27]
; %bb.2058:                             ;   in Loop: Header=BB29_47 Depth=1
	s_or_b64 exec, exec, s[40:41]
	v_max_f32_e32 v1, v83, v83
	v_max_f32_e32 v32, v82, v82
	v_min_f32_e32 v33, v32, v1
	v_max_f32_e32 v1, v32, v1
	v_cndmask_b32_e32 v1, v1, v33, vcc
	v_and_b32_e32 v32, 0x7f800000, v1
	v_cmp_ne_u32_e64 s[26:27], s97, v32
                                        ; implicit-def: $vgpr32
	s_and_saveexec_b64 s[40:41], s[26:27]
	s_xor_b64 s[26:27], exec, s[40:41]
; %bb.2059:                             ;   in Loop: Header=BB29_47 Depth=1
	v_bfe_u32 v32, v1, 16, 1
	v_add3_u32 v32, v1, v32, s46
                                        ; implicit-def: $vgpr1
; %bb.2060:                             ;   in Loop: Header=BB29_47 Depth=1
	s_andn2_saveexec_b64 s[40:41], s[26:27]
; %bb.2061:                             ;   in Loop: Header=BB29_47 Depth=1
	v_or_b32_e32 v32, 0x10000, v1
	v_cmp_eq_u32_sdwa s[26:27], v1, v3 src0_sel:WORD_0 src1_sel:DWORD
	s_nop 1
	v_cndmask_b32_e64 v32, v32, v1, s[26:27]
; %bb.2062:                             ;   in Loop: Header=BB29_47 Depth=1
	s_or_b64 exec, exec, s[40:41]
	v_max_f32_e32 v1, v80, v80
	v_max_f32_e32 v33, v71, v71
	v_min_f32_e32 v34, v33, v1
	v_max_f32_e32 v1, v33, v1
	v_cndmask_b32_e32 v1, v1, v34, vcc
	v_and_b32_e32 v33, 0x7f800000, v1
	v_cmp_ne_u32_e64 s[26:27], s97, v33
                                        ; implicit-def: $vgpr33
	s_and_saveexec_b64 s[40:41], s[26:27]
	s_xor_b64 s[26:27], exec, s[40:41]
; %bb.2063:                             ;   in Loop: Header=BB29_47 Depth=1
	v_bfe_u32 v33, v1, 16, 1
	v_add3_u32 v33, v1, v33, s46
                                        ; implicit-def: $vgpr1
; %bb.2064:                             ;   in Loop: Header=BB29_47 Depth=1
	s_andn2_saveexec_b64 s[40:41], s[26:27]
; %bb.2065:                             ;   in Loop: Header=BB29_47 Depth=1
	v_or_b32_e32 v33, 0x10000, v1
	v_cmp_eq_u32_sdwa s[26:27], v1, v3 src0_sel:WORD_0 src1_sel:DWORD
	s_nop 1
	v_cndmask_b32_e64 v33, v33, v1, s[26:27]
; %bb.2066:                             ;   in Loop: Header=BB29_47 Depth=1
	s_or_b64 exec, exec, s[40:41]
	v_max_f32_e32 v1, v70, v70
	v_max_f32_e32 v34, v68, v68
	v_min_f32_e32 v35, v34, v1
	v_max_f32_e32 v1, v34, v1
	v_cndmask_b32_e32 v1, v1, v35, vcc
	v_and_b32_e32 v34, 0x7f800000, v1
	v_cmp_ne_u32_e64 s[26:27], s97, v34
                                        ; implicit-def: $vgpr34
	s_and_saveexec_b64 s[40:41], s[26:27]
	s_xor_b64 s[26:27], exec, s[40:41]
; %bb.2067:                             ;   in Loop: Header=BB29_47 Depth=1
	v_bfe_u32 v34, v1, 16, 1
	v_add3_u32 v34, v1, v34, s46
                                        ; implicit-def: $vgpr1
; %bb.2068:                             ;   in Loop: Header=BB29_47 Depth=1
	s_andn2_saveexec_b64 s[40:41], s[26:27]
; %bb.2069:                             ;   in Loop: Header=BB29_47 Depth=1
	v_or_b32_e32 v34, 0x10000, v1
	v_cmp_eq_u32_sdwa s[26:27], v1, v3 src0_sel:WORD_0 src1_sel:DWORD
	s_nop 1
	v_cndmask_b32_e64 v34, v34, v1, s[26:27]
; %bb.2070:                             ;   in Loop: Header=BB29_47 Depth=1
	s_or_b64 exec, exec, s[40:41]
	v_max_f32_e32 v1, v67, v67
	v_max_f32_e32 v35, v65, v65
	v_min_f32_e32 v36, v35, v1
	v_max_f32_e32 v1, v35, v1
	v_cndmask_b32_e32 v1, v1, v36, vcc
	v_and_b32_e32 v35, 0x7f800000, v1
	v_cmp_ne_u32_e64 s[26:27], s97, v35
                                        ; implicit-def: $vgpr35
	s_and_saveexec_b64 s[40:41], s[26:27]
	s_xor_b64 s[26:27], exec, s[40:41]
; %bb.2071:                             ;   in Loop: Header=BB29_47 Depth=1
	v_bfe_u32 v35, v1, 16, 1
	v_add3_u32 v35, v1, v35, s46
                                        ; implicit-def: $vgpr1
; %bb.2072:                             ;   in Loop: Header=BB29_47 Depth=1
	s_andn2_saveexec_b64 s[40:41], s[26:27]
; %bb.2073:                             ;   in Loop: Header=BB29_47 Depth=1
	v_or_b32_e32 v35, 0x10000, v1
	v_cmp_eq_u32_sdwa s[26:27], v1, v3 src0_sel:WORD_0 src1_sel:DWORD
	s_nop 1
	v_cndmask_b32_e64 v35, v35, v1, s[26:27]
; %bb.2074:                             ;   in Loop: Header=BB29_47 Depth=1
	s_or_b64 exec, exec, s[40:41]
	v_max_f32_e32 v1, v64, v64
	v_max_f32_e32 v36, v54, v54
	v_min_f32_e32 v37, v36, v1
	v_max_f32_e32 v1, v36, v1
	v_cndmask_b32_e32 v1, v1, v37, vcc
	v_and_b32_e32 v36, 0x7f800000, v1
	v_cmp_ne_u32_e64 s[26:27], s97, v36
                                        ; implicit-def: $vgpr36
	s_and_saveexec_b64 s[40:41], s[26:27]
	s_xor_b64 s[26:27], exec, s[40:41]
; %bb.2075:                             ;   in Loop: Header=BB29_47 Depth=1
	v_bfe_u32 v36, v1, 16, 1
	v_add3_u32 v36, v1, v36, s46
                                        ; implicit-def: $vgpr1
; %bb.2076:                             ;   in Loop: Header=BB29_47 Depth=1
	s_andn2_saveexec_b64 s[40:41], s[26:27]
; %bb.2077:                             ;   in Loop: Header=BB29_47 Depth=1
	v_or_b32_e32 v36, 0x10000, v1
	v_cmp_eq_u32_sdwa s[26:27], v1, v3 src0_sel:WORD_0 src1_sel:DWORD
	s_nop 1
	v_cndmask_b32_e64 v36, v36, v1, s[26:27]
; %bb.2078:                             ;   in Loop: Header=BB29_47 Depth=1
	s_or_b64 exec, exec, s[40:41]
	v_max_f32_e32 v0, v0, v0
	v_max_f32_e32 v1, v53, v53
	v_min_f32_e32 v37, v1, v0
	v_max_f32_e32 v0, v1, v0
	v_cndmask_b32_e32 v1, v0, v37, vcc
	v_and_b32_e32 v0, 0x7f800000, v1
	v_cmp_ne_u32_e64 s[26:27], s97, v0
                                        ; implicit-def: $vgpr0
	s_and_saveexec_b64 s[40:41], s[26:27]
	s_xor_b64 s[26:27], exec, s[40:41]
; %bb.2079:                             ;   in Loop: Header=BB29_47 Depth=1
	v_bfe_u32 v0, v1, 16, 1
	v_add3_u32 v0, v1, v0, s46
                                        ; implicit-def: $vgpr1
; %bb.2080:                             ;   in Loop: Header=BB29_47 Depth=1
	s_andn2_saveexec_b64 s[40:41], s[26:27]
; %bb.2081:                             ;   in Loop: Header=BB29_47 Depth=1
	v_or_b32_e32 v0, 0x10000, v1
	v_cmp_eq_u32_sdwa s[26:27], v1, v3 src0_sel:WORD_0 src1_sel:DWORD
	s_nop 1
	v_cndmask_b32_e64 v0, v0, v1, s[26:27]
; %bb.2082:                             ;   in Loop: Header=BB29_47 Depth=1
	s_or_b64 exec, exec, s[40:41]
	v_max_f32_e32 v1, v27, v27
	v_max_f32_e32 v26, v26, v26
	v_min_f32_e32 v27, v26, v1
	v_max_f32_e32 v1, v26, v1
	v_cndmask_b32_e32 v1, v1, v27, vcc
	v_and_b32_e32 v26, 0x7f800000, v1
	v_cmp_ne_u32_e64 s[26:27], s97, v26
                                        ; implicit-def: $vgpr26
	s_and_saveexec_b64 s[40:41], s[26:27]
	s_xor_b64 s[26:27], exec, s[40:41]
; %bb.2083:                             ;   in Loop: Header=BB29_47 Depth=1
	v_bfe_u32 v26, v1, 16, 1
	v_add3_u32 v26, v1, v26, s46
                                        ; implicit-def: $vgpr1
; %bb.2084:                             ;   in Loop: Header=BB29_47 Depth=1
	s_andn2_saveexec_b64 s[40:41], s[26:27]
; %bb.2085:                             ;   in Loop: Header=BB29_47 Depth=1
	v_or_b32_e32 v26, 0x10000, v1
	v_cmp_eq_u32_sdwa s[26:27], v1, v3 src0_sel:WORD_0 src1_sel:DWORD
	s_nop 1
	v_cndmask_b32_e64 v26, v26, v1, s[26:27]
; %bb.2086:                             ;   in Loop: Header=BB29_47 Depth=1
	s_or_b64 exec, exec, s[40:41]
	v_max_f32_e32 v1, v25, v25
	v_max_f32_e32 v23, v23, v23
	v_min_f32_e32 v25, v23, v1
	v_max_f32_e32 v1, v23, v1
	v_cndmask_b32_e32 v1, v1, v25, vcc
	v_and_b32_e32 v23, 0x7f800000, v1
	v_cmp_ne_u32_e64 s[26:27], s97, v23
                                        ; implicit-def: $vgpr23
	s_and_saveexec_b64 s[40:41], s[26:27]
	s_xor_b64 s[26:27], exec, s[40:41]
; %bb.2087:                             ;   in Loop: Header=BB29_47 Depth=1
	v_bfe_u32 v23, v1, 16, 1
	v_add3_u32 v23, v1, v23, s46
                                        ; implicit-def: $vgpr1
; %bb.2088:                             ;   in Loop: Header=BB29_47 Depth=1
	s_andn2_saveexec_b64 s[40:41], s[26:27]
; %bb.2089:                             ;   in Loop: Header=BB29_47 Depth=1
	v_or_b32_e32 v23, 0x10000, v1
	v_cmp_eq_u32_sdwa s[26:27], v1, v3 src0_sel:WORD_0 src1_sel:DWORD
	s_nop 1
	v_cndmask_b32_e64 v23, v23, v1, s[26:27]
; %bb.2090:                             ;   in Loop: Header=BB29_47 Depth=1
	s_or_b64 exec, exec, s[40:41]
	v_max_f32_e32 v1, v22, v22
	v_max_f32_e32 v21, v21, v21
	v_min_f32_e32 v22, v21, v1
	v_max_f32_e32 v1, v21, v1
	v_cndmask_b32_e32 v1, v1, v22, vcc
	v_and_b32_e32 v21, 0x7f800000, v1
	v_cmp_ne_u32_e64 s[26:27], s97, v21
                                        ; implicit-def: $vgpr21
	s_and_saveexec_b64 s[40:41], s[26:27]
	s_xor_b64 s[26:27], exec, s[40:41]
; %bb.2091:                             ;   in Loop: Header=BB29_47 Depth=1
	v_bfe_u32 v21, v1, 16, 1
	v_add3_u32 v21, v1, v21, s46
                                        ; implicit-def: $vgpr1
; %bb.2092:                             ;   in Loop: Header=BB29_47 Depth=1
	s_andn2_saveexec_b64 s[40:41], s[26:27]
; %bb.2093:                             ;   in Loop: Header=BB29_47 Depth=1
	v_or_b32_e32 v21, 0x10000, v1
	v_cmp_eq_u32_sdwa s[26:27], v1, v3 src0_sel:WORD_0 src1_sel:DWORD
	s_nop 1
	v_cndmask_b32_e64 v21, v21, v1, s[26:27]
; %bb.2094:                             ;   in Loop: Header=BB29_47 Depth=1
	s_or_b64 exec, exec, s[40:41]
	v_max_f32_e32 v1, v20, v20
	v_max_f32_e32 v19, v19, v19
	v_min_f32_e32 v20, v19, v1
	v_max_f32_e32 v1, v19, v1
	v_cndmask_b32_e32 v19, v1, v20, vcc
	v_and_b32_e32 v1, 0x7f800000, v19
	v_cmp_ne_u32_e64 s[26:27], s97, v1
                                        ; implicit-def: $vgpr1
	s_and_saveexec_b64 s[40:41], s[26:27]
	s_xor_b64 s[26:27], exec, s[40:41]
; %bb.2095:                             ;   in Loop: Header=BB29_47 Depth=1
	v_bfe_u32 v1, v19, 16, 1
	v_add3_u32 v1, v19, v1, s46
                                        ; implicit-def: $vgpr19
; %bb.2096:                             ;   in Loop: Header=BB29_47 Depth=1
	s_andn2_saveexec_b64 s[40:41], s[26:27]
; %bb.2097:                             ;   in Loop: Header=BB29_47 Depth=1
	v_or_b32_e32 v1, 0x10000, v19
	v_cmp_eq_u32_sdwa s[26:27], v19, v3 src0_sel:WORD_0 src1_sel:DWORD
	s_nop 1
	v_cndmask_b32_e64 v1, v1, v19, s[26:27]
; %bb.2098:                             ;   in Loop: Header=BB29_47 Depth=1
	s_or_b64 exec, exec, s[40:41]
	v_max_f32_e32 v11, v11, v11
	v_max_f32_e32 v10, v10, v10
	v_min_f32_e32 v19, v10, v11
	v_max_f32_e32 v10, v10, v11
	v_cndmask_b32_e32 v11, v10, v19, vcc
	v_and_b32_e32 v10, 0x7f800000, v11
	v_cmp_ne_u32_e64 s[26:27], s97, v10
                                        ; implicit-def: $vgpr10
	s_and_saveexec_b64 s[40:41], s[26:27]
	s_xor_b64 s[26:27], exec, s[40:41]
; %bb.2099:                             ;   in Loop: Header=BB29_47 Depth=1
	v_bfe_u32 v10, v11, 16, 1
	v_add3_u32 v10, v11, v10, s46
                                        ; implicit-def: $vgpr11
; %bb.2100:                             ;   in Loop: Header=BB29_47 Depth=1
	s_andn2_saveexec_b64 s[40:41], s[26:27]
; %bb.2101:                             ;   in Loop: Header=BB29_47 Depth=1
	v_or_b32_e32 v10, 0x10000, v11
	v_cmp_eq_u32_sdwa s[26:27], v11, v3 src0_sel:WORD_0 src1_sel:DWORD
	s_nop 1
	v_cndmask_b32_e64 v10, v10, v11, s[26:27]
; %bb.2102:                             ;   in Loop: Header=BB29_47 Depth=1
	s_or_b64 exec, exec, s[40:41]
	v_max_f32_e32 v7, v7, v7
	v_max_f32_e32 v6, v6, v6
	v_min_f32_e32 v11, v6, v7
	v_max_f32_e32 v6, v6, v7
	v_cndmask_b32_e32 v7, v6, v11, vcc
	v_and_b32_e32 v6, 0x7f800000, v7
	v_cmp_ne_u32_e32 vcc, s97, v6
                                        ; implicit-def: $vgpr6
	s_and_saveexec_b64 s[26:27], vcc
	s_xor_b64 s[26:27], exec, s[26:27]
; %bb.2103:                             ;   in Loop: Header=BB29_47 Depth=1
	v_bfe_u32 v6, v7, 16, 1
	v_add3_u32 v6, v7, v6, s46
                                        ; implicit-def: $vgpr7
; %bb.2104:                             ;   in Loop: Header=BB29_47 Depth=1
	s_andn2_saveexec_b64 s[26:27], s[26:27]
; %bb.2105:                             ;   in Loop: Header=BB29_47 Depth=1
	v_or_b32_e32 v6, 0x10000, v7
	v_cmp_eq_u32_sdwa vcc, v7, v3 src0_sel:WORD_0 src1_sel:DWORD
	s_nop 1
	v_cndmask_b32_e32 v6, v6, v7, vcc
; %bb.2106:                             ;   in Loop: Header=BB29_47 Depth=1
	s_or_b64 exec, exec, s[26:27]
	v_lshrrev_b32_e32 v12, 16, v12
	v_lshrrev_b32_e32 v7, 16, v10
	;; [unrolled: 1-line block ×16, first 2 shown]
	flat_store_short v[8:9], v12 nt
	flat_store_short v[8:9], v13 offset:128 nt
	flat_store_short v[8:9], v24 offset:256 nt
	;; [unrolled: 1-line block ×15, first 2 shown]
	flat_store_short v[4:5], v12 nt
	flat_store_short v[4:5], v13 offset:128 nt
	flat_store_short v[4:5], v24 offset:256 nt
	;; [unrolled: 1-line block ×15, first 2 shown]
.LBB29_2107:                            ;   in Loop: Header=BB29_47 Depth=1
	s_or_b64 exec, exec, s[28:29]
	v_lshlrev_b32_e32 v0, 11, v18
	v_cmp_ne_u32_e32 vcc, v15, v0
	s_and_b64 exec, exec, vcc
	s_cbranch_execz .LBB29_2139
; %bb.2108:                             ;   in Loop: Header=BB29_47 Depth=1
	v_lshlrev_b32_e32 v1, 6, v17
	v_sub_u32_e32 v1, v16, v1
	v_ashrrev_i32_e32 v4, 31, v1
	v_lshrrev_b32_e32 v4, 26, v4
	v_add_u32_e32 v4, v1, v4
	v_and_b32_e32 v5, 0x7fffffc0, v4
	v_sub_u32_e32 v1, v1, v5
	v_lshlrev_b32_e32 v4, 1, v4
	v_and_b32_e32 v4, 0xffffff80, v4
	v_lshlrev_b32_e32 v1, 1, v1
	v_add3_u32 v1, v4, v1, v0
	v_sub_u32_e32 v0, v15, v1
	v_cmp_lt_i32_e32 vcc, 1, v0
	s_and_b64 exec, exec, vcc
	s_cbranch_execz .LBB29_2139
; %bb.2109:                             ;   in Loop: Header=BB29_47 Depth=1
	s_trap 2
	ds_read_b128 v[10:13], v0
	v_add_u32_e32 v6, v1, v14
	s_and_b32 s13, s45, 0xff
	v_ashrrev_i32_e32 v7, 31, v6
	s_cmp_eq_u32 s13, 0
	v_lshl_add_u64 v[4:5], v[112:113], 0, v[6:7]
	v_lshl_add_u64 v[8:9], v[114:115], 0, v[6:7]
	s_waitcnt lgkmcnt(0)
	v_lshl_add_u64 v[10:11], v[10:11], 0, v[6:7]
	v_lshl_add_u64 v[12:13], v[12:13], 0, v[6:7]
	s_mov_b64 s[36:37], 0
	s_mov_b64 s[30:31], 0
	s_cselect_b64 s[26:27], -1, 0
                                        ; implicit-def: $sgpr34_sgpr35
	s_branch .LBB29_2111
.LBB29_2110:                            ;   in Loop: Header=BB29_2111 Depth=2
	s_or_b64 exec, exec, s[28:29]
	v_cmp_gt_i32_e32 vcc, 2, v0
	s_or_b64 s[30:31], vcc, s[30:31]
	s_andn2_b64 s[28:29], s[34:35], exec
	s_and_b64 s[40:41], s[36:37], exec
	s_or_b64 s[34:35], s[28:29], s[40:41]
	s_andn2_b64 exec, exec, s[30:31]
	s_cbranch_execz .LBB29_2132
.LBB29_2111:                            ;   Parent Loop BB29_47 Depth=1
                                        ; =>  This Loop Header: Depth=2
                                        ;       Child Loop BB29_2112 Depth 3
                                        ;       Child Loop BB29_2119 Depth 3
	;; [unrolled: 1-line block ×4, first 2 shown]
	s_add_i32 s13, s33, 0xc0
	s_mov_b32 s45, s13
	s_mov_b64 s[38:39], -1
	s_mov_b64 s[48:49], 0
.LBB29_2112:                            ;   Parent Loop BB29_47 Depth=1
                                        ;     Parent Loop BB29_2111 Depth=2
                                        ; =>    This Inner Loop Header: Depth=3
	s_cmp_eq_u32 s48, 1
	s_cselect_b64 vcc, -1, 0
	v_cndmask_b32_e32 v7, v11, v13, vcc
	v_cndmask_b32_e32 v6, v10, v12, vcc
	flat_load_ushort v1, v[6:7] nt
	s_cmp_eq_u32 s48, 0
	s_cselect_b64 s[28:29], -1, 0
	s_and_b64 s[40:41], exec, s[38:39]
	v_lshl_add_u64 v[6:7], v[6:7], 0, s[72:73]
	s_add_i32 s13, s33, 0xe0
	s_mov_b64 s[48:49], 1
	s_mov_b64 s[38:39], 0
	v_cndmask_b32_e64 v11, v11, v7, s[28:29]
	v_cndmask_b32_e64 v10, v10, v6, s[28:29]
	v_cndmask_b32_e32 v13, v13, v7, vcc
	v_cndmask_b32_e32 v12, v12, v6, vcc
	s_mov_b64 vcc, s[40:41]
	s_waitcnt vmcnt(0) lgkmcnt(0)
	scratch_store_short off, v1, s45
	s_mov_b32 s45, s13
	s_cbranch_vccnz .LBB29_2112
; %bb.2113:                             ;   in Loop: Header=BB29_2111 Depth=2
	s_and_saveexec_b64 s[38:39], s[36:37]
	s_cbranch_execz .LBB29_2121
; %bb.2114:                             ;   in Loop: Header=BB29_2111 Depth=2
	scratch_load_ushort v1, off, s33 offset:184
	scratch_load_ushort v6, off, s33 offset:186
	s_waitcnt vmcnt(1)
	v_lshlrev_b32_e32 v1, 16, v1
	s_waitcnt vmcnt(0)
	v_lshlrev_b32_e32 v6, 16, v6
	v_max_f32_e32 v6, v6, v6
	v_max_f32_e32 v1, v1, v1
	v_min_f32_e32 v7, v1, v6
	v_max_f32_e32 v1, v1, v6
	v_cndmask_b32_e64 v1, v1, v7, s[26:27]
	v_and_b32_e32 v6, 0x7f800000, v1
	v_cmp_ne_u32_e32 vcc, s97, v6
                                        ; implicit-def: $vgpr6
	s_and_saveexec_b64 s[28:29], vcc
	s_xor_b64 s[28:29], exec, s[28:29]
; %bb.2115:                             ;   in Loop: Header=BB29_2111 Depth=2
	v_bfe_u32 v6, v1, 16, 1
	v_add3_u32 v6, v1, v6, s46
                                        ; implicit-def: $vgpr1
; %bb.2116:                             ;   in Loop: Header=BB29_2111 Depth=2
	s_andn2_saveexec_b64 s[28:29], s[28:29]
; %bb.2117:                             ;   in Loop: Header=BB29_2111 Depth=2
	v_or_b32_e32 v6, 0x10000, v1
	v_cmp_eq_u32_sdwa vcc, v1, v3 src0_sel:WORD_0 src1_sel:DWORD
	s_nop 1
	v_cndmask_b32_e32 v6, v6, v1, vcc
; %bb.2118:                             ;   in Loop: Header=BB29_2111 Depth=2
	s_or_b64 exec, exec, s[28:29]
	v_lshrrev_b32_e32 v1, 16, v6
	s_mov_b64 s[48:49], 0
	s_mov_b64 s[36:37], -1
	scratch_store_short off, v1, s33 offset:184
.LBB29_2119:                            ;   Parent Loop BB29_47 Depth=1
                                        ;     Parent Loop BB29_2111 Depth=2
                                        ; =>    This Inner Loop Header: Depth=3
	s_cmp_eq_u32 s48, 1
	s_cselect_b64 vcc, -1, 0
	v_cndmask_b32_e32 v7, v5, v9, vcc
	s_cmp_eq_u32 s48, 0
	v_cndmask_b32_e32 v6, v4, v8, vcc
	flat_store_short v[6:7], v1 nt
	v_lshl_add_u64 v[6:7], v[6:7], 0, s[72:73]
	s_cselect_b64 s[28:29], -1, 0
	s_and_b64 s[40:41], exec, s[36:37]
	s_mov_b64 s[48:49], 1
	s_mov_b64 s[36:37], 0
	v_cndmask_b32_e32 v9, v9, v7, vcc
	v_cndmask_b32_e32 v8, v8, v6, vcc
	v_cndmask_b32_e64 v5, v5, v7, s[28:29]
	v_cndmask_b32_e64 v4, v4, v6, s[28:29]
	s_mov_b64 vcc, s[40:41]
	s_cbranch_vccnz .LBB29_2119
; %bb.2120:                             ;   in Loop: Header=BB29_2111 Depth=2
	v_lshl_add_u64 v[4:5], v[4:5], 0, v[92:93]
	v_lshl_add_u64 v[8:9], v[8:9], 0, v[92:93]
.LBB29_2121:                            ;   in Loop: Header=BB29_2111 Depth=2
	s_or_b64 exec, exec, s[38:39]
	v_sub_u32_e32 v0, v0, v31
	v_lshl_add_u64 v[10:11], v[10:11], 0, v[92:93]
	v_lshl_add_u64 v[12:13], v[12:13], 0, v[92:93]
	v_cmp_lt_i32_e64 s[36:37], 1, v0
	s_and_saveexec_b64 s[38:39], s[36:37]
	s_cbranch_execz .LBB29_2124
; %bb.2122:                             ;   in Loop: Header=BB29_2111 Depth=2
	s_add_i32 s13, s33, 0xb8
	s_mov_b32 s45, s13
	s_mov_b64 s[50:51], 0
	s_mov_b64 s[48:49], -1
.LBB29_2123:                            ;   Parent Loop BB29_47 Depth=1
                                        ;     Parent Loop BB29_2111 Depth=2
                                        ; =>    This Inner Loop Header: Depth=3
	s_cmp_eq_u32 s50, 1
	s_cselect_b64 vcc, -1, 0
	v_cndmask_b32_e32 v7, v11, v13, vcc
	v_cndmask_b32_e32 v6, v10, v12, vcc
	flat_load_ushort v1, v[6:7] nt
	s_cmp_eq_u32 s50, 0
	s_cselect_b64 s[28:29], -1, 0
	s_and_b64 s[40:41], exec, s[48:49]
	v_lshl_add_u64 v[6:7], v[6:7], 0, s[72:73]
	s_add_i32 s13, s33, 0xba
	s_mov_b64 s[50:51], 1
	s_mov_b64 s[48:49], 0
	v_cndmask_b32_e64 v11, v11, v7, s[28:29]
	v_cndmask_b32_e64 v10, v10, v6, s[28:29]
	v_cndmask_b32_e32 v13, v13, v7, vcc
	v_cndmask_b32_e32 v12, v12, v6, vcc
	s_mov_b64 vcc, s[40:41]
	s_waitcnt vmcnt(0) lgkmcnt(0)
	scratch_store_short off, v1, s45
	s_mov_b32 s45, s13
	s_cbranch_vccnz .LBB29_2123
.LBB29_2124:                            ;   in Loop: Header=BB29_2111 Depth=2
	s_or_b64 exec, exec, s[38:39]
	scratch_load_ushort v1, off, s33 offset:192
	scratch_load_ushort v6, off, s33 offset:224
	s_waitcnt vmcnt(0)
	v_lshlrev_b32_e32 v1, 16, v1
	v_lshlrev_b32_e32 v6, 16, v6
	v_max_f32_e32 v6, v6, v6
	v_max_f32_e32 v1, v1, v1
	v_min_f32_e32 v7, v1, v6
	v_max_f32_e32 v1, v1, v6
	v_cndmask_b32_e64 v1, v1, v7, s[26:27]
	v_and_b32_e32 v6, 0x7f800000, v1
	v_cmp_ne_u32_e32 vcc, s97, v6
                                        ; implicit-def: $vgpr6
	s_and_saveexec_b64 s[28:29], vcc
	s_xor_b64 s[28:29], exec, s[28:29]
; %bb.2125:                             ;   in Loop: Header=BB29_2111 Depth=2
	v_bfe_u32 v6, v1, 16, 1
	v_add3_u32 v6, v1, v6, s46
                                        ; implicit-def: $vgpr1
; %bb.2126:                             ;   in Loop: Header=BB29_2111 Depth=2
	s_andn2_saveexec_b64 s[28:29], s[28:29]
; %bb.2127:                             ;   in Loop: Header=BB29_2111 Depth=2
	v_or_b32_e32 v6, 0x10000, v1
	v_cmp_eq_u32_sdwa vcc, v1, v3 src0_sel:WORD_0 src1_sel:DWORD
	s_nop 1
	v_cndmask_b32_e32 v6, v6, v1, vcc
; %bb.2128:                             ;   in Loop: Header=BB29_2111 Depth=2
	s_or_b64 exec, exec, s[28:29]
	v_lshrrev_b32_e32 v1, 16, v6
	s_mov_b64 s[48:49], 0
	s_mov_b64 s[38:39], -1
	scratch_store_short off, v1, s33 offset:192
.LBB29_2129:                            ;   Parent Loop BB29_47 Depth=1
                                        ;     Parent Loop BB29_2111 Depth=2
                                        ; =>    This Inner Loop Header: Depth=3
	s_cmp_eq_u32 s48, 1
	s_cselect_b64 vcc, -1, 0
	v_cndmask_b32_e32 v7, v5, v9, vcc
	s_cmp_eq_u32 s48, 0
	v_cndmask_b32_e32 v6, v4, v8, vcc
	flat_store_short v[6:7], v1 nt
	v_lshl_add_u64 v[6:7], v[6:7], 0, s[72:73]
	s_cselect_b64 s[28:29], -1, 0
	s_and_b64 s[40:41], exec, s[38:39]
	s_mov_b64 s[48:49], 1
	s_mov_b64 s[38:39], 0
	v_cndmask_b32_e32 v9, v9, v7, vcc
	v_cndmask_b32_e32 v8, v8, v6, vcc
	v_cndmask_b32_e64 v5, v5, v7, s[28:29]
	v_cndmask_b32_e64 v4, v4, v6, s[28:29]
	s_mov_b64 vcc, s[40:41]
	s_cbranch_vccnz .LBB29_2129
; %bb.2130:                             ;   in Loop: Header=BB29_2111 Depth=2
	s_and_saveexec_b64 s[28:29], s[36:37]
	s_cbranch_execz .LBB29_2110
; %bb.2131:                             ;   in Loop: Header=BB29_2111 Depth=2
	v_lshl_add_u64 v[4:5], v[4:5], 0, v[92:93]
	v_lshl_add_u64 v[8:9], v[8:9], 0, v[92:93]
	;; [unrolled: 1-line block ×4, first 2 shown]
	v_sub_u32_e32 v0, v0, v31
	s_branch .LBB29_2110
.LBB29_2132:                            ;   in Loop: Header=BB29_47 Depth=1
	s_or_b64 exec, exec, s[30:31]
	s_and_b64 exec, exec, s[34:35]
	s_cbranch_execz .LBB29_2139
; %bb.2133:                             ;   in Loop: Header=BB29_47 Depth=1
	scratch_load_ushort v0, off, s33 offset:184
	scratch_load_ushort v1, off, s33 offset:186
	s_waitcnt vmcnt(0)
	v_lshlrev_b32_e32 v0, 16, v0
	v_lshlrev_b32_e32 v1, 16, v1
	v_max_f32_e32 v1, v1, v1
	v_max_f32_e32 v0, v0, v0
	v_min_f32_e32 v6, v0, v1
	v_max_f32_e32 v0, v0, v1
	v_cndmask_b32_e64 v0, v0, v6, s[26:27]
	v_and_b32_e32 v1, 0x7f800000, v0
	v_cmp_ne_u32_e32 vcc, s97, v1
                                        ; implicit-def: $vgpr1
	s_and_saveexec_b64 s[26:27], vcc
	s_xor_b64 s[26:27], exec, s[26:27]
; %bb.2134:                             ;   in Loop: Header=BB29_47 Depth=1
	v_bfe_u32 v1, v0, 16, 1
	v_add3_u32 v1, v0, v1, s46
                                        ; implicit-def: $vgpr0
; %bb.2135:                             ;   in Loop: Header=BB29_47 Depth=1
	s_andn2_saveexec_b64 s[26:27], s[26:27]
; %bb.2136:                             ;   in Loop: Header=BB29_47 Depth=1
	v_or_b32_e32 v1, 0x10000, v0
	v_cmp_eq_u32_sdwa vcc, v0, v3 src0_sel:WORD_0 src1_sel:DWORD
	s_nop 1
	v_cndmask_b32_e32 v1, v1, v0, vcc
; %bb.2137:                             ;   in Loop: Header=BB29_47 Depth=1
	s_or_b64 exec, exec, s[26:27]
	v_lshrrev_b32_e32 v0, 16, v1
	s_mov_b64 s[30:31], 0
	s_mov_b64 s[40:41], -1
.LBB29_2138:                            ;   Parent Loop BB29_47 Depth=1
                                        ; =>  This Inner Loop Header: Depth=2
	s_cmp_eq_u32 s30, 1
	s_cselect_b64 vcc, -1, 0
	v_cndmask_b32_e32 v7, v5, v9, vcc
	s_cmp_eq_u32 s30, 0
	v_cndmask_b32_e32 v6, v4, v8, vcc
	flat_store_short v[6:7], v0 nt
	v_lshl_add_u64 v[6:7], v[6:7], 0, s[72:73]
	s_cselect_b64 s[26:27], -1, 0
	s_and_b64 s[28:29], exec, s[40:41]
	s_mov_b64 s[30:31], 1
	s_mov_b64 s[40:41], 0
	v_cndmask_b32_e32 v9, v9, v7, vcc
	v_cndmask_b32_e32 v8, v8, v6, vcc
	v_cndmask_b32_e64 v5, v5, v7, s[26:27]
	v_cndmask_b32_e64 v4, v4, v6, s[26:27]
	s_mov_b64 vcc, s[28:29]
	s_cbranch_vccnz .LBB29_2138
.LBB29_2139:                            ;   in Loop: Header=BB29_47 Depth=1
	s_or_b64 exec, exec, s[42:43]
	s_mov_b64 s[26:27], 0
.LBB29_2140:                            ;   in Loop: Header=BB29_47 Depth=1
	s_and_b64 vcc, exec, s[26:27]
	s_cbranch_vccz .LBB29_2410
; %bb.2141:                             ;   in Loop: Header=BB29_47 Depth=1
	s_mov_b64 s[26:27], -1
	s_and_saveexec_b64 s[28:29], s[20:21]
	s_cbranch_execz .LBB29_2143
; %bb.2142:                             ;   in Loop: Header=BB29_47 Depth=1
	ds_read_b32 v0, v0 offset:720
	s_waitcnt lgkmcnt(0)
	v_and_b32_e32 v0, 15, v0
	v_cmp_eq_u32_e32 vcc, 0, v0
	s_orn2_b64 s[26:27], vcc, exec
.LBB29_2143:                            ;   in Loop: Header=BB29_47 Depth=1
	s_or_b64 exec, exec, s[28:29]
	s_and_saveexec_b64 s[28:29], s[16:17]
	s_cbranch_execz .LBB29_2145
; %bb.2144:                             ;   in Loop: Header=BB29_47 Depth=1
	ds_read_b32 v0, v0 offset:784
	s_waitcnt lgkmcnt(0)
	v_and_b32_e32 v0, 15, v0
	v_cmp_eq_u32_e32 vcc, 0, v0
	s_and_b64 s[40:41], s[26:27], vcc
	s_andn2_b64 s[26:27], s[26:27], exec
	s_and_b64 s[40:41], s[40:41], exec
	s_or_b64 s[26:27], s[26:27], s[40:41]
.LBB29_2145:                            ;   in Loop: Header=BB29_47 Depth=1
	s_or_b64 exec, exec, s[28:29]
	s_xor_b64 s[26:27], s[26:27], -1
	v_cndmask_b32_e64 v0, 0, 1, s[26:27]
	s_mov_b64 s[28:29], -1
	v_cmp_ne_u32_e32 vcc, 0, v0
	s_cbranch_vccz .LBB29_2411
; %bb.2146:                             ;   in Loop: Header=BB29_47 Depth=1
	s_and_b32 s45, s44, 1
	s_mov_b64 s[30:31], -1
	v_mov_b32_e32 v12, 0
	s_cbranch_execnz .LBB29_2412
.LBB29_2147:                            ;   in Loop: Header=BB29_47 Depth=1
	v_ashrrev_i32_e32 v0, 31, v29
	v_lshrrev_b32_e32 v0, 20, v0
	v_add_u32_e32 v0, v29, v0
	v_ashrrev_i32_e32 v72, 12, v0
	scratch_load_dword v0, off, s33 offset:320 ; 4-byte Folded Reload
	s_and_b32 s45, s44, 1
	s_mov_b64 s[26:27], 0
                                        ; implicit-def: $vgpr80_vgpr81
                                        ; implicit-def: $vgpr36_vgpr37
                                        ; implicit-def: $vgpr24_vgpr25
                                        ; implicit-def: $vgpr12_vgpr13
                                        ; implicit-def: $vgpr32_vgpr33
                                        ; implicit-def: $vgpr20_vgpr21
                                        ; implicit-def: $vgpr16_vgpr17
                                        ; implicit-def: $vgpr8_vgpr9
	s_waitcnt vmcnt(0)
	v_lshrrev_b32_e32 v0, 6, v0
	v_sub_u32_e32 v73, v72, v0
	scratch_load_dwordx2 v[0:1], off, s33 offset:356 ; 8-byte Folded Reload
	v_cmp_lt_i32_e32 vcc, 0, v73
	s_waitcnt vmcnt(0)
	v_lshl_add_u64 v[4:5], v[112:113], 0, v[0:1]
	s_and_saveexec_b64 s[28:29], vcc
	s_cbranch_execz .LBB29_2414
; %bb.2148:                             ;   in Loop: Header=BB29_47 Depth=1
	scratch_store_dwordx2 off, v[112:113], s33 offset:428 ; 8-byte Folded Spill
	s_trap 2
	ds_read_b64 v[0:1], v0
	scratch_load_dwordx2 v[6:7], off, s33 offset:356 ; 8-byte Folded Reload
	scratch_load_dwordx2 v[8:9], off, s33 offset:372 ; 8-byte Folded Reload
	s_and_b32 s13, 0xffff, s45
	s_cmp_eq_u32 s13, 0
	s_mov_b64 s[34:35], 0
	s_mov_b64 s[40:41], 0
	s_cselect_b64 vcc, -1, 0
                                        ; implicit-def: $sgpr42_sgpr43
                                        ; implicit-def: $vgpr80_vgpr81
                                        ; implicit-def: $vgpr36_vgpr37
                                        ; implicit-def: $vgpr24_vgpr25
                                        ; implicit-def: $vgpr12_vgpr13
                                        ; implicit-def: $vgpr32_vgpr33
                                        ; implicit-def: $vgpr20_vgpr21
                                        ; implicit-def: $vgpr16_vgpr17
	s_waitcnt vmcnt(0) lgkmcnt(0)
	v_lshl_add_u64 v[62:63], v[0:1], 0, v[6:7]
	v_lshl_add_u64 v[58:59], v[8:9], 0, v[6:7]
                                        ; implicit-def: $vgpr8_vgpr9
	s_branch .LBB29_2150
.LBB29_2149:                            ;   in Loop: Header=BB29_2150 Depth=2
	s_or_b64 exec, exec, s[36:37]
	v_lshrrev_b32_e32 v0, 16, v0
	v_and_or_b32 v66, v66, s47, v0
	v_lshrrev_b32_e32 v0, 16, v69
	v_and_or_b32 v67, v67, s47, v0
	v_lshrrev_b32_e32 v0, 16, v30
	v_lshrrev_b32_e32 v54, 16, v68
	v_and_or_b32 v97, v85, s47, v0
	v_lshrrev_b32_e32 v0, 16, v115
	v_and_or_b32 v65, v65, s47, v54
	;; [unrolled: 2-line block ×13, first 2 shown]
	v_lshl_add_u64 v[0:1], v[58:59], 0, v[88:89]
	v_cndmask_b32_e64 v58, v58, v0, s[34:35]
	v_cndmask_b32_e64 v0, 0, v60, s[34:35]
	v_sub_u32_e32 v73, v118, v0
	v_cmp_gt_i32_e64 s[26:27], 1, v73
	v_mov_b32_e32 v30, 0x1000
	s_or_b64 s[40:41], s[26:27], s[40:41]
	v_and_or_b32 v64, v64, s47, v54
	global_store_dwordx4 v[4:5], v[84:87], off
	global_store_dwordx4 v[4:5], v[96:99], off offset:1024
	global_store_dwordx4 v[4:5], v[64:67], off offset:2048
	global_store_dwordx4 v[4:5], v[48:51], off offset:3072
	v_lshl_add_u64 v[6:7], v[62:63], 0, v[88:89]
	s_andn2_b64 s[26:27], s[42:43], exec
	v_cndmask_b32_e64 v49, 0, v107, s[34:35]
	v_cndmask_b32_e64 v48, v30, v106, s[34:35]
	s_and_b64 s[42:43], s[34:35], exec
	v_lshl_add_u64 v[4:5], v[4:5], 0, v[48:49]
	v_cndmask_b32_e64 v59, v59, v1, s[34:35]
	v_cndmask_b32_e64 v63, v63, v7, s[34:35]
	v_cndmask_b32_e64 v62, v62, v6, s[34:35]
	s_or_b64 s[42:43], s[26:27], s[42:43]
	s_andn2_b64 exec, exec, s[40:41]
	s_cbranch_execz .LBB29_2413
.LBB29_2150:                            ;   Parent Loop BB29_47 Depth=1
                                        ; =>  This Inner Loop Header: Depth=2
	global_load_dwordx4 v[100:103], v[58:59], off nt
	global_load_dwordx4 v[84:87], v[58:59], off offset:1024 nt
	global_load_dwordx4 v[64:67], v[58:59], off offset:2048 nt
	;; [unrolled: 1-line block ×3, first 2 shown]
	global_load_dwordx4 v[112:115], v[62:63], off nt
	global_load_dwordx4 v[96:99], v[62:63], off offset:1024 nt
	global_load_dwordx4 v[68:71], v[62:63], off offset:2048 nt
	;; [unrolled: 1-line block ×3, first 2 shown]
	s_and_saveexec_b64 s[36:37], s[34:35]
	s_cbranch_execz .LBB29_2280
; %bb.2151:                             ;   in Loop: Header=BB29_2150 Depth=2
	v_lshlrev_b32_e32 v0, 16, v80
	v_lshlrev_b32_e32 v1, 16, v32
	v_max_f32_e32 v1, v1, v1
	v_max_f32_e32 v0, v0, v0
	v_min_f32_e32 v6, v0, v1
	v_max_f32_e32 v0, v0, v1
	v_cndmask_b32_e32 v0, v0, v6, vcc
	v_and_b32_e32 v1, 0x7f800000, v0
	v_cmp_ne_u32_e64 s[26:27], s97, v1
                                        ; implicit-def: $vgpr118
	s_and_saveexec_b64 s[34:35], s[26:27]
	s_xor_b64 s[26:27], exec, s[34:35]
; %bb.2152:                             ;   in Loop: Header=BB29_2150 Depth=2
	v_bfe_u32 v1, v0, 16, 1
	v_add3_u32 v118, v0, v1, s46
                                        ; implicit-def: $vgpr0
; %bb.2153:                             ;   in Loop: Header=BB29_2150 Depth=2
	s_andn2_saveexec_b64 s[34:35], s[26:27]
; %bb.2154:                             ;   in Loop: Header=BB29_2150 Depth=2
	v_or_b32_e32 v1, 0x10000, v0
	v_cmp_eq_u32_sdwa s[26:27], v0, v3 src0_sel:WORD_0 src1_sel:DWORD
	s_nop 1
	v_cndmask_b32_e64 v118, v1, v0, s[26:27]
; %bb.2155:                             ;   in Loop: Header=BB29_2150 Depth=2
	s_or_b64 exec, exec, s[34:35]
	v_and_b32_e32 v0, 0xffff0000, v80
	v_and_b32_e32 v1, 0xffff0000, v32
	v_max_f32_e32 v1, v1, v1
	v_max_f32_e32 v0, v0, v0
	v_min_f32_e32 v6, v0, v1
	v_max_f32_e32 v0, v0, v1
	v_cndmask_b32_e32 v0, v0, v6, vcc
	v_and_b32_e32 v1, 0x7f800000, v0
	v_cmp_ne_u32_e64 s[26:27], s97, v1
                                        ; implicit-def: $vgpr80
	s_and_saveexec_b64 s[34:35], s[26:27]
	s_xor_b64 s[26:27], exec, s[34:35]
; %bb.2156:                             ;   in Loop: Header=BB29_2150 Depth=2
	v_bfe_u32 v1, v0, 16, 1
	v_add3_u32 v80, v0, v1, s46
                                        ; implicit-def: $vgpr0
; %bb.2157:                             ;   in Loop: Header=BB29_2150 Depth=2
	s_andn2_saveexec_b64 s[34:35], s[26:27]
; %bb.2158:                             ;   in Loop: Header=BB29_2150 Depth=2
	v_or_b32_e32 v1, 0x10000, v0
	v_cmp_eq_u32_sdwa s[26:27], v0, v3 src0_sel:WORD_0 src1_sel:DWORD
	s_nop 1
	v_cndmask_b32_e64 v80, v1, v0, s[26:27]
; %bb.2159:                             ;   in Loop: Header=BB29_2150 Depth=2
	s_or_b64 exec, exec, s[34:35]
	v_lshlrev_b32_e32 v0, 16, v81
	v_lshlrev_b32_e32 v1, 16, v33
	v_max_f32_e32 v1, v1, v1
	v_max_f32_e32 v0, v0, v0
	v_min_f32_e32 v6, v0, v1
	v_max_f32_e32 v0, v0, v1
	v_cndmask_b32_e32 v0, v0, v6, vcc
	v_and_b32_e32 v1, 0x7f800000, v0
	v_cmp_ne_u32_e64 s[26:27], s97, v1
                                        ; implicit-def: $vgpr119
	s_and_saveexec_b64 s[34:35], s[26:27]
	s_xor_b64 s[26:27], exec, s[34:35]
; %bb.2160:                             ;   in Loop: Header=BB29_2150 Depth=2
	v_bfe_u32 v1, v0, 16, 1
	v_add3_u32 v119, v0, v1, s46
                                        ; implicit-def: $vgpr0
; %bb.2161:                             ;   in Loop: Header=BB29_2150 Depth=2
	s_andn2_saveexec_b64 s[34:35], s[26:27]
; %bb.2162:                             ;   in Loop: Header=BB29_2150 Depth=2
	v_or_b32_e32 v1, 0x10000, v0
	v_cmp_eq_u32_sdwa s[26:27], v0, v3 src0_sel:WORD_0 src1_sel:DWORD
	s_nop 1
	v_cndmask_b32_e64 v119, v1, v0, s[26:27]
; %bb.2163:                             ;   in Loop: Header=BB29_2150 Depth=2
	s_or_b64 exec, exec, s[34:35]
	v_and_b32_e32 v0, 0xffff0000, v81
	v_and_b32_e32 v1, 0xffff0000, v33
	v_max_f32_e32 v1, v1, v1
	v_max_f32_e32 v0, v0, v0
	v_min_f32_e32 v6, v0, v1
	v_max_f32_e32 v0, v0, v1
	v_cndmask_b32_e32 v0, v0, v6, vcc
	v_and_b32_e32 v1, 0x7f800000, v0
	v_cmp_ne_u32_e64 s[26:27], s97, v1
                                        ; implicit-def: $vgpr81
	s_and_saveexec_b64 s[34:35], s[26:27]
	s_xor_b64 s[26:27], exec, s[34:35]
; %bb.2164:                             ;   in Loop: Header=BB29_2150 Depth=2
	v_bfe_u32 v1, v0, 16, 1
	v_add3_u32 v81, v0, v1, s46
                                        ; implicit-def: $vgpr0
; %bb.2165:                             ;   in Loop: Header=BB29_2150 Depth=2
	s_andn2_saveexec_b64 s[34:35], s[26:27]
; %bb.2166:                             ;   in Loop: Header=BB29_2150 Depth=2
	v_or_b32_e32 v1, 0x10000, v0
	v_cmp_eq_u32_sdwa s[26:27], v0, v3 src0_sel:WORD_0 src1_sel:DWORD
	s_nop 1
	v_cndmask_b32_e64 v81, v1, v0, s[26:27]
; %bb.2167:                             ;   in Loop: Header=BB29_2150 Depth=2
	s_or_b64 exec, exec, s[34:35]
	v_lshlrev_b32_e32 v0, 16, v82
	v_lshlrev_b32_e32 v1, 16, v34
	v_max_f32_e32 v1, v1, v1
	v_max_f32_e32 v0, v0, v0
	v_min_f32_e32 v6, v0, v1
	v_max_f32_e32 v0, v0, v1
	v_cndmask_b32_e32 v0, v0, v6, vcc
	v_and_b32_e32 v1, 0x7f800000, v0
	v_cmp_ne_u32_e64 s[26:27], s97, v1
                                        ; implicit-def: $vgpr74
	s_and_saveexec_b64 s[34:35], s[26:27]
	s_xor_b64 s[26:27], exec, s[34:35]
; %bb.2168:                             ;   in Loop: Header=BB29_2150 Depth=2
	v_bfe_u32 v1, v0, 16, 1
	v_add3_u32 v74, v0, v1, s46
                                        ; implicit-def: $vgpr0
; %bb.2169:                             ;   in Loop: Header=BB29_2150 Depth=2
	s_andn2_saveexec_b64 s[34:35], s[26:27]
; %bb.2170:                             ;   in Loop: Header=BB29_2150 Depth=2
	v_or_b32_e32 v1, 0x10000, v0
	v_cmp_eq_u32_sdwa s[26:27], v0, v3 src0_sel:WORD_0 src1_sel:DWORD
	s_nop 1
	v_cndmask_b32_e64 v74, v1, v0, s[26:27]
; %bb.2171:                             ;   in Loop: Header=BB29_2150 Depth=2
	s_or_b64 exec, exec, s[34:35]
	v_and_b32_e32 v0, 0xffff0000, v82
	v_and_b32_e32 v1, 0xffff0000, v34
	v_max_f32_e32 v1, v1, v1
	v_max_f32_e32 v0, v0, v0
	v_min_f32_e32 v6, v0, v1
	v_max_f32_e32 v0, v0, v1
	v_cndmask_b32_e32 v0, v0, v6, vcc
	v_and_b32_e32 v1, 0x7f800000, v0
	v_cmp_ne_u32_e64 s[26:27], s97, v1
                                        ; implicit-def: $vgpr82
	s_and_saveexec_b64 s[34:35], s[26:27]
	s_xor_b64 s[26:27], exec, s[34:35]
; %bb.2172:                             ;   in Loop: Header=BB29_2150 Depth=2
	v_bfe_u32 v1, v0, 16, 1
	v_add3_u32 v82, v0, v1, s46
                                        ; implicit-def: $vgpr0
; %bb.2173:                             ;   in Loop: Header=BB29_2150 Depth=2
	s_andn2_saveexec_b64 s[34:35], s[26:27]
; %bb.2174:                             ;   in Loop: Header=BB29_2150 Depth=2
	v_or_b32_e32 v1, 0x10000, v0
	v_cmp_eq_u32_sdwa s[26:27], v0, v3 src0_sel:WORD_0 src1_sel:DWORD
	s_nop 1
	v_cndmask_b32_e64 v82, v1, v0, s[26:27]
; %bb.2175:                             ;   in Loop: Header=BB29_2150 Depth=2
	s_or_b64 exec, exec, s[34:35]
	v_lshlrev_b32_e32 v0, 16, v83
	v_lshlrev_b32_e32 v1, 16, v35
	v_max_f32_e32 v1, v1, v1
	v_max_f32_e32 v0, v0, v0
	v_min_f32_e32 v6, v0, v1
	v_max_f32_e32 v0, v0, v1
	v_cndmask_b32_e32 v0, v0, v6, vcc
	v_and_b32_e32 v1, 0x7f800000, v0
	v_cmp_ne_u32_e64 s[26:27], s97, v1
                                        ; implicit-def: $vgpr75
	s_and_saveexec_b64 s[34:35], s[26:27]
	s_xor_b64 s[26:27], exec, s[34:35]
; %bb.2176:                             ;   in Loop: Header=BB29_2150 Depth=2
	v_bfe_u32 v1, v0, 16, 1
	v_add3_u32 v75, v0, v1, s46
                                        ; implicit-def: $vgpr0
; %bb.2177:                             ;   in Loop: Header=BB29_2150 Depth=2
	s_andn2_saveexec_b64 s[34:35], s[26:27]
; %bb.2178:                             ;   in Loop: Header=BB29_2150 Depth=2
	v_or_b32_e32 v1, 0x10000, v0
	v_cmp_eq_u32_sdwa s[26:27], v0, v3 src0_sel:WORD_0 src1_sel:DWORD
	s_nop 1
	v_cndmask_b32_e64 v75, v1, v0, s[26:27]
; %bb.2179:                             ;   in Loop: Header=BB29_2150 Depth=2
	s_or_b64 exec, exec, s[34:35]
	v_and_b32_e32 v0, 0xffff0000, v83
	v_and_b32_e32 v1, 0xffff0000, v35
	v_max_f32_e32 v1, v1, v1
	v_max_f32_e32 v0, v0, v0
	v_min_f32_e32 v6, v0, v1
	v_max_f32_e32 v0, v0, v1
	v_cndmask_b32_e32 v0, v0, v6, vcc
	v_and_b32_e32 v1, 0x7f800000, v0
	v_cmp_ne_u32_e64 s[26:27], s97, v1
                                        ; implicit-def: $vgpr83
	s_and_saveexec_b64 s[34:35], s[26:27]
	s_xor_b64 s[26:27], exec, s[34:35]
; %bb.2180:                             ;   in Loop: Header=BB29_2150 Depth=2
	v_bfe_u32 v1, v0, 16, 1
	v_add3_u32 v83, v0, v1, s46
                                        ; implicit-def: $vgpr0
; %bb.2181:                             ;   in Loop: Header=BB29_2150 Depth=2
	s_andn2_saveexec_b64 s[34:35], s[26:27]
; %bb.2182:                             ;   in Loop: Header=BB29_2150 Depth=2
	v_or_b32_e32 v1, 0x10000, v0
	v_cmp_eq_u32_sdwa s[26:27], v0, v3 src0_sel:WORD_0 src1_sel:DWORD
	s_nop 1
	v_cndmask_b32_e64 v83, v1, v0, s[26:27]
; %bb.2183:                             ;   in Loop: Header=BB29_2150 Depth=2
	s_or_b64 exec, exec, s[34:35]
	v_lshlrev_b32_e32 v0, 16, v36
	v_lshlrev_b32_e32 v1, 16, v20
	v_max_f32_e32 v1, v1, v1
	v_max_f32_e32 v0, v0, v0
	v_min_f32_e32 v6, v0, v1
	v_max_f32_e32 v0, v0, v1
	v_cndmask_b32_e32 v0, v0, v6, vcc
	v_and_b32_e32 v1, 0x7f800000, v0
	v_cmp_ne_u32_e64 s[26:27], s97, v1
                                        ; implicit-def: $vgpr44
	s_and_saveexec_b64 s[34:35], s[26:27]
	s_xor_b64 s[26:27], exec, s[34:35]
; %bb.2184:                             ;   in Loop: Header=BB29_2150 Depth=2
	v_bfe_u32 v1, v0, 16, 1
	v_add3_u32 v44, v0, v1, s46
                                        ; implicit-def: $vgpr0
; %bb.2185:                             ;   in Loop: Header=BB29_2150 Depth=2
	s_andn2_saveexec_b64 s[34:35], s[26:27]
; %bb.2186:                             ;   in Loop: Header=BB29_2150 Depth=2
	v_or_b32_e32 v1, 0x10000, v0
	v_cmp_eq_u32_sdwa s[26:27], v0, v3 src0_sel:WORD_0 src1_sel:DWORD
	s_nop 1
	v_cndmask_b32_e64 v44, v1, v0, s[26:27]
; %bb.2187:                             ;   in Loop: Header=BB29_2150 Depth=2
	s_or_b64 exec, exec, s[34:35]
	v_and_b32_e32 v0, 0xffff0000, v36
	v_and_b32_e32 v1, 0xffff0000, v20
	v_max_f32_e32 v1, v1, v1
	v_max_f32_e32 v0, v0, v0
	v_min_f32_e32 v6, v0, v1
	v_max_f32_e32 v0, v0, v1
	v_cndmask_b32_e32 v0, v0, v6, vcc
	v_and_b32_e32 v1, 0x7f800000, v0
	v_cmp_ne_u32_e64 s[26:27], s97, v1
                                        ; implicit-def: $vgpr36
	s_and_saveexec_b64 s[34:35], s[26:27]
	s_xor_b64 s[26:27], exec, s[34:35]
; %bb.2188:                             ;   in Loop: Header=BB29_2150 Depth=2
	v_bfe_u32 v1, v0, 16, 1
	v_add3_u32 v36, v0, v1, s46
                                        ; implicit-def: $vgpr0
; %bb.2189:                             ;   in Loop: Header=BB29_2150 Depth=2
	s_andn2_saveexec_b64 s[34:35], s[26:27]
; %bb.2190:                             ;   in Loop: Header=BB29_2150 Depth=2
	v_or_b32_e32 v1, 0x10000, v0
	v_cmp_eq_u32_sdwa s[26:27], v0, v3 src0_sel:WORD_0 src1_sel:DWORD
	s_nop 1
	v_cndmask_b32_e64 v36, v1, v0, s[26:27]
; %bb.2191:                             ;   in Loop: Header=BB29_2150 Depth=2
	s_or_b64 exec, exec, s[34:35]
	v_lshlrev_b32_e32 v0, 16, v37
	v_lshlrev_b32_e32 v1, 16, v21
	v_max_f32_e32 v1, v1, v1
	v_max_f32_e32 v0, v0, v0
	v_min_f32_e32 v6, v0, v1
	v_max_f32_e32 v0, v0, v1
	v_cndmask_b32_e32 v0, v0, v6, vcc
	v_and_b32_e32 v1, 0x7f800000, v0
	v_cmp_ne_u32_e64 s[26:27], s97, v1
                                        ; implicit-def: $vgpr45
	s_and_saveexec_b64 s[34:35], s[26:27]
	s_xor_b64 s[26:27], exec, s[34:35]
; %bb.2192:                             ;   in Loop: Header=BB29_2150 Depth=2
	v_bfe_u32 v1, v0, 16, 1
	v_add3_u32 v45, v0, v1, s46
                                        ; implicit-def: $vgpr0
; %bb.2193:                             ;   in Loop: Header=BB29_2150 Depth=2
	s_andn2_saveexec_b64 s[34:35], s[26:27]
; %bb.2194:                             ;   in Loop: Header=BB29_2150 Depth=2
	v_or_b32_e32 v1, 0x10000, v0
	v_cmp_eq_u32_sdwa s[26:27], v0, v3 src0_sel:WORD_0 src1_sel:DWORD
	s_nop 1
	v_cndmask_b32_e64 v45, v1, v0, s[26:27]
; %bb.2195:                             ;   in Loop: Header=BB29_2150 Depth=2
	s_or_b64 exec, exec, s[34:35]
	v_and_b32_e32 v0, 0xffff0000, v37
	v_and_b32_e32 v1, 0xffff0000, v21
	v_max_f32_e32 v1, v1, v1
	v_max_f32_e32 v0, v0, v0
	v_min_f32_e32 v6, v0, v1
	v_max_f32_e32 v0, v0, v1
	v_cndmask_b32_e32 v0, v0, v6, vcc
	v_and_b32_e32 v1, 0x7f800000, v0
	v_cmp_ne_u32_e64 s[26:27], s97, v1
                                        ; implicit-def: $vgpr30
	s_and_saveexec_b64 s[34:35], s[26:27]
	s_xor_b64 s[26:27], exec, s[34:35]
; %bb.2196:                             ;   in Loop: Header=BB29_2150 Depth=2
	v_bfe_u32 v1, v0, 16, 1
	v_add3_u32 v30, v0, v1, s46
                                        ; implicit-def: $vgpr0
; %bb.2197:                             ;   in Loop: Header=BB29_2150 Depth=2
	s_andn2_saveexec_b64 s[34:35], s[26:27]
; %bb.2198:                             ;   in Loop: Header=BB29_2150 Depth=2
	v_or_b32_e32 v1, 0x10000, v0
	v_cmp_eq_u32_sdwa s[26:27], v0, v3 src0_sel:WORD_0 src1_sel:DWORD
	s_nop 1
	v_cndmask_b32_e64 v30, v1, v0, s[26:27]
; %bb.2199:                             ;   in Loop: Header=BB29_2150 Depth=2
	s_or_b64 exec, exec, s[34:35]
	v_lshlrev_b32_e32 v0, 16, v38
	v_lshlrev_b32_e32 v1, 16, v22
	v_max_f32_e32 v1, v1, v1
	v_max_f32_e32 v0, v0, v0
	v_min_f32_e32 v6, v0, v1
	v_max_f32_e32 v0, v0, v1
	v_cndmask_b32_e32 v0, v0, v6, vcc
	v_and_b32_e32 v1, 0x7f800000, v0
	v_cmp_ne_u32_e64 s[26:27], s97, v1
                                        ; implicit-def: $vgpr79
	s_and_saveexec_b64 s[34:35], s[26:27]
	s_xor_b64 s[26:27], exec, s[34:35]
; %bb.2200:                             ;   in Loop: Header=BB29_2150 Depth=2
	v_bfe_u32 v1, v0, 16, 1
	v_add3_u32 v79, v0, v1, s46
                                        ; implicit-def: $vgpr0
; %bb.2201:                             ;   in Loop: Header=BB29_2150 Depth=2
	s_andn2_saveexec_b64 s[34:35], s[26:27]
; %bb.2202:                             ;   in Loop: Header=BB29_2150 Depth=2
	v_or_b32_e32 v1, 0x10000, v0
	v_cmp_eq_u32_sdwa s[26:27], v0, v3 src0_sel:WORD_0 src1_sel:DWORD
	s_nop 1
	v_cndmask_b32_e64 v79, v1, v0, s[26:27]
; %bb.2203:                             ;   in Loop: Header=BB29_2150 Depth=2
	s_or_b64 exec, exec, s[34:35]
	v_and_b32_e32 v0, 0xffff0000, v38
	v_and_b32_e32 v1, 0xffff0000, v22
	v_max_f32_e32 v1, v1, v1
	v_max_f32_e32 v0, v0, v0
	v_min_f32_e32 v6, v0, v1
	v_max_f32_e32 v0, v0, v1
	v_cndmask_b32_e32 v0, v0, v6, vcc
	v_and_b32_e32 v1, 0x7f800000, v0
	v_cmp_ne_u32_e64 s[26:27], s97, v1
                                        ; implicit-def: $vgpr6
	s_and_saveexec_b64 s[34:35], s[26:27]
	s_xor_b64 s[26:27], exec, s[34:35]
; %bb.2204:                             ;   in Loop: Header=BB29_2150 Depth=2
	v_bfe_u32 v1, v0, 16, 1
	v_add3_u32 v6, v0, v1, s46
                                        ; implicit-def: $vgpr0
; %bb.2205:                             ;   in Loop: Header=BB29_2150 Depth=2
	s_andn2_saveexec_b64 s[34:35], s[26:27]
; %bb.2206:                             ;   in Loop: Header=BB29_2150 Depth=2
	v_or_b32_e32 v1, 0x10000, v0
	v_cmp_eq_u32_sdwa s[26:27], v0, v3 src0_sel:WORD_0 src1_sel:DWORD
	s_nop 1
	v_cndmask_b32_e64 v6, v1, v0, s[26:27]
; %bb.2207:                             ;   in Loop: Header=BB29_2150 Depth=2
	s_or_b64 exec, exec, s[34:35]
	v_lshlrev_b32_e32 v0, 16, v39
	v_lshlrev_b32_e32 v1, 16, v23
	v_max_f32_e32 v1, v1, v1
	v_max_f32_e32 v0, v0, v0
	v_min_f32_e32 v7, v0, v1
	v_max_f32_e32 v0, v0, v1
	v_cndmask_b32_e32 v0, v0, v7, vcc
	v_and_b32_e32 v1, 0x7f800000, v0
	v_cmp_ne_u32_e64 s[26:27], s97, v1
                                        ; implicit-def: $vgpr7
	s_and_saveexec_b64 s[34:35], s[26:27]
	s_xor_b64 s[26:27], exec, s[34:35]
; %bb.2208:                             ;   in Loop: Header=BB29_2150 Depth=2
	v_bfe_u32 v1, v0, 16, 1
	v_add3_u32 v7, v0, v1, s46
                                        ; implicit-def: $vgpr0
; %bb.2209:                             ;   in Loop: Header=BB29_2150 Depth=2
	s_andn2_saveexec_b64 s[34:35], s[26:27]
; %bb.2210:                             ;   in Loop: Header=BB29_2150 Depth=2
	v_or_b32_e32 v1, 0x10000, v0
	v_cmp_eq_u32_sdwa s[26:27], v0, v3 src0_sel:WORD_0 src1_sel:DWORD
	s_nop 1
	v_cndmask_b32_e64 v7, v1, v0, s[26:27]
; %bb.2211:                             ;   in Loop: Header=BB29_2150 Depth=2
	s_or_b64 exec, exec, s[34:35]
	v_and_b32_e32 v0, 0xffff0000, v39
	v_and_b32_e32 v1, 0xffff0000, v23
	v_max_f32_e32 v1, v1, v1
	v_max_f32_e32 v0, v0, v0
	v_min_f32_e32 v37, v0, v1
	v_max_f32_e32 v0, v0, v1
	v_cndmask_b32_e32 v0, v0, v37, vcc
	v_and_b32_e32 v1, 0x7f800000, v0
	v_cmp_ne_u32_e64 s[26:27], s97, v1
                                        ; implicit-def: $vgpr39
	s_and_saveexec_b64 s[34:35], s[26:27]
	s_xor_b64 s[26:27], exec, s[34:35]
; %bb.2212:                             ;   in Loop: Header=BB29_2150 Depth=2
	v_bfe_u32 v1, v0, 16, 1
	v_add3_u32 v39, v0, v1, s46
                                        ; implicit-def: $vgpr0
; %bb.2213:                             ;   in Loop: Header=BB29_2150 Depth=2
	s_andn2_saveexec_b64 s[34:35], s[26:27]
; %bb.2214:                             ;   in Loop: Header=BB29_2150 Depth=2
	v_or_b32_e32 v1, 0x10000, v0
	v_cmp_eq_u32_sdwa s[26:27], v0, v3 src0_sel:WORD_0 src1_sel:DWORD
	s_nop 1
	v_cndmask_b32_e64 v39, v1, v0, s[26:27]
; %bb.2215:                             ;   in Loop: Header=BB29_2150 Depth=2
	s_or_b64 exec, exec, s[34:35]
	v_lshlrev_b32_e32 v0, 16, v24
	v_lshlrev_b32_e32 v1, 16, v16
	v_max_f32_e32 v1, v1, v1
	v_max_f32_e32 v0, v0, v0
	v_min_f32_e32 v37, v0, v1
	v_max_f32_e32 v0, v0, v1
	v_cndmask_b32_e32 v0, v0, v37, vcc
	v_and_b32_e32 v1, 0x7f800000, v0
	v_cmp_ne_u32_e64 s[26:27], s97, v1
                                        ; implicit-def: $vgpr37
	s_and_saveexec_b64 s[34:35], s[26:27]
	s_xor_b64 s[26:27], exec, s[34:35]
; %bb.2216:                             ;   in Loop: Header=BB29_2150 Depth=2
	v_bfe_u32 v1, v0, 16, 1
	v_add3_u32 v37, v0, v1, s46
                                        ; implicit-def: $vgpr0
; %bb.2217:                             ;   in Loop: Header=BB29_2150 Depth=2
	s_andn2_saveexec_b64 s[34:35], s[26:27]
; %bb.2218:                             ;   in Loop: Header=BB29_2150 Depth=2
	v_or_b32_e32 v1, 0x10000, v0
	v_cmp_eq_u32_sdwa s[26:27], v0, v3 src0_sel:WORD_0 src1_sel:DWORD
	s_nop 1
	v_cndmask_b32_e64 v37, v1, v0, s[26:27]
; %bb.2219:                             ;   in Loop: Header=BB29_2150 Depth=2
	s_or_b64 exec, exec, s[34:35]
	v_and_b32_e32 v0, 0xffff0000, v24
	v_and_b32_e32 v1, 0xffff0000, v16
	v_max_f32_e32 v1, v1, v1
	v_max_f32_e32 v0, v0, v0
	v_min_f32_e32 v24, v0, v1
	v_max_f32_e32 v0, v0, v1
	v_cndmask_b32_e32 v0, v0, v24, vcc
	v_and_b32_e32 v1, 0x7f800000, v0
	v_cmp_ne_u32_e64 s[26:27], s97, v1
                                        ; implicit-def: $vgpr24
	s_and_saveexec_b64 s[34:35], s[26:27]
	s_xor_b64 s[26:27], exec, s[34:35]
; %bb.2220:                             ;   in Loop: Header=BB29_2150 Depth=2
	v_bfe_u32 v1, v0, 16, 1
	v_add3_u32 v24, v0, v1, s46
                                        ; implicit-def: $vgpr0
; %bb.2221:                             ;   in Loop: Header=BB29_2150 Depth=2
	s_andn2_saveexec_b64 s[34:35], s[26:27]
; %bb.2222:                             ;   in Loop: Header=BB29_2150 Depth=2
	v_or_b32_e32 v1, 0x10000, v0
	v_cmp_eq_u32_sdwa s[26:27], v0, v3 src0_sel:WORD_0 src1_sel:DWORD
	s_nop 1
	v_cndmask_b32_e64 v24, v1, v0, s[26:27]
; %bb.2223:                             ;   in Loop: Header=BB29_2150 Depth=2
	s_or_b64 exec, exec, s[34:35]
	v_lshlrev_b32_e32 v0, 16, v25
	v_lshlrev_b32_e32 v1, 16, v17
	v_max_f32_e32 v1, v1, v1
	v_max_f32_e32 v0, v0, v0
	v_min_f32_e32 v38, v0, v1
	v_max_f32_e32 v0, v0, v1
	v_cndmask_b32_e32 v0, v0, v38, vcc
	v_and_b32_e32 v1, 0x7f800000, v0
	v_cmp_ne_u32_e64 s[26:27], s97, v1
                                        ; implicit-def: $vgpr38
	s_and_saveexec_b64 s[34:35], s[26:27]
	s_xor_b64 s[26:27], exec, s[34:35]
; %bb.2224:                             ;   in Loop: Header=BB29_2150 Depth=2
	v_bfe_u32 v1, v0, 16, 1
	v_add3_u32 v38, v0, v1, s46
                                        ; implicit-def: $vgpr0
; %bb.2225:                             ;   in Loop: Header=BB29_2150 Depth=2
	s_andn2_saveexec_b64 s[34:35], s[26:27]
; %bb.2226:                             ;   in Loop: Header=BB29_2150 Depth=2
	v_or_b32_e32 v1, 0x10000, v0
	v_cmp_eq_u32_sdwa s[26:27], v0, v3 src0_sel:WORD_0 src1_sel:DWORD
	s_nop 1
	v_cndmask_b32_e64 v38, v1, v0, s[26:27]
; %bb.2227:                             ;   in Loop: Header=BB29_2150 Depth=2
	s_or_b64 exec, exec, s[34:35]
	v_and_b32_e32 v0, 0xffff0000, v25
	v_and_b32_e32 v1, 0xffff0000, v17
	v_max_f32_e32 v1, v1, v1
	v_max_f32_e32 v0, v0, v0
	v_min_f32_e32 v25, v0, v1
	v_max_f32_e32 v0, v0, v1
	v_cndmask_b32_e32 v0, v0, v25, vcc
	v_and_b32_e32 v1, 0x7f800000, v0
	v_cmp_ne_u32_e64 s[26:27], s97, v1
                                        ; implicit-def: $vgpr25
	s_and_saveexec_b64 s[34:35], s[26:27]
	s_xor_b64 s[26:27], exec, s[34:35]
; %bb.2228:                             ;   in Loop: Header=BB29_2150 Depth=2
	v_bfe_u32 v1, v0, 16, 1
	v_add3_u32 v25, v0, v1, s46
                                        ; implicit-def: $vgpr0
; %bb.2229:                             ;   in Loop: Header=BB29_2150 Depth=2
	s_andn2_saveexec_b64 s[34:35], s[26:27]
; %bb.2230:                             ;   in Loop: Header=BB29_2150 Depth=2
	v_or_b32_e32 v1, 0x10000, v0
	v_cmp_eq_u32_sdwa s[26:27], v0, v3 src0_sel:WORD_0 src1_sel:DWORD
	s_nop 1
	v_cndmask_b32_e64 v25, v1, v0, s[26:27]
; %bb.2231:                             ;   in Loop: Header=BB29_2150 Depth=2
	s_or_b64 exec, exec, s[34:35]
	v_lshlrev_b32_e32 v0, 16, v26
	v_lshlrev_b32_e32 v1, 16, v18
	v_max_f32_e32 v1, v1, v1
	v_max_f32_e32 v0, v0, v0
	v_min_f32_e32 v42, v0, v1
	v_max_f32_e32 v0, v0, v1
	v_cndmask_b32_e32 v0, v0, v42, vcc
	v_and_b32_e32 v1, 0x7f800000, v0
	v_cmp_ne_u32_e64 s[26:27], s97, v1
                                        ; implicit-def: $vgpr42
	s_and_saveexec_b64 s[34:35], s[26:27]
	s_xor_b64 s[26:27], exec, s[34:35]
; %bb.2232:                             ;   in Loop: Header=BB29_2150 Depth=2
	v_bfe_u32 v1, v0, 16, 1
	v_add3_u32 v42, v0, v1, s46
                                        ; implicit-def: $vgpr0
; %bb.2233:                             ;   in Loop: Header=BB29_2150 Depth=2
	s_andn2_saveexec_b64 s[34:35], s[26:27]
; %bb.2234:                             ;   in Loop: Header=BB29_2150 Depth=2
	v_or_b32_e32 v1, 0x10000, v0
	v_cmp_eq_u32_sdwa s[26:27], v0, v3 src0_sel:WORD_0 src1_sel:DWORD
	s_nop 1
	v_cndmask_b32_e64 v42, v1, v0, s[26:27]
; %bb.2235:                             ;   in Loop: Header=BB29_2150 Depth=2
	s_or_b64 exec, exec, s[34:35]
	v_and_b32_e32 v0, 0xffff0000, v26
	v_and_b32_e32 v1, 0xffff0000, v18
	v_max_f32_e32 v1, v1, v1
	v_max_f32_e32 v0, v0, v0
	v_min_f32_e32 v26, v0, v1
	v_max_f32_e32 v0, v0, v1
	v_cndmask_b32_e32 v1, v0, v26, vcc
	v_and_b32_e32 v0, 0x7f800000, v1
	v_cmp_ne_u32_e64 s[26:27], s97, v0
                                        ; implicit-def: $vgpr0
	s_and_saveexec_b64 s[34:35], s[26:27]
	s_xor_b64 s[26:27], exec, s[34:35]
; %bb.2236:                             ;   in Loop: Header=BB29_2150 Depth=2
	v_bfe_u32 v0, v1, 16, 1
	v_add3_u32 v0, v1, v0, s46
                                        ; implicit-def: $vgpr1
; %bb.2237:                             ;   in Loop: Header=BB29_2150 Depth=2
	s_andn2_saveexec_b64 s[34:35], s[26:27]
; %bb.2238:                             ;   in Loop: Header=BB29_2150 Depth=2
	v_or_b32_e32 v0, 0x10000, v1
	v_cmp_eq_u32_sdwa s[26:27], v1, v3 src0_sel:WORD_0 src1_sel:DWORD
	s_nop 1
	v_cndmask_b32_e64 v0, v0, v1, s[26:27]
; %bb.2239:                             ;   in Loop: Header=BB29_2150 Depth=2
	s_or_b64 exec, exec, s[34:35]
	v_lshlrev_b32_e32 v1, 16, v27
	v_lshlrev_b32_e32 v26, 16, v19
	v_max_f32_e32 v26, v26, v26
	v_max_f32_e32 v1, v1, v1
	v_min_f32_e32 v43, v1, v26
	v_max_f32_e32 v1, v1, v26
	v_cndmask_b32_e32 v1, v1, v43, vcc
	v_and_b32_e32 v26, 0x7f800000, v1
	v_cmp_ne_u32_e64 s[26:27], s97, v26
                                        ; implicit-def: $vgpr43
	s_and_saveexec_b64 s[34:35], s[26:27]
	s_xor_b64 s[26:27], exec, s[34:35]
; %bb.2240:                             ;   in Loop: Header=BB29_2150 Depth=2
	v_bfe_u32 v26, v1, 16, 1
	v_add3_u32 v43, v1, v26, s46
                                        ; implicit-def: $vgpr1
; %bb.2241:                             ;   in Loop: Header=BB29_2150 Depth=2
	s_andn2_saveexec_b64 s[34:35], s[26:27]
; %bb.2242:                             ;   in Loop: Header=BB29_2150 Depth=2
	v_or_b32_e32 v26, 0x10000, v1
	v_cmp_eq_u32_sdwa s[26:27], v1, v3 src0_sel:WORD_0 src1_sel:DWORD
	s_nop 1
	v_cndmask_b32_e64 v43, v26, v1, s[26:27]
; %bb.2243:                             ;   in Loop: Header=BB29_2150 Depth=2
	s_or_b64 exec, exec, s[34:35]
	v_and_b32_e32 v1, 0xffff0000, v27
	v_and_b32_e32 v26, 0xffff0000, v19
	v_max_f32_e32 v26, v26, v26
	v_max_f32_e32 v1, v1, v1
	v_min_f32_e32 v27, v1, v26
	v_max_f32_e32 v1, v1, v26
	v_cndmask_b32_e32 v1, v1, v27, vcc
	v_and_b32_e32 v26, 0x7f800000, v1
	v_cmp_ne_u32_e64 s[26:27], s97, v26
                                        ; implicit-def: $vgpr27
	s_and_saveexec_b64 s[34:35], s[26:27]
	s_xor_b64 s[26:27], exec, s[34:35]
; %bb.2244:                             ;   in Loop: Header=BB29_2150 Depth=2
	v_bfe_u32 v26, v1, 16, 1
	v_add3_u32 v27, v1, v26, s46
                                        ; implicit-def: $vgpr1
; %bb.2245:                             ;   in Loop: Header=BB29_2150 Depth=2
	s_andn2_saveexec_b64 s[34:35], s[26:27]
; %bb.2246:                             ;   in Loop: Header=BB29_2150 Depth=2
	v_or_b32_e32 v26, 0x10000, v1
	v_cmp_eq_u32_sdwa s[26:27], v1, v3 src0_sel:WORD_0 src1_sel:DWORD
	s_nop 1
	v_cndmask_b32_e64 v27, v26, v1, s[26:27]
; %bb.2247:                             ;   in Loop: Header=BB29_2150 Depth=2
	s_or_b64 exec, exec, s[34:35]
	v_lshlrev_b32_e32 v1, 16, v12
	v_lshlrev_b32_e32 v26, 16, v8
	v_max_f32_e32 v26, v26, v26
	v_max_f32_e32 v1, v1, v1
	v_min_f32_e32 v94, v1, v26
	v_max_f32_e32 v1, v1, v26
	v_cndmask_b32_e32 v1, v1, v94, vcc
	v_and_b32_e32 v26, 0x7f800000, v1
	v_cmp_ne_u32_e64 s[26:27], s97, v26
                                        ; implicit-def: $vgpr94
	s_and_saveexec_b64 s[34:35], s[26:27]
	s_xor_b64 s[26:27], exec, s[34:35]
; %bb.2248:                             ;   in Loop: Header=BB29_2150 Depth=2
	v_bfe_u32 v26, v1, 16, 1
	v_add3_u32 v94, v1, v26, s46
                                        ; implicit-def: $vgpr1
; %bb.2249:                             ;   in Loop: Header=BB29_2150 Depth=2
	s_andn2_saveexec_b64 s[34:35], s[26:27]
; %bb.2250:                             ;   in Loop: Header=BB29_2150 Depth=2
	v_or_b32_e32 v26, 0x10000, v1
	v_cmp_eq_u32_sdwa s[26:27], v1, v3 src0_sel:WORD_0 src1_sel:DWORD
	s_nop 1
	v_cndmask_b32_e64 v94, v26, v1, s[26:27]
; %bb.2251:                             ;   in Loop: Header=BB29_2150 Depth=2
	s_or_b64 exec, exec, s[34:35]
	v_and_b32_e32 v1, 0xffff0000, v12
	v_and_b32_e32 v12, 0xffff0000, v8
	v_max_f32_e32 v12, v12, v12
	v_max_f32_e32 v1, v1, v1
	v_min_f32_e32 v26, v1, v12
	v_max_f32_e32 v1, v1, v12
	v_cndmask_b32_e32 v1, v1, v26, vcc
	v_and_b32_e32 v12, 0x7f800000, v1
	v_cmp_ne_u32_e64 s[26:27], s97, v12
                                        ; implicit-def: $vgpr12
	s_and_saveexec_b64 s[34:35], s[26:27]
	s_xor_b64 s[26:27], exec, s[34:35]
; %bb.2252:                             ;   in Loop: Header=BB29_2150 Depth=2
	v_bfe_u32 v12, v1, 16, 1
	v_add3_u32 v12, v1, v12, s46
                                        ; implicit-def: $vgpr1
; %bb.2253:                             ;   in Loop: Header=BB29_2150 Depth=2
	s_andn2_saveexec_b64 s[34:35], s[26:27]
; %bb.2254:                             ;   in Loop: Header=BB29_2150 Depth=2
	v_or_b32_e32 v12, 0x10000, v1
	v_cmp_eq_u32_sdwa s[26:27], v1, v3 src0_sel:WORD_0 src1_sel:DWORD
	s_nop 1
	v_cndmask_b32_e64 v12, v12, v1, s[26:27]
; %bb.2255:                             ;   in Loop: Header=BB29_2150 Depth=2
	s_or_b64 exec, exec, s[34:35]
	v_lshlrev_b32_e32 v1, 16, v13
	v_lshlrev_b32_e32 v26, 16, v9
	v_max_f32_e32 v26, v26, v26
	v_max_f32_e32 v1, v1, v1
	v_min_f32_e32 v95, v1, v26
	v_max_f32_e32 v1, v1, v26
	v_cndmask_b32_e32 v1, v1, v95, vcc
	v_and_b32_e32 v26, 0x7f800000, v1
	v_cmp_ne_u32_e64 s[26:27], s97, v26
                                        ; implicit-def: $vgpr95
	s_and_saveexec_b64 s[34:35], s[26:27]
	s_xor_b64 s[26:27], exec, s[34:35]
; %bb.2256:                             ;   in Loop: Header=BB29_2150 Depth=2
	v_bfe_u32 v26, v1, 16, 1
	v_add3_u32 v95, v1, v26, s46
                                        ; implicit-def: $vgpr1
; %bb.2257:                             ;   in Loop: Header=BB29_2150 Depth=2
	s_andn2_saveexec_b64 s[34:35], s[26:27]
; %bb.2258:                             ;   in Loop: Header=BB29_2150 Depth=2
	v_or_b32_e32 v26, 0x10000, v1
	v_cmp_eq_u32_sdwa s[26:27], v1, v3 src0_sel:WORD_0 src1_sel:DWORD
	s_nop 1
	v_cndmask_b32_e64 v95, v26, v1, s[26:27]
; %bb.2259:                             ;   in Loop: Header=BB29_2150 Depth=2
	s_or_b64 exec, exec, s[34:35]
	v_and_b32_e32 v1, 0xffff0000, v13
	v_and_b32_e32 v13, 0xffff0000, v9
	v_max_f32_e32 v13, v13, v13
	v_max_f32_e32 v1, v1, v1
	v_min_f32_e32 v26, v1, v13
	v_max_f32_e32 v1, v1, v13
	v_cndmask_b32_e32 v1, v1, v26, vcc
	v_and_b32_e32 v13, 0x7f800000, v1
	v_cmp_ne_u32_e64 s[26:27], s97, v13
                                        ; implicit-def: $vgpr13
	s_and_saveexec_b64 s[34:35], s[26:27]
	s_xor_b64 s[26:27], exec, s[34:35]
; %bb.2260:                             ;   in Loop: Header=BB29_2150 Depth=2
	v_bfe_u32 v13, v1, 16, 1
	v_add3_u32 v13, v1, v13, s46
                                        ; implicit-def: $vgpr1
; %bb.2261:                             ;   in Loop: Header=BB29_2150 Depth=2
	s_andn2_saveexec_b64 s[34:35], s[26:27]
; %bb.2262:                             ;   in Loop: Header=BB29_2150 Depth=2
	v_or_b32_e32 v13, 0x10000, v1
	v_cmp_eq_u32_sdwa s[26:27], v1, v3 src0_sel:WORD_0 src1_sel:DWORD
	s_nop 1
	v_cndmask_b32_e64 v13, v13, v1, s[26:27]
; %bb.2263:                             ;   in Loop: Header=BB29_2150 Depth=2
	s_or_b64 exec, exec, s[34:35]
	v_lshlrev_b32_e32 v1, 16, v14
	v_lshlrev_b32_e32 v26, 16, v10
	v_max_f32_e32 v26, v26, v26
	v_max_f32_e32 v1, v1, v1
	v_min_f32_e32 v108, v1, v26
	v_max_f32_e32 v1, v1, v26
	v_cndmask_b32_e32 v1, v1, v108, vcc
	v_and_b32_e32 v26, 0x7f800000, v1
	v_cmp_ne_u32_e64 s[26:27], s97, v26
                                        ; implicit-def: $vgpr108
	s_and_saveexec_b64 s[34:35], s[26:27]
	s_xor_b64 s[26:27], exec, s[34:35]
; %bb.2264:                             ;   in Loop: Header=BB29_2150 Depth=2
	v_bfe_u32 v26, v1, 16, 1
	v_add3_u32 v108, v1, v26, s46
                                        ; implicit-def: $vgpr1
; %bb.2265:                             ;   in Loop: Header=BB29_2150 Depth=2
	s_andn2_saveexec_b64 s[34:35], s[26:27]
; %bb.2266:                             ;   in Loop: Header=BB29_2150 Depth=2
	v_or_b32_e32 v26, 0x10000, v1
	v_cmp_eq_u32_sdwa s[26:27], v1, v3 src0_sel:WORD_0 src1_sel:DWORD
	s_nop 1
	v_cndmask_b32_e64 v108, v26, v1, s[26:27]
; %bb.2267:                             ;   in Loop: Header=BB29_2150 Depth=2
	s_or_b64 exec, exec, s[34:35]
	v_and_b32_e32 v1, 0xffff0000, v14
	v_and_b32_e32 v14, 0xffff0000, v10
	v_max_f32_e32 v14, v14, v14
	v_max_f32_e32 v1, v1, v1
	v_min_f32_e32 v26, v1, v14
	v_max_f32_e32 v1, v1, v14
	v_cndmask_b32_e32 v1, v1, v26, vcc
	v_and_b32_e32 v14, 0x7f800000, v1
	v_cmp_ne_u32_e64 s[26:27], s97, v14
                                        ; implicit-def: $vgpr14
	s_and_saveexec_b64 s[34:35], s[26:27]
	s_xor_b64 s[26:27], exec, s[34:35]
; %bb.2268:                             ;   in Loop: Header=BB29_2150 Depth=2
	v_bfe_u32 v14, v1, 16, 1
	v_add3_u32 v14, v1, v14, s46
                                        ; implicit-def: $vgpr1
; %bb.2269:                             ;   in Loop: Header=BB29_2150 Depth=2
	s_andn2_saveexec_b64 s[34:35], s[26:27]
; %bb.2270:                             ;   in Loop: Header=BB29_2150 Depth=2
	v_or_b32_e32 v14, 0x10000, v1
	v_cmp_eq_u32_sdwa s[26:27], v1, v3 src0_sel:WORD_0 src1_sel:DWORD
	s_nop 1
	v_cndmask_b32_e64 v14, v14, v1, s[26:27]
; %bb.2271:                             ;   in Loop: Header=BB29_2150 Depth=2
	s_or_b64 exec, exec, s[34:35]
	v_lshlrev_b32_e32 v1, 16, v15
	v_lshlrev_b32_e32 v26, 16, v11
	v_max_f32_e32 v26, v26, v26
	v_max_f32_e32 v1, v1, v1
	v_min_f32_e32 v109, v1, v26
	v_max_f32_e32 v1, v1, v26
	v_cndmask_b32_e32 v1, v1, v109, vcc
	v_and_b32_e32 v26, 0x7f800000, v1
	v_cmp_ne_u32_e64 s[26:27], s97, v26
                                        ; implicit-def: $vgpr109
	s_and_saveexec_b64 s[34:35], s[26:27]
	s_xor_b64 s[26:27], exec, s[34:35]
; %bb.2272:                             ;   in Loop: Header=BB29_2150 Depth=2
	v_bfe_u32 v26, v1, 16, 1
	v_add3_u32 v109, v1, v26, s46
                                        ; implicit-def: $vgpr1
; %bb.2273:                             ;   in Loop: Header=BB29_2150 Depth=2
	s_andn2_saveexec_b64 s[34:35], s[26:27]
; %bb.2274:                             ;   in Loop: Header=BB29_2150 Depth=2
	v_or_b32_e32 v26, 0x10000, v1
	v_cmp_eq_u32_sdwa s[26:27], v1, v3 src0_sel:WORD_0 src1_sel:DWORD
	s_nop 1
	v_cndmask_b32_e64 v109, v26, v1, s[26:27]
; %bb.2275:                             ;   in Loop: Header=BB29_2150 Depth=2
	s_or_b64 exec, exec, s[34:35]
	v_and_b32_e32 v1, 0xffff0000, v15
	v_and_b32_e32 v15, 0xffff0000, v11
	v_max_f32_e32 v15, v15, v15
	v_max_f32_e32 v1, v1, v1
	v_min_f32_e32 v26, v1, v15
	v_max_f32_e32 v1, v1, v15
	v_cndmask_b32_e32 v15, v1, v26, vcc
	v_and_b32_e32 v1, 0x7f800000, v15
	v_cmp_ne_u32_e64 s[26:27], s97, v1
                                        ; implicit-def: $vgpr1
	s_and_saveexec_b64 s[34:35], s[26:27]
	s_xor_b64 s[26:27], exec, s[34:35]
; %bb.2276:                             ;   in Loop: Header=BB29_2150 Depth=2
	v_bfe_u32 v1, v15, 16, 1
	v_add3_u32 v1, v15, v1, s46
                                        ; implicit-def: $vgpr15
; %bb.2277:                             ;   in Loop: Header=BB29_2150 Depth=2
	s_andn2_saveexec_b64 s[34:35], s[26:27]
; %bb.2278:                             ;   in Loop: Header=BB29_2150 Depth=2
	v_or_b32_e32 v1, 0x10000, v15
	v_cmp_eq_u32_sdwa s[26:27], v15, v3 src0_sel:WORD_0 src1_sel:DWORD
	s_nop 1
	v_cndmask_b32_e64 v1, v1, v15, s[26:27]
; %bb.2279:                             ;   in Loop: Header=BB29_2150 Depth=2
	s_or_b64 exec, exec, s[34:35]
	v_lshrrev_b32_e32 v15, 16, v38
	v_and_or_b32 v25, v25, s47, v15
	v_lshrrev_b32_e32 v15, 16, v37
	v_and_or_b32 v24, v24, s47, v15
	v_lshrrev_b32_e32 v15, 16, v42
	v_and_or_b32 v26, v0, s47, v15
	v_lshrrev_b32_e32 v0, 16, v43
	v_and_or_b32 v27, v27, s47, v0
	v_lshrrev_b32_e32 v0, 16, v45
	v_and_or_b32 v37, v30, s47, v0
	v_lshrrev_b32_e32 v0, 16, v44
	v_and_or_b32 v36, v36, s47, v0
	v_lshrrev_b32_e32 v0, 16, v79
	v_and_or_b32 v38, v6, s47, v0
	v_lshrrev_b32_e32 v0, 16, v7
	v_and_or_b32 v39, v39, s47, v0
	v_lshrrev_b32_e32 v0, 16, v119
	v_and_or_b32 v81, v81, s47, v0
	v_lshrrev_b32_e32 v0, 16, v118
	v_and_or_b32 v80, v80, s47, v0
	v_lshrrev_b32_e32 v0, 16, v74
	v_and_or_b32 v82, v82, s47, v0
	v_lshrrev_b32_e32 v0, 16, v75
	v_and_or_b32 v83, v83, s47, v0
	v_lshrrev_b32_e32 v0, 16, v95
	v_and_or_b32 v13, v13, s47, v0
	v_lshrrev_b32_e32 v0, 16, v94
	v_and_or_b32 v12, v12, s47, v0
	v_lshrrev_b32_e32 v0, 16, v108
	v_and_or_b32 v14, v14, s47, v0
	v_lshrrev_b32_e32 v0, 16, v109
	v_and_or_b32 v15, v1, s47, v0
	global_store_dwordx4 v[4:5], v[80:83], off
	global_store_dwordx4 v[4:5], v[36:39], off offset:1024
	global_store_dwordx4 v[4:5], v[24:27], off offset:2048
	;; [unrolled: 1-line block ×3, first 2 shown]
	v_lshl_add_u64 v[4:5], v[4:5], 0, v[106:107]
.LBB29_2280:                            ;   in Loop: Header=BB29_2150 Depth=2
	s_or_b64 exec, exec, s[36:37]
	v_sub_u32_e32 v118, v73, v60
	v_lshl_add_u64 v[58:59], v[58:59], 0, v[106:107]
	v_lshl_add_u64 v[62:63], v[62:63], 0, v[106:107]
	v_cmp_lt_i32_e64 s[34:35], 0, v118
	s_and_saveexec_b64 s[26:27], s[34:35]
	s_cbranch_execz .LBB29_2282
; %bb.2281:                             ;   in Loop: Header=BB29_2150 Depth=2
	global_load_dwordx4 v[80:83], v[58:59], off nt
	global_load_dwordx4 v[36:39], v[58:59], off offset:1024 nt
	global_load_dwordx4 v[24:27], v[58:59], off offset:2048 nt
	;; [unrolled: 1-line block ×3, first 2 shown]
	global_load_dwordx4 v[32:35], v[62:63], off nt
	global_load_dwordx4 v[20:23], v[62:63], off offset:1024 nt
	global_load_dwordx4 v[16:19], v[62:63], off offset:2048 nt
	;; [unrolled: 1-line block ×3, first 2 shown]
	v_lshl_add_u64 v[58:59], v[58:59], 0, s[76:77]
	v_lshl_add_u64 v[62:63], v[62:63], 0, s[76:77]
.LBB29_2282:                            ;   in Loop: Header=BB29_2150 Depth=2
	s_or_b64 exec, exec, s[26:27]
	s_waitcnt vmcnt(7)
	v_lshlrev_b32_e32 v0, 16, v100
	s_waitcnt vmcnt(3)
	v_lshlrev_b32_e32 v1, 16, v112
	v_max_f32_e32 v1, v1, v1
	v_max_f32_e32 v0, v0, v0
	v_min_f32_e32 v6, v0, v1
	v_max_f32_e32 v0, v0, v1
	v_cndmask_b32_e32 v0, v0, v6, vcc
	v_and_b32_e32 v1, 0x7f800000, v0
	v_cmp_ne_u32_e64 s[26:27], s97, v1
                                        ; implicit-def: $vgpr119
	s_and_saveexec_b64 s[36:37], s[26:27]
	s_xor_b64 s[26:27], exec, s[36:37]
; %bb.2283:                             ;   in Loop: Header=BB29_2150 Depth=2
	v_bfe_u32 v1, v0, 16, 1
	v_add3_u32 v119, v0, v1, s46
                                        ; implicit-def: $vgpr0
; %bb.2284:                             ;   in Loop: Header=BB29_2150 Depth=2
	s_andn2_saveexec_b64 s[36:37], s[26:27]
; %bb.2285:                             ;   in Loop: Header=BB29_2150 Depth=2
	v_or_b32_e32 v1, 0x10000, v0
	v_cmp_eq_u32_sdwa s[26:27], v0, v3 src0_sel:WORD_0 src1_sel:DWORD
	s_nop 1
	v_cndmask_b32_e64 v119, v1, v0, s[26:27]
; %bb.2286:                             ;   in Loop: Header=BB29_2150 Depth=2
	s_or_b64 exec, exec, s[36:37]
	v_and_b32_e32 v0, 0xffff0000, v100
	v_and_b32_e32 v1, 0xffff0000, v112
	v_max_f32_e32 v1, v1, v1
	v_max_f32_e32 v0, v0, v0
	v_min_f32_e32 v6, v0, v1
	v_max_f32_e32 v0, v0, v1
	v_cndmask_b32_e32 v0, v0, v6, vcc
	v_and_b32_e32 v1, 0x7f800000, v0
	v_cmp_ne_u32_e64 s[26:27], s97, v1
                                        ; implicit-def: $vgpr100
	s_and_saveexec_b64 s[36:37], s[26:27]
	s_xor_b64 s[26:27], exec, s[36:37]
; %bb.2287:                             ;   in Loop: Header=BB29_2150 Depth=2
	v_bfe_u32 v1, v0, 16, 1
	v_add3_u32 v100, v0, v1, s46
                                        ; implicit-def: $vgpr0
; %bb.2288:                             ;   in Loop: Header=BB29_2150 Depth=2
	s_andn2_saveexec_b64 s[36:37], s[26:27]
; %bb.2289:                             ;   in Loop: Header=BB29_2150 Depth=2
	v_or_b32_e32 v1, 0x10000, v0
	v_cmp_eq_u32_sdwa s[26:27], v0, v3 src0_sel:WORD_0 src1_sel:DWORD
	s_nop 1
	v_cndmask_b32_e64 v100, v1, v0, s[26:27]
; %bb.2290:                             ;   in Loop: Header=BB29_2150 Depth=2
	s_or_b64 exec, exec, s[36:37]
	v_lshlrev_b32_e32 v0, 16, v101
	v_lshlrev_b32_e32 v1, 16, v113
	v_max_f32_e32 v1, v1, v1
	v_max_f32_e32 v0, v0, v0
	v_min_f32_e32 v6, v0, v1
	v_max_f32_e32 v0, v0, v1
	v_cndmask_b32_e32 v0, v0, v6, vcc
	v_and_b32_e32 v1, 0x7f800000, v0
	v_cmp_ne_u32_e64 s[26:27], s97, v1
                                        ; implicit-def: $vgpr112
	s_and_saveexec_b64 s[36:37], s[26:27]
	s_xor_b64 s[26:27], exec, s[36:37]
; %bb.2291:                             ;   in Loop: Header=BB29_2150 Depth=2
	v_bfe_u32 v1, v0, 16, 1
	v_add3_u32 v112, v0, v1, s46
                                        ; implicit-def: $vgpr0
; %bb.2292:                             ;   in Loop: Header=BB29_2150 Depth=2
	s_andn2_saveexec_b64 s[36:37], s[26:27]
; %bb.2293:                             ;   in Loop: Header=BB29_2150 Depth=2
	v_or_b32_e32 v1, 0x10000, v0
	v_cmp_eq_u32_sdwa s[26:27], v0, v3 src0_sel:WORD_0 src1_sel:DWORD
	s_nop 1
	v_cndmask_b32_e64 v112, v1, v0, s[26:27]
; %bb.2294:                             ;   in Loop: Header=BB29_2150 Depth=2
	s_or_b64 exec, exec, s[36:37]
	v_and_b32_e32 v0, 0xffff0000, v101
	v_and_b32_e32 v1, 0xffff0000, v113
	v_max_f32_e32 v1, v1, v1
	v_max_f32_e32 v0, v0, v0
	v_min_f32_e32 v6, v0, v1
	v_max_f32_e32 v0, v0, v1
	v_cndmask_b32_e32 v0, v0, v6, vcc
	v_and_b32_e32 v1, 0x7f800000, v0
	v_cmp_ne_u32_e64 s[26:27], s97, v1
                                        ; implicit-def: $vgpr101
	s_and_saveexec_b64 s[36:37], s[26:27]
	s_xor_b64 s[26:27], exec, s[36:37]
; %bb.2295:                             ;   in Loop: Header=BB29_2150 Depth=2
	v_bfe_u32 v1, v0, 16, 1
	v_add3_u32 v101, v0, v1, s46
                                        ; implicit-def: $vgpr0
; %bb.2296:                             ;   in Loop: Header=BB29_2150 Depth=2
	s_andn2_saveexec_b64 s[36:37], s[26:27]
; %bb.2297:                             ;   in Loop: Header=BB29_2150 Depth=2
	v_or_b32_e32 v1, 0x10000, v0
	v_cmp_eq_u32_sdwa s[26:27], v0, v3 src0_sel:WORD_0 src1_sel:DWORD
	s_nop 1
	v_cndmask_b32_e64 v101, v1, v0, s[26:27]
; %bb.2298:                             ;   in Loop: Header=BB29_2150 Depth=2
	s_or_b64 exec, exec, s[36:37]
	v_lshlrev_b32_e32 v0, 16, v102
	v_lshlrev_b32_e32 v1, 16, v114
	v_max_f32_e32 v1, v1, v1
	v_max_f32_e32 v0, v0, v0
	v_min_f32_e32 v6, v0, v1
	v_max_f32_e32 v0, v0, v1
	v_cndmask_b32_e32 v0, v0, v6, vcc
	v_and_b32_e32 v1, 0x7f800000, v0
	v_cmp_ne_u32_e64 s[26:27], s97, v1
                                        ; implicit-def: $vgpr113
	s_and_saveexec_b64 s[36:37], s[26:27]
	s_xor_b64 s[26:27], exec, s[36:37]
; %bb.2299:                             ;   in Loop: Header=BB29_2150 Depth=2
	v_bfe_u32 v1, v0, 16, 1
	v_add3_u32 v113, v0, v1, s46
                                        ; implicit-def: $vgpr0
; %bb.2300:                             ;   in Loop: Header=BB29_2150 Depth=2
	s_andn2_saveexec_b64 s[36:37], s[26:27]
; %bb.2301:                             ;   in Loop: Header=BB29_2150 Depth=2
	v_or_b32_e32 v1, 0x10000, v0
	v_cmp_eq_u32_sdwa s[26:27], v0, v3 src0_sel:WORD_0 src1_sel:DWORD
	s_nop 1
	v_cndmask_b32_e64 v113, v1, v0, s[26:27]
; %bb.2302:                             ;   in Loop: Header=BB29_2150 Depth=2
	s_or_b64 exec, exec, s[36:37]
	v_and_b32_e32 v0, 0xffff0000, v102
	v_and_b32_e32 v1, 0xffff0000, v114
	v_max_f32_e32 v1, v1, v1
	v_max_f32_e32 v0, v0, v0
	v_min_f32_e32 v6, v0, v1
	v_max_f32_e32 v0, v0, v1
	v_cndmask_b32_e32 v0, v0, v6, vcc
	v_and_b32_e32 v1, 0x7f800000, v0
	v_cmp_ne_u32_e64 s[26:27], s97, v1
                                        ; implicit-def: $vgpr102
	s_and_saveexec_b64 s[36:37], s[26:27]
	s_xor_b64 s[26:27], exec, s[36:37]
; %bb.2303:                             ;   in Loop: Header=BB29_2150 Depth=2
	v_bfe_u32 v1, v0, 16, 1
	v_add3_u32 v102, v0, v1, s46
                                        ; implicit-def: $vgpr0
; %bb.2304:                             ;   in Loop: Header=BB29_2150 Depth=2
	s_andn2_saveexec_b64 s[36:37], s[26:27]
; %bb.2305:                             ;   in Loop: Header=BB29_2150 Depth=2
	v_or_b32_e32 v1, 0x10000, v0
	v_cmp_eq_u32_sdwa s[26:27], v0, v3 src0_sel:WORD_0 src1_sel:DWORD
	s_nop 1
	v_cndmask_b32_e64 v102, v1, v0, s[26:27]
; %bb.2306:                             ;   in Loop: Header=BB29_2150 Depth=2
	s_or_b64 exec, exec, s[36:37]
	v_lshlrev_b32_e32 v0, 16, v103
	v_lshlrev_b32_e32 v1, 16, v115
	v_max_f32_e32 v1, v1, v1
	v_max_f32_e32 v0, v0, v0
	v_min_f32_e32 v6, v0, v1
	v_max_f32_e32 v0, v0, v1
	v_cndmask_b32_e32 v0, v0, v6, vcc
	v_and_b32_e32 v1, 0x7f800000, v0
	v_cmp_ne_u32_e64 s[26:27], s97, v1
                                        ; implicit-def: $vgpr114
	s_and_saveexec_b64 s[36:37], s[26:27]
	s_xor_b64 s[26:27], exec, s[36:37]
; %bb.2307:                             ;   in Loop: Header=BB29_2150 Depth=2
	v_bfe_u32 v1, v0, 16, 1
	v_add3_u32 v114, v0, v1, s46
                                        ; implicit-def: $vgpr0
; %bb.2308:                             ;   in Loop: Header=BB29_2150 Depth=2
	s_andn2_saveexec_b64 s[36:37], s[26:27]
; %bb.2309:                             ;   in Loop: Header=BB29_2150 Depth=2
	v_or_b32_e32 v1, 0x10000, v0
	v_cmp_eq_u32_sdwa s[26:27], v0, v3 src0_sel:WORD_0 src1_sel:DWORD
	s_nop 1
	v_cndmask_b32_e64 v114, v1, v0, s[26:27]
; %bb.2310:                             ;   in Loop: Header=BB29_2150 Depth=2
	s_or_b64 exec, exec, s[36:37]
	v_and_b32_e32 v0, 0xffff0000, v103
	v_and_b32_e32 v1, 0xffff0000, v115
	v_max_f32_e32 v1, v1, v1
	v_max_f32_e32 v0, v0, v0
	v_min_f32_e32 v6, v0, v1
	v_max_f32_e32 v0, v0, v1
	v_cndmask_b32_e32 v0, v0, v6, vcc
	v_and_b32_e32 v1, 0x7f800000, v0
	v_cmp_ne_u32_e64 s[26:27], s97, v1
                                        ; implicit-def: $vgpr103
	s_and_saveexec_b64 s[36:37], s[26:27]
	s_xor_b64 s[26:27], exec, s[36:37]
; %bb.2311:                             ;   in Loop: Header=BB29_2150 Depth=2
	v_bfe_u32 v1, v0, 16, 1
	v_add3_u32 v103, v0, v1, s46
                                        ; implicit-def: $vgpr0
; %bb.2312:                             ;   in Loop: Header=BB29_2150 Depth=2
	s_andn2_saveexec_b64 s[36:37], s[26:27]
; %bb.2313:                             ;   in Loop: Header=BB29_2150 Depth=2
	v_or_b32_e32 v1, 0x10000, v0
	v_cmp_eq_u32_sdwa s[26:27], v0, v3 src0_sel:WORD_0 src1_sel:DWORD
	s_nop 1
	v_cndmask_b32_e64 v103, v1, v0, s[26:27]
; %bb.2314:                             ;   in Loop: Header=BB29_2150 Depth=2
	s_or_b64 exec, exec, s[36:37]
	v_lshlrev_b32_e32 v0, 16, v84
	s_waitcnt vmcnt(2)
	v_lshlrev_b32_e32 v1, 16, v96
	v_max_f32_e32 v1, v1, v1
	v_max_f32_e32 v0, v0, v0
	v_min_f32_e32 v6, v0, v1
	v_max_f32_e32 v0, v0, v1
	v_cndmask_b32_e32 v0, v0, v6, vcc
	v_and_b32_e32 v1, 0x7f800000, v0
	v_cmp_ne_u32_e64 s[26:27], s97, v1
                                        ; implicit-def: $vgpr115
	s_and_saveexec_b64 s[36:37], s[26:27]
	s_xor_b64 s[26:27], exec, s[36:37]
; %bb.2315:                             ;   in Loop: Header=BB29_2150 Depth=2
	v_bfe_u32 v1, v0, 16, 1
	v_add3_u32 v115, v0, v1, s46
                                        ; implicit-def: $vgpr0
; %bb.2316:                             ;   in Loop: Header=BB29_2150 Depth=2
	s_andn2_saveexec_b64 s[36:37], s[26:27]
; %bb.2317:                             ;   in Loop: Header=BB29_2150 Depth=2
	v_or_b32_e32 v1, 0x10000, v0
	v_cmp_eq_u32_sdwa s[26:27], v0, v3 src0_sel:WORD_0 src1_sel:DWORD
	s_nop 1
	v_cndmask_b32_e64 v115, v1, v0, s[26:27]
; %bb.2318:                             ;   in Loop: Header=BB29_2150 Depth=2
	s_or_b64 exec, exec, s[36:37]
	v_and_b32_e32 v0, 0xffff0000, v84
	v_and_b32_e32 v1, 0xffff0000, v96
	v_max_f32_e32 v1, v1, v1
	v_max_f32_e32 v0, v0, v0
	v_min_f32_e32 v6, v0, v1
	v_max_f32_e32 v0, v0, v1
	v_cndmask_b32_e32 v0, v0, v6, vcc
	v_and_b32_e32 v1, 0x7f800000, v0
	v_cmp_ne_u32_e64 s[26:27], s97, v1
                                        ; implicit-def: $vgpr84
	s_and_saveexec_b64 s[36:37], s[26:27]
	s_xor_b64 s[26:27], exec, s[36:37]
; %bb.2319:                             ;   in Loop: Header=BB29_2150 Depth=2
	v_bfe_u32 v1, v0, 16, 1
	v_add3_u32 v84, v0, v1, s46
                                        ; implicit-def: $vgpr0
; %bb.2320:                             ;   in Loop: Header=BB29_2150 Depth=2
	s_andn2_saveexec_b64 s[36:37], s[26:27]
; %bb.2321:                             ;   in Loop: Header=BB29_2150 Depth=2
	v_or_b32_e32 v1, 0x10000, v0
	v_cmp_eq_u32_sdwa s[26:27], v0, v3 src0_sel:WORD_0 src1_sel:DWORD
	s_nop 1
	v_cndmask_b32_e64 v84, v1, v0, s[26:27]
; %bb.2322:                             ;   in Loop: Header=BB29_2150 Depth=2
	s_or_b64 exec, exec, s[36:37]
	v_lshlrev_b32_e32 v0, 16, v85
	v_lshlrev_b32_e32 v1, 16, v97
	v_max_f32_e32 v1, v1, v1
	v_max_f32_e32 v0, v0, v0
	v_min_f32_e32 v6, v0, v1
	v_max_f32_e32 v0, v0, v1
	v_cndmask_b32_e32 v0, v0, v6, vcc
	v_and_b32_e32 v1, 0x7f800000, v0
	v_cmp_ne_u32_e64 s[26:27], s97, v1
                                        ; implicit-def: $vgpr30
	s_and_saveexec_b64 s[36:37], s[26:27]
	s_xor_b64 s[26:27], exec, s[36:37]
; %bb.2323:                             ;   in Loop: Header=BB29_2150 Depth=2
	v_bfe_u32 v1, v0, 16, 1
	v_add3_u32 v30, v0, v1, s46
                                        ; implicit-def: $vgpr0
; %bb.2324:                             ;   in Loop: Header=BB29_2150 Depth=2
	s_andn2_saveexec_b64 s[36:37], s[26:27]
; %bb.2325:                             ;   in Loop: Header=BB29_2150 Depth=2
	v_or_b32_e32 v1, 0x10000, v0
	v_cmp_eq_u32_sdwa s[26:27], v0, v3 src0_sel:WORD_0 src1_sel:DWORD
	s_nop 1
	v_cndmask_b32_e64 v30, v1, v0, s[26:27]
; %bb.2326:                             ;   in Loop: Header=BB29_2150 Depth=2
	s_or_b64 exec, exec, s[36:37]
	v_and_b32_e32 v0, 0xffff0000, v85
	v_and_b32_e32 v1, 0xffff0000, v97
	v_max_f32_e32 v1, v1, v1
	v_max_f32_e32 v0, v0, v0
	v_min_f32_e32 v6, v0, v1
	v_max_f32_e32 v0, v0, v1
	v_cndmask_b32_e32 v0, v0, v6, vcc
	v_and_b32_e32 v1, 0x7f800000, v0
	v_cmp_ne_u32_e64 s[26:27], s97, v1
                                        ; implicit-def: $vgpr85
	s_and_saveexec_b64 s[36:37], s[26:27]
	s_xor_b64 s[26:27], exec, s[36:37]
; %bb.2327:                             ;   in Loop: Header=BB29_2150 Depth=2
	v_bfe_u32 v1, v0, 16, 1
	v_add3_u32 v85, v0, v1, s46
                                        ; implicit-def: $vgpr0
; %bb.2328:                             ;   in Loop: Header=BB29_2150 Depth=2
	s_andn2_saveexec_b64 s[36:37], s[26:27]
; %bb.2329:                             ;   in Loop: Header=BB29_2150 Depth=2
	v_or_b32_e32 v1, 0x10000, v0
	v_cmp_eq_u32_sdwa s[26:27], v0, v3 src0_sel:WORD_0 src1_sel:DWORD
	s_nop 1
	v_cndmask_b32_e64 v85, v1, v0, s[26:27]
; %bb.2330:                             ;   in Loop: Header=BB29_2150 Depth=2
	s_or_b64 exec, exec, s[36:37]
	v_lshlrev_b32_e32 v0, 16, v86
	v_lshlrev_b32_e32 v1, 16, v98
	v_max_f32_e32 v1, v1, v1
	v_max_f32_e32 v0, v0, v0
	v_min_f32_e32 v6, v0, v1
	v_max_f32_e32 v0, v0, v1
	v_cndmask_b32_e32 v0, v0, v6, vcc
	v_and_b32_e32 v1, 0x7f800000, v0
	v_cmp_ne_u32_e64 s[26:27], s97, v1
                                        ; implicit-def: $vgpr6
	s_and_saveexec_b64 s[36:37], s[26:27]
	s_xor_b64 s[26:27], exec, s[36:37]
; %bb.2331:                             ;   in Loop: Header=BB29_2150 Depth=2
	v_bfe_u32 v1, v0, 16, 1
	v_add3_u32 v6, v0, v1, s46
                                        ; implicit-def: $vgpr0
; %bb.2332:                             ;   in Loop: Header=BB29_2150 Depth=2
	s_andn2_saveexec_b64 s[36:37], s[26:27]
; %bb.2333:                             ;   in Loop: Header=BB29_2150 Depth=2
	v_or_b32_e32 v1, 0x10000, v0
	v_cmp_eq_u32_sdwa s[26:27], v0, v3 src0_sel:WORD_0 src1_sel:DWORD
	s_nop 1
	v_cndmask_b32_e64 v6, v1, v0, s[26:27]
; %bb.2334:                             ;   in Loop: Header=BB29_2150 Depth=2
	s_or_b64 exec, exec, s[36:37]
	v_and_b32_e32 v0, 0xffff0000, v86
	v_and_b32_e32 v1, 0xffff0000, v98
	v_max_f32_e32 v1, v1, v1
	v_max_f32_e32 v0, v0, v0
	v_min_f32_e32 v7, v0, v1
	v_max_f32_e32 v0, v0, v1
	v_cndmask_b32_e32 v0, v0, v7, vcc
	v_and_b32_e32 v1, 0x7f800000, v0
	v_cmp_ne_u32_e64 s[26:27], s97, v1
                                        ; implicit-def: $vgpr7
	s_and_saveexec_b64 s[36:37], s[26:27]
	s_xor_b64 s[26:27], exec, s[36:37]
; %bb.2335:                             ;   in Loop: Header=BB29_2150 Depth=2
	v_bfe_u32 v1, v0, 16, 1
	v_add3_u32 v7, v0, v1, s46
                                        ; implicit-def: $vgpr0
; %bb.2336:                             ;   in Loop: Header=BB29_2150 Depth=2
	s_andn2_saveexec_b64 s[36:37], s[26:27]
; %bb.2337:                             ;   in Loop: Header=BB29_2150 Depth=2
	v_or_b32_e32 v1, 0x10000, v0
	v_cmp_eq_u32_sdwa s[26:27], v0, v3 src0_sel:WORD_0 src1_sel:DWORD
	s_nop 1
	v_cndmask_b32_e64 v7, v1, v0, s[26:27]
; %bb.2338:                             ;   in Loop: Header=BB29_2150 Depth=2
	s_or_b64 exec, exec, s[36:37]
	v_lshlrev_b32_e32 v0, 16, v87
	v_lshlrev_b32_e32 v1, 16, v99
	v_max_f32_e32 v1, v1, v1
	v_max_f32_e32 v0, v0, v0
	v_min_f32_e32 v86, v0, v1
	v_max_f32_e32 v0, v0, v1
	v_cndmask_b32_e32 v0, v0, v86, vcc
	v_and_b32_e32 v1, 0x7f800000, v0
	v_cmp_ne_u32_e64 s[26:27], s97, v1
                                        ; implicit-def: $vgpr86
	s_and_saveexec_b64 s[36:37], s[26:27]
	s_xor_b64 s[26:27], exec, s[36:37]
; %bb.2339:                             ;   in Loop: Header=BB29_2150 Depth=2
	v_bfe_u32 v1, v0, 16, 1
	v_add3_u32 v86, v0, v1, s46
                                        ; implicit-def: $vgpr0
; %bb.2340:                             ;   in Loop: Header=BB29_2150 Depth=2
	s_andn2_saveexec_b64 s[36:37], s[26:27]
; %bb.2341:                             ;   in Loop: Header=BB29_2150 Depth=2
	v_or_b32_e32 v1, 0x10000, v0
	v_cmp_eq_u32_sdwa s[26:27], v0, v3 src0_sel:WORD_0 src1_sel:DWORD
	s_nop 1
	v_cndmask_b32_e64 v86, v1, v0, s[26:27]
; %bb.2342:                             ;   in Loop: Header=BB29_2150 Depth=2
	s_or_b64 exec, exec, s[36:37]
	v_and_b32_e32 v0, 0xffff0000, v87
	v_and_b32_e32 v1, 0xffff0000, v99
	v_max_f32_e32 v1, v1, v1
	v_max_f32_e32 v0, v0, v0
	v_min_f32_e32 v87, v0, v1
	v_max_f32_e32 v0, v0, v1
	v_cndmask_b32_e32 v0, v0, v87, vcc
	v_and_b32_e32 v1, 0x7f800000, v0
	v_cmp_ne_u32_e64 s[26:27], s97, v1
                                        ; implicit-def: $vgpr87
	s_and_saveexec_b64 s[36:37], s[26:27]
	s_xor_b64 s[26:27], exec, s[36:37]
; %bb.2343:                             ;   in Loop: Header=BB29_2150 Depth=2
	v_bfe_u32 v1, v0, 16, 1
	v_add3_u32 v87, v0, v1, s46
                                        ; implicit-def: $vgpr0
; %bb.2344:                             ;   in Loop: Header=BB29_2150 Depth=2
	s_andn2_saveexec_b64 s[36:37], s[26:27]
; %bb.2345:                             ;   in Loop: Header=BB29_2150 Depth=2
	v_or_b32_e32 v1, 0x10000, v0
	v_cmp_eq_u32_sdwa s[26:27], v0, v3 src0_sel:WORD_0 src1_sel:DWORD
	s_nop 1
	v_cndmask_b32_e64 v87, v1, v0, s[26:27]
; %bb.2346:                             ;   in Loop: Header=BB29_2150 Depth=2
	s_or_b64 exec, exec, s[36:37]
	v_lshlrev_b32_e32 v0, 16, v64
	s_waitcnt vmcnt(1)
	v_lshlrev_b32_e32 v1, 16, v68
	v_max_f32_e32 v1, v1, v1
	v_max_f32_e32 v0, v0, v0
	v_min_f32_e32 v96, v0, v1
	v_max_f32_e32 v0, v0, v1
	v_cndmask_b32_e32 v0, v0, v96, vcc
	v_and_b32_e32 v1, 0x7f800000, v0
	v_cmp_ne_u32_e64 s[26:27], s97, v1
                                        ; implicit-def: $vgpr96
	s_and_saveexec_b64 s[36:37], s[26:27]
	s_xor_b64 s[26:27], exec, s[36:37]
; %bb.2347:                             ;   in Loop: Header=BB29_2150 Depth=2
	v_bfe_u32 v1, v0, 16, 1
	v_add3_u32 v96, v0, v1, s46
                                        ; implicit-def: $vgpr0
; %bb.2348:                             ;   in Loop: Header=BB29_2150 Depth=2
	s_andn2_saveexec_b64 s[36:37], s[26:27]
; %bb.2349:                             ;   in Loop: Header=BB29_2150 Depth=2
	v_or_b32_e32 v1, 0x10000, v0
	v_cmp_eq_u32_sdwa s[26:27], v0, v3 src0_sel:WORD_0 src1_sel:DWORD
	s_nop 1
	v_cndmask_b32_e64 v96, v1, v0, s[26:27]
; %bb.2350:                             ;   in Loop: Header=BB29_2150 Depth=2
	s_or_b64 exec, exec, s[36:37]
	v_and_b32_e32 v0, 0xffff0000, v64
	v_and_b32_e32 v1, 0xffff0000, v68
	v_max_f32_e32 v1, v1, v1
	v_max_f32_e32 v0, v0, v0
	v_min_f32_e32 v64, v0, v1
	v_max_f32_e32 v0, v0, v1
	v_cndmask_b32_e32 v0, v0, v64, vcc
	v_and_b32_e32 v1, 0x7f800000, v0
	v_cmp_ne_u32_e64 s[26:27], s97, v1
                                        ; implicit-def: $vgpr64
	s_and_saveexec_b64 s[36:37], s[26:27]
	s_xor_b64 s[26:27], exec, s[36:37]
; %bb.2351:                             ;   in Loop: Header=BB29_2150 Depth=2
	v_bfe_u32 v1, v0, 16, 1
	v_add3_u32 v64, v0, v1, s46
                                        ; implicit-def: $vgpr0
; %bb.2352:                             ;   in Loop: Header=BB29_2150 Depth=2
	s_andn2_saveexec_b64 s[36:37], s[26:27]
; %bb.2353:                             ;   in Loop: Header=BB29_2150 Depth=2
	v_or_b32_e32 v1, 0x10000, v0
	v_cmp_eq_u32_sdwa s[26:27], v0, v3 src0_sel:WORD_0 src1_sel:DWORD
	s_nop 1
	v_cndmask_b32_e64 v64, v1, v0, s[26:27]
; %bb.2354:                             ;   in Loop: Header=BB29_2150 Depth=2
	s_or_b64 exec, exec, s[36:37]
	v_lshlrev_b32_e32 v0, 16, v65
	v_lshlrev_b32_e32 v1, 16, v69
	v_max_f32_e32 v1, v1, v1
	v_max_f32_e32 v0, v0, v0
	v_min_f32_e32 v68, v0, v1
	v_max_f32_e32 v0, v0, v1
	v_cndmask_b32_e32 v0, v0, v68, vcc
	v_and_b32_e32 v1, 0x7f800000, v0
	v_cmp_ne_u32_e64 s[26:27], s97, v1
                                        ; implicit-def: $vgpr68
	s_and_saveexec_b64 s[36:37], s[26:27]
	s_xor_b64 s[26:27], exec, s[36:37]
; %bb.2355:                             ;   in Loop: Header=BB29_2150 Depth=2
	v_bfe_u32 v1, v0, 16, 1
	v_add3_u32 v68, v0, v1, s46
                                        ; implicit-def: $vgpr0
; %bb.2356:                             ;   in Loop: Header=BB29_2150 Depth=2
	s_andn2_saveexec_b64 s[36:37], s[26:27]
; %bb.2357:                             ;   in Loop: Header=BB29_2150 Depth=2
	v_or_b32_e32 v1, 0x10000, v0
	v_cmp_eq_u32_sdwa s[26:27], v0, v3 src0_sel:WORD_0 src1_sel:DWORD
	s_nop 1
	v_cndmask_b32_e64 v68, v1, v0, s[26:27]
; %bb.2358:                             ;   in Loop: Header=BB29_2150 Depth=2
	s_or_b64 exec, exec, s[36:37]
	v_and_b32_e32 v0, 0xffff0000, v65
	v_and_b32_e32 v1, 0xffff0000, v69
	v_max_f32_e32 v1, v1, v1
	v_max_f32_e32 v0, v0, v0
	v_min_f32_e32 v65, v0, v1
	v_max_f32_e32 v0, v0, v1
	v_cndmask_b32_e32 v0, v0, v65, vcc
	v_and_b32_e32 v1, 0x7f800000, v0
	v_cmp_ne_u32_e64 s[26:27], s97, v1
                                        ; implicit-def: $vgpr65
	s_and_saveexec_b64 s[36:37], s[26:27]
	s_xor_b64 s[26:27], exec, s[36:37]
; %bb.2359:                             ;   in Loop: Header=BB29_2150 Depth=2
	v_bfe_u32 v1, v0, 16, 1
	v_add3_u32 v65, v0, v1, s46
                                        ; implicit-def: $vgpr0
; %bb.2360:                             ;   in Loop: Header=BB29_2150 Depth=2
	s_andn2_saveexec_b64 s[36:37], s[26:27]
; %bb.2361:                             ;   in Loop: Header=BB29_2150 Depth=2
	v_or_b32_e32 v1, 0x10000, v0
	v_cmp_eq_u32_sdwa s[26:27], v0, v3 src0_sel:WORD_0 src1_sel:DWORD
	s_nop 1
	v_cndmask_b32_e64 v65, v1, v0, s[26:27]
; %bb.2362:                             ;   in Loop: Header=BB29_2150 Depth=2
	s_or_b64 exec, exec, s[36:37]
	v_lshlrev_b32_e32 v0, 16, v66
	v_lshlrev_b32_e32 v1, 16, v70
	v_max_f32_e32 v1, v1, v1
	v_max_f32_e32 v0, v0, v0
	v_min_f32_e32 v69, v0, v1
	v_max_f32_e32 v0, v0, v1
	v_cndmask_b32_e32 v1, v0, v69, vcc
	v_and_b32_e32 v0, 0x7f800000, v1
	v_cmp_ne_u32_e64 s[26:27], s97, v0
                                        ; implicit-def: $vgpr0
	s_and_saveexec_b64 s[36:37], s[26:27]
	s_xor_b64 s[26:27], exec, s[36:37]
; %bb.2363:                             ;   in Loop: Header=BB29_2150 Depth=2
	v_bfe_u32 v0, v1, 16, 1
	v_add3_u32 v0, v1, v0, s46
                                        ; implicit-def: $vgpr1
; %bb.2364:                             ;   in Loop: Header=BB29_2150 Depth=2
	s_andn2_saveexec_b64 s[36:37], s[26:27]
; %bb.2365:                             ;   in Loop: Header=BB29_2150 Depth=2
	v_or_b32_e32 v0, 0x10000, v1
	v_cmp_eq_u32_sdwa s[26:27], v1, v3 src0_sel:WORD_0 src1_sel:DWORD
	s_nop 1
	v_cndmask_b32_e64 v0, v0, v1, s[26:27]
; %bb.2366:                             ;   in Loop: Header=BB29_2150 Depth=2
	s_or_b64 exec, exec, s[36:37]
	v_and_b32_e32 v1, 0xffff0000, v66
	v_and_b32_e32 v66, 0xffff0000, v70
	v_max_f32_e32 v66, v66, v66
	v_max_f32_e32 v1, v1, v1
	v_min_f32_e32 v69, v1, v66
	v_max_f32_e32 v1, v1, v66
	v_cndmask_b32_e32 v1, v1, v69, vcc
	v_and_b32_e32 v66, 0x7f800000, v1
	v_cmp_ne_u32_e64 s[26:27], s97, v66
                                        ; implicit-def: $vgpr66
	s_and_saveexec_b64 s[36:37], s[26:27]
	s_xor_b64 s[26:27], exec, s[36:37]
; %bb.2367:                             ;   in Loop: Header=BB29_2150 Depth=2
	v_bfe_u32 v66, v1, 16, 1
	v_add3_u32 v66, v1, v66, s46
                                        ; implicit-def: $vgpr1
; %bb.2368:                             ;   in Loop: Header=BB29_2150 Depth=2
	s_andn2_saveexec_b64 s[36:37], s[26:27]
; %bb.2369:                             ;   in Loop: Header=BB29_2150 Depth=2
	v_or_b32_e32 v66, 0x10000, v1
	v_cmp_eq_u32_sdwa s[26:27], v1, v3 src0_sel:WORD_0 src1_sel:DWORD
	s_nop 1
	v_cndmask_b32_e64 v66, v66, v1, s[26:27]
; %bb.2370:                             ;   in Loop: Header=BB29_2150 Depth=2
	s_or_b64 exec, exec, s[36:37]
	v_lshlrev_b32_e32 v1, 16, v67
	v_lshlrev_b32_e32 v69, 16, v71
	v_max_f32_e32 v69, v69, v69
	v_max_f32_e32 v1, v1, v1
	v_min_f32_e32 v70, v1, v69
	v_max_f32_e32 v1, v1, v69
	v_cndmask_b32_e32 v1, v1, v70, vcc
	v_and_b32_e32 v69, 0x7f800000, v1
	v_cmp_ne_u32_e64 s[26:27], s97, v69
                                        ; implicit-def: $vgpr69
	s_and_saveexec_b64 s[36:37], s[26:27]
	s_xor_b64 s[26:27], exec, s[36:37]
; %bb.2371:                             ;   in Loop: Header=BB29_2150 Depth=2
	v_bfe_u32 v69, v1, 16, 1
	v_add3_u32 v69, v1, v69, s46
                                        ; implicit-def: $vgpr1
; %bb.2372:                             ;   in Loop: Header=BB29_2150 Depth=2
	s_andn2_saveexec_b64 s[36:37], s[26:27]
; %bb.2373:                             ;   in Loop: Header=BB29_2150 Depth=2
	v_or_b32_e32 v69, 0x10000, v1
	v_cmp_eq_u32_sdwa s[26:27], v1, v3 src0_sel:WORD_0 src1_sel:DWORD
	s_nop 1
	v_cndmask_b32_e64 v69, v69, v1, s[26:27]
; %bb.2374:                             ;   in Loop: Header=BB29_2150 Depth=2
	s_or_b64 exec, exec, s[36:37]
	v_and_b32_e32 v1, 0xffff0000, v67
	v_and_b32_e32 v67, 0xffff0000, v71
	v_max_f32_e32 v67, v67, v67
	v_max_f32_e32 v1, v1, v1
	v_min_f32_e32 v70, v1, v67
	v_max_f32_e32 v1, v1, v67
	v_cndmask_b32_e32 v1, v1, v70, vcc
	v_and_b32_e32 v67, 0x7f800000, v1
	v_cmp_ne_u32_e64 s[26:27], s97, v67
                                        ; implicit-def: $vgpr67
	s_and_saveexec_b64 s[36:37], s[26:27]
	s_xor_b64 s[26:27], exec, s[36:37]
; %bb.2375:                             ;   in Loop: Header=BB29_2150 Depth=2
	v_bfe_u32 v67, v1, 16, 1
	v_add3_u32 v67, v1, v67, s46
                                        ; implicit-def: $vgpr1
; %bb.2376:                             ;   in Loop: Header=BB29_2150 Depth=2
	s_andn2_saveexec_b64 s[36:37], s[26:27]
; %bb.2377:                             ;   in Loop: Header=BB29_2150 Depth=2
	v_or_b32_e32 v67, 0x10000, v1
	v_cmp_eq_u32_sdwa s[26:27], v1, v3 src0_sel:WORD_0 src1_sel:DWORD
	s_nop 1
	v_cndmask_b32_e64 v67, v67, v1, s[26:27]
; %bb.2378:                             ;   in Loop: Header=BB29_2150 Depth=2
	s_or_b64 exec, exec, s[36:37]
	v_lshlrev_b32_e32 v1, 16, v48
	s_waitcnt vmcnt(0)
	v_lshlrev_b32_e32 v70, 16, v52
	v_max_f32_e32 v70, v70, v70
	v_max_f32_e32 v1, v1, v1
	v_min_f32_e32 v71, v1, v70
	v_max_f32_e32 v1, v1, v70
	v_cndmask_b32_e32 v1, v1, v71, vcc
	v_and_b32_e32 v70, 0x7f800000, v1
	v_cmp_ne_u32_e64 s[26:27], s97, v70
                                        ; implicit-def: $vgpr70
	s_and_saveexec_b64 s[36:37], s[26:27]
	s_xor_b64 s[26:27], exec, s[36:37]
; %bb.2379:                             ;   in Loop: Header=BB29_2150 Depth=2
	v_bfe_u32 v70, v1, 16, 1
	v_add3_u32 v70, v1, v70, s46
                                        ; implicit-def: $vgpr1
; %bb.2380:                             ;   in Loop: Header=BB29_2150 Depth=2
	s_andn2_saveexec_b64 s[36:37], s[26:27]
; %bb.2381:                             ;   in Loop: Header=BB29_2150 Depth=2
	v_or_b32_e32 v70, 0x10000, v1
	v_cmp_eq_u32_sdwa s[26:27], v1, v3 src0_sel:WORD_0 src1_sel:DWORD
	s_nop 1
	v_cndmask_b32_e64 v70, v70, v1, s[26:27]
; %bb.2382:                             ;   in Loop: Header=BB29_2150 Depth=2
	s_or_b64 exec, exec, s[36:37]
	v_and_b32_e32 v1, 0xffff0000, v48
	v_and_b32_e32 v48, 0xffff0000, v52
	v_max_f32_e32 v48, v48, v48
	v_max_f32_e32 v1, v1, v1
	v_min_f32_e32 v52, v1, v48
	v_max_f32_e32 v1, v1, v48
	v_cndmask_b32_e32 v1, v1, v52, vcc
	v_and_b32_e32 v48, 0x7f800000, v1
	v_cmp_ne_u32_e64 s[26:27], s97, v48
                                        ; implicit-def: $vgpr48
	s_and_saveexec_b64 s[36:37], s[26:27]
	s_xor_b64 s[26:27], exec, s[36:37]
; %bb.2383:                             ;   in Loop: Header=BB29_2150 Depth=2
	v_bfe_u32 v48, v1, 16, 1
	v_add3_u32 v48, v1, v48, s46
                                        ; implicit-def: $vgpr1
; %bb.2384:                             ;   in Loop: Header=BB29_2150 Depth=2
	s_andn2_saveexec_b64 s[36:37], s[26:27]
; %bb.2385:                             ;   in Loop: Header=BB29_2150 Depth=2
	v_or_b32_e32 v48, 0x10000, v1
	v_cmp_eq_u32_sdwa s[26:27], v1, v3 src0_sel:WORD_0 src1_sel:DWORD
	s_nop 1
	v_cndmask_b32_e64 v48, v48, v1, s[26:27]
; %bb.2386:                             ;   in Loop: Header=BB29_2150 Depth=2
	s_or_b64 exec, exec, s[36:37]
	v_lshlrev_b32_e32 v1, 16, v49
	v_lshlrev_b32_e32 v52, 16, v53
	v_max_f32_e32 v52, v52, v52
	v_max_f32_e32 v1, v1, v1
	v_min_f32_e32 v71, v1, v52
	v_max_f32_e32 v1, v1, v52
	v_cndmask_b32_e32 v1, v1, v71, vcc
	v_and_b32_e32 v52, 0x7f800000, v1
	v_cmp_ne_u32_e64 s[26:27], s97, v52
                                        ; implicit-def: $vgpr52
	s_and_saveexec_b64 s[36:37], s[26:27]
	s_xor_b64 s[26:27], exec, s[36:37]
; %bb.2387:                             ;   in Loop: Header=BB29_2150 Depth=2
	v_bfe_u32 v52, v1, 16, 1
	v_add3_u32 v52, v1, v52, s46
                                        ; implicit-def: $vgpr1
; %bb.2388:                             ;   in Loop: Header=BB29_2150 Depth=2
	s_andn2_saveexec_b64 s[36:37], s[26:27]
; %bb.2389:                             ;   in Loop: Header=BB29_2150 Depth=2
	v_or_b32_e32 v52, 0x10000, v1
	v_cmp_eq_u32_sdwa s[26:27], v1, v3 src0_sel:WORD_0 src1_sel:DWORD
	s_nop 1
	v_cndmask_b32_e64 v52, v52, v1, s[26:27]
; %bb.2390:                             ;   in Loop: Header=BB29_2150 Depth=2
	s_or_b64 exec, exec, s[36:37]
	v_and_b32_e32 v1, 0xffff0000, v49
	v_and_b32_e32 v49, 0xffff0000, v53
	v_max_f32_e32 v49, v49, v49
	v_max_f32_e32 v1, v1, v1
	v_min_f32_e32 v53, v1, v49
	v_max_f32_e32 v1, v1, v49
	v_cndmask_b32_e32 v1, v1, v53, vcc
	v_and_b32_e32 v49, 0x7f800000, v1
	v_cmp_ne_u32_e64 s[26:27], s97, v49
                                        ; implicit-def: $vgpr49
	s_and_saveexec_b64 s[36:37], s[26:27]
	s_xor_b64 s[26:27], exec, s[36:37]
; %bb.2391:                             ;   in Loop: Header=BB29_2150 Depth=2
	v_bfe_u32 v49, v1, 16, 1
	v_add3_u32 v49, v1, v49, s46
                                        ; implicit-def: $vgpr1
; %bb.2392:                             ;   in Loop: Header=BB29_2150 Depth=2
	s_andn2_saveexec_b64 s[36:37], s[26:27]
; %bb.2393:                             ;   in Loop: Header=BB29_2150 Depth=2
	v_or_b32_e32 v49, 0x10000, v1
	v_cmp_eq_u32_sdwa s[26:27], v1, v3 src0_sel:WORD_0 src1_sel:DWORD
	s_nop 1
	v_cndmask_b32_e64 v49, v49, v1, s[26:27]
; %bb.2394:                             ;   in Loop: Header=BB29_2150 Depth=2
	s_or_b64 exec, exec, s[36:37]
	v_lshlrev_b32_e32 v1, 16, v50
	v_lshlrev_b32_e32 v53, 16, v54
	v_max_f32_e32 v53, v53, v53
	v_max_f32_e32 v1, v1, v1
	v_min_f32_e32 v71, v1, v53
	v_max_f32_e32 v1, v1, v53
	v_cndmask_b32_e32 v1, v1, v71, vcc
	v_and_b32_e32 v53, 0x7f800000, v1
	v_cmp_ne_u32_e64 s[26:27], s97, v53
                                        ; implicit-def: $vgpr53
	s_and_saveexec_b64 s[36:37], s[26:27]
	s_xor_b64 s[26:27], exec, s[36:37]
; %bb.2395:                             ;   in Loop: Header=BB29_2150 Depth=2
	v_bfe_u32 v53, v1, 16, 1
	v_add3_u32 v53, v1, v53, s46
                                        ; implicit-def: $vgpr1
; %bb.2396:                             ;   in Loop: Header=BB29_2150 Depth=2
	s_andn2_saveexec_b64 s[36:37], s[26:27]
; %bb.2397:                             ;   in Loop: Header=BB29_2150 Depth=2
	v_or_b32_e32 v53, 0x10000, v1
	v_cmp_eq_u32_sdwa s[26:27], v1, v3 src0_sel:WORD_0 src1_sel:DWORD
	s_nop 1
	v_cndmask_b32_e64 v53, v53, v1, s[26:27]
; %bb.2398:                             ;   in Loop: Header=BB29_2150 Depth=2
	s_or_b64 exec, exec, s[36:37]
	v_and_b32_e32 v1, 0xffff0000, v50
	v_and_b32_e32 v50, 0xffff0000, v54
	v_max_f32_e32 v50, v50, v50
	v_max_f32_e32 v1, v1, v1
	v_min_f32_e32 v54, v1, v50
	v_max_f32_e32 v1, v1, v50
	v_cndmask_b32_e32 v1, v1, v54, vcc
	v_and_b32_e32 v50, 0x7f800000, v1
	v_cmp_ne_u32_e64 s[26:27], s97, v50
                                        ; implicit-def: $vgpr50
	s_and_saveexec_b64 s[36:37], s[26:27]
	s_xor_b64 s[26:27], exec, s[36:37]
; %bb.2399:                             ;   in Loop: Header=BB29_2150 Depth=2
	v_bfe_u32 v50, v1, 16, 1
	v_add3_u32 v50, v1, v50, s46
                                        ; implicit-def: $vgpr1
; %bb.2400:                             ;   in Loop: Header=BB29_2150 Depth=2
	s_andn2_saveexec_b64 s[36:37], s[26:27]
; %bb.2401:                             ;   in Loop: Header=BB29_2150 Depth=2
	v_or_b32_e32 v50, 0x10000, v1
	v_cmp_eq_u32_sdwa s[26:27], v1, v3 src0_sel:WORD_0 src1_sel:DWORD
	s_nop 1
	v_cndmask_b32_e64 v50, v50, v1, s[26:27]
; %bb.2402:                             ;   in Loop: Header=BB29_2150 Depth=2
	s_or_b64 exec, exec, s[36:37]
	v_lshlrev_b32_e32 v1, 16, v51
	v_lshlrev_b32_e32 v54, 16, v55
	v_max_f32_e32 v54, v54, v54
	v_max_f32_e32 v1, v1, v1
	v_min_f32_e32 v71, v1, v54
	v_max_f32_e32 v1, v1, v54
	v_cndmask_b32_e32 v54, v1, v71, vcc
	v_and_b32_e32 v1, 0x7f800000, v54
	v_cmp_ne_u32_e64 s[26:27], s97, v1
                                        ; implicit-def: $vgpr1
	s_and_saveexec_b64 s[36:37], s[26:27]
	s_xor_b64 s[26:27], exec, s[36:37]
; %bb.2403:                             ;   in Loop: Header=BB29_2150 Depth=2
	v_bfe_u32 v1, v54, 16, 1
	v_add3_u32 v1, v54, v1, s46
                                        ; implicit-def: $vgpr54
; %bb.2404:                             ;   in Loop: Header=BB29_2150 Depth=2
	s_andn2_saveexec_b64 s[36:37], s[26:27]
; %bb.2405:                             ;   in Loop: Header=BB29_2150 Depth=2
	v_or_b32_e32 v1, 0x10000, v54
	v_cmp_eq_u32_sdwa s[26:27], v54, v3 src0_sel:WORD_0 src1_sel:DWORD
	s_nop 1
	v_cndmask_b32_e64 v1, v1, v54, s[26:27]
; %bb.2406:                             ;   in Loop: Header=BB29_2150 Depth=2
	s_or_b64 exec, exec, s[36:37]
	v_and_b32_e32 v51, 0xffff0000, v51
	v_and_b32_e32 v54, 0xffff0000, v55
	v_max_f32_e32 v54, v54, v54
	v_max_f32_e32 v51, v51, v51
	v_min_f32_e32 v55, v51, v54
	v_max_f32_e32 v51, v51, v54
	v_cndmask_b32_e32 v54, v51, v55, vcc
	v_and_b32_e32 v51, 0x7f800000, v54
	v_cmp_ne_u32_e64 s[26:27], s97, v51
                                        ; implicit-def: $vgpr51
	s_and_saveexec_b64 s[36:37], s[26:27]
	s_xor_b64 s[26:27], exec, s[36:37]
; %bb.2407:                             ;   in Loop: Header=BB29_2150 Depth=2
	v_bfe_u32 v51, v54, 16, 1
	v_add3_u32 v51, v54, v51, s46
                                        ; implicit-def: $vgpr54
; %bb.2408:                             ;   in Loop: Header=BB29_2150 Depth=2
	s_andn2_saveexec_b64 s[36:37], s[26:27]
	s_cbranch_execz .LBB29_2149
; %bb.2409:                             ;   in Loop: Header=BB29_2150 Depth=2
	v_or_b32_e32 v51, 0x10000, v54
	v_cmp_eq_u32_sdwa s[26:27], v54, v3 src0_sel:WORD_0 src1_sel:DWORD
	s_nop 1
	v_cndmask_b32_e64 v51, v51, v54, s[26:27]
	s_branch .LBB29_2149
.LBB29_2410:                            ;   in Loop: Header=BB29_47 Depth=1
	v_cmp_lt_i32_e64 s[26:27], 0, v2
	s_and_saveexec_b64 s[28:29], s[6:7]
	s_cbranch_execnz .LBB29_2888
	s_branch .LBB29_2906
.LBB29_2411:                            ;   in Loop: Header=BB29_47 Depth=1
	s_mov_b64 s[30:31], 0
                                        ; implicit-def: $sgpr45
	s_andn2_b64 vcc, exec, s[28:29]
	v_mov_b32_e32 v12, 0
	s_cbranch_vccz .LBB29_2147
.LBB29_2412:                            ;   in Loop: Header=BB29_47 Depth=1
	scratch_load_dword v1, off, s33 offset:320 ; 4-byte Folded Reload
	s_waitcnt vmcnt(0)
	v_mov_b32_e32 v0, v1
	v_and_b32_e32 v13, 63, v1
	s_and_saveexec_b64 s[42:43], s[30:31]
	s_cbranch_execnz .LBB29_2660
	s_branch .LBB29_2887
.LBB29_2413:                            ;   in Loop: Header=BB29_47 Depth=1
	s_or_b64 exec, exec, s[40:41]
	scratch_load_dwordx2 v[112:113], off, s33 offset:428 ; 8-byte Folded Reload
	s_and_b64 s[26:27], s[42:43], exec
.LBB29_2414:                            ;   in Loop: Header=BB29_47 Depth=1
	s_or_b64 exec, exec, s[28:29]
	s_and_saveexec_b64 s[28:29], s[26:27]
	s_cbranch_execz .LBB29_2544
; %bb.2415:                             ;   in Loop: Header=BB29_47 Depth=1
	s_and_b32 s13, 0xffff, s45
	v_lshlrev_b32_e32 v0, 16, v80
	v_lshlrev_b32_e32 v1, 16, v32
	s_cmp_eq_u32 s13, 0
	v_max_f32_e32 v1, v1, v1
	v_max_f32_e32 v0, v0, v0
	v_min_f32_e32 v6, v0, v1
	v_max_f32_e32 v0, v0, v1
	s_cselect_b64 vcc, -1, 0
	v_cndmask_b32_e32 v0, v0, v6, vcc
	v_and_b32_e32 v1, 0x7f800000, v0
	v_cmp_ne_u32_e64 s[26:27], s97, v1
                                        ; implicit-def: $vgpr48
	s_and_saveexec_b64 s[40:41], s[26:27]
	s_xor_b64 s[26:27], exec, s[40:41]
; %bb.2416:                             ;   in Loop: Header=BB29_47 Depth=1
	v_bfe_u32 v1, v0, 16, 1
	v_add3_u32 v48, v0, v1, s46
                                        ; implicit-def: $vgpr0
; %bb.2417:                             ;   in Loop: Header=BB29_47 Depth=1
	s_andn2_saveexec_b64 s[40:41], s[26:27]
; %bb.2418:                             ;   in Loop: Header=BB29_47 Depth=1
	v_or_b32_e32 v1, 0x10000, v0
	v_cmp_eq_u32_sdwa s[26:27], v0, v3 src0_sel:WORD_0 src1_sel:DWORD
	s_nop 1
	v_cndmask_b32_e64 v48, v1, v0, s[26:27]
; %bb.2419:                             ;   in Loop: Header=BB29_47 Depth=1
	s_or_b64 exec, exec, s[40:41]
	v_and_b32_e32 v0, 0xffff0000, v80
	v_and_b32_e32 v1, 0xffff0000, v32
	v_max_f32_e32 v1, v1, v1
	v_max_f32_e32 v0, v0, v0
	v_min_f32_e32 v6, v0, v1
	v_max_f32_e32 v0, v0, v1
	v_cndmask_b32_e32 v0, v0, v6, vcc
	v_and_b32_e32 v1, 0x7f800000, v0
	v_cmp_ne_u32_e64 s[26:27], s97, v1
                                        ; implicit-def: $vgpr32
	s_and_saveexec_b64 s[40:41], s[26:27]
	s_xor_b64 s[26:27], exec, s[40:41]
; %bb.2420:                             ;   in Loop: Header=BB29_47 Depth=1
	v_bfe_u32 v1, v0, 16, 1
	v_add3_u32 v32, v0, v1, s46
                                        ; implicit-def: $vgpr0
; %bb.2421:                             ;   in Loop: Header=BB29_47 Depth=1
	s_andn2_saveexec_b64 s[40:41], s[26:27]
; %bb.2422:                             ;   in Loop: Header=BB29_47 Depth=1
	v_or_b32_e32 v1, 0x10000, v0
	v_cmp_eq_u32_sdwa s[26:27], v0, v3 src0_sel:WORD_0 src1_sel:DWORD
	s_nop 1
	v_cndmask_b32_e64 v32, v1, v0, s[26:27]
; %bb.2423:                             ;   in Loop: Header=BB29_47 Depth=1
	s_or_b64 exec, exec, s[40:41]
	v_lshlrev_b32_e32 v0, 16, v81
	v_lshlrev_b32_e32 v1, 16, v33
	v_max_f32_e32 v1, v1, v1
	v_max_f32_e32 v0, v0, v0
	v_min_f32_e32 v6, v0, v1
	v_max_f32_e32 v0, v0, v1
	v_cndmask_b32_e32 v0, v0, v6, vcc
	v_and_b32_e32 v1, 0x7f800000, v0
	v_cmp_ne_u32_e64 s[26:27], s97, v1
                                        ; implicit-def: $vgpr49
	s_and_saveexec_b64 s[40:41], s[26:27]
	s_xor_b64 s[26:27], exec, s[40:41]
; %bb.2424:                             ;   in Loop: Header=BB29_47 Depth=1
	v_bfe_u32 v1, v0, 16, 1
	v_add3_u32 v49, v0, v1, s46
                                        ; implicit-def: $vgpr0
; %bb.2425:                             ;   in Loop: Header=BB29_47 Depth=1
	s_andn2_saveexec_b64 s[40:41], s[26:27]
; %bb.2426:                             ;   in Loop: Header=BB29_47 Depth=1
	v_or_b32_e32 v1, 0x10000, v0
	v_cmp_eq_u32_sdwa s[26:27], v0, v3 src0_sel:WORD_0 src1_sel:DWORD
	s_nop 1
	v_cndmask_b32_e64 v49, v1, v0, s[26:27]
; %bb.2427:                             ;   in Loop: Header=BB29_47 Depth=1
	s_or_b64 exec, exec, s[40:41]
	v_and_b32_e32 v0, 0xffff0000, v81
	v_and_b32_e32 v1, 0xffff0000, v33
	v_max_f32_e32 v1, v1, v1
	v_max_f32_e32 v0, v0, v0
	v_min_f32_e32 v6, v0, v1
	v_max_f32_e32 v0, v0, v1
	v_cndmask_b32_e32 v0, v0, v6, vcc
	v_and_b32_e32 v1, 0x7f800000, v0
	v_cmp_ne_u32_e64 s[26:27], s97, v1
                                        ; implicit-def: $vgpr33
	s_and_saveexec_b64 s[40:41], s[26:27]
	s_xor_b64 s[26:27], exec, s[40:41]
; %bb.2428:                             ;   in Loop: Header=BB29_47 Depth=1
	v_bfe_u32 v1, v0, 16, 1
	v_add3_u32 v33, v0, v1, s46
                                        ; implicit-def: $vgpr0
; %bb.2429:                             ;   in Loop: Header=BB29_47 Depth=1
	s_andn2_saveexec_b64 s[40:41], s[26:27]
; %bb.2430:                             ;   in Loop: Header=BB29_47 Depth=1
	v_or_b32_e32 v1, 0x10000, v0
	v_cmp_eq_u32_sdwa s[26:27], v0, v3 src0_sel:WORD_0 src1_sel:DWORD
	s_nop 1
	v_cndmask_b32_e64 v33, v1, v0, s[26:27]
; %bb.2431:                             ;   in Loop: Header=BB29_47 Depth=1
	s_or_b64 exec, exec, s[40:41]
	v_lshlrev_b32_e32 v0, 16, v82
	v_lshlrev_b32_e32 v1, 16, v34
	v_max_f32_e32 v1, v1, v1
	v_max_f32_e32 v0, v0, v0
	v_min_f32_e32 v6, v0, v1
	v_max_f32_e32 v0, v0, v1
	v_cndmask_b32_e32 v0, v0, v6, vcc
	v_and_b32_e32 v1, 0x7f800000, v0
	v_cmp_ne_u32_e64 s[26:27], s97, v1
                                        ; implicit-def: $vgpr50
	s_and_saveexec_b64 s[40:41], s[26:27]
	s_xor_b64 s[26:27], exec, s[40:41]
; %bb.2432:                             ;   in Loop: Header=BB29_47 Depth=1
	v_bfe_u32 v1, v0, 16, 1
	v_add3_u32 v50, v0, v1, s46
                                        ; implicit-def: $vgpr0
; %bb.2433:                             ;   in Loop: Header=BB29_47 Depth=1
	s_andn2_saveexec_b64 s[40:41], s[26:27]
; %bb.2434:                             ;   in Loop: Header=BB29_47 Depth=1
	v_or_b32_e32 v1, 0x10000, v0
	v_cmp_eq_u32_sdwa s[26:27], v0, v3 src0_sel:WORD_0 src1_sel:DWORD
	s_nop 1
	v_cndmask_b32_e64 v50, v1, v0, s[26:27]
; %bb.2435:                             ;   in Loop: Header=BB29_47 Depth=1
	s_or_b64 exec, exec, s[40:41]
	v_and_b32_e32 v0, 0xffff0000, v82
	v_and_b32_e32 v1, 0xffff0000, v34
	v_max_f32_e32 v1, v1, v1
	v_max_f32_e32 v0, v0, v0
	v_min_f32_e32 v6, v0, v1
	v_max_f32_e32 v0, v0, v1
	v_cndmask_b32_e32 v0, v0, v6, vcc
	v_and_b32_e32 v1, 0x7f800000, v0
	v_cmp_ne_u32_e64 s[26:27], s97, v1
                                        ; implicit-def: $vgpr34
	s_and_saveexec_b64 s[40:41], s[26:27]
	s_xor_b64 s[26:27], exec, s[40:41]
; %bb.2436:                             ;   in Loop: Header=BB29_47 Depth=1
	v_bfe_u32 v1, v0, 16, 1
	v_add3_u32 v34, v0, v1, s46
                                        ; implicit-def: $vgpr0
; %bb.2437:                             ;   in Loop: Header=BB29_47 Depth=1
	s_andn2_saveexec_b64 s[40:41], s[26:27]
; %bb.2438:                             ;   in Loop: Header=BB29_47 Depth=1
	v_or_b32_e32 v1, 0x10000, v0
	v_cmp_eq_u32_sdwa s[26:27], v0, v3 src0_sel:WORD_0 src1_sel:DWORD
	s_nop 1
	v_cndmask_b32_e64 v34, v1, v0, s[26:27]
; %bb.2439:                             ;   in Loop: Header=BB29_47 Depth=1
	s_or_b64 exec, exec, s[40:41]
	v_lshlrev_b32_e32 v0, 16, v83
	v_lshlrev_b32_e32 v1, 16, v35
	v_max_f32_e32 v1, v1, v1
	v_max_f32_e32 v0, v0, v0
	v_min_f32_e32 v6, v0, v1
	v_max_f32_e32 v0, v0, v1
	v_cndmask_b32_e32 v0, v0, v6, vcc
	v_and_b32_e32 v1, 0x7f800000, v0
	v_cmp_ne_u32_e64 s[26:27], s97, v1
                                        ; implicit-def: $vgpr51
	s_and_saveexec_b64 s[40:41], s[26:27]
	s_xor_b64 s[26:27], exec, s[40:41]
; %bb.2440:                             ;   in Loop: Header=BB29_47 Depth=1
	v_bfe_u32 v1, v0, 16, 1
	v_add3_u32 v51, v0, v1, s46
                                        ; implicit-def: $vgpr0
; %bb.2441:                             ;   in Loop: Header=BB29_47 Depth=1
	s_andn2_saveexec_b64 s[40:41], s[26:27]
; %bb.2442:                             ;   in Loop: Header=BB29_47 Depth=1
	v_or_b32_e32 v1, 0x10000, v0
	v_cmp_eq_u32_sdwa s[26:27], v0, v3 src0_sel:WORD_0 src1_sel:DWORD
	s_nop 1
	v_cndmask_b32_e64 v51, v1, v0, s[26:27]
; %bb.2443:                             ;   in Loop: Header=BB29_47 Depth=1
	s_or_b64 exec, exec, s[40:41]
	v_and_b32_e32 v0, 0xffff0000, v83
	v_and_b32_e32 v1, 0xffff0000, v35
	v_max_f32_e32 v1, v1, v1
	v_max_f32_e32 v0, v0, v0
	v_min_f32_e32 v6, v0, v1
	v_max_f32_e32 v0, v0, v1
	v_cndmask_b32_e32 v0, v0, v6, vcc
	v_and_b32_e32 v1, 0x7f800000, v0
	v_cmp_ne_u32_e64 s[26:27], s97, v1
                                        ; implicit-def: $vgpr35
	s_and_saveexec_b64 s[40:41], s[26:27]
	s_xor_b64 s[26:27], exec, s[40:41]
; %bb.2444:                             ;   in Loop: Header=BB29_47 Depth=1
	v_bfe_u32 v1, v0, 16, 1
	v_add3_u32 v35, v0, v1, s46
                                        ; implicit-def: $vgpr0
; %bb.2445:                             ;   in Loop: Header=BB29_47 Depth=1
	s_andn2_saveexec_b64 s[40:41], s[26:27]
; %bb.2446:                             ;   in Loop: Header=BB29_47 Depth=1
	v_or_b32_e32 v1, 0x10000, v0
	v_cmp_eq_u32_sdwa s[26:27], v0, v3 src0_sel:WORD_0 src1_sel:DWORD
	s_nop 1
	v_cndmask_b32_e64 v35, v1, v0, s[26:27]
; %bb.2447:                             ;   in Loop: Header=BB29_47 Depth=1
	s_or_b64 exec, exec, s[40:41]
	v_lshlrev_b32_e32 v0, 16, v36
	v_lshlrev_b32_e32 v1, 16, v20
	v_max_f32_e32 v1, v1, v1
	v_max_f32_e32 v0, v0, v0
	v_min_f32_e32 v6, v0, v1
	v_max_f32_e32 v0, v0, v1
	v_cndmask_b32_e32 v0, v0, v6, vcc
	v_and_b32_e32 v1, 0x7f800000, v0
	v_cmp_ne_u32_e64 s[26:27], s97, v1
                                        ; implicit-def: $vgpr52
	s_and_saveexec_b64 s[40:41], s[26:27]
	s_xor_b64 s[26:27], exec, s[40:41]
; %bb.2448:                             ;   in Loop: Header=BB29_47 Depth=1
	v_bfe_u32 v1, v0, 16, 1
	v_add3_u32 v52, v0, v1, s46
                                        ; implicit-def: $vgpr0
; %bb.2449:                             ;   in Loop: Header=BB29_47 Depth=1
	s_andn2_saveexec_b64 s[40:41], s[26:27]
; %bb.2450:                             ;   in Loop: Header=BB29_47 Depth=1
	v_or_b32_e32 v1, 0x10000, v0
	v_cmp_eq_u32_sdwa s[26:27], v0, v3 src0_sel:WORD_0 src1_sel:DWORD
	s_nop 1
	v_cndmask_b32_e64 v52, v1, v0, s[26:27]
; %bb.2451:                             ;   in Loop: Header=BB29_47 Depth=1
	s_or_b64 exec, exec, s[40:41]
	v_and_b32_e32 v0, 0xffff0000, v36
	v_and_b32_e32 v1, 0xffff0000, v20
	v_max_f32_e32 v1, v1, v1
	v_max_f32_e32 v0, v0, v0
	v_min_f32_e32 v6, v0, v1
	v_max_f32_e32 v0, v0, v1
	v_cndmask_b32_e32 v0, v0, v6, vcc
	v_and_b32_e32 v1, 0x7f800000, v0
	v_cmp_ne_u32_e64 s[26:27], s97, v1
                                        ; implicit-def: $vgpr20
	s_and_saveexec_b64 s[40:41], s[26:27]
	s_xor_b64 s[26:27], exec, s[40:41]
; %bb.2452:                             ;   in Loop: Header=BB29_47 Depth=1
	v_bfe_u32 v1, v0, 16, 1
	v_add3_u32 v20, v0, v1, s46
                                        ; implicit-def: $vgpr0
; %bb.2453:                             ;   in Loop: Header=BB29_47 Depth=1
	s_andn2_saveexec_b64 s[40:41], s[26:27]
; %bb.2454:                             ;   in Loop: Header=BB29_47 Depth=1
	v_or_b32_e32 v1, 0x10000, v0
	v_cmp_eq_u32_sdwa s[26:27], v0, v3 src0_sel:WORD_0 src1_sel:DWORD
	s_nop 1
	v_cndmask_b32_e64 v20, v1, v0, s[26:27]
; %bb.2455:                             ;   in Loop: Header=BB29_47 Depth=1
	s_or_b64 exec, exec, s[40:41]
	v_lshlrev_b32_e32 v0, 16, v37
	v_lshlrev_b32_e32 v1, 16, v21
	v_max_f32_e32 v1, v1, v1
	v_max_f32_e32 v0, v0, v0
	v_min_f32_e32 v6, v0, v1
	v_max_f32_e32 v0, v0, v1
	v_cndmask_b32_e32 v0, v0, v6, vcc
	v_and_b32_e32 v1, 0x7f800000, v0
	v_cmp_ne_u32_e64 s[26:27], s97, v1
                                        ; implicit-def: $vgpr30
	s_and_saveexec_b64 s[40:41], s[26:27]
	s_xor_b64 s[26:27], exec, s[40:41]
; %bb.2456:                             ;   in Loop: Header=BB29_47 Depth=1
	v_bfe_u32 v1, v0, 16, 1
	v_add3_u32 v30, v0, v1, s46
                                        ; implicit-def: $vgpr0
; %bb.2457:                             ;   in Loop: Header=BB29_47 Depth=1
	s_andn2_saveexec_b64 s[40:41], s[26:27]
; %bb.2458:                             ;   in Loop: Header=BB29_47 Depth=1
	v_or_b32_e32 v1, 0x10000, v0
	v_cmp_eq_u32_sdwa s[26:27], v0, v3 src0_sel:WORD_0 src1_sel:DWORD
	s_nop 1
	v_cndmask_b32_e64 v30, v1, v0, s[26:27]
; %bb.2459:                             ;   in Loop: Header=BB29_47 Depth=1
	s_or_b64 exec, exec, s[40:41]
	v_and_b32_e32 v0, 0xffff0000, v37
	v_and_b32_e32 v1, 0xffff0000, v21
	v_max_f32_e32 v1, v1, v1
	v_max_f32_e32 v0, v0, v0
	v_min_f32_e32 v6, v0, v1
	v_max_f32_e32 v0, v0, v1
	v_cndmask_b32_e32 v0, v0, v6, vcc
	v_and_b32_e32 v1, 0x7f800000, v0
	v_cmp_ne_u32_e64 s[26:27], s97, v1
                                        ; implicit-def: $vgpr21
	s_and_saveexec_b64 s[40:41], s[26:27]
	s_xor_b64 s[26:27], exec, s[40:41]
; %bb.2460:                             ;   in Loop: Header=BB29_47 Depth=1
	v_bfe_u32 v1, v0, 16, 1
	v_add3_u32 v21, v0, v1, s46
                                        ; implicit-def: $vgpr0
; %bb.2461:                             ;   in Loop: Header=BB29_47 Depth=1
	s_andn2_saveexec_b64 s[40:41], s[26:27]
; %bb.2462:                             ;   in Loop: Header=BB29_47 Depth=1
	v_or_b32_e32 v1, 0x10000, v0
	v_cmp_eq_u32_sdwa s[26:27], v0, v3 src0_sel:WORD_0 src1_sel:DWORD
	s_nop 1
	v_cndmask_b32_e64 v21, v1, v0, s[26:27]
; %bb.2463:                             ;   in Loop: Header=BB29_47 Depth=1
	s_or_b64 exec, exec, s[40:41]
	v_lshlrev_b32_e32 v0, 16, v38
	v_lshlrev_b32_e32 v1, 16, v22
	v_max_f32_e32 v1, v1, v1
	v_max_f32_e32 v0, v0, v0
	v_min_f32_e32 v6, v0, v1
	v_max_f32_e32 v0, v0, v1
	v_cndmask_b32_e32 v0, v0, v6, vcc
	v_and_b32_e32 v1, 0x7f800000, v0
	v_cmp_ne_u32_e64 s[26:27], s97, v1
                                        ; implicit-def: $vgpr6
	s_and_saveexec_b64 s[40:41], s[26:27]
	s_xor_b64 s[26:27], exec, s[40:41]
; %bb.2464:                             ;   in Loop: Header=BB29_47 Depth=1
	v_bfe_u32 v1, v0, 16, 1
	v_add3_u32 v6, v0, v1, s46
                                        ; implicit-def: $vgpr0
; %bb.2465:                             ;   in Loop: Header=BB29_47 Depth=1
	s_andn2_saveexec_b64 s[40:41], s[26:27]
; %bb.2466:                             ;   in Loop: Header=BB29_47 Depth=1
	v_or_b32_e32 v1, 0x10000, v0
	v_cmp_eq_u32_sdwa s[26:27], v0, v3 src0_sel:WORD_0 src1_sel:DWORD
	s_nop 1
	v_cndmask_b32_e64 v6, v1, v0, s[26:27]
; %bb.2467:                             ;   in Loop: Header=BB29_47 Depth=1
	s_or_b64 exec, exec, s[40:41]
	v_and_b32_e32 v0, 0xffff0000, v38
	v_and_b32_e32 v1, 0xffff0000, v22
	v_max_f32_e32 v1, v1, v1
	v_max_f32_e32 v0, v0, v0
	v_min_f32_e32 v7, v0, v1
	v_max_f32_e32 v0, v0, v1
	v_cndmask_b32_e32 v0, v0, v7, vcc
	v_and_b32_e32 v1, 0x7f800000, v0
	v_cmp_ne_u32_e64 s[26:27], s97, v1
                                        ; implicit-def: $vgpr7
	s_and_saveexec_b64 s[40:41], s[26:27]
	s_xor_b64 s[26:27], exec, s[40:41]
; %bb.2468:                             ;   in Loop: Header=BB29_47 Depth=1
	v_bfe_u32 v1, v0, 16, 1
	v_add3_u32 v7, v0, v1, s46
                                        ; implicit-def: $vgpr0
; %bb.2469:                             ;   in Loop: Header=BB29_47 Depth=1
	s_andn2_saveexec_b64 s[40:41], s[26:27]
; %bb.2470:                             ;   in Loop: Header=BB29_47 Depth=1
	v_or_b32_e32 v1, 0x10000, v0
	v_cmp_eq_u32_sdwa s[26:27], v0, v3 src0_sel:WORD_0 src1_sel:DWORD
	s_nop 1
	v_cndmask_b32_e64 v7, v1, v0, s[26:27]
; %bb.2471:                             ;   in Loop: Header=BB29_47 Depth=1
	s_or_b64 exec, exec, s[40:41]
	v_lshlrev_b32_e32 v0, 16, v39
	v_lshlrev_b32_e32 v1, 16, v23
	v_max_f32_e32 v1, v1, v1
	v_max_f32_e32 v0, v0, v0
	v_min_f32_e32 v22, v0, v1
	v_max_f32_e32 v0, v0, v1
	v_cndmask_b32_e32 v0, v0, v22, vcc
	v_and_b32_e32 v1, 0x7f800000, v0
	v_cmp_ne_u32_e64 s[26:27], s97, v1
                                        ; implicit-def: $vgpr22
	s_and_saveexec_b64 s[40:41], s[26:27]
	s_xor_b64 s[26:27], exec, s[40:41]
; %bb.2472:                             ;   in Loop: Header=BB29_47 Depth=1
	v_bfe_u32 v1, v0, 16, 1
	v_add3_u32 v22, v0, v1, s46
                                        ; implicit-def: $vgpr0
; %bb.2473:                             ;   in Loop: Header=BB29_47 Depth=1
	s_andn2_saveexec_b64 s[40:41], s[26:27]
; %bb.2474:                             ;   in Loop: Header=BB29_47 Depth=1
	v_or_b32_e32 v1, 0x10000, v0
	v_cmp_eq_u32_sdwa s[26:27], v0, v3 src0_sel:WORD_0 src1_sel:DWORD
	s_nop 1
	v_cndmask_b32_e64 v22, v1, v0, s[26:27]
; %bb.2475:                             ;   in Loop: Header=BB29_47 Depth=1
	s_or_b64 exec, exec, s[40:41]
	v_and_b32_e32 v0, 0xffff0000, v39
	v_and_b32_e32 v1, 0xffff0000, v23
	v_max_f32_e32 v1, v1, v1
	v_max_f32_e32 v0, v0, v0
	v_min_f32_e32 v23, v0, v1
	v_max_f32_e32 v0, v0, v1
	v_cndmask_b32_e32 v0, v0, v23, vcc
	v_and_b32_e32 v1, 0x7f800000, v0
	v_cmp_ne_u32_e64 s[26:27], s97, v1
                                        ; implicit-def: $vgpr23
	s_and_saveexec_b64 s[40:41], s[26:27]
	s_xor_b64 s[26:27], exec, s[40:41]
; %bb.2476:                             ;   in Loop: Header=BB29_47 Depth=1
	v_bfe_u32 v1, v0, 16, 1
	v_add3_u32 v23, v0, v1, s46
                                        ; implicit-def: $vgpr0
; %bb.2477:                             ;   in Loop: Header=BB29_47 Depth=1
	s_andn2_saveexec_b64 s[40:41], s[26:27]
; %bb.2478:                             ;   in Loop: Header=BB29_47 Depth=1
	v_or_b32_e32 v1, 0x10000, v0
	v_cmp_eq_u32_sdwa s[26:27], v0, v3 src0_sel:WORD_0 src1_sel:DWORD
	s_nop 1
	v_cndmask_b32_e64 v23, v1, v0, s[26:27]
; %bb.2479:                             ;   in Loop: Header=BB29_47 Depth=1
	s_or_b64 exec, exec, s[40:41]
	v_lshlrev_b32_e32 v0, 16, v24
	v_lshlrev_b32_e32 v1, 16, v16
	v_max_f32_e32 v1, v1, v1
	v_max_f32_e32 v0, v0, v0
	v_min_f32_e32 v36, v0, v1
	v_max_f32_e32 v0, v0, v1
	v_cndmask_b32_e32 v0, v0, v36, vcc
	v_and_b32_e32 v1, 0x7f800000, v0
	v_cmp_ne_u32_e64 s[26:27], s97, v1
                                        ; implicit-def: $vgpr36
	s_and_saveexec_b64 s[40:41], s[26:27]
	s_xor_b64 s[26:27], exec, s[40:41]
; %bb.2480:                             ;   in Loop: Header=BB29_47 Depth=1
	v_bfe_u32 v1, v0, 16, 1
	v_add3_u32 v36, v0, v1, s46
                                        ; implicit-def: $vgpr0
; %bb.2481:                             ;   in Loop: Header=BB29_47 Depth=1
	s_andn2_saveexec_b64 s[40:41], s[26:27]
; %bb.2482:                             ;   in Loop: Header=BB29_47 Depth=1
	v_or_b32_e32 v1, 0x10000, v0
	v_cmp_eq_u32_sdwa s[26:27], v0, v3 src0_sel:WORD_0 src1_sel:DWORD
	s_nop 1
	v_cndmask_b32_e64 v36, v1, v0, s[26:27]
; %bb.2483:                             ;   in Loop: Header=BB29_47 Depth=1
	s_or_b64 exec, exec, s[40:41]
	v_and_b32_e32 v0, 0xffff0000, v24
	v_and_b32_e32 v1, 0xffff0000, v16
	v_max_f32_e32 v1, v1, v1
	v_max_f32_e32 v0, v0, v0
	v_min_f32_e32 v16, v0, v1
	v_max_f32_e32 v0, v0, v1
	v_cndmask_b32_e32 v0, v0, v16, vcc
	v_and_b32_e32 v1, 0x7f800000, v0
	v_cmp_ne_u32_e64 s[26:27], s97, v1
                                        ; implicit-def: $vgpr16
	s_and_saveexec_b64 s[40:41], s[26:27]
	s_xor_b64 s[26:27], exec, s[40:41]
; %bb.2484:                             ;   in Loop: Header=BB29_47 Depth=1
	v_bfe_u32 v1, v0, 16, 1
	v_add3_u32 v16, v0, v1, s46
                                        ; implicit-def: $vgpr0
; %bb.2485:                             ;   in Loop: Header=BB29_47 Depth=1
	s_andn2_saveexec_b64 s[40:41], s[26:27]
; %bb.2486:                             ;   in Loop: Header=BB29_47 Depth=1
	v_or_b32_e32 v1, 0x10000, v0
	v_cmp_eq_u32_sdwa s[26:27], v0, v3 src0_sel:WORD_0 src1_sel:DWORD
	s_nop 1
	v_cndmask_b32_e64 v16, v1, v0, s[26:27]
; %bb.2487:                             ;   in Loop: Header=BB29_47 Depth=1
	s_or_b64 exec, exec, s[40:41]
	v_lshlrev_b32_e32 v0, 16, v25
	v_lshlrev_b32_e32 v1, 16, v17
	v_max_f32_e32 v1, v1, v1
	v_max_f32_e32 v0, v0, v0
	v_min_f32_e32 v24, v0, v1
	v_max_f32_e32 v0, v0, v1
	v_cndmask_b32_e32 v0, v0, v24, vcc
	v_and_b32_e32 v1, 0x7f800000, v0
	v_cmp_ne_u32_e64 s[26:27], s97, v1
                                        ; implicit-def: $vgpr24
	s_and_saveexec_b64 s[40:41], s[26:27]
	s_xor_b64 s[26:27], exec, s[40:41]
; %bb.2488:                             ;   in Loop: Header=BB29_47 Depth=1
	v_bfe_u32 v1, v0, 16, 1
	v_add3_u32 v24, v0, v1, s46
                                        ; implicit-def: $vgpr0
; %bb.2489:                             ;   in Loop: Header=BB29_47 Depth=1
	s_andn2_saveexec_b64 s[40:41], s[26:27]
; %bb.2490:                             ;   in Loop: Header=BB29_47 Depth=1
	v_or_b32_e32 v1, 0x10000, v0
	v_cmp_eq_u32_sdwa s[26:27], v0, v3 src0_sel:WORD_0 src1_sel:DWORD
	s_nop 1
	v_cndmask_b32_e64 v24, v1, v0, s[26:27]
; %bb.2491:                             ;   in Loop: Header=BB29_47 Depth=1
	s_or_b64 exec, exec, s[40:41]
	v_and_b32_e32 v0, 0xffff0000, v25
	v_and_b32_e32 v1, 0xffff0000, v17
	v_max_f32_e32 v1, v1, v1
	v_max_f32_e32 v0, v0, v0
	v_min_f32_e32 v17, v0, v1
	v_max_f32_e32 v0, v0, v1
	v_cndmask_b32_e32 v0, v0, v17, vcc
	v_and_b32_e32 v1, 0x7f800000, v0
	v_cmp_ne_u32_e64 s[26:27], s97, v1
                                        ; implicit-def: $vgpr17
	s_and_saveexec_b64 s[40:41], s[26:27]
	s_xor_b64 s[26:27], exec, s[40:41]
; %bb.2492:                             ;   in Loop: Header=BB29_47 Depth=1
	v_bfe_u32 v1, v0, 16, 1
	v_add3_u32 v17, v0, v1, s46
                                        ; implicit-def: $vgpr0
; %bb.2493:                             ;   in Loop: Header=BB29_47 Depth=1
	s_andn2_saveexec_b64 s[40:41], s[26:27]
; %bb.2494:                             ;   in Loop: Header=BB29_47 Depth=1
	v_or_b32_e32 v1, 0x10000, v0
	v_cmp_eq_u32_sdwa s[26:27], v0, v3 src0_sel:WORD_0 src1_sel:DWORD
	s_nop 1
	v_cndmask_b32_e64 v17, v1, v0, s[26:27]
; %bb.2495:                             ;   in Loop: Header=BB29_47 Depth=1
	s_or_b64 exec, exec, s[40:41]
	v_lshlrev_b32_e32 v0, 16, v26
	v_lshlrev_b32_e32 v1, 16, v18
	v_max_f32_e32 v1, v1, v1
	v_max_f32_e32 v0, v0, v0
	v_min_f32_e32 v25, v0, v1
	v_max_f32_e32 v0, v0, v1
	v_cndmask_b32_e32 v1, v0, v25, vcc
	v_and_b32_e32 v0, 0x7f800000, v1
	v_cmp_ne_u32_e64 s[26:27], s97, v0
                                        ; implicit-def: $vgpr0
	s_and_saveexec_b64 s[40:41], s[26:27]
	s_xor_b64 s[26:27], exec, s[40:41]
; %bb.2496:                             ;   in Loop: Header=BB29_47 Depth=1
	v_bfe_u32 v0, v1, 16, 1
	v_add3_u32 v0, v1, v0, s46
                                        ; implicit-def: $vgpr1
; %bb.2497:                             ;   in Loop: Header=BB29_47 Depth=1
	s_andn2_saveexec_b64 s[40:41], s[26:27]
; %bb.2498:                             ;   in Loop: Header=BB29_47 Depth=1
	v_or_b32_e32 v0, 0x10000, v1
	v_cmp_eq_u32_sdwa s[26:27], v1, v3 src0_sel:WORD_0 src1_sel:DWORD
	s_nop 1
	v_cndmask_b32_e64 v0, v0, v1, s[26:27]
; %bb.2499:                             ;   in Loop: Header=BB29_47 Depth=1
	s_or_b64 exec, exec, s[40:41]
	v_and_b32_e32 v1, 0xffff0000, v26
	v_and_b32_e32 v18, 0xffff0000, v18
	v_max_f32_e32 v18, v18, v18
	v_max_f32_e32 v1, v1, v1
	v_min_f32_e32 v25, v1, v18
	v_max_f32_e32 v1, v1, v18
	v_cndmask_b32_e32 v1, v1, v25, vcc
	v_and_b32_e32 v18, 0x7f800000, v1
	v_cmp_ne_u32_e64 s[26:27], s97, v18
                                        ; implicit-def: $vgpr18
	s_and_saveexec_b64 s[40:41], s[26:27]
	s_xor_b64 s[26:27], exec, s[40:41]
; %bb.2500:                             ;   in Loop: Header=BB29_47 Depth=1
	v_bfe_u32 v18, v1, 16, 1
	v_add3_u32 v18, v1, v18, s46
                                        ; implicit-def: $vgpr1
; %bb.2501:                             ;   in Loop: Header=BB29_47 Depth=1
	s_andn2_saveexec_b64 s[40:41], s[26:27]
; %bb.2502:                             ;   in Loop: Header=BB29_47 Depth=1
	v_or_b32_e32 v18, 0x10000, v1
	v_cmp_eq_u32_sdwa s[26:27], v1, v3 src0_sel:WORD_0 src1_sel:DWORD
	s_nop 1
	v_cndmask_b32_e64 v18, v18, v1, s[26:27]
; %bb.2503:                             ;   in Loop: Header=BB29_47 Depth=1
	s_or_b64 exec, exec, s[40:41]
	v_lshlrev_b32_e32 v1, 16, v27
	v_lshlrev_b32_e32 v25, 16, v19
	v_max_f32_e32 v25, v25, v25
	v_max_f32_e32 v1, v1, v1
	v_min_f32_e32 v26, v1, v25
	v_max_f32_e32 v1, v1, v25
	v_cndmask_b32_e32 v1, v1, v26, vcc
	v_and_b32_e32 v25, 0x7f800000, v1
	v_cmp_ne_u32_e64 s[26:27], s97, v25
                                        ; implicit-def: $vgpr25
	s_and_saveexec_b64 s[40:41], s[26:27]
	s_xor_b64 s[26:27], exec, s[40:41]
; %bb.2504:                             ;   in Loop: Header=BB29_47 Depth=1
	v_bfe_u32 v25, v1, 16, 1
	v_add3_u32 v25, v1, v25, s46
                                        ; implicit-def: $vgpr1
; %bb.2505:                             ;   in Loop: Header=BB29_47 Depth=1
	s_andn2_saveexec_b64 s[40:41], s[26:27]
; %bb.2506:                             ;   in Loop: Header=BB29_47 Depth=1
	v_or_b32_e32 v25, 0x10000, v1
	v_cmp_eq_u32_sdwa s[26:27], v1, v3 src0_sel:WORD_0 src1_sel:DWORD
	s_nop 1
	v_cndmask_b32_e64 v25, v25, v1, s[26:27]
; %bb.2507:                             ;   in Loop: Header=BB29_47 Depth=1
	s_or_b64 exec, exec, s[40:41]
	v_and_b32_e32 v1, 0xffff0000, v27
	v_and_b32_e32 v19, 0xffff0000, v19
	v_max_f32_e32 v19, v19, v19
	v_max_f32_e32 v1, v1, v1
	v_min_f32_e32 v26, v1, v19
	v_max_f32_e32 v1, v1, v19
	v_cndmask_b32_e32 v1, v1, v26, vcc
	v_and_b32_e32 v19, 0x7f800000, v1
	v_cmp_ne_u32_e64 s[26:27], s97, v19
                                        ; implicit-def: $vgpr19
	s_and_saveexec_b64 s[40:41], s[26:27]
	s_xor_b64 s[26:27], exec, s[40:41]
; %bb.2508:                             ;   in Loop: Header=BB29_47 Depth=1
	v_bfe_u32 v19, v1, 16, 1
	v_add3_u32 v19, v1, v19, s46
                                        ; implicit-def: $vgpr1
; %bb.2509:                             ;   in Loop: Header=BB29_47 Depth=1
	s_andn2_saveexec_b64 s[40:41], s[26:27]
; %bb.2510:                             ;   in Loop: Header=BB29_47 Depth=1
	v_or_b32_e32 v19, 0x10000, v1
	v_cmp_eq_u32_sdwa s[26:27], v1, v3 src0_sel:WORD_0 src1_sel:DWORD
	s_nop 1
	v_cndmask_b32_e64 v19, v19, v1, s[26:27]
; %bb.2511:                             ;   in Loop: Header=BB29_47 Depth=1
	s_or_b64 exec, exec, s[40:41]
	v_lshlrev_b32_e32 v1, 16, v12
	v_lshlrev_b32_e32 v26, 16, v8
	v_max_f32_e32 v26, v26, v26
	v_max_f32_e32 v1, v1, v1
	v_min_f32_e32 v27, v1, v26
	v_max_f32_e32 v1, v1, v26
	v_cndmask_b32_e32 v1, v1, v27, vcc
	v_and_b32_e32 v26, 0x7f800000, v1
	v_cmp_ne_u32_e64 s[26:27], s97, v26
                                        ; implicit-def: $vgpr26
	s_and_saveexec_b64 s[40:41], s[26:27]
	s_xor_b64 s[26:27], exec, s[40:41]
; %bb.2512:                             ;   in Loop: Header=BB29_47 Depth=1
	v_bfe_u32 v26, v1, 16, 1
	v_add3_u32 v26, v1, v26, s46
                                        ; implicit-def: $vgpr1
; %bb.2513:                             ;   in Loop: Header=BB29_47 Depth=1
	s_andn2_saveexec_b64 s[40:41], s[26:27]
; %bb.2514:                             ;   in Loop: Header=BB29_47 Depth=1
	v_or_b32_e32 v26, 0x10000, v1
	v_cmp_eq_u32_sdwa s[26:27], v1, v3 src0_sel:WORD_0 src1_sel:DWORD
	s_nop 1
	v_cndmask_b32_e64 v26, v26, v1, s[26:27]
; %bb.2515:                             ;   in Loop: Header=BB29_47 Depth=1
	s_or_b64 exec, exec, s[40:41]
	v_and_b32_e32 v1, 0xffff0000, v12
	v_and_b32_e32 v8, 0xffff0000, v8
	v_max_f32_e32 v8, v8, v8
	v_max_f32_e32 v1, v1, v1
	v_min_f32_e32 v12, v1, v8
	v_max_f32_e32 v1, v1, v8
	v_cndmask_b32_e32 v1, v1, v12, vcc
	v_and_b32_e32 v8, 0x7f800000, v1
	v_cmp_ne_u32_e64 s[26:27], s97, v8
                                        ; implicit-def: $vgpr8
	s_and_saveexec_b64 s[40:41], s[26:27]
	s_xor_b64 s[26:27], exec, s[40:41]
; %bb.2516:                             ;   in Loop: Header=BB29_47 Depth=1
	v_bfe_u32 v8, v1, 16, 1
	v_add3_u32 v8, v1, v8, s46
                                        ; implicit-def: $vgpr1
; %bb.2517:                             ;   in Loop: Header=BB29_47 Depth=1
	s_andn2_saveexec_b64 s[40:41], s[26:27]
; %bb.2518:                             ;   in Loop: Header=BB29_47 Depth=1
	v_or_b32_e32 v8, 0x10000, v1
	v_cmp_eq_u32_sdwa s[26:27], v1, v3 src0_sel:WORD_0 src1_sel:DWORD
	s_nop 1
	v_cndmask_b32_e64 v8, v8, v1, s[26:27]
; %bb.2519:                             ;   in Loop: Header=BB29_47 Depth=1
	s_or_b64 exec, exec, s[40:41]
	v_lshlrev_b32_e32 v1, 16, v13
	v_lshlrev_b32_e32 v12, 16, v9
	v_max_f32_e32 v12, v12, v12
	v_max_f32_e32 v1, v1, v1
	v_min_f32_e32 v27, v1, v12
	v_max_f32_e32 v1, v1, v12
	v_cndmask_b32_e32 v1, v1, v27, vcc
	v_and_b32_e32 v12, 0x7f800000, v1
	v_cmp_ne_u32_e64 s[26:27], s97, v12
                                        ; implicit-def: $vgpr12
	s_and_saveexec_b64 s[40:41], s[26:27]
	s_xor_b64 s[26:27], exec, s[40:41]
; %bb.2520:                             ;   in Loop: Header=BB29_47 Depth=1
	v_bfe_u32 v12, v1, 16, 1
	v_add3_u32 v12, v1, v12, s46
                                        ; implicit-def: $vgpr1
; %bb.2521:                             ;   in Loop: Header=BB29_47 Depth=1
	s_andn2_saveexec_b64 s[40:41], s[26:27]
; %bb.2522:                             ;   in Loop: Header=BB29_47 Depth=1
	v_or_b32_e32 v12, 0x10000, v1
	v_cmp_eq_u32_sdwa s[26:27], v1, v3 src0_sel:WORD_0 src1_sel:DWORD
	s_nop 1
	v_cndmask_b32_e64 v12, v12, v1, s[26:27]
; %bb.2523:                             ;   in Loop: Header=BB29_47 Depth=1
	s_or_b64 exec, exec, s[40:41]
	v_and_b32_e32 v1, 0xffff0000, v13
	v_and_b32_e32 v9, 0xffff0000, v9
	v_max_f32_e32 v9, v9, v9
	v_max_f32_e32 v1, v1, v1
	v_min_f32_e32 v13, v1, v9
	v_max_f32_e32 v1, v1, v9
	v_cndmask_b32_e32 v1, v1, v13, vcc
	v_and_b32_e32 v9, 0x7f800000, v1
	v_cmp_ne_u32_e64 s[26:27], s97, v9
                                        ; implicit-def: $vgpr9
	s_and_saveexec_b64 s[40:41], s[26:27]
	s_xor_b64 s[26:27], exec, s[40:41]
; %bb.2524:                             ;   in Loop: Header=BB29_47 Depth=1
	v_bfe_u32 v9, v1, 16, 1
	v_add3_u32 v9, v1, v9, s46
                                        ; implicit-def: $vgpr1
; %bb.2525:                             ;   in Loop: Header=BB29_47 Depth=1
	s_andn2_saveexec_b64 s[40:41], s[26:27]
; %bb.2526:                             ;   in Loop: Header=BB29_47 Depth=1
	v_or_b32_e32 v9, 0x10000, v1
	v_cmp_eq_u32_sdwa s[26:27], v1, v3 src0_sel:WORD_0 src1_sel:DWORD
	s_nop 1
	v_cndmask_b32_e64 v9, v9, v1, s[26:27]
; %bb.2527:                             ;   in Loop: Header=BB29_47 Depth=1
	s_or_b64 exec, exec, s[40:41]
	v_lshlrev_b32_e32 v1, 16, v14
	v_lshlrev_b32_e32 v13, 16, v10
	v_max_f32_e32 v13, v13, v13
	v_max_f32_e32 v1, v1, v1
	v_min_f32_e32 v27, v1, v13
	v_max_f32_e32 v1, v1, v13
	v_cndmask_b32_e32 v1, v1, v27, vcc
	v_and_b32_e32 v13, 0x7f800000, v1
	v_cmp_ne_u32_e64 s[26:27], s97, v13
                                        ; implicit-def: $vgpr13
	s_and_saveexec_b64 s[40:41], s[26:27]
	s_xor_b64 s[26:27], exec, s[40:41]
; %bb.2528:                             ;   in Loop: Header=BB29_47 Depth=1
	v_bfe_u32 v13, v1, 16, 1
	v_add3_u32 v13, v1, v13, s46
                                        ; implicit-def: $vgpr1
; %bb.2529:                             ;   in Loop: Header=BB29_47 Depth=1
	s_andn2_saveexec_b64 s[40:41], s[26:27]
; %bb.2530:                             ;   in Loop: Header=BB29_47 Depth=1
	v_or_b32_e32 v13, 0x10000, v1
	v_cmp_eq_u32_sdwa s[26:27], v1, v3 src0_sel:WORD_0 src1_sel:DWORD
	s_nop 1
	v_cndmask_b32_e64 v13, v13, v1, s[26:27]
; %bb.2531:                             ;   in Loop: Header=BB29_47 Depth=1
	s_or_b64 exec, exec, s[40:41]
	v_and_b32_e32 v1, 0xffff0000, v14
	v_and_b32_e32 v10, 0xffff0000, v10
	v_max_f32_e32 v10, v10, v10
	v_max_f32_e32 v1, v1, v1
	v_min_f32_e32 v14, v1, v10
	v_max_f32_e32 v1, v1, v10
	v_cndmask_b32_e32 v1, v1, v14, vcc
	v_and_b32_e32 v10, 0x7f800000, v1
	v_cmp_ne_u32_e64 s[26:27], s97, v10
                                        ; implicit-def: $vgpr10
	s_and_saveexec_b64 s[40:41], s[26:27]
	s_xor_b64 s[26:27], exec, s[40:41]
; %bb.2532:                             ;   in Loop: Header=BB29_47 Depth=1
	v_bfe_u32 v10, v1, 16, 1
	v_add3_u32 v10, v1, v10, s46
                                        ; implicit-def: $vgpr1
; %bb.2533:                             ;   in Loop: Header=BB29_47 Depth=1
	s_andn2_saveexec_b64 s[40:41], s[26:27]
; %bb.2534:                             ;   in Loop: Header=BB29_47 Depth=1
	v_or_b32_e32 v10, 0x10000, v1
	v_cmp_eq_u32_sdwa s[26:27], v1, v3 src0_sel:WORD_0 src1_sel:DWORD
	s_nop 1
	v_cndmask_b32_e64 v10, v10, v1, s[26:27]
; %bb.2535:                             ;   in Loop: Header=BB29_47 Depth=1
	s_or_b64 exec, exec, s[40:41]
	v_lshlrev_b32_e32 v1, 16, v15
	v_lshlrev_b32_e32 v14, 16, v11
	v_max_f32_e32 v14, v14, v14
	v_max_f32_e32 v1, v1, v1
	v_min_f32_e32 v27, v1, v14
	v_max_f32_e32 v1, v1, v14
	v_cndmask_b32_e32 v14, v1, v27, vcc
	v_and_b32_e32 v1, 0x7f800000, v14
	v_cmp_ne_u32_e64 s[26:27], s97, v1
                                        ; implicit-def: $vgpr1
	s_and_saveexec_b64 s[40:41], s[26:27]
	s_xor_b64 s[26:27], exec, s[40:41]
; %bb.2536:                             ;   in Loop: Header=BB29_47 Depth=1
	v_bfe_u32 v1, v14, 16, 1
	v_add3_u32 v1, v14, v1, s46
                                        ; implicit-def: $vgpr14
; %bb.2537:                             ;   in Loop: Header=BB29_47 Depth=1
	s_andn2_saveexec_b64 s[40:41], s[26:27]
; %bb.2538:                             ;   in Loop: Header=BB29_47 Depth=1
	v_or_b32_e32 v1, 0x10000, v14
	v_cmp_eq_u32_sdwa s[26:27], v14, v3 src0_sel:WORD_0 src1_sel:DWORD
	s_nop 1
	v_cndmask_b32_e64 v1, v1, v14, s[26:27]
; %bb.2539:                             ;   in Loop: Header=BB29_47 Depth=1
	s_or_b64 exec, exec, s[40:41]
	v_and_b32_e32 v14, 0xffff0000, v15
	v_and_b32_e32 v11, 0xffff0000, v11
	v_max_f32_e32 v11, v11, v11
	v_max_f32_e32 v14, v14, v14
	v_min_f32_e32 v15, v14, v11
	v_max_f32_e32 v11, v14, v11
	v_cndmask_b32_e32 v14, v11, v15, vcc
	v_and_b32_e32 v11, 0x7f800000, v14
	v_cmp_ne_u32_e32 vcc, s97, v11
                                        ; implicit-def: $vgpr11
	s_and_saveexec_b64 s[26:27], vcc
	s_xor_b64 s[26:27], exec, s[26:27]
; %bb.2540:                             ;   in Loop: Header=BB29_47 Depth=1
	v_bfe_u32 v11, v14, 16, 1
	v_add3_u32 v11, v14, v11, s46
                                        ; implicit-def: $vgpr14
; %bb.2541:                             ;   in Loop: Header=BB29_47 Depth=1
	s_andn2_saveexec_b64 s[26:27], s[26:27]
; %bb.2542:                             ;   in Loop: Header=BB29_47 Depth=1
	v_or_b32_e32 v11, 0x10000, v14
	v_cmp_eq_u32_sdwa vcc, v14, v3 src0_sel:WORD_0 src1_sel:DWORD
	s_nop 1
	v_cndmask_b32_e32 v11, v11, v14, vcc
; %bb.2543:                             ;   in Loop: Header=BB29_47 Depth=1
	s_or_b64 exec, exec, s[26:27]
	v_lshrrev_b32_e32 v14, 16, v24
	v_and_or_b32 v15, v17, s47, v14
	v_lshrrev_b32_e32 v14, 16, v36
	v_lshrrev_b32_e32 v0, 16, v0
	v_and_or_b32 v14, v16, s47, v14
	v_and_or_b32 v16, v18, s47, v0
	v_lshrrev_b32_e32 v0, 16, v25
	v_and_or_b32 v17, v19, s47, v0
	v_lshrrev_b32_e32 v0, 16, v30
	;; [unrolled: 2-line block ×13, first 2 shown]
	v_and_or_b32 v9, v11, s47, v0
	global_store_dwordx4 v[4:5], v[22:25], off
	global_store_dwordx4 v[4:5], v[18:21], off offset:1024
	global_store_dwordx4 v[4:5], v[14:17], off offset:2048
	;; [unrolled: 1-line block ×3, first 2 shown]
.LBB29_2544:                            ;   in Loop: Header=BB29_47 Depth=1
	s_or_b64 exec, exec, s[28:29]
	v_lshlrev_b32_e32 v20, 12, v72
	v_cmp_ne_u32_e32 vcc, v29, v20
                                        ; implicit-def: $vgpr12
                                        ; implicit-def: $vgpr0
                                        ; implicit-def: $vgpr13
	s_and_saveexec_b64 s[34:35], vcc
	s_cbranch_execz .LBB29_2659
; %bb.2545:                             ;   in Loop: Header=BB29_47 Depth=1
	scratch_load_dword v4, off, s33 offset:320 ; 4-byte Folded Reload
	v_lshlrev_b32_e32 v1, 6, v73
	v_sub_u32_e32 v0, v29, v20
	s_mov_b64 s[28:29], 0
	s_waitcnt vmcnt(0)
	v_and_b32_e32 v4, 63, v4
	v_sub_u32_e32 v1, v4, v1
	v_ashrrev_i32_e32 v4, 31, v1
	v_lshrrev_b32_e32 v4, 26, v4
	v_add_u32_e32 v4, v1, v4
	v_ashrrev_i32_e32 v5, 6, v4
	v_and_b32_e32 v4, 0xffffffc0, v4
	v_sub_u32_e32 v21, v1, v4
	v_lshlrev_b32_e32 v1, 4, v21
	v_lshl_add_u32 v1, v5, 10, v1
	v_add_u32_e32 v8, v1, v20
	v_sub_u32_e32 v25, v0, v1
	v_ashrrev_i32_e32 v1, 31, v0
	v_lshrrev_b32_e32 v1, 22, v1
	v_add_u32_e32 v1, v0, v1
	v_and_b32_e32 v22, 0xfffffc00, v1
	v_sub_u32_e32 v23, v0, v22
	v_ashrrev_i32_e32 v4, 10, v1
	v_cmp_lt_i32_e64 s[26:27], 15, v23
	v_ashrrev_i32_e32 v9, 31, v8
	s_nop 0
	v_addc_co_u32_e64 v0, vcc, 0, v4, s[26:27]
	v_sub_u32_e32 v24, v0, v5
	v_lshl_add_u64 v[4:5], v[8:9], 0, v[112:113]
	v_cmp_lt_i32_e32 vcc, 15, v25
	s_and_saveexec_b64 s[36:37], vcc
	s_cbranch_execz .LBB29_2622
; %bb.2546:                             ;   in Loop: Header=BB29_47 Depth=1
	s_trap 2
	scratch_load_dwordx2 v[6:7], off, s33 offset:372 ; 8-byte Folded Reload
	ds_read_b64 v[0:1], v0
	s_and_b32 s13, 0xffff, s45
	s_cmp_eq_u32 s13, 0
	s_mov_b64 s[50:51], 0
	s_mov_b64 s[38:39], 0
	s_waitcnt lgkmcnt(0)
	v_lshl_add_u64 v[18:19], v[0:1], 0, v[8:9]
	s_cselect_b64 s[28:29], -1, 0
                                        ; implicit-def: $sgpr48_sgpr49
	s_waitcnt vmcnt(0)
	v_lshl_add_u64 v[16:17], v[8:9], 0, v[6:7]
	s_branch .LBB29_2548
.LBB29_2547:                            ;   in Loop: Header=BB29_2548 Depth=2
	s_or_b64 exec, exec, s[40:41]
	v_cmp_gt_i32_e32 vcc, 16, v25
	s_or_b64 s[38:39], vcc, s[38:39]
	s_andn2_b64 s[40:41], s[48:49], exec
	s_and_b64 s[42:43], s[50:51], exec
	s_or_b64 s[48:49], s[40:41], s[42:43]
	s_andn2_b64 exec, exec, s[38:39]
	s_cbranch_execz .LBB29_2621
.LBB29_2548:                            ;   Parent Loop BB29_47 Depth=1
                                        ; =>  This Loop Header: Depth=2
                                        ;       Child Loop BB29_2549 Depth 3
                                        ;       Child Loop BB29_2586 Depth 3
	s_add_i32 s13, s33, 0xc0
	s_mov_b32 s44, s13
	s_mov_b64 s[52:53], -1
	s_mov_b64 s[54:55], 0
.LBB29_2549:                            ;   Parent Loop BB29_47 Depth=1
                                        ;     Parent Loop BB29_2548 Depth=2
                                        ; =>    This Inner Loop Header: Depth=3
	s_cmp_eq_u32 s54, 1
	s_cselect_b64 vcc, -1, 0
	v_cndmask_b32_e32 v1, v17, v19, vcc
	v_cndmask_b32_e32 v0, v16, v18, vcc
	global_load_dwordx4 v[6:9], v[0:1], off nt
	s_cmp_eq_u32 s54, 0
	v_lshl_add_u64 v[0:1], v[0:1], 0, s[60:61]
	s_cselect_b64 s[40:41], -1, 0
	s_and_b64 s[42:43], exec, s[52:53]
	s_mov_b64 s[54:55], 1
	s_mov_b64 s[52:53], 0
	v_cndmask_b32_e64 v17, v17, v1, s[40:41]
	v_cndmask_b32_e64 v16, v16, v0, s[40:41]
	v_cndmask_b32_e32 v19, v19, v1, vcc
	v_cndmask_b32_e32 v18, v18, v0, vcc
	s_mov_b64 vcc, s[42:43]
	s_waitcnt vmcnt(0)
	scratch_store_dwordx4 off, v[6:9], s44
	s_mov_b32 s44, s83
	s_cbranch_vccnz .LBB29_2549
; %bb.2550:                             ;   in Loop: Header=BB29_2548 Depth=2
	s_and_saveexec_b64 s[40:41], s[50:51]
	s_cbranch_execz .LBB29_2584
; %bb.2551:                             ;   in Loop: Header=BB29_2548 Depth=2
	scratch_load_dwordx4 v[8:11], off, s33 offset:224
	scratch_load_dwordx4 v[12:15], off, s33 offset:240
	s_waitcnt vmcnt(1)
	v_lshlrev_b32_e32 v0, 16, v8
	s_waitcnt vmcnt(0)
	v_lshlrev_b32_e32 v1, 16, v12
	v_max_f32_e32 v1, v1, v1
	v_max_f32_e32 v0, v0, v0
	v_min_f32_e32 v6, v0, v1
	v_max_f32_e32 v0, v0, v1
	v_cndmask_b32_e64 v1, v0, v6, s[28:29]
	v_and_b32_e32 v0, 0x7f800000, v1
	v_cmp_ne_u32_e32 vcc, s97, v0
                                        ; implicit-def: $vgpr0
	s_and_saveexec_b64 s[42:43], vcc
	s_xor_b64 s[42:43], exec, s[42:43]
; %bb.2552:                             ;   in Loop: Header=BB29_2548 Depth=2
	v_bfe_u32 v0, v1, 16, 1
	v_add3_u32 v0, v1, v0, s46
                                        ; implicit-def: $vgpr1
; %bb.2553:                             ;   in Loop: Header=BB29_2548 Depth=2
	s_andn2_saveexec_b64 s[42:43], s[42:43]
; %bb.2554:                             ;   in Loop: Header=BB29_2548 Depth=2
	v_or_b32_e32 v0, 0x10000, v1
	v_cmp_eq_u32_sdwa vcc, v1, v3 src0_sel:WORD_0 src1_sel:DWORD
	s_nop 1
	v_cndmask_b32_e32 v0, v0, v1, vcc
; %bb.2555:                             ;   in Loop: Header=BB29_2548 Depth=2
	s_or_b64 exec, exec, s[42:43]
	v_and_b32_e32 v1, 0xffff0000, v8
	v_and_b32_e32 v6, 0xffff0000, v12
	v_max_f32_e32 v6, v6, v6
	v_max_f32_e32 v1, v1, v1
	v_min_f32_e32 v7, v1, v6
	v_max_f32_e32 v1, v1, v6
	v_cndmask_b32_e64 v1, v1, v7, s[28:29]
	v_and_b32_e32 v6, 0x7f800000, v1
	v_cmp_ne_u32_e32 vcc, s97, v6
                                        ; implicit-def: $vgpr6
	s_and_saveexec_b64 s[42:43], vcc
	s_xor_b64 s[42:43], exec, s[42:43]
; %bb.2556:                             ;   in Loop: Header=BB29_2548 Depth=2
	v_bfe_u32 v6, v1, 16, 1
	v_add3_u32 v6, v1, v6, s46
                                        ; implicit-def: $vgpr1
; %bb.2557:                             ;   in Loop: Header=BB29_2548 Depth=2
	s_andn2_saveexec_b64 s[42:43], s[42:43]
; %bb.2558:                             ;   in Loop: Header=BB29_2548 Depth=2
	v_or_b32_e32 v6, 0x10000, v1
	v_cmp_eq_u32_sdwa vcc, v1, v3 src0_sel:WORD_0 src1_sel:DWORD
	s_nop 1
	v_cndmask_b32_e32 v6, v6, v1, vcc
; %bb.2559:                             ;   in Loop: Header=BB29_2548 Depth=2
	s_or_b64 exec, exec, s[42:43]
	v_lshlrev_b32_e32 v1, 16, v9
	v_lshlrev_b32_e32 v7, 16, v13
	v_max_f32_e32 v7, v7, v7
	v_max_f32_e32 v1, v1, v1
	v_min_f32_e32 v8, v1, v7
	v_max_f32_e32 v1, v1, v7
	v_cndmask_b32_e64 v1, v1, v8, s[28:29]
	v_and_b32_e32 v7, 0x7f800000, v1
	v_cmp_ne_u32_e32 vcc, s97, v7
                                        ; implicit-def: $vgpr7
	s_and_saveexec_b64 s[42:43], vcc
	s_xor_b64 s[42:43], exec, s[42:43]
; %bb.2560:                             ;   in Loop: Header=BB29_2548 Depth=2
	v_bfe_u32 v7, v1, 16, 1
	v_add3_u32 v7, v1, v7, s46
                                        ; implicit-def: $vgpr1
; %bb.2561:                             ;   in Loop: Header=BB29_2548 Depth=2
	s_andn2_saveexec_b64 s[42:43], s[42:43]
; %bb.2562:                             ;   in Loop: Header=BB29_2548 Depth=2
	v_or_b32_e32 v7, 0x10000, v1
	v_cmp_eq_u32_sdwa vcc, v1, v3 src0_sel:WORD_0 src1_sel:DWORD
	s_nop 1
	v_cndmask_b32_e32 v7, v7, v1, vcc
; %bb.2563:                             ;   in Loop: Header=BB29_2548 Depth=2
	s_or_b64 exec, exec, s[42:43]
	v_and_b32_e32 v1, 0xffff0000, v9
	v_and_b32_e32 v8, 0xffff0000, v13
	v_max_f32_e32 v8, v8, v8
	v_max_f32_e32 v1, v1, v1
	v_min_f32_e32 v9, v1, v8
	v_max_f32_e32 v1, v1, v8
	v_cndmask_b32_e64 v1, v1, v9, s[28:29]
	v_and_b32_e32 v8, 0x7f800000, v1
	v_cmp_ne_u32_e32 vcc, s97, v8
                                        ; implicit-def: $vgpr8
	s_and_saveexec_b64 s[42:43], vcc
	s_xor_b64 s[42:43], exec, s[42:43]
; %bb.2564:                             ;   in Loop: Header=BB29_2548 Depth=2
	v_bfe_u32 v8, v1, 16, 1
	v_add3_u32 v8, v1, v8, s46
                                        ; implicit-def: $vgpr1
; %bb.2565:                             ;   in Loop: Header=BB29_2548 Depth=2
	s_andn2_saveexec_b64 s[42:43], s[42:43]
; %bb.2566:                             ;   in Loop: Header=BB29_2548 Depth=2
	v_or_b32_e32 v8, 0x10000, v1
	v_cmp_eq_u32_sdwa vcc, v1, v3 src0_sel:WORD_0 src1_sel:DWORD
	s_nop 1
	v_cndmask_b32_e32 v8, v8, v1, vcc
; %bb.2567:                             ;   in Loop: Header=BB29_2548 Depth=2
	s_or_b64 exec, exec, s[42:43]
	v_lshlrev_b32_e32 v1, 16, v10
	v_lshlrev_b32_e32 v9, 16, v14
	v_max_f32_e32 v9, v9, v9
	v_max_f32_e32 v1, v1, v1
	v_min_f32_e32 v12, v1, v9
	v_max_f32_e32 v1, v1, v9
	v_cndmask_b32_e64 v1, v1, v12, s[28:29]
	v_and_b32_e32 v9, 0x7f800000, v1
	v_cmp_ne_u32_e32 vcc, s97, v9
                                        ; implicit-def: $vgpr9
	s_and_saveexec_b64 s[42:43], vcc
	s_xor_b64 s[42:43], exec, s[42:43]
; %bb.2568:                             ;   in Loop: Header=BB29_2548 Depth=2
	v_bfe_u32 v9, v1, 16, 1
	v_add3_u32 v9, v1, v9, s46
                                        ; implicit-def: $vgpr1
; %bb.2569:                             ;   in Loop: Header=BB29_2548 Depth=2
	s_andn2_saveexec_b64 s[42:43], s[42:43]
; %bb.2570:                             ;   in Loop: Header=BB29_2548 Depth=2
	v_or_b32_e32 v9, 0x10000, v1
	v_cmp_eq_u32_sdwa vcc, v1, v3 src0_sel:WORD_0 src1_sel:DWORD
	s_nop 1
	v_cndmask_b32_e32 v9, v9, v1, vcc
; %bb.2571:                             ;   in Loop: Header=BB29_2548 Depth=2
	s_or_b64 exec, exec, s[42:43]
	v_and_b32_e32 v1, 0xffff0000, v10
	v_and_b32_e32 v10, 0xffff0000, v14
	v_max_f32_e32 v10, v10, v10
	v_max_f32_e32 v1, v1, v1
	v_min_f32_e32 v12, v1, v10
	v_max_f32_e32 v1, v1, v10
	v_cndmask_b32_e64 v10, v1, v12, s[28:29]
	v_and_b32_e32 v1, 0x7f800000, v10
	v_cmp_ne_u32_e32 vcc, s97, v1
                                        ; implicit-def: $vgpr1
	s_and_saveexec_b64 s[42:43], vcc
	s_xor_b64 s[42:43], exec, s[42:43]
; %bb.2572:                             ;   in Loop: Header=BB29_2548 Depth=2
	v_bfe_u32 v1, v10, 16, 1
	v_add3_u32 v1, v10, v1, s46
                                        ; implicit-def: $vgpr10
; %bb.2573:                             ;   in Loop: Header=BB29_2548 Depth=2
	s_andn2_saveexec_b64 s[42:43], s[42:43]
; %bb.2574:                             ;   in Loop: Header=BB29_2548 Depth=2
	v_or_b32_e32 v1, 0x10000, v10
	v_cmp_eq_u32_sdwa vcc, v10, v3 src0_sel:WORD_0 src1_sel:DWORD
	s_nop 1
	v_cndmask_b32_e32 v1, v1, v10, vcc
; %bb.2575:                             ;   in Loop: Header=BB29_2548 Depth=2
	s_or_b64 exec, exec, s[42:43]
	v_lshlrev_b32_e32 v10, 16, v11
	v_lshlrev_b32_e32 v12, 16, v15
	v_max_f32_e32 v12, v12, v12
	v_max_f32_e32 v10, v10, v10
	v_min_f32_e32 v13, v10, v12
	v_max_f32_e32 v10, v10, v12
	v_cndmask_b32_e64 v12, v10, v13, s[28:29]
	v_and_b32_e32 v10, 0x7f800000, v12
	v_cmp_ne_u32_e32 vcc, s97, v10
                                        ; implicit-def: $vgpr10
	s_and_saveexec_b64 s[42:43], vcc
	s_xor_b64 s[42:43], exec, s[42:43]
; %bb.2576:                             ;   in Loop: Header=BB29_2548 Depth=2
	v_bfe_u32 v10, v12, 16, 1
	v_add3_u32 v10, v12, v10, s46
                                        ; implicit-def: $vgpr12
; %bb.2577:                             ;   in Loop: Header=BB29_2548 Depth=2
	s_andn2_saveexec_b64 s[42:43], s[42:43]
; %bb.2578:                             ;   in Loop: Header=BB29_2548 Depth=2
	v_or_b32_e32 v10, 0x10000, v12
	v_cmp_eq_u32_sdwa vcc, v12, v3 src0_sel:WORD_0 src1_sel:DWORD
	s_nop 1
	v_cndmask_b32_e32 v10, v10, v12, vcc
; %bb.2579:                             ;   in Loop: Header=BB29_2548 Depth=2
	s_or_b64 exec, exec, s[42:43]
	v_and_b32_e32 v11, 0xffff0000, v11
	v_and_b32_e32 v12, 0xffff0000, v15
	v_max_f32_e32 v12, v12, v12
	v_max_f32_e32 v11, v11, v11
	v_min_f32_e32 v13, v11, v12
	v_max_f32_e32 v11, v11, v12
	v_cndmask_b32_e64 v12, v11, v13, s[28:29]
	v_and_b32_e32 v11, 0x7f800000, v12
	v_cmp_ne_u32_e32 vcc, s97, v11
                                        ; implicit-def: $vgpr11
	s_and_saveexec_b64 s[42:43], vcc
	s_xor_b64 s[42:43], exec, s[42:43]
; %bb.2580:                             ;   in Loop: Header=BB29_2548 Depth=2
	v_bfe_u32 v11, v12, 16, 1
	v_add3_u32 v11, v12, v11, s46
                                        ; implicit-def: $vgpr12
; %bb.2581:                             ;   in Loop: Header=BB29_2548 Depth=2
	s_andn2_saveexec_b64 s[42:43], s[42:43]
; %bb.2582:                             ;   in Loop: Header=BB29_2548 Depth=2
	v_or_b32_e32 v11, 0x10000, v12
	v_cmp_eq_u32_sdwa vcc, v12, v3 src0_sel:WORD_0 src1_sel:DWORD
	s_nop 1
	v_cndmask_b32_e32 v11, v11, v12, vcc
; %bb.2583:                             ;   in Loop: Header=BB29_2548 Depth=2
	s_or_b64 exec, exec, s[42:43]
	v_lshrrev_b32_e32 v0, 16, v0
	v_lshrrev_b32_e32 v7, 16, v7
	v_and_or_b32 v6, v6, s47, v0
	v_lshrrev_b32_e32 v0, 16, v9
	v_and_or_b32 v7, v8, s47, v7
	v_and_or_b32 v8, v1, s47, v0
	v_lshrrev_b32_e32 v0, 16, v10
	v_and_or_b32 v9, v11, s47, v0
	scratch_store_dwordx4 off, v[6:9], s33 offset:224
	global_store_dwordx4 v[4:5], v[6:9], off
	scratch_load_dwordx2 v[0:1], off, s33 offset:264 ; 8-byte Folded Reload
	s_waitcnt vmcnt(0)
	v_lshl_add_u64 v[4:5], v[0:1], 0, v[4:5]
.LBB29_2584:                            ;   in Loop: Header=BB29_2548 Depth=2
	s_or_b64 exec, exec, s[40:41]
	v_lshlrev_b32_e32 v0, 10, v60
	v_sub_u32_e32 v25, v25, v0
	v_lshl_add_u64 v[16:17], v[16:17], 0, v[90:91]
	v_lshl_add_u64 v[18:19], v[18:19], 0, v[90:91]
	v_cmp_lt_i32_e64 s[50:51], 15, v25
	s_and_saveexec_b64 s[42:43], s[50:51]
	s_cbranch_execz .LBB29_2587
; %bb.2585:                             ;   in Loop: Header=BB29_2548 Depth=2
	s_add_i32 s40, s33, 0xe0
	s_mov_b32 s13, s40
	s_mov_b64 s[40:41], 0
	s_mov_b64 s[52:53], -1
.LBB29_2586:                            ;   Parent Loop BB29_47 Depth=1
                                        ;     Parent Loop BB29_2548 Depth=2
                                        ; =>    This Inner Loop Header: Depth=3
	s_cmp_eq_u32 s40, 1
	s_cselect_b64 vcc, -1, 0
	v_cndmask_b32_e32 v1, v17, v19, vcc
	v_cndmask_b32_e32 v0, v16, v18, vcc
	global_load_dwordx4 v[6:9], v[0:1], off nt
	s_cmp_eq_u32 s40, 0
	v_lshl_add_u64 v[0:1], v[0:1], 0, s[60:61]
	s_cselect_b64 s[40:41], -1, 0
	v_cndmask_b32_e64 v17, v17, v1, s[40:41]
	v_cndmask_b32_e64 v16, v16, v0, s[40:41]
	v_cndmask_b32_e32 v19, v19, v1, vcc
	v_cndmask_b32_e32 v18, v18, v0, vcc
	s_mov_b64 s[40:41], 1
	s_and_b64 vcc, exec, s[52:53]
	s_mov_b64 s[52:53], 0
	s_waitcnt vmcnt(0)
	scratch_store_dwordx4 off, v[6:9], s13
	s_mov_b32 s13, s82
	s_cbranch_vccnz .LBB29_2586
.LBB29_2587:                            ;   in Loop: Header=BB29_2548 Depth=2
	s_or_b64 exec, exec, s[42:43]
	scratch_load_dwordx4 v[8:11], off, s33 offset:192
	scratch_load_dwordx4 v[12:15], off, s33 offset:208
	s_waitcnt vmcnt(1)
	v_lshlrev_b32_e32 v0, 16, v8
	s_waitcnt vmcnt(0)
	v_lshlrev_b32_e32 v1, 16, v12
	v_max_f32_e32 v1, v1, v1
	v_max_f32_e32 v0, v0, v0
	v_min_f32_e32 v6, v0, v1
	v_max_f32_e32 v0, v0, v1
	v_cndmask_b32_e64 v1, v0, v6, s[28:29]
	v_and_b32_e32 v0, 0x7f800000, v1
	v_cmp_ne_u32_e32 vcc, s97, v0
                                        ; implicit-def: $vgpr0
	s_and_saveexec_b64 s[40:41], vcc
	s_xor_b64 s[40:41], exec, s[40:41]
; %bb.2588:                             ;   in Loop: Header=BB29_2548 Depth=2
	v_bfe_u32 v0, v1, 16, 1
	v_add3_u32 v0, v1, v0, s46
                                        ; implicit-def: $vgpr1
; %bb.2589:                             ;   in Loop: Header=BB29_2548 Depth=2
	s_andn2_saveexec_b64 s[40:41], s[40:41]
; %bb.2590:                             ;   in Loop: Header=BB29_2548 Depth=2
	v_or_b32_e32 v0, 0x10000, v1
	v_cmp_eq_u32_sdwa vcc, v1, v3 src0_sel:WORD_0 src1_sel:DWORD
	s_nop 1
	v_cndmask_b32_e32 v0, v0, v1, vcc
; %bb.2591:                             ;   in Loop: Header=BB29_2548 Depth=2
	s_or_b64 exec, exec, s[40:41]
	v_and_b32_e32 v1, 0xffff0000, v8
	v_and_b32_e32 v6, 0xffff0000, v12
	v_max_f32_e32 v6, v6, v6
	v_max_f32_e32 v1, v1, v1
	v_min_f32_e32 v7, v1, v6
	v_max_f32_e32 v1, v1, v6
	v_cndmask_b32_e64 v1, v1, v7, s[28:29]
	v_and_b32_e32 v6, 0x7f800000, v1
	v_cmp_ne_u32_e32 vcc, s97, v6
                                        ; implicit-def: $vgpr6
	s_and_saveexec_b64 s[40:41], vcc
	s_xor_b64 s[40:41], exec, s[40:41]
; %bb.2592:                             ;   in Loop: Header=BB29_2548 Depth=2
	v_bfe_u32 v6, v1, 16, 1
	v_add3_u32 v6, v1, v6, s46
                                        ; implicit-def: $vgpr1
; %bb.2593:                             ;   in Loop: Header=BB29_2548 Depth=2
	s_andn2_saveexec_b64 s[40:41], s[40:41]
; %bb.2594:                             ;   in Loop: Header=BB29_2548 Depth=2
	v_or_b32_e32 v6, 0x10000, v1
	v_cmp_eq_u32_sdwa vcc, v1, v3 src0_sel:WORD_0 src1_sel:DWORD
	s_nop 1
	v_cndmask_b32_e32 v6, v6, v1, vcc
; %bb.2595:                             ;   in Loop: Header=BB29_2548 Depth=2
	s_or_b64 exec, exec, s[40:41]
	v_lshlrev_b32_e32 v1, 16, v9
	v_lshlrev_b32_e32 v7, 16, v13
	v_max_f32_e32 v7, v7, v7
	v_max_f32_e32 v1, v1, v1
	v_min_f32_e32 v8, v1, v7
	v_max_f32_e32 v1, v1, v7
	v_cndmask_b32_e64 v1, v1, v8, s[28:29]
	v_and_b32_e32 v7, 0x7f800000, v1
	v_cmp_ne_u32_e32 vcc, s97, v7
                                        ; implicit-def: $vgpr7
	s_and_saveexec_b64 s[40:41], vcc
	s_xor_b64 s[40:41], exec, s[40:41]
; %bb.2596:                             ;   in Loop: Header=BB29_2548 Depth=2
	v_bfe_u32 v7, v1, 16, 1
	v_add3_u32 v7, v1, v7, s46
                                        ; implicit-def: $vgpr1
; %bb.2597:                             ;   in Loop: Header=BB29_2548 Depth=2
	s_andn2_saveexec_b64 s[40:41], s[40:41]
; %bb.2598:                             ;   in Loop: Header=BB29_2548 Depth=2
	v_or_b32_e32 v7, 0x10000, v1
	v_cmp_eq_u32_sdwa vcc, v1, v3 src0_sel:WORD_0 src1_sel:DWORD
	s_nop 1
	v_cndmask_b32_e32 v7, v7, v1, vcc
; %bb.2599:                             ;   in Loop: Header=BB29_2548 Depth=2
	s_or_b64 exec, exec, s[40:41]
	v_and_b32_e32 v1, 0xffff0000, v9
	v_and_b32_e32 v8, 0xffff0000, v13
	v_max_f32_e32 v8, v8, v8
	v_max_f32_e32 v1, v1, v1
	v_min_f32_e32 v9, v1, v8
	v_max_f32_e32 v1, v1, v8
	v_cndmask_b32_e64 v1, v1, v9, s[28:29]
	v_and_b32_e32 v8, 0x7f800000, v1
	v_cmp_ne_u32_e32 vcc, s97, v8
                                        ; implicit-def: $vgpr8
	s_and_saveexec_b64 s[40:41], vcc
	s_xor_b64 s[40:41], exec, s[40:41]
; %bb.2600:                             ;   in Loop: Header=BB29_2548 Depth=2
	v_bfe_u32 v8, v1, 16, 1
	v_add3_u32 v8, v1, v8, s46
                                        ; implicit-def: $vgpr1
; %bb.2601:                             ;   in Loop: Header=BB29_2548 Depth=2
	s_andn2_saveexec_b64 s[40:41], s[40:41]
; %bb.2602:                             ;   in Loop: Header=BB29_2548 Depth=2
	v_or_b32_e32 v8, 0x10000, v1
	v_cmp_eq_u32_sdwa vcc, v1, v3 src0_sel:WORD_0 src1_sel:DWORD
	s_nop 1
	v_cndmask_b32_e32 v8, v8, v1, vcc
; %bb.2603:                             ;   in Loop: Header=BB29_2548 Depth=2
	s_or_b64 exec, exec, s[40:41]
	v_lshlrev_b32_e32 v1, 16, v10
	v_lshlrev_b32_e32 v9, 16, v14
	v_max_f32_e32 v9, v9, v9
	v_max_f32_e32 v1, v1, v1
	v_min_f32_e32 v12, v1, v9
	v_max_f32_e32 v1, v1, v9
	v_cndmask_b32_e64 v1, v1, v12, s[28:29]
	v_and_b32_e32 v9, 0x7f800000, v1
	v_cmp_ne_u32_e32 vcc, s97, v9
                                        ; implicit-def: $vgpr9
	s_and_saveexec_b64 s[40:41], vcc
	s_xor_b64 s[40:41], exec, s[40:41]
; %bb.2604:                             ;   in Loop: Header=BB29_2548 Depth=2
	v_bfe_u32 v9, v1, 16, 1
	v_add3_u32 v9, v1, v9, s46
                                        ; implicit-def: $vgpr1
; %bb.2605:                             ;   in Loop: Header=BB29_2548 Depth=2
	s_andn2_saveexec_b64 s[40:41], s[40:41]
; %bb.2606:                             ;   in Loop: Header=BB29_2548 Depth=2
	v_or_b32_e32 v9, 0x10000, v1
	v_cmp_eq_u32_sdwa vcc, v1, v3 src0_sel:WORD_0 src1_sel:DWORD
	s_nop 1
	v_cndmask_b32_e32 v9, v9, v1, vcc
; %bb.2607:                             ;   in Loop: Header=BB29_2548 Depth=2
	s_or_b64 exec, exec, s[40:41]
	v_and_b32_e32 v1, 0xffff0000, v10
	v_and_b32_e32 v10, 0xffff0000, v14
	v_max_f32_e32 v10, v10, v10
	v_max_f32_e32 v1, v1, v1
	v_min_f32_e32 v12, v1, v10
	v_max_f32_e32 v1, v1, v10
	v_cndmask_b32_e64 v10, v1, v12, s[28:29]
	v_and_b32_e32 v1, 0x7f800000, v10
	v_cmp_ne_u32_e32 vcc, s97, v1
                                        ; implicit-def: $vgpr1
	s_and_saveexec_b64 s[40:41], vcc
	s_xor_b64 s[40:41], exec, s[40:41]
; %bb.2608:                             ;   in Loop: Header=BB29_2548 Depth=2
	v_bfe_u32 v1, v10, 16, 1
	v_add3_u32 v1, v10, v1, s46
                                        ; implicit-def: $vgpr10
; %bb.2609:                             ;   in Loop: Header=BB29_2548 Depth=2
	s_andn2_saveexec_b64 s[40:41], s[40:41]
; %bb.2610:                             ;   in Loop: Header=BB29_2548 Depth=2
	v_or_b32_e32 v1, 0x10000, v10
	v_cmp_eq_u32_sdwa vcc, v10, v3 src0_sel:WORD_0 src1_sel:DWORD
	s_nop 1
	v_cndmask_b32_e32 v1, v1, v10, vcc
; %bb.2611:                             ;   in Loop: Header=BB29_2548 Depth=2
	s_or_b64 exec, exec, s[40:41]
	v_lshlrev_b32_e32 v10, 16, v11
	v_lshlrev_b32_e32 v12, 16, v15
	v_max_f32_e32 v12, v12, v12
	v_max_f32_e32 v10, v10, v10
	v_min_f32_e32 v13, v10, v12
	v_max_f32_e32 v10, v10, v12
	v_cndmask_b32_e64 v12, v10, v13, s[28:29]
	v_and_b32_e32 v10, 0x7f800000, v12
	v_cmp_ne_u32_e32 vcc, s97, v10
                                        ; implicit-def: $vgpr10
	s_and_saveexec_b64 s[40:41], vcc
	s_xor_b64 s[40:41], exec, s[40:41]
; %bb.2612:                             ;   in Loop: Header=BB29_2548 Depth=2
	v_bfe_u32 v10, v12, 16, 1
	v_add3_u32 v10, v12, v10, s46
                                        ; implicit-def: $vgpr12
; %bb.2613:                             ;   in Loop: Header=BB29_2548 Depth=2
	s_andn2_saveexec_b64 s[40:41], s[40:41]
; %bb.2614:                             ;   in Loop: Header=BB29_2548 Depth=2
	v_or_b32_e32 v10, 0x10000, v12
	v_cmp_eq_u32_sdwa vcc, v12, v3 src0_sel:WORD_0 src1_sel:DWORD
	s_nop 1
	v_cndmask_b32_e32 v10, v10, v12, vcc
; %bb.2615:                             ;   in Loop: Header=BB29_2548 Depth=2
	s_or_b64 exec, exec, s[40:41]
	v_and_b32_e32 v11, 0xffff0000, v11
	v_and_b32_e32 v12, 0xffff0000, v15
	v_max_f32_e32 v12, v12, v12
	v_max_f32_e32 v11, v11, v11
	v_min_f32_e32 v13, v11, v12
	v_max_f32_e32 v11, v11, v12
	v_cndmask_b32_e64 v12, v11, v13, s[28:29]
	v_and_b32_e32 v11, 0x7f800000, v12
	v_cmp_ne_u32_e32 vcc, s97, v11
                                        ; implicit-def: $vgpr11
	s_and_saveexec_b64 s[40:41], vcc
	s_xor_b64 s[40:41], exec, s[40:41]
; %bb.2616:                             ;   in Loop: Header=BB29_2548 Depth=2
	v_bfe_u32 v11, v12, 16, 1
	v_add3_u32 v11, v12, v11, s46
                                        ; implicit-def: $vgpr12
; %bb.2617:                             ;   in Loop: Header=BB29_2548 Depth=2
	s_andn2_saveexec_b64 s[40:41], s[40:41]
; %bb.2618:                             ;   in Loop: Header=BB29_2548 Depth=2
	v_or_b32_e32 v11, 0x10000, v12
	v_cmp_eq_u32_sdwa vcc, v12, v3 src0_sel:WORD_0 src1_sel:DWORD
	s_nop 1
	v_cndmask_b32_e32 v11, v11, v12, vcc
; %bb.2619:                             ;   in Loop: Header=BB29_2548 Depth=2
	s_or_b64 exec, exec, s[40:41]
	v_lshrrev_b32_e32 v0, 16, v0
	v_lshrrev_b32_e32 v7, 16, v7
	v_and_or_b32 v6, v6, s47, v0
	v_lshrrev_b32_e32 v0, 16, v9
	v_and_or_b32 v7, v8, s47, v7
	v_and_or_b32 v8, v1, s47, v0
	v_lshrrev_b32_e32 v0, 16, v10
	v_and_or_b32 v9, v11, s47, v0
	v_sub_u32_e32 v24, v24, v60
	scratch_store_dwordx4 off, v[6:9], s33 offset:192
	global_store_dwordx4 v[4:5], v[6:9], off
	v_lshl_add_u64 v[4:5], v[4:5], 0, s[60:61]
	s_and_saveexec_b64 s[40:41], s[50:51]
	s_cbranch_execz .LBB29_2547
; %bb.2620:                             ;   in Loop: Header=BB29_2548 Depth=2
	v_lshlrev_b32_e32 v0, 10, v60
	v_lshl_add_u64 v[16:17], v[16:17], 0, v[90:91]
	v_lshl_add_u64 v[18:19], v[18:19], 0, v[90:91]
	;; [unrolled: 1-line block ×3, first 2 shown]
	v_sub_u32_e32 v25, v25, v0
	v_sub_u32_e32 v24, v24, v60
	s_branch .LBB29_2547
.LBB29_2621:                            ;   in Loop: Header=BB29_47 Depth=1
	s_or_b64 exec, exec, s[38:39]
	s_and_b64 s[28:29], s[48:49], exec
.LBB29_2622:                            ;   in Loop: Header=BB29_47 Depth=1
	s_or_b64 exec, exec, s[36:37]
	s_and_saveexec_b64 s[40:41], s[28:29]
	s_cbranch_execz .LBB29_2656
; %bb.2623:                             ;   in Loop: Header=BB29_47 Depth=1
	scratch_load_dwordx4 v[8:11], off, s33 offset:224
	scratch_load_dwordx4 v[12:15], off, s33 offset:240
	s_and_b32 s13, 0xffff, s45
	s_cmp_eq_u32 s13, 0
	s_cselect_b64 vcc, -1, 0
	s_waitcnt vmcnt(0)
	v_lshlrev_b32_e32 v0, 16, v8
	v_lshlrev_b32_e32 v1, 16, v12
	v_max_f32_e32 v1, v1, v1
	v_max_f32_e32 v0, v0, v0
	v_min_f32_e32 v6, v0, v1
	v_max_f32_e32 v0, v0, v1
	v_cndmask_b32_e32 v1, v0, v6, vcc
	v_and_b32_e32 v0, 0x7f800000, v1
	v_cmp_ne_u32_e64 s[28:29], s97, v0
                                        ; implicit-def: $vgpr0
	s_and_saveexec_b64 s[42:43], s[28:29]
	s_xor_b64 s[28:29], exec, s[42:43]
; %bb.2624:                             ;   in Loop: Header=BB29_47 Depth=1
	v_bfe_u32 v0, v1, 16, 1
	v_add3_u32 v0, v1, v0, s46
                                        ; implicit-def: $vgpr1
; %bb.2625:                             ;   in Loop: Header=BB29_47 Depth=1
	s_andn2_saveexec_b64 s[42:43], s[28:29]
; %bb.2626:                             ;   in Loop: Header=BB29_47 Depth=1
	v_or_b32_e32 v0, 0x10000, v1
	v_cmp_eq_u32_sdwa s[28:29], v1, v3 src0_sel:WORD_0 src1_sel:DWORD
	s_nop 1
	v_cndmask_b32_e64 v0, v0, v1, s[28:29]
; %bb.2627:                             ;   in Loop: Header=BB29_47 Depth=1
	s_or_b64 exec, exec, s[42:43]
	v_and_b32_e32 v1, 0xffff0000, v8
	v_and_b32_e32 v6, 0xffff0000, v12
	v_max_f32_e32 v6, v6, v6
	v_max_f32_e32 v1, v1, v1
	v_min_f32_e32 v7, v1, v6
	v_max_f32_e32 v1, v1, v6
	v_cndmask_b32_e32 v1, v1, v7, vcc
	v_and_b32_e32 v6, 0x7f800000, v1
	v_cmp_ne_u32_e64 s[28:29], s97, v6
                                        ; implicit-def: $vgpr6
	s_and_saveexec_b64 s[42:43], s[28:29]
	s_xor_b64 s[28:29], exec, s[42:43]
; %bb.2628:                             ;   in Loop: Header=BB29_47 Depth=1
	v_bfe_u32 v6, v1, 16, 1
	v_add3_u32 v6, v1, v6, s46
                                        ; implicit-def: $vgpr1
; %bb.2629:                             ;   in Loop: Header=BB29_47 Depth=1
	s_andn2_saveexec_b64 s[42:43], s[28:29]
; %bb.2630:                             ;   in Loop: Header=BB29_47 Depth=1
	v_or_b32_e32 v6, 0x10000, v1
	v_cmp_eq_u32_sdwa s[28:29], v1, v3 src0_sel:WORD_0 src1_sel:DWORD
	s_nop 1
	v_cndmask_b32_e64 v6, v6, v1, s[28:29]
; %bb.2631:                             ;   in Loop: Header=BB29_47 Depth=1
	s_or_b64 exec, exec, s[42:43]
	v_lshlrev_b32_e32 v1, 16, v9
	v_lshlrev_b32_e32 v7, 16, v13
	v_max_f32_e32 v7, v7, v7
	v_max_f32_e32 v1, v1, v1
	v_min_f32_e32 v8, v1, v7
	v_max_f32_e32 v1, v1, v7
	v_cndmask_b32_e32 v1, v1, v8, vcc
	v_and_b32_e32 v7, 0x7f800000, v1
	v_cmp_ne_u32_e64 s[28:29], s97, v7
                                        ; implicit-def: $vgpr7
	s_and_saveexec_b64 s[42:43], s[28:29]
	s_xor_b64 s[28:29], exec, s[42:43]
; %bb.2632:                             ;   in Loop: Header=BB29_47 Depth=1
	v_bfe_u32 v7, v1, 16, 1
	v_add3_u32 v7, v1, v7, s46
                                        ; implicit-def: $vgpr1
; %bb.2633:                             ;   in Loop: Header=BB29_47 Depth=1
	s_andn2_saveexec_b64 s[42:43], s[28:29]
; %bb.2634:                             ;   in Loop: Header=BB29_47 Depth=1
	v_or_b32_e32 v7, 0x10000, v1
	v_cmp_eq_u32_sdwa s[28:29], v1, v3 src0_sel:WORD_0 src1_sel:DWORD
	s_nop 1
	v_cndmask_b32_e64 v7, v7, v1, s[28:29]
; %bb.2635:                             ;   in Loop: Header=BB29_47 Depth=1
	s_or_b64 exec, exec, s[42:43]
	v_and_b32_e32 v1, 0xffff0000, v9
	v_and_b32_e32 v8, 0xffff0000, v13
	v_max_f32_e32 v8, v8, v8
	v_max_f32_e32 v1, v1, v1
	v_min_f32_e32 v9, v1, v8
	v_max_f32_e32 v1, v1, v8
	v_cndmask_b32_e32 v1, v1, v9, vcc
	v_and_b32_e32 v8, 0x7f800000, v1
	v_cmp_ne_u32_e64 s[28:29], s97, v8
                                        ; implicit-def: $vgpr8
	s_and_saveexec_b64 s[42:43], s[28:29]
	s_xor_b64 s[28:29], exec, s[42:43]
; %bb.2636:                             ;   in Loop: Header=BB29_47 Depth=1
	v_bfe_u32 v8, v1, 16, 1
	v_add3_u32 v8, v1, v8, s46
                                        ; implicit-def: $vgpr1
; %bb.2637:                             ;   in Loop: Header=BB29_47 Depth=1
	s_andn2_saveexec_b64 s[42:43], s[28:29]
; %bb.2638:                             ;   in Loop: Header=BB29_47 Depth=1
	v_or_b32_e32 v8, 0x10000, v1
	v_cmp_eq_u32_sdwa s[28:29], v1, v3 src0_sel:WORD_0 src1_sel:DWORD
	s_nop 1
	v_cndmask_b32_e64 v8, v8, v1, s[28:29]
; %bb.2639:                             ;   in Loop: Header=BB29_47 Depth=1
	s_or_b64 exec, exec, s[42:43]
	v_lshlrev_b32_e32 v1, 16, v10
	v_lshlrev_b32_e32 v9, 16, v14
	v_max_f32_e32 v9, v9, v9
	v_max_f32_e32 v1, v1, v1
	v_min_f32_e32 v12, v1, v9
	v_max_f32_e32 v1, v1, v9
	v_cndmask_b32_e32 v1, v1, v12, vcc
	v_and_b32_e32 v9, 0x7f800000, v1
	v_cmp_ne_u32_e64 s[28:29], s97, v9
                                        ; implicit-def: $vgpr9
	s_and_saveexec_b64 s[42:43], s[28:29]
	s_xor_b64 s[28:29], exec, s[42:43]
; %bb.2640:                             ;   in Loop: Header=BB29_47 Depth=1
	v_bfe_u32 v9, v1, 16, 1
	v_add3_u32 v9, v1, v9, s46
                                        ; implicit-def: $vgpr1
; %bb.2641:                             ;   in Loop: Header=BB29_47 Depth=1
	s_andn2_saveexec_b64 s[42:43], s[28:29]
; %bb.2642:                             ;   in Loop: Header=BB29_47 Depth=1
	v_or_b32_e32 v9, 0x10000, v1
	v_cmp_eq_u32_sdwa s[28:29], v1, v3 src0_sel:WORD_0 src1_sel:DWORD
	s_nop 1
	v_cndmask_b32_e64 v9, v9, v1, s[28:29]
; %bb.2643:                             ;   in Loop: Header=BB29_47 Depth=1
	s_or_b64 exec, exec, s[42:43]
	v_and_b32_e32 v1, 0xffff0000, v10
	v_and_b32_e32 v10, 0xffff0000, v14
	v_max_f32_e32 v10, v10, v10
	v_max_f32_e32 v1, v1, v1
	v_min_f32_e32 v12, v1, v10
	v_max_f32_e32 v1, v1, v10
	v_cndmask_b32_e32 v10, v1, v12, vcc
	v_and_b32_e32 v1, 0x7f800000, v10
	v_cmp_ne_u32_e64 s[28:29], s97, v1
                                        ; implicit-def: $vgpr1
	s_and_saveexec_b64 s[42:43], s[28:29]
	s_xor_b64 s[28:29], exec, s[42:43]
; %bb.2644:                             ;   in Loop: Header=BB29_47 Depth=1
	v_bfe_u32 v1, v10, 16, 1
	v_add3_u32 v1, v10, v1, s46
                                        ; implicit-def: $vgpr10
; %bb.2645:                             ;   in Loop: Header=BB29_47 Depth=1
	s_andn2_saveexec_b64 s[42:43], s[28:29]
; %bb.2646:                             ;   in Loop: Header=BB29_47 Depth=1
	v_or_b32_e32 v1, 0x10000, v10
	v_cmp_eq_u32_sdwa s[28:29], v10, v3 src0_sel:WORD_0 src1_sel:DWORD
	s_nop 1
	v_cndmask_b32_e64 v1, v1, v10, s[28:29]
; %bb.2647:                             ;   in Loop: Header=BB29_47 Depth=1
	s_or_b64 exec, exec, s[42:43]
	v_lshlrev_b32_e32 v10, 16, v11
	v_lshlrev_b32_e32 v12, 16, v15
	v_max_f32_e32 v12, v12, v12
	v_max_f32_e32 v10, v10, v10
	v_min_f32_e32 v13, v10, v12
	v_max_f32_e32 v10, v10, v12
	v_cndmask_b32_e32 v12, v10, v13, vcc
	v_and_b32_e32 v10, 0x7f800000, v12
	v_cmp_ne_u32_e64 s[28:29], s97, v10
                                        ; implicit-def: $vgpr10
	s_and_saveexec_b64 s[42:43], s[28:29]
	s_xor_b64 s[28:29], exec, s[42:43]
; %bb.2648:                             ;   in Loop: Header=BB29_47 Depth=1
	v_bfe_u32 v10, v12, 16, 1
	v_add3_u32 v10, v12, v10, s46
                                        ; implicit-def: $vgpr12
; %bb.2649:                             ;   in Loop: Header=BB29_47 Depth=1
	s_andn2_saveexec_b64 s[42:43], s[28:29]
; %bb.2650:                             ;   in Loop: Header=BB29_47 Depth=1
	v_or_b32_e32 v10, 0x10000, v12
	v_cmp_eq_u32_sdwa s[28:29], v12, v3 src0_sel:WORD_0 src1_sel:DWORD
	s_nop 1
	v_cndmask_b32_e64 v10, v10, v12, s[28:29]
; %bb.2651:                             ;   in Loop: Header=BB29_47 Depth=1
	s_or_b64 exec, exec, s[42:43]
	v_and_b32_e32 v11, 0xffff0000, v11
	v_and_b32_e32 v12, 0xffff0000, v15
	v_max_f32_e32 v12, v12, v12
	v_max_f32_e32 v11, v11, v11
	v_min_f32_e32 v13, v11, v12
	v_max_f32_e32 v11, v11, v12
	v_cndmask_b32_e32 v12, v11, v13, vcc
	v_and_b32_e32 v11, 0x7f800000, v12
	v_cmp_ne_u32_e32 vcc, s97, v11
                                        ; implicit-def: $vgpr11
	s_and_saveexec_b64 s[28:29], vcc
	s_xor_b64 s[28:29], exec, s[28:29]
; %bb.2652:                             ;   in Loop: Header=BB29_47 Depth=1
	v_bfe_u32 v11, v12, 16, 1
	v_add3_u32 v11, v12, v11, s46
                                        ; implicit-def: $vgpr12
; %bb.2653:                             ;   in Loop: Header=BB29_47 Depth=1
	s_andn2_saveexec_b64 s[28:29], s[28:29]
; %bb.2654:                             ;   in Loop: Header=BB29_47 Depth=1
	v_or_b32_e32 v11, 0x10000, v12
	v_cmp_eq_u32_sdwa vcc, v12, v3 src0_sel:WORD_0 src1_sel:DWORD
	s_nop 1
	v_cndmask_b32_e32 v11, v11, v12, vcc
; %bb.2655:                             ;   in Loop: Header=BB29_47 Depth=1
	s_or_b64 exec, exec, s[28:29]
	v_lshrrev_b32_e32 v0, 16, v0
	v_lshrrev_b32_e32 v7, 16, v7
	v_and_or_b32 v6, v6, s47, v0
	v_lshrrev_b32_e32 v0, 16, v9
	v_and_or_b32 v7, v8, s47, v7
	v_and_or_b32 v8, v1, s47, v0
	v_lshrrev_b32_e32 v0, 16, v10
	v_and_or_b32 v9, v11, s47, v0
	global_store_dwordx4 v[4:5], v[6:9], off
.LBB29_2656:                            ;   in Loop: Header=BB29_47 Depth=1
	s_or_b64 exec, exec, s[40:41]
	v_and_b32_e32 v1, 14, v29
	v_cndmask_b32_e64 v29, v23, v1, s[26:27]
	v_cmp_ne_u32_e32 vcc, 0, v29
	s_mov_b64 s[40:41], s[30:31]
                                        ; implicit-def: $vgpr12
                                        ; implicit-def: $vgpr0
                                        ; implicit-def: $vgpr13
	s_and_saveexec_b64 s[28:29], vcc
	s_cbranch_execz .LBB29_2658
; %bb.2657:                             ;   in Loop: Header=BB29_47 Depth=1
	v_sub_u32_e32 v0, v23, v1
	v_cndmask_b32_e64 v0, 0, v0, s[26:27]
	v_cmp_lt_i32_e32 vcc, 0, v24
	v_add3_u32 v12, v22, v20, v0
	s_or_b64 s[40:41], s[30:31], exec
	v_cndmask_b32_e32 v0, 0, v60, vcc
	v_sub_u32_e32 v0, v0, v24
	v_lshl_add_u32 v0, v0, 6, v21
	v_ashrrev_i32_e32 v1, 31, v0
	v_lshrrev_b32_e32 v1, 26, v1
	v_add_u32_e32 v1, v0, v1
	v_and_b32_e32 v1, 0xffffffc0, v1
	v_sub_u32_e32 v13, v0, v1
.LBB29_2658:                            ;   in Loop: Header=BB29_47 Depth=1
	s_or_b64 exec, exec, s[28:29]
	s_andn2_b64 s[26:27], s[30:31], exec
	s_and_b64 s[28:29], s[40:41], exec
	s_or_b64 s[30:31], s[26:27], s[28:29]
.LBB29_2659:                            ;   in Loop: Header=BB29_47 Depth=1
	s_or_b64 exec, exec, s[34:35]
	s_and_saveexec_b64 s[42:43], s[30:31]
	s_cbranch_execz .LBB29_2887
.LBB29_2660:                            ;   in Loop: Header=BB29_47 Depth=1
	v_ashrrev_i32_e32 v1, 31, v0
	v_lshrrev_b32_e32 v1, 26, v1
	v_add_u32_e32 v0, v0, v1
	v_ashrrev_i32_e32 v0, 6, v0
	v_lshlrev_b32_e32 v1, 11, v0
	v_lshlrev_b32_e32 v4, 1, v13
	v_add3_u32 v10, v12, v4, v1
	v_ashrrev_i32_e32 v1, 31, v29
	v_lshrrev_b32_e32 v1, 21, v1
	v_add_u32_e32 v1, v29, v1
	v_ashrrev_i32_e32 v14, 11, v1
	v_ashrrev_i32_e32 v11, 31, v10
	v_sub_u32_e32 v15, v14, v0
	s_waitcnt vmcnt(0)
	v_lshl_add_u64 v[4:5], v[112:113], 0, v[10:11]
	v_cmp_lt_i32_e32 vcc, 0, v15
	v_mov_b32_e32 v96, 0
	s_mov_b64 s[26:27], 0
	v_mov_b32_e32 v85, 0
	v_mov_b32_e32 v82, 0
	;; [unrolled: 1-line block ×31, first 2 shown]
	s_and_saveexec_b64 s[28:29], vcc
	s_cbranch_execz .LBB29_2796
; %bb.2661:                             ;   in Loop: Header=BB29_47 Depth=1
	s_trap 2
	scratch_load_dwordx2 v[6:7], off, s33 offset:372 ; 8-byte Folded Reload
	ds_read_b64 v[0:1], v0
	s_and_b32 s13, s45, 0xff
	s_cmp_eq_u32 s13, 0
	v_mov_b64_e32 v[42:43], v[112:113]
	s_mov_b64 s[34:35], 0
	s_mov_b64 s[30:31], 0
	s_cselect_b64 vcc, -1, 0
                                        ; implicit-def: $sgpr40_sgpr41
                                        ; implicit-def: $vgpr115
                                        ; implicit-def: $vgpr112
                                        ; implicit-def: $vgpr101
                                        ; implicit-def: $vgpr98
                                        ; implicit-def: $vgpr87
                                        ; implicit-def: $vgpr83
                                        ; implicit-def: $vgpr80
                                        ; implicit-def: $vgpr69
                                        ; implicit-def: $vgpr66
                                        ; implicit-def: $vgpr55
                                        ; implicit-def: $vgpr51
                                        ; implicit-def: $vgpr48
                                        ; implicit-def: $vgpr39
                                        ; implicit-def: $vgpr38
                                        ; implicit-def: $vgpr37
                                        ; implicit-def: $vgpr36
                                        ; implicit-def: $vgpr16
                                        ; implicit-def: $vgpr17
                                        ; implicit-def: $vgpr18
                                        ; implicit-def: $vgpr19
                                        ; implicit-def: $vgpr20
                                        ; implicit-def: $vgpr21
                                        ; implicit-def: $vgpr22
                                        ; implicit-def: $vgpr23
                                        ; implicit-def: $vgpr24
                                        ; implicit-def: $vgpr25
                                        ; implicit-def: $vgpr26
                                        ; implicit-def: $vgpr27
                                        ; implicit-def: $vgpr32
                                        ; implicit-def: $vgpr33
                                        ; implicit-def: $vgpr34
                                        ; implicit-def: $vgpr35
	s_waitcnt vmcnt(0)
	v_lshl_add_u64 v[8:9], v[10:11], 0, v[6:7]
	s_waitcnt lgkmcnt(0)
	v_lshl_add_u64 v[10:11], v[0:1], 0, v[10:11]
	s_branch .LBB29_2663
.LBB29_2662:                            ;   in Loop: Header=BB29_2663 Depth=2
	s_or_b64 exec, exec, s[36:37]
	flat_store_short_d16_hi v[4:5], v6 nt
	flat_store_short_d16_hi v[4:5], v7 offset:128 nt
	flat_store_short_d16_hi v[4:5], v30 offset:256 nt
	;; [unrolled: 1-line block ×15, first 2 shown]
	v_lshl_add_u64 v[0:1], v[8:9], 0, v[76:77]
	v_cndmask_b32_e64 v8, v8, v0, s[34:35]
	v_cndmask_b32_e64 v0, 0, v60, s[34:35]
	v_sub_u32_e32 v15, v15, v0
	v_cmp_gt_i32_e64 s[26:27], 1, v15
	v_mov_b32_e32 v30, 0x800
	s_or_b64 s[30:31], s[26:27], s[30:31]
	v_lshl_add_u64 v[6:7], v[10:11], 0, v[76:77]
	v_cndmask_b32_e64 v53, 0, v105, s[34:35]
	v_cndmask_b32_e64 v52, v30, v104, s[34:35]
	s_andn2_b64 s[26:27], s[40:41], exec
	s_and_b64 s[40:41], s[34:35], exec
	v_lshl_add_u64 v[4:5], v[4:5], 0, v[52:53]
	v_cndmask_b32_e64 v9, v9, v1, s[34:35]
	v_cndmask_b32_e64 v11, v11, v7, s[34:35]
	;; [unrolled: 1-line block ×3, first 2 shown]
	s_or_b64 s[40:41], s[26:27], s[40:41]
	s_andn2_b64 exec, exec, s[30:31]
	s_cbranch_execz .LBB29_2795
.LBB29_2663:                            ;   Parent Loop BB29_47 Depth=1
                                        ; =>  This Inner Loop Header: Depth=2
	flat_load_ushort v62, v[8:9] nt
	flat_load_ushort v58, v[8:9] offset:128 nt
	flat_load_ushort v44, v[8:9] offset:256 nt
	flat_load_ushort v118, v[8:9] offset:384 nt
	flat_load_ushort v113, v[8:9] offset:512 nt
	flat_load_ushort v102, v[8:9] offset:640 nt
	flat_load_ushort v99, v[8:9] offset:768 nt
	flat_load_ushort v96, v[8:9] offset:896 nt
	flat_load_ushort v85, v[8:9] offset:1024 nt
	flat_load_ushort v82, v[8:9] offset:1152 nt
	flat_load_ushort v71, v[8:9] offset:1280 nt
	flat_load_ushort v68, v[8:9] offset:1408 nt
	flat_load_ushort v65, v[8:9] offset:1536 nt
	flat_load_ushort v54, v[8:9] offset:1664 nt
	flat_load_ushort v52, v[8:9] offset:1792 nt
	flat_load_ushort v49, v[8:9] offset:1920 nt
	flat_load_ushort v63, v[10:11] nt
	flat_load_ushort v59, v[10:11] offset:128 nt
	flat_load_ushort v45, v[10:11] offset:256 nt
	;; [unrolled: 1-line block ×15, first 2 shown]
	s_and_saveexec_b64 s[36:37], s[34:35]
	s_cbranch_execz .LBB29_2729
; %bb.2664:                             ;   in Loop: Header=BB29_2663 Depth=2
	v_lshlrev_b32_e32 v0, 16, v115
	v_lshlrev_b32_e32 v1, 16, v16
	v_max_f32_e32 v1, v1, v1
	v_max_f32_e32 v0, v0, v0
	v_min_f32_e32 v6, v0, v1
	v_max_f32_e32 v0, v0, v1
	v_cndmask_b32_e32 v0, v0, v6, vcc
	v_and_b32_e32 v1, 0x7f800000, v0
	v_cmp_ne_u32_e64 s[26:27], s97, v1
                                        ; implicit-def: $vgpr6
	s_and_saveexec_b64 s[34:35], s[26:27]
	s_xor_b64 s[26:27], exec, s[34:35]
; %bb.2665:                             ;   in Loop: Header=BB29_2663 Depth=2
	v_bfe_u32 v1, v0, 16, 1
	v_add3_u32 v6, v0, v1, s46
                                        ; implicit-def: $vgpr0
; %bb.2666:                             ;   in Loop: Header=BB29_2663 Depth=2
	s_andn2_saveexec_b64 s[34:35], s[26:27]
; %bb.2667:                             ;   in Loop: Header=BB29_2663 Depth=2
	v_or_b32_e32 v1, 0x10000, v0
	v_cmp_eq_u32_sdwa s[26:27], v0, v3 src0_sel:WORD_0 src1_sel:DWORD
	s_nop 1
	v_cndmask_b32_e64 v6, v1, v0, s[26:27]
; %bb.2668:                             ;   in Loop: Header=BB29_2663 Depth=2
	s_or_b64 exec, exec, s[34:35]
	v_lshlrev_b32_e32 v0, 16, v112
	v_lshlrev_b32_e32 v1, 16, v17
	v_max_f32_e32 v1, v1, v1
	v_max_f32_e32 v0, v0, v0
	v_min_f32_e32 v7, v0, v1
	v_max_f32_e32 v0, v0, v1
	v_cndmask_b32_e32 v0, v0, v7, vcc
	v_and_b32_e32 v1, 0x7f800000, v0
	v_cmp_ne_u32_e64 s[26:27], s97, v1
                                        ; implicit-def: $vgpr7
	s_and_saveexec_b64 s[34:35], s[26:27]
	s_xor_b64 s[26:27], exec, s[34:35]
; %bb.2669:                             ;   in Loop: Header=BB29_2663 Depth=2
	v_bfe_u32 v1, v0, 16, 1
	v_add3_u32 v7, v0, v1, s46
                                        ; implicit-def: $vgpr0
; %bb.2670:                             ;   in Loop: Header=BB29_2663 Depth=2
	s_andn2_saveexec_b64 s[34:35], s[26:27]
; %bb.2671:                             ;   in Loop: Header=BB29_2663 Depth=2
	v_or_b32_e32 v1, 0x10000, v0
	v_cmp_eq_u32_sdwa s[26:27], v0, v3 src0_sel:WORD_0 src1_sel:DWORD
	s_nop 1
	v_cndmask_b32_e64 v7, v1, v0, s[26:27]
; %bb.2672:                             ;   in Loop: Header=BB29_2663 Depth=2
	s_or_b64 exec, exec, s[34:35]
	v_lshlrev_b32_e32 v0, 16, v101
	v_lshlrev_b32_e32 v1, 16, v18
	v_max_f32_e32 v1, v1, v1
	v_max_f32_e32 v0, v0, v0
	v_min_f32_e32 v30, v0, v1
	v_max_f32_e32 v0, v0, v1
	v_cndmask_b32_e32 v0, v0, v30, vcc
	v_and_b32_e32 v1, 0x7f800000, v0
	v_cmp_ne_u32_e64 s[26:27], s97, v1
                                        ; implicit-def: $vgpr30
	s_and_saveexec_b64 s[34:35], s[26:27]
	s_xor_b64 s[26:27], exec, s[34:35]
; %bb.2673:                             ;   in Loop: Header=BB29_2663 Depth=2
	v_bfe_u32 v1, v0, 16, 1
	v_add3_u32 v30, v0, v1, s46
                                        ; implicit-def: $vgpr0
; %bb.2674:                             ;   in Loop: Header=BB29_2663 Depth=2
	s_andn2_saveexec_b64 s[34:35], s[26:27]
; %bb.2675:                             ;   in Loop: Header=BB29_2663 Depth=2
	v_or_b32_e32 v1, 0x10000, v0
	v_cmp_eq_u32_sdwa s[26:27], v0, v3 src0_sel:WORD_0 src1_sel:DWORD
	s_nop 1
	v_cndmask_b32_e64 v30, v1, v0, s[26:27]
; %bb.2676:                             ;   in Loop: Header=BB29_2663 Depth=2
	s_or_b64 exec, exec, s[34:35]
	v_lshlrev_b32_e32 v0, 16, v98
	v_lshlrev_b32_e32 v1, 16, v19
	v_max_f32_e32 v1, v1, v1
	v_max_f32_e32 v0, v0, v0
	v_min_f32_e32 v98, v0, v1
	v_max_f32_e32 v0, v0, v1
	v_cndmask_b32_e32 v0, v0, v98, vcc
	v_and_b32_e32 v1, 0x7f800000, v0
	v_cmp_ne_u32_e64 s[26:27], s97, v1
                                        ; implicit-def: $vgpr98
	s_and_saveexec_b64 s[34:35], s[26:27]
	s_xor_b64 s[26:27], exec, s[34:35]
; %bb.2677:                             ;   in Loop: Header=BB29_2663 Depth=2
	v_bfe_u32 v1, v0, 16, 1
	v_add3_u32 v98, v0, v1, s46
                                        ; implicit-def: $vgpr0
; %bb.2678:                             ;   in Loop: Header=BB29_2663 Depth=2
	s_andn2_saveexec_b64 s[34:35], s[26:27]
; %bb.2679:                             ;   in Loop: Header=BB29_2663 Depth=2
	v_or_b32_e32 v1, 0x10000, v0
	v_cmp_eq_u32_sdwa s[26:27], v0, v3 src0_sel:WORD_0 src1_sel:DWORD
	s_nop 1
	v_cndmask_b32_e64 v98, v1, v0, s[26:27]
; %bb.2680:                             ;   in Loop: Header=BB29_2663 Depth=2
	s_or_b64 exec, exec, s[34:35]
	v_lshlrev_b32_e32 v0, 16, v87
	v_lshlrev_b32_e32 v1, 16, v20
	v_max_f32_e32 v1, v1, v1
	v_max_f32_e32 v0, v0, v0
	v_min_f32_e32 v87, v0, v1
	v_max_f32_e32 v0, v0, v1
	v_cndmask_b32_e32 v0, v0, v87, vcc
	v_and_b32_e32 v1, 0x7f800000, v0
	v_cmp_ne_u32_e64 s[26:27], s97, v1
                                        ; implicit-def: $vgpr87
	s_and_saveexec_b64 s[34:35], s[26:27]
	s_xor_b64 s[26:27], exec, s[34:35]
; %bb.2681:                             ;   in Loop: Header=BB29_2663 Depth=2
	v_bfe_u32 v1, v0, 16, 1
	v_add3_u32 v87, v0, v1, s46
                                        ; implicit-def: $vgpr0
; %bb.2682:                             ;   in Loop: Header=BB29_2663 Depth=2
	s_andn2_saveexec_b64 s[34:35], s[26:27]
; %bb.2683:                             ;   in Loop: Header=BB29_2663 Depth=2
	v_or_b32_e32 v1, 0x10000, v0
	v_cmp_eq_u32_sdwa s[26:27], v0, v3 src0_sel:WORD_0 src1_sel:DWORD
	s_nop 1
	v_cndmask_b32_e64 v87, v1, v0, s[26:27]
; %bb.2684:                             ;   in Loop: Header=BB29_2663 Depth=2
	s_or_b64 exec, exec, s[34:35]
	v_lshlrev_b32_e32 v0, 16, v83
	v_lshlrev_b32_e32 v1, 16, v21
	v_max_f32_e32 v1, v1, v1
	v_max_f32_e32 v0, v0, v0
	v_min_f32_e32 v83, v0, v1
	v_max_f32_e32 v0, v0, v1
	v_cndmask_b32_e32 v1, v0, v83, vcc
	v_and_b32_e32 v0, 0x7f800000, v1
	v_cmp_ne_u32_e64 s[26:27], s97, v0
                                        ; implicit-def: $vgpr0
	s_and_saveexec_b64 s[34:35], s[26:27]
	s_xor_b64 s[26:27], exec, s[34:35]
; %bb.2685:                             ;   in Loop: Header=BB29_2663 Depth=2
	v_bfe_u32 v0, v1, 16, 1
	v_add3_u32 v0, v1, v0, s46
                                        ; implicit-def: $vgpr1
; %bb.2686:                             ;   in Loop: Header=BB29_2663 Depth=2
	s_andn2_saveexec_b64 s[34:35], s[26:27]
; %bb.2687:                             ;   in Loop: Header=BB29_2663 Depth=2
	v_or_b32_e32 v0, 0x10000, v1
	v_cmp_eq_u32_sdwa s[26:27], v1, v3 src0_sel:WORD_0 src1_sel:DWORD
	s_nop 1
	v_cndmask_b32_e64 v0, v0, v1, s[26:27]
; %bb.2688:                             ;   in Loop: Header=BB29_2663 Depth=2
	s_or_b64 exec, exec, s[34:35]
	v_lshlrev_b32_e32 v1, 16, v80
	v_lshlrev_b32_e32 v80, 16, v22
	v_max_f32_e32 v80, v80, v80
	v_max_f32_e32 v1, v1, v1
	v_min_f32_e32 v83, v1, v80
	v_max_f32_e32 v1, v1, v80
	v_cndmask_b32_e32 v1, v1, v83, vcc
	v_and_b32_e32 v80, 0x7f800000, v1
	v_cmp_ne_u32_e64 s[26:27], s97, v80
                                        ; implicit-def: $vgpr80
	s_and_saveexec_b64 s[34:35], s[26:27]
	s_xor_b64 s[26:27], exec, s[34:35]
; %bb.2689:                             ;   in Loop: Header=BB29_2663 Depth=2
	v_bfe_u32 v80, v1, 16, 1
	v_add3_u32 v80, v1, v80, s46
                                        ; implicit-def: $vgpr1
; %bb.2690:                             ;   in Loop: Header=BB29_2663 Depth=2
	s_andn2_saveexec_b64 s[34:35], s[26:27]
; %bb.2691:                             ;   in Loop: Header=BB29_2663 Depth=2
	v_or_b32_e32 v80, 0x10000, v1
	v_cmp_eq_u32_sdwa s[26:27], v1, v3 src0_sel:WORD_0 src1_sel:DWORD
	s_nop 1
	v_cndmask_b32_e64 v80, v80, v1, s[26:27]
; %bb.2692:                             ;   in Loop: Header=BB29_2663 Depth=2
	s_or_b64 exec, exec, s[34:35]
	v_lshlrev_b32_e32 v1, 16, v69
	v_lshlrev_b32_e32 v69, 16, v23
	v_max_f32_e32 v69, v69, v69
	v_max_f32_e32 v1, v1, v1
	v_min_f32_e32 v83, v1, v69
	v_max_f32_e32 v1, v1, v69
	v_cndmask_b32_e32 v1, v1, v83, vcc
	v_and_b32_e32 v69, 0x7f800000, v1
	v_cmp_ne_u32_e64 s[26:27], s97, v69
                                        ; implicit-def: $vgpr69
	s_and_saveexec_b64 s[34:35], s[26:27]
	s_xor_b64 s[26:27], exec, s[34:35]
; %bb.2693:                             ;   in Loop: Header=BB29_2663 Depth=2
	v_bfe_u32 v69, v1, 16, 1
	v_add3_u32 v69, v1, v69, s46
                                        ; implicit-def: $vgpr1
; %bb.2694:                             ;   in Loop: Header=BB29_2663 Depth=2
	s_andn2_saveexec_b64 s[34:35], s[26:27]
; %bb.2695:                             ;   in Loop: Header=BB29_2663 Depth=2
	v_or_b32_e32 v69, 0x10000, v1
	v_cmp_eq_u32_sdwa s[26:27], v1, v3 src0_sel:WORD_0 src1_sel:DWORD
	s_nop 1
	v_cndmask_b32_e64 v69, v69, v1, s[26:27]
; %bb.2696:                             ;   in Loop: Header=BB29_2663 Depth=2
	s_or_b64 exec, exec, s[34:35]
	v_lshlrev_b32_e32 v1, 16, v66
	v_lshlrev_b32_e32 v66, 16, v24
	v_max_f32_e32 v66, v66, v66
	v_max_f32_e32 v1, v1, v1
	v_min_f32_e32 v83, v1, v66
	v_max_f32_e32 v1, v1, v66
	v_cndmask_b32_e32 v1, v1, v83, vcc
	v_and_b32_e32 v66, 0x7f800000, v1
	v_cmp_ne_u32_e64 s[26:27], s97, v66
                                        ; implicit-def: $vgpr66
	s_and_saveexec_b64 s[34:35], s[26:27]
	s_xor_b64 s[26:27], exec, s[34:35]
; %bb.2697:                             ;   in Loop: Header=BB29_2663 Depth=2
	v_bfe_u32 v66, v1, 16, 1
	v_add3_u32 v66, v1, v66, s46
                                        ; implicit-def: $vgpr1
; %bb.2698:                             ;   in Loop: Header=BB29_2663 Depth=2
	s_andn2_saveexec_b64 s[34:35], s[26:27]
; %bb.2699:                             ;   in Loop: Header=BB29_2663 Depth=2
	v_or_b32_e32 v66, 0x10000, v1
	v_cmp_eq_u32_sdwa s[26:27], v1, v3 src0_sel:WORD_0 src1_sel:DWORD
	s_nop 1
	v_cndmask_b32_e64 v66, v66, v1, s[26:27]
; %bb.2700:                             ;   in Loop: Header=BB29_2663 Depth=2
	s_or_b64 exec, exec, s[34:35]
	v_lshlrev_b32_e32 v1, 16, v55
	v_lshlrev_b32_e32 v55, 16, v25
	v_max_f32_e32 v55, v55, v55
	v_max_f32_e32 v1, v1, v1
	v_min_f32_e32 v83, v1, v55
	v_max_f32_e32 v1, v1, v55
	v_cndmask_b32_e32 v1, v1, v83, vcc
	v_and_b32_e32 v55, 0x7f800000, v1
	v_cmp_ne_u32_e64 s[26:27], s97, v55
                                        ; implicit-def: $vgpr55
	s_and_saveexec_b64 s[34:35], s[26:27]
	s_xor_b64 s[26:27], exec, s[34:35]
; %bb.2701:                             ;   in Loop: Header=BB29_2663 Depth=2
	v_bfe_u32 v55, v1, 16, 1
	v_add3_u32 v55, v1, v55, s46
                                        ; implicit-def: $vgpr1
; %bb.2702:                             ;   in Loop: Header=BB29_2663 Depth=2
	s_andn2_saveexec_b64 s[34:35], s[26:27]
; %bb.2703:                             ;   in Loop: Header=BB29_2663 Depth=2
	v_or_b32_e32 v55, 0x10000, v1
	v_cmp_eq_u32_sdwa s[26:27], v1, v3 src0_sel:WORD_0 src1_sel:DWORD
	s_nop 1
	v_cndmask_b32_e64 v55, v55, v1, s[26:27]
; %bb.2704:                             ;   in Loop: Header=BB29_2663 Depth=2
	s_or_b64 exec, exec, s[34:35]
	v_lshlrev_b32_e32 v1, 16, v51
	v_lshlrev_b32_e32 v51, 16, v26
	v_max_f32_e32 v51, v51, v51
	v_max_f32_e32 v1, v1, v1
	v_min_f32_e32 v83, v1, v51
	v_max_f32_e32 v1, v1, v51
	v_cndmask_b32_e32 v1, v1, v83, vcc
	v_and_b32_e32 v51, 0x7f800000, v1
	v_cmp_ne_u32_e64 s[26:27], s97, v51
                                        ; implicit-def: $vgpr51
	s_and_saveexec_b64 s[34:35], s[26:27]
	s_xor_b64 s[26:27], exec, s[34:35]
; %bb.2705:                             ;   in Loop: Header=BB29_2663 Depth=2
	v_bfe_u32 v51, v1, 16, 1
	v_add3_u32 v51, v1, v51, s46
                                        ; implicit-def: $vgpr1
; %bb.2706:                             ;   in Loop: Header=BB29_2663 Depth=2
	s_andn2_saveexec_b64 s[34:35], s[26:27]
; %bb.2707:                             ;   in Loop: Header=BB29_2663 Depth=2
	v_or_b32_e32 v51, 0x10000, v1
	v_cmp_eq_u32_sdwa s[26:27], v1, v3 src0_sel:WORD_0 src1_sel:DWORD
	s_nop 1
	v_cndmask_b32_e64 v51, v51, v1, s[26:27]
; %bb.2708:                             ;   in Loop: Header=BB29_2663 Depth=2
	s_or_b64 exec, exec, s[34:35]
	v_lshlrev_b32_e32 v1, 16, v48
	v_lshlrev_b32_e32 v48, 16, v27
	v_max_f32_e32 v48, v48, v48
	v_max_f32_e32 v1, v1, v1
	v_min_f32_e32 v83, v1, v48
	v_max_f32_e32 v1, v1, v48
	v_cndmask_b32_e32 v1, v1, v83, vcc
	v_and_b32_e32 v48, 0x7f800000, v1
	v_cmp_ne_u32_e64 s[26:27], s97, v48
                                        ; implicit-def: $vgpr48
	s_and_saveexec_b64 s[34:35], s[26:27]
	s_xor_b64 s[26:27], exec, s[34:35]
; %bb.2709:                             ;   in Loop: Header=BB29_2663 Depth=2
	v_bfe_u32 v48, v1, 16, 1
	v_add3_u32 v48, v1, v48, s46
                                        ; implicit-def: $vgpr1
; %bb.2710:                             ;   in Loop: Header=BB29_2663 Depth=2
	s_andn2_saveexec_b64 s[34:35], s[26:27]
; %bb.2711:                             ;   in Loop: Header=BB29_2663 Depth=2
	v_or_b32_e32 v48, 0x10000, v1
	v_cmp_eq_u32_sdwa s[26:27], v1, v3 src0_sel:WORD_0 src1_sel:DWORD
	s_nop 1
	v_cndmask_b32_e64 v48, v48, v1, s[26:27]
; %bb.2712:                             ;   in Loop: Header=BB29_2663 Depth=2
	s_or_b64 exec, exec, s[34:35]
	v_lshlrev_b32_e32 v1, 16, v39
	v_lshlrev_b32_e32 v39, 16, v32
	v_max_f32_e32 v39, v39, v39
	v_max_f32_e32 v1, v1, v1
	v_min_f32_e32 v83, v1, v39
	v_max_f32_e32 v1, v1, v39
	v_cndmask_b32_e32 v1, v1, v83, vcc
	v_and_b32_e32 v39, 0x7f800000, v1
	v_cmp_ne_u32_e64 s[26:27], s97, v39
                                        ; implicit-def: $vgpr39
	s_and_saveexec_b64 s[34:35], s[26:27]
	s_xor_b64 s[26:27], exec, s[34:35]
; %bb.2713:                             ;   in Loop: Header=BB29_2663 Depth=2
	v_bfe_u32 v39, v1, 16, 1
	v_add3_u32 v39, v1, v39, s46
                                        ; implicit-def: $vgpr1
; %bb.2714:                             ;   in Loop: Header=BB29_2663 Depth=2
	s_andn2_saveexec_b64 s[34:35], s[26:27]
; %bb.2715:                             ;   in Loop: Header=BB29_2663 Depth=2
	v_or_b32_e32 v39, 0x10000, v1
	v_cmp_eq_u32_sdwa s[26:27], v1, v3 src0_sel:WORD_0 src1_sel:DWORD
	s_nop 1
	v_cndmask_b32_e64 v39, v39, v1, s[26:27]
; %bb.2716:                             ;   in Loop: Header=BB29_2663 Depth=2
	s_or_b64 exec, exec, s[34:35]
	v_lshlrev_b32_e32 v1, 16, v38
	v_lshlrev_b32_e32 v38, 16, v33
	v_max_f32_e32 v38, v38, v38
	v_max_f32_e32 v1, v1, v1
	v_min_f32_e32 v83, v1, v38
	v_max_f32_e32 v1, v1, v38
	v_cndmask_b32_e32 v38, v1, v83, vcc
	v_and_b32_e32 v1, 0x7f800000, v38
	v_cmp_ne_u32_e64 s[26:27], s97, v1
                                        ; implicit-def: $vgpr1
	s_and_saveexec_b64 s[34:35], s[26:27]
	s_xor_b64 s[26:27], exec, s[34:35]
; %bb.2717:                             ;   in Loop: Header=BB29_2663 Depth=2
	v_bfe_u32 v1, v38, 16, 1
	v_add3_u32 v1, v38, v1, s46
                                        ; implicit-def: $vgpr38
; %bb.2718:                             ;   in Loop: Header=BB29_2663 Depth=2
	s_andn2_saveexec_b64 s[34:35], s[26:27]
; %bb.2719:                             ;   in Loop: Header=BB29_2663 Depth=2
	v_or_b32_e32 v1, 0x10000, v38
	v_cmp_eq_u32_sdwa s[26:27], v38, v3 src0_sel:WORD_0 src1_sel:DWORD
	s_nop 1
	v_cndmask_b32_e64 v1, v1, v38, s[26:27]
; %bb.2720:                             ;   in Loop: Header=BB29_2663 Depth=2
	s_or_b64 exec, exec, s[34:35]
	v_lshlrev_b32_e32 v37, 16, v37
	v_lshlrev_b32_e32 v38, 16, v34
	v_max_f32_e32 v38, v38, v38
	v_max_f32_e32 v37, v37, v37
	v_min_f32_e32 v83, v37, v38
	v_max_f32_e32 v37, v37, v38
	v_cndmask_b32_e32 v38, v37, v83, vcc
	v_and_b32_e32 v37, 0x7f800000, v38
	v_cmp_ne_u32_e64 s[26:27], s97, v37
                                        ; implicit-def: $vgpr37
	s_and_saveexec_b64 s[34:35], s[26:27]
	s_xor_b64 s[26:27], exec, s[34:35]
; %bb.2721:                             ;   in Loop: Header=BB29_2663 Depth=2
	v_bfe_u32 v37, v38, 16, 1
	v_add3_u32 v37, v38, v37, s46
                                        ; implicit-def: $vgpr38
; %bb.2722:                             ;   in Loop: Header=BB29_2663 Depth=2
	s_andn2_saveexec_b64 s[34:35], s[26:27]
; %bb.2723:                             ;   in Loop: Header=BB29_2663 Depth=2
	v_or_b32_e32 v37, 0x10000, v38
	v_cmp_eq_u32_sdwa s[26:27], v38, v3 src0_sel:WORD_0 src1_sel:DWORD
	s_nop 1
	v_cndmask_b32_e64 v37, v37, v38, s[26:27]
; %bb.2724:                             ;   in Loop: Header=BB29_2663 Depth=2
	s_or_b64 exec, exec, s[34:35]
	v_lshlrev_b32_e32 v36, 16, v36
	v_lshlrev_b32_e32 v38, 16, v35
	v_max_f32_e32 v38, v38, v38
	v_max_f32_e32 v36, v36, v36
	v_min_f32_e32 v83, v36, v38
	v_max_f32_e32 v36, v36, v38
	v_cndmask_b32_e32 v38, v36, v83, vcc
	v_and_b32_e32 v36, 0x7f800000, v38
	v_cmp_ne_u32_e64 s[26:27], s97, v36
                                        ; implicit-def: $vgpr36
	s_and_saveexec_b64 s[34:35], s[26:27]
	s_xor_b64 s[26:27], exec, s[34:35]
; %bb.2725:                             ;   in Loop: Header=BB29_2663 Depth=2
	v_bfe_u32 v36, v38, 16, 1
	v_add3_u32 v36, v38, v36, s46
                                        ; implicit-def: $vgpr38
; %bb.2726:                             ;   in Loop: Header=BB29_2663 Depth=2
	s_andn2_saveexec_b64 s[34:35], s[26:27]
; %bb.2727:                             ;   in Loop: Header=BB29_2663 Depth=2
	v_or_b32_e32 v36, 0x10000, v38
	v_cmp_eq_u32_sdwa s[26:27], v38, v3 src0_sel:WORD_0 src1_sel:DWORD
	s_nop 1
	v_cndmask_b32_e64 v36, v36, v38, s[26:27]
; %bb.2728:                             ;   in Loop: Header=BB29_2663 Depth=2
	s_or_b64 exec, exec, s[34:35]
	v_lshrrev_b32_e32 v115, 16, v6
	v_lshrrev_b32_e32 v37, 16, v37
	;; [unrolled: 1-line block ×16, first 2 shown]
	flat_store_short v[4:5], v115 nt
	flat_store_short v[4:5], v112 offset:128 nt
	flat_store_short v[4:5], v101 offset:256 nt
	;; [unrolled: 1-line block ×15, first 2 shown]
	v_lshl_add_u64 v[4:5], v[4:5], 0, v[104:105]
.LBB29_2729:                            ;   in Loop: Header=BB29_2663 Depth=2
	s_or_b64 exec, exec, s[36:37]
	v_sub_u32_e32 v15, v15, v60
	v_lshl_add_u64 v[8:9], v[8:9], 0, v[104:105]
	v_lshl_add_u64 v[10:11], v[10:11], 0, v[104:105]
	v_cmp_lt_i32_e64 s[34:35], 0, v15
	s_and_saveexec_b64 s[26:27], s[34:35]
	s_cbranch_execz .LBB29_2731
; %bb.2730:                             ;   in Loop: Header=BB29_2663 Depth=2
	flat_load_ushort v115, v[8:9] nt
	flat_load_ushort v112, v[8:9] offset:128 nt
	flat_load_ushort v101, v[8:9] offset:256 nt
	;; [unrolled: 1-line block ×15, first 2 shown]
	flat_load_ushort v16, v[10:11] nt
	flat_load_ushort v17, v[10:11] offset:128 nt
	flat_load_ushort v18, v[10:11] offset:256 nt
	;; [unrolled: 1-line block ×15, first 2 shown]
	v_lshl_add_u64 v[8:9], v[8:9], 0, s[62:63]
	v_lshl_add_u64 v[10:11], v[10:11], 0, s[62:63]
.LBB29_2731:                            ;   in Loop: Header=BB29_2663 Depth=2
	s_or_b64 exec, exec, s[26:27]
	s_waitcnt vmcnt(0) lgkmcnt(0)
	v_lshlrev_b32_e32 v0, 16, v62
	v_lshlrev_b32_e32 v1, 16, v63
	v_max_f32_e32 v1, v1, v1
	v_max_f32_e32 v0, v0, v0
	v_min_f32_e32 v6, v0, v1
	v_max_f32_e32 v0, v0, v1
	v_cndmask_b32_e32 v0, v0, v6, vcc
	v_and_b32_e32 v1, 0x7f800000, v0
	v_cmp_ne_u32_e64 s[26:27], s97, v1
                                        ; implicit-def: $vgpr6
	s_and_saveexec_b64 s[36:37], s[26:27]
	s_xor_b64 s[26:27], exec, s[36:37]
; %bb.2732:                             ;   in Loop: Header=BB29_2663 Depth=2
	v_bfe_u32 v1, v0, 16, 1
	v_add3_u32 v6, v0, v1, s46
                                        ; implicit-def: $vgpr0
; %bb.2733:                             ;   in Loop: Header=BB29_2663 Depth=2
	s_andn2_saveexec_b64 s[36:37], s[26:27]
; %bb.2734:                             ;   in Loop: Header=BB29_2663 Depth=2
	v_or_b32_e32 v1, 0x10000, v0
	v_cmp_eq_u32_sdwa s[26:27], v0, v3 src0_sel:WORD_0 src1_sel:DWORD
	s_nop 1
	v_cndmask_b32_e64 v6, v1, v0, s[26:27]
; %bb.2735:                             ;   in Loop: Header=BB29_2663 Depth=2
	s_or_b64 exec, exec, s[36:37]
	v_lshlrev_b32_e32 v0, 16, v58
	v_lshlrev_b32_e32 v1, 16, v59
	v_max_f32_e32 v1, v1, v1
	v_max_f32_e32 v0, v0, v0
	v_min_f32_e32 v7, v0, v1
	v_max_f32_e32 v0, v0, v1
	v_cndmask_b32_e32 v0, v0, v7, vcc
	v_and_b32_e32 v1, 0x7f800000, v0
	v_cmp_ne_u32_e64 s[26:27], s97, v1
                                        ; implicit-def: $vgpr7
	s_and_saveexec_b64 s[36:37], s[26:27]
	s_xor_b64 s[26:27], exec, s[36:37]
; %bb.2736:                             ;   in Loop: Header=BB29_2663 Depth=2
	v_bfe_u32 v1, v0, 16, 1
	v_add3_u32 v7, v0, v1, s46
                                        ; implicit-def: $vgpr0
; %bb.2737:                             ;   in Loop: Header=BB29_2663 Depth=2
	s_andn2_saveexec_b64 s[36:37], s[26:27]
; %bb.2738:                             ;   in Loop: Header=BB29_2663 Depth=2
	v_or_b32_e32 v1, 0x10000, v0
	v_cmp_eq_u32_sdwa s[26:27], v0, v3 src0_sel:WORD_0 src1_sel:DWORD
	s_nop 1
	v_cndmask_b32_e64 v7, v1, v0, s[26:27]
; %bb.2739:                             ;   in Loop: Header=BB29_2663 Depth=2
	s_or_b64 exec, exec, s[36:37]
	v_lshlrev_b32_e32 v0, 16, v44
	v_lshlrev_b32_e32 v1, 16, v45
	v_max_f32_e32 v1, v1, v1
	v_max_f32_e32 v0, v0, v0
	v_min_f32_e32 v30, v0, v1
	v_max_f32_e32 v0, v0, v1
	v_cndmask_b32_e32 v0, v0, v30, vcc
	v_and_b32_e32 v1, 0x7f800000, v0
	v_cmp_ne_u32_e64 s[26:27], s97, v1
                                        ; implicit-def: $vgpr30
	s_and_saveexec_b64 s[36:37], s[26:27]
	s_xor_b64 s[26:27], exec, s[36:37]
; %bb.2740:                             ;   in Loop: Header=BB29_2663 Depth=2
	v_bfe_u32 v1, v0, 16, 1
	v_add3_u32 v30, v0, v1, s46
                                        ; implicit-def: $vgpr0
; %bb.2741:                             ;   in Loop: Header=BB29_2663 Depth=2
	s_andn2_saveexec_b64 s[36:37], s[26:27]
; %bb.2742:                             ;   in Loop: Header=BB29_2663 Depth=2
	v_or_b32_e32 v1, 0x10000, v0
	v_cmp_eq_u32_sdwa s[26:27], v0, v3 src0_sel:WORD_0 src1_sel:DWORD
	s_nop 1
	v_cndmask_b32_e64 v30, v1, v0, s[26:27]
; %bb.2743:                             ;   in Loop: Header=BB29_2663 Depth=2
	s_or_b64 exec, exec, s[36:37]
	v_lshlrev_b32_e32 v0, 16, v118
	v_lshlrev_b32_e32 v1, 16, v119
	v_max_f32_e32 v1, v1, v1
	v_max_f32_e32 v0, v0, v0
	v_min_f32_e32 v118, v0, v1
	v_max_f32_e32 v0, v0, v1
	v_cndmask_b32_e32 v0, v0, v118, vcc
	v_and_b32_e32 v1, 0x7f800000, v0
	v_cmp_ne_u32_e64 s[26:27], s97, v1
                                        ; implicit-def: $vgpr118
	s_and_saveexec_b64 s[36:37], s[26:27]
	s_xor_b64 s[26:27], exec, s[36:37]
; %bb.2744:                             ;   in Loop: Header=BB29_2663 Depth=2
	v_bfe_u32 v1, v0, 16, 1
	v_add3_u32 v118, v0, v1, s46
                                        ; implicit-def: $vgpr0
; %bb.2745:                             ;   in Loop: Header=BB29_2663 Depth=2
	s_andn2_saveexec_b64 s[36:37], s[26:27]
; %bb.2746:                             ;   in Loop: Header=BB29_2663 Depth=2
	v_or_b32_e32 v1, 0x10000, v0
	v_cmp_eq_u32_sdwa s[26:27], v0, v3 src0_sel:WORD_0 src1_sel:DWORD
	s_nop 1
	v_cndmask_b32_e64 v118, v1, v0, s[26:27]
; %bb.2747:                             ;   in Loop: Header=BB29_2663 Depth=2
	s_or_b64 exec, exec, s[36:37]
	v_lshlrev_b32_e32 v0, 16, v113
	v_lshlrev_b32_e32 v1, 16, v114
	v_max_f32_e32 v1, v1, v1
	v_max_f32_e32 v0, v0, v0
	v_min_f32_e32 v113, v0, v1
	v_max_f32_e32 v0, v0, v1
	v_cndmask_b32_e32 v1, v0, v113, vcc
	v_and_b32_e32 v0, 0x7f800000, v1
	v_cmp_ne_u32_e64 s[26:27], s97, v0
                                        ; implicit-def: $vgpr0
	s_and_saveexec_b64 s[36:37], s[26:27]
	s_xor_b64 s[26:27], exec, s[36:37]
; %bb.2748:                             ;   in Loop: Header=BB29_2663 Depth=2
	v_bfe_u32 v0, v1, 16, 1
	v_add3_u32 v0, v1, v0, s46
                                        ; implicit-def: $vgpr1
; %bb.2749:                             ;   in Loop: Header=BB29_2663 Depth=2
	s_andn2_saveexec_b64 s[36:37], s[26:27]
; %bb.2750:                             ;   in Loop: Header=BB29_2663 Depth=2
	v_or_b32_e32 v0, 0x10000, v1
	v_cmp_eq_u32_sdwa s[26:27], v1, v3 src0_sel:WORD_0 src1_sel:DWORD
	s_nop 1
	v_cndmask_b32_e64 v0, v0, v1, s[26:27]
; %bb.2751:                             ;   in Loop: Header=BB29_2663 Depth=2
	s_or_b64 exec, exec, s[36:37]
	v_lshlrev_b32_e32 v1, 16, v102
	v_lshlrev_b32_e32 v102, 16, v103
	v_max_f32_e32 v102, v102, v102
	v_max_f32_e32 v1, v1, v1
	v_min_f32_e32 v103, v1, v102
	v_max_f32_e32 v1, v1, v102
	v_cndmask_b32_e32 v1, v1, v103, vcc
	v_and_b32_e32 v102, 0x7f800000, v1
	v_cmp_ne_u32_e64 s[26:27], s97, v102
                                        ; implicit-def: $vgpr102
	s_and_saveexec_b64 s[36:37], s[26:27]
	s_xor_b64 s[26:27], exec, s[36:37]
; %bb.2752:                             ;   in Loop: Header=BB29_2663 Depth=2
	v_bfe_u32 v102, v1, 16, 1
	v_add3_u32 v102, v1, v102, s46
                                        ; implicit-def: $vgpr1
; %bb.2753:                             ;   in Loop: Header=BB29_2663 Depth=2
	s_andn2_saveexec_b64 s[36:37], s[26:27]
; %bb.2754:                             ;   in Loop: Header=BB29_2663 Depth=2
	v_or_b32_e32 v102, 0x10000, v1
	v_cmp_eq_u32_sdwa s[26:27], v1, v3 src0_sel:WORD_0 src1_sel:DWORD
	s_nop 1
	v_cndmask_b32_e64 v102, v102, v1, s[26:27]
; %bb.2755:                             ;   in Loop: Header=BB29_2663 Depth=2
	s_or_b64 exec, exec, s[36:37]
	v_lshlrev_b32_e32 v1, 16, v99
	v_lshlrev_b32_e32 v99, 16, v100
	v_max_f32_e32 v99, v99, v99
	v_max_f32_e32 v1, v1, v1
	v_min_f32_e32 v100, v1, v99
	v_max_f32_e32 v1, v1, v99
	v_cndmask_b32_e32 v1, v1, v100, vcc
	v_and_b32_e32 v99, 0x7f800000, v1
	v_cmp_ne_u32_e64 s[26:27], s97, v99
                                        ; implicit-def: $vgpr99
	s_and_saveexec_b64 s[36:37], s[26:27]
	s_xor_b64 s[26:27], exec, s[36:37]
; %bb.2756:                             ;   in Loop: Header=BB29_2663 Depth=2
	v_bfe_u32 v99, v1, 16, 1
	v_add3_u32 v99, v1, v99, s46
                                        ; implicit-def: $vgpr1
; %bb.2757:                             ;   in Loop: Header=BB29_2663 Depth=2
	s_andn2_saveexec_b64 s[36:37], s[26:27]
; %bb.2758:                             ;   in Loop: Header=BB29_2663 Depth=2
	v_or_b32_e32 v99, 0x10000, v1
	v_cmp_eq_u32_sdwa s[26:27], v1, v3 src0_sel:WORD_0 src1_sel:DWORD
	s_nop 1
	v_cndmask_b32_e64 v99, v99, v1, s[26:27]
; %bb.2759:                             ;   in Loop: Header=BB29_2663 Depth=2
	s_or_b64 exec, exec, s[36:37]
	v_lshlrev_b32_e32 v1, 16, v96
	v_lshlrev_b32_e32 v96, 16, v97
	v_max_f32_e32 v96, v96, v96
	v_max_f32_e32 v1, v1, v1
	v_min_f32_e32 v97, v1, v96
	v_max_f32_e32 v1, v1, v96
	v_cndmask_b32_e32 v1, v1, v97, vcc
	v_and_b32_e32 v96, 0x7f800000, v1
	v_cmp_ne_u32_e64 s[26:27], s97, v96
                                        ; implicit-def: $vgpr96
	s_and_saveexec_b64 s[36:37], s[26:27]
	s_xor_b64 s[26:27], exec, s[36:37]
; %bb.2760:                             ;   in Loop: Header=BB29_2663 Depth=2
	v_bfe_u32 v96, v1, 16, 1
	v_add3_u32 v96, v1, v96, s46
                                        ; implicit-def: $vgpr1
; %bb.2761:                             ;   in Loop: Header=BB29_2663 Depth=2
	s_andn2_saveexec_b64 s[36:37], s[26:27]
; %bb.2762:                             ;   in Loop: Header=BB29_2663 Depth=2
	v_or_b32_e32 v96, 0x10000, v1
	v_cmp_eq_u32_sdwa s[26:27], v1, v3 src0_sel:WORD_0 src1_sel:DWORD
	s_nop 1
	v_cndmask_b32_e64 v96, v96, v1, s[26:27]
; %bb.2763:                             ;   in Loop: Header=BB29_2663 Depth=2
	s_or_b64 exec, exec, s[36:37]
	v_lshlrev_b32_e32 v1, 16, v85
	v_lshlrev_b32_e32 v85, 16, v86
	v_max_f32_e32 v85, v85, v85
	v_max_f32_e32 v1, v1, v1
	v_min_f32_e32 v86, v1, v85
	v_max_f32_e32 v1, v1, v85
	v_cndmask_b32_e32 v1, v1, v86, vcc
	v_and_b32_e32 v85, 0x7f800000, v1
	v_cmp_ne_u32_e64 s[26:27], s97, v85
                                        ; implicit-def: $vgpr85
	s_and_saveexec_b64 s[36:37], s[26:27]
	s_xor_b64 s[26:27], exec, s[36:37]
; %bb.2764:                             ;   in Loop: Header=BB29_2663 Depth=2
	v_bfe_u32 v85, v1, 16, 1
	v_add3_u32 v85, v1, v85, s46
                                        ; implicit-def: $vgpr1
; %bb.2765:                             ;   in Loop: Header=BB29_2663 Depth=2
	s_andn2_saveexec_b64 s[36:37], s[26:27]
; %bb.2766:                             ;   in Loop: Header=BB29_2663 Depth=2
	v_or_b32_e32 v85, 0x10000, v1
	v_cmp_eq_u32_sdwa s[26:27], v1, v3 src0_sel:WORD_0 src1_sel:DWORD
	s_nop 1
	v_cndmask_b32_e64 v85, v85, v1, s[26:27]
; %bb.2767:                             ;   in Loop: Header=BB29_2663 Depth=2
	s_or_b64 exec, exec, s[36:37]
	v_lshlrev_b32_e32 v1, 16, v82
	v_lshlrev_b32_e32 v82, 16, v84
	v_max_f32_e32 v82, v82, v82
	v_max_f32_e32 v1, v1, v1
	v_min_f32_e32 v84, v1, v82
	v_max_f32_e32 v1, v1, v82
	v_cndmask_b32_e32 v1, v1, v84, vcc
	v_and_b32_e32 v82, 0x7f800000, v1
	v_cmp_ne_u32_e64 s[26:27], s97, v82
                                        ; implicit-def: $vgpr82
	s_and_saveexec_b64 s[36:37], s[26:27]
	s_xor_b64 s[26:27], exec, s[36:37]
; %bb.2768:                             ;   in Loop: Header=BB29_2663 Depth=2
	v_bfe_u32 v82, v1, 16, 1
	v_add3_u32 v82, v1, v82, s46
                                        ; implicit-def: $vgpr1
; %bb.2769:                             ;   in Loop: Header=BB29_2663 Depth=2
	s_andn2_saveexec_b64 s[36:37], s[26:27]
; %bb.2770:                             ;   in Loop: Header=BB29_2663 Depth=2
	v_or_b32_e32 v82, 0x10000, v1
	v_cmp_eq_u32_sdwa s[26:27], v1, v3 src0_sel:WORD_0 src1_sel:DWORD
	s_nop 1
	v_cndmask_b32_e64 v82, v82, v1, s[26:27]
; %bb.2771:                             ;   in Loop: Header=BB29_2663 Depth=2
	s_or_b64 exec, exec, s[36:37]
	v_lshlrev_b32_e32 v1, 16, v71
	v_lshlrev_b32_e32 v71, 16, v81
	v_max_f32_e32 v71, v71, v71
	v_max_f32_e32 v1, v1, v1
	v_min_f32_e32 v81, v1, v71
	v_max_f32_e32 v1, v1, v71
	v_cndmask_b32_e32 v1, v1, v81, vcc
	v_and_b32_e32 v71, 0x7f800000, v1
	v_cmp_ne_u32_e64 s[26:27], s97, v71
                                        ; implicit-def: $vgpr71
	s_and_saveexec_b64 s[36:37], s[26:27]
	s_xor_b64 s[26:27], exec, s[36:37]
; %bb.2772:                             ;   in Loop: Header=BB29_2663 Depth=2
	v_bfe_u32 v71, v1, 16, 1
	v_add3_u32 v71, v1, v71, s46
                                        ; implicit-def: $vgpr1
; %bb.2773:                             ;   in Loop: Header=BB29_2663 Depth=2
	s_andn2_saveexec_b64 s[36:37], s[26:27]
; %bb.2774:                             ;   in Loop: Header=BB29_2663 Depth=2
	v_or_b32_e32 v71, 0x10000, v1
	v_cmp_eq_u32_sdwa s[26:27], v1, v3 src0_sel:WORD_0 src1_sel:DWORD
	s_nop 1
	v_cndmask_b32_e64 v71, v71, v1, s[26:27]
; %bb.2775:                             ;   in Loop: Header=BB29_2663 Depth=2
	s_or_b64 exec, exec, s[36:37]
	v_lshlrev_b32_e32 v1, 16, v68
	v_lshlrev_b32_e32 v68, 16, v70
	v_max_f32_e32 v68, v68, v68
	v_max_f32_e32 v1, v1, v1
	v_min_f32_e32 v70, v1, v68
	v_max_f32_e32 v1, v1, v68
	v_cndmask_b32_e32 v1, v1, v70, vcc
	v_and_b32_e32 v68, 0x7f800000, v1
	v_cmp_ne_u32_e64 s[26:27], s97, v68
                                        ; implicit-def: $vgpr68
	s_and_saveexec_b64 s[36:37], s[26:27]
	s_xor_b64 s[26:27], exec, s[36:37]
; %bb.2776:                             ;   in Loop: Header=BB29_2663 Depth=2
	v_bfe_u32 v68, v1, 16, 1
	v_add3_u32 v68, v1, v68, s46
                                        ; implicit-def: $vgpr1
; %bb.2777:                             ;   in Loop: Header=BB29_2663 Depth=2
	s_andn2_saveexec_b64 s[36:37], s[26:27]
; %bb.2778:                             ;   in Loop: Header=BB29_2663 Depth=2
	v_or_b32_e32 v68, 0x10000, v1
	v_cmp_eq_u32_sdwa s[26:27], v1, v3 src0_sel:WORD_0 src1_sel:DWORD
	s_nop 1
	v_cndmask_b32_e64 v68, v68, v1, s[26:27]
; %bb.2779:                             ;   in Loop: Header=BB29_2663 Depth=2
	s_or_b64 exec, exec, s[36:37]
	v_lshlrev_b32_e32 v1, 16, v65
	v_lshlrev_b32_e32 v65, 16, v67
	v_max_f32_e32 v65, v65, v65
	v_max_f32_e32 v1, v1, v1
	v_min_f32_e32 v67, v1, v65
	v_max_f32_e32 v1, v1, v65
	v_cndmask_b32_e32 v1, v1, v67, vcc
	v_and_b32_e32 v65, 0x7f800000, v1
	v_cmp_ne_u32_e64 s[26:27], s97, v65
                                        ; implicit-def: $vgpr65
	s_and_saveexec_b64 s[36:37], s[26:27]
	s_xor_b64 s[26:27], exec, s[36:37]
; %bb.2780:                             ;   in Loop: Header=BB29_2663 Depth=2
	v_bfe_u32 v65, v1, 16, 1
	v_add3_u32 v65, v1, v65, s46
                                        ; implicit-def: $vgpr1
; %bb.2781:                             ;   in Loop: Header=BB29_2663 Depth=2
	s_andn2_saveexec_b64 s[36:37], s[26:27]
; %bb.2782:                             ;   in Loop: Header=BB29_2663 Depth=2
	v_or_b32_e32 v65, 0x10000, v1
	v_cmp_eq_u32_sdwa s[26:27], v1, v3 src0_sel:WORD_0 src1_sel:DWORD
	s_nop 1
	v_cndmask_b32_e64 v65, v65, v1, s[26:27]
; %bb.2783:                             ;   in Loop: Header=BB29_2663 Depth=2
	s_or_b64 exec, exec, s[36:37]
	v_lshlrev_b32_e32 v1, 16, v54
	v_lshlrev_b32_e32 v54, 16, v64
	v_max_f32_e32 v54, v54, v54
	v_max_f32_e32 v1, v1, v1
	v_min_f32_e32 v64, v1, v54
	v_max_f32_e32 v1, v1, v54
	v_cndmask_b32_e32 v1, v1, v64, vcc
	v_and_b32_e32 v54, 0x7f800000, v1
	v_cmp_ne_u32_e64 s[26:27], s97, v54
                                        ; implicit-def: $vgpr54
	s_and_saveexec_b64 s[36:37], s[26:27]
	s_xor_b64 s[26:27], exec, s[36:37]
; %bb.2784:                             ;   in Loop: Header=BB29_2663 Depth=2
	v_bfe_u32 v54, v1, 16, 1
	v_add3_u32 v54, v1, v54, s46
                                        ; implicit-def: $vgpr1
; %bb.2785:                             ;   in Loop: Header=BB29_2663 Depth=2
	s_andn2_saveexec_b64 s[36:37], s[26:27]
; %bb.2786:                             ;   in Loop: Header=BB29_2663 Depth=2
	v_or_b32_e32 v54, 0x10000, v1
	v_cmp_eq_u32_sdwa s[26:27], v1, v3 src0_sel:WORD_0 src1_sel:DWORD
	s_nop 1
	v_cndmask_b32_e64 v54, v54, v1, s[26:27]
; %bb.2787:                             ;   in Loop: Header=BB29_2663 Depth=2
	s_or_b64 exec, exec, s[36:37]
	v_lshlrev_b32_e32 v1, 16, v52
	v_lshlrev_b32_e32 v52, 16, v53
	v_max_f32_e32 v52, v52, v52
	v_max_f32_e32 v1, v1, v1
	v_min_f32_e32 v53, v1, v52
	v_max_f32_e32 v1, v1, v52
	v_cndmask_b32_e32 v52, v1, v53, vcc
	v_and_b32_e32 v1, 0x7f800000, v52
	v_cmp_ne_u32_e64 s[26:27], s97, v1
                                        ; implicit-def: $vgpr1
	s_and_saveexec_b64 s[36:37], s[26:27]
	s_xor_b64 s[26:27], exec, s[36:37]
; %bb.2788:                             ;   in Loop: Header=BB29_2663 Depth=2
	v_bfe_u32 v1, v52, 16, 1
	v_add3_u32 v1, v52, v1, s46
                                        ; implicit-def: $vgpr52
; %bb.2789:                             ;   in Loop: Header=BB29_2663 Depth=2
	s_andn2_saveexec_b64 s[36:37], s[26:27]
; %bb.2790:                             ;   in Loop: Header=BB29_2663 Depth=2
	v_or_b32_e32 v1, 0x10000, v52
	v_cmp_eq_u32_sdwa s[26:27], v52, v3 src0_sel:WORD_0 src1_sel:DWORD
	s_nop 1
	v_cndmask_b32_e64 v1, v1, v52, s[26:27]
; %bb.2791:                             ;   in Loop: Header=BB29_2663 Depth=2
	s_or_b64 exec, exec, s[36:37]
	v_lshlrev_b32_e32 v49, 16, v49
	v_lshlrev_b32_e32 v50, 16, v50
	v_max_f32_e32 v50, v50, v50
	v_max_f32_e32 v49, v49, v49
	v_min_f32_e32 v52, v49, v50
	v_max_f32_e32 v49, v49, v50
	v_cndmask_b32_e32 v50, v49, v52, vcc
	v_and_b32_e32 v49, 0x7f800000, v50
	v_cmp_ne_u32_e64 s[26:27], s97, v49
                                        ; implicit-def: $vgpr49
	s_and_saveexec_b64 s[36:37], s[26:27]
	s_xor_b64 s[26:27], exec, s[36:37]
; %bb.2792:                             ;   in Loop: Header=BB29_2663 Depth=2
	v_bfe_u32 v49, v50, 16, 1
	v_add3_u32 v49, v50, v49, s46
                                        ; implicit-def: $vgpr50
; %bb.2793:                             ;   in Loop: Header=BB29_2663 Depth=2
	s_andn2_saveexec_b64 s[36:37], s[26:27]
	s_cbranch_execz .LBB29_2662
; %bb.2794:                             ;   in Loop: Header=BB29_2663 Depth=2
	v_or_b32_e32 v49, 0x10000, v50
	v_cmp_eq_u32_sdwa s[26:27], v50, v3 src0_sel:WORD_0 src1_sel:DWORD
	s_nop 1
	v_cndmask_b32_e64 v49, v49, v50, s[26:27]
	s_branch .LBB29_2662
.LBB29_2795:                            ;   in Loop: Header=BB29_47 Depth=1
	s_or_b64 exec, exec, s[30:31]
	v_lshlrev_b32_e32 v96, 16, v115
	v_lshlrev_b32_e32 v97, 16, v16
	v_lshlrev_b32_e32 v85, 16, v112
	v_lshlrev_b32_e32 v86, 16, v17
	v_lshlrev_b32_e32 v82, 16, v101
	v_lshlrev_b32_e32 v84, 16, v18
	v_lshlrev_b32_e32 v71, 16, v98
	v_lshlrev_b32_e32 v81, 16, v19
	v_lshlrev_b32_e32 v68, 16, v87
	v_lshlrev_b32_e32 v70, 16, v20
	v_lshlrev_b32_e32 v65, 16, v83
	v_lshlrev_b32_e32 v67, 16, v21
	v_lshlrev_b32_e32 v54, 16, v80
	v_lshlrev_b32_e32 v64, 16, v22
	v_lshlrev_b32_e32 v52, 16, v69
	v_lshlrev_b32_e32 v53, 16, v23
	v_lshlrev_b32_e32 v49, 16, v66
	v_lshlrev_b32_e32 v50, 16, v24
	v_lshlrev_b32_e32 v30, 16, v55
	v_lshlrev_b32_e32 v0, 16, v25
	v_lshlrev_b32_e32 v23, 16, v51
	v_lshlrev_b32_e32 v24, 16, v26
	v_lshlrev_b32_e32 v20, 16, v48
	v_lshlrev_b32_e32 v21, 16, v27
	v_lshlrev_b32_e32 v18, 16, v39
	v_lshlrev_b32_e32 v19, 16, v32
	v_lshlrev_b32_e32 v16, 16, v38
	v_lshlrev_b32_e32 v17, 16, v33
	v_lshlrev_b32_e32 v8, 16, v37
	v_lshlrev_b32_e32 v9, 16, v34
	v_lshlrev_b32_e32 v6, 16, v36
	v_lshlrev_b32_e32 v7, 16, v35
	s_and_b64 s[26:27], s[40:41], exec
	v_mov_b64_e32 v[112:113], v[42:43]
.LBB29_2796:                            ;   in Loop: Header=BB29_47 Depth=1
	s_or_b64 exec, exec, s[28:29]
	s_and_saveexec_b64 s[28:29], s[26:27]
	s_cbranch_execz .LBB29_2862
; %bb.2797:                             ;   in Loop: Header=BB29_47 Depth=1
	s_and_b32 s13, s45, 0xff
	s_cmp_eq_u32 s13, 0
	v_max_f32_e32 v1, v97, v97
	v_max_f32_e32 v10, v96, v96
	v_min_f32_e32 v11, v10, v1
	v_max_f32_e32 v1, v10, v1
	s_cselect_b64 vcc, -1, 0
	v_cndmask_b32_e32 v1, v1, v11, vcc
	v_and_b32_e32 v10, 0x7f800000, v1
	v_cmp_ne_u32_e64 s[26:27], s97, v10
                                        ; implicit-def: $vgpr10
	s_and_saveexec_b64 s[40:41], s[26:27]
	s_xor_b64 s[26:27], exec, s[40:41]
; %bb.2798:                             ;   in Loop: Header=BB29_47 Depth=1
	v_bfe_u32 v10, v1, 16, 1
	v_add3_u32 v10, v1, v10, s46
                                        ; implicit-def: $vgpr1
; %bb.2799:                             ;   in Loop: Header=BB29_47 Depth=1
	s_andn2_saveexec_b64 s[40:41], s[26:27]
; %bb.2800:                             ;   in Loop: Header=BB29_47 Depth=1
	v_or_b32_e32 v10, 0x10000, v1
	v_cmp_eq_u32_sdwa s[26:27], v1, v3 src0_sel:WORD_0 src1_sel:DWORD
	s_nop 1
	v_cndmask_b32_e64 v10, v10, v1, s[26:27]
; %bb.2801:                             ;   in Loop: Header=BB29_47 Depth=1
	s_or_b64 exec, exec, s[40:41]
	v_max_f32_e32 v1, v86, v86
	v_max_f32_e32 v11, v85, v85
	v_min_f32_e32 v22, v11, v1
	v_max_f32_e32 v1, v11, v1
	v_cndmask_b32_e32 v1, v1, v22, vcc
	v_and_b32_e32 v11, 0x7f800000, v1
	v_cmp_ne_u32_e64 s[26:27], s97, v11
                                        ; implicit-def: $vgpr11
	s_and_saveexec_b64 s[40:41], s[26:27]
	s_xor_b64 s[26:27], exec, s[40:41]
; %bb.2802:                             ;   in Loop: Header=BB29_47 Depth=1
	v_bfe_u32 v11, v1, 16, 1
	v_add3_u32 v11, v1, v11, s46
                                        ; implicit-def: $vgpr1
; %bb.2803:                             ;   in Loop: Header=BB29_47 Depth=1
	s_andn2_saveexec_b64 s[40:41], s[26:27]
; %bb.2804:                             ;   in Loop: Header=BB29_47 Depth=1
	v_or_b32_e32 v11, 0x10000, v1
	v_cmp_eq_u32_sdwa s[26:27], v1, v3 src0_sel:WORD_0 src1_sel:DWORD
	s_nop 1
	v_cndmask_b32_e64 v11, v11, v1, s[26:27]
; %bb.2805:                             ;   in Loop: Header=BB29_47 Depth=1
	s_or_b64 exec, exec, s[40:41]
	v_max_f32_e32 v1, v84, v84
	v_max_f32_e32 v22, v82, v82
	v_min_f32_e32 v25, v22, v1
	v_max_f32_e32 v1, v22, v1
	v_cndmask_b32_e32 v1, v1, v25, vcc
	v_and_b32_e32 v22, 0x7f800000, v1
	v_cmp_ne_u32_e64 s[26:27], s97, v22
                                        ; implicit-def: $vgpr22
	s_and_saveexec_b64 s[40:41], s[26:27]
	s_xor_b64 s[26:27], exec, s[40:41]
; %bb.2806:                             ;   in Loop: Header=BB29_47 Depth=1
	v_bfe_u32 v22, v1, 16, 1
	v_add3_u32 v22, v1, v22, s46
                                        ; implicit-def: $vgpr1
; %bb.2807:                             ;   in Loop: Header=BB29_47 Depth=1
	s_andn2_saveexec_b64 s[40:41], s[26:27]
; %bb.2808:                             ;   in Loop: Header=BB29_47 Depth=1
	v_or_b32_e32 v22, 0x10000, v1
	v_cmp_eq_u32_sdwa s[26:27], v1, v3 src0_sel:WORD_0 src1_sel:DWORD
	s_nop 1
	v_cndmask_b32_e64 v22, v22, v1, s[26:27]
; %bb.2809:                             ;   in Loop: Header=BB29_47 Depth=1
	s_or_b64 exec, exec, s[40:41]
	v_max_f32_e32 v1, v81, v81
	v_max_f32_e32 v25, v71, v71
	v_min_f32_e32 v26, v25, v1
	v_max_f32_e32 v1, v25, v1
	v_cndmask_b32_e32 v1, v1, v26, vcc
	v_and_b32_e32 v25, 0x7f800000, v1
	v_cmp_ne_u32_e64 s[26:27], s97, v25
                                        ; implicit-def: $vgpr25
	s_and_saveexec_b64 s[40:41], s[26:27]
	s_xor_b64 s[26:27], exec, s[40:41]
; %bb.2810:                             ;   in Loop: Header=BB29_47 Depth=1
	v_bfe_u32 v25, v1, 16, 1
	v_add3_u32 v25, v1, v25, s46
                                        ; implicit-def: $vgpr1
; %bb.2811:                             ;   in Loop: Header=BB29_47 Depth=1
	s_andn2_saveexec_b64 s[40:41], s[26:27]
; %bb.2812:                             ;   in Loop: Header=BB29_47 Depth=1
	v_or_b32_e32 v25, 0x10000, v1
	v_cmp_eq_u32_sdwa s[26:27], v1, v3 src0_sel:WORD_0 src1_sel:DWORD
	s_nop 1
	v_cndmask_b32_e64 v25, v25, v1, s[26:27]
; %bb.2813:                             ;   in Loop: Header=BB29_47 Depth=1
	s_or_b64 exec, exec, s[40:41]
	v_max_f32_e32 v1, v70, v70
	v_max_f32_e32 v26, v68, v68
	v_min_f32_e32 v27, v26, v1
	v_max_f32_e32 v1, v26, v1
	v_cndmask_b32_e32 v1, v1, v27, vcc
	v_and_b32_e32 v26, 0x7f800000, v1
	v_cmp_ne_u32_e64 s[26:27], s97, v26
                                        ; implicit-def: $vgpr26
	s_and_saveexec_b64 s[40:41], s[26:27]
	s_xor_b64 s[26:27], exec, s[40:41]
; %bb.2814:                             ;   in Loop: Header=BB29_47 Depth=1
	v_bfe_u32 v26, v1, 16, 1
	v_add3_u32 v26, v1, v26, s46
                                        ; implicit-def: $vgpr1
; %bb.2815:                             ;   in Loop: Header=BB29_47 Depth=1
	s_andn2_saveexec_b64 s[40:41], s[26:27]
; %bb.2816:                             ;   in Loop: Header=BB29_47 Depth=1
	v_or_b32_e32 v26, 0x10000, v1
	v_cmp_eq_u32_sdwa s[26:27], v1, v3 src0_sel:WORD_0 src1_sel:DWORD
	s_nop 1
	v_cndmask_b32_e64 v26, v26, v1, s[26:27]
; %bb.2817:                             ;   in Loop: Header=BB29_47 Depth=1
	s_or_b64 exec, exec, s[40:41]
	v_max_f32_e32 v1, v67, v67
	v_max_f32_e32 v27, v65, v65
	v_min_f32_e32 v32, v27, v1
	v_max_f32_e32 v1, v27, v1
	v_cndmask_b32_e32 v1, v1, v32, vcc
	v_and_b32_e32 v27, 0x7f800000, v1
	v_cmp_ne_u32_e64 s[26:27], s97, v27
                                        ; implicit-def: $vgpr27
	s_and_saveexec_b64 s[40:41], s[26:27]
	s_xor_b64 s[26:27], exec, s[40:41]
; %bb.2818:                             ;   in Loop: Header=BB29_47 Depth=1
	v_bfe_u32 v27, v1, 16, 1
	v_add3_u32 v27, v1, v27, s46
                                        ; implicit-def: $vgpr1
; %bb.2819:                             ;   in Loop: Header=BB29_47 Depth=1
	s_andn2_saveexec_b64 s[40:41], s[26:27]
; %bb.2820:                             ;   in Loop: Header=BB29_47 Depth=1
	v_or_b32_e32 v27, 0x10000, v1
	v_cmp_eq_u32_sdwa s[26:27], v1, v3 src0_sel:WORD_0 src1_sel:DWORD
	s_nop 1
	v_cndmask_b32_e64 v27, v27, v1, s[26:27]
; %bb.2821:                             ;   in Loop: Header=BB29_47 Depth=1
	s_or_b64 exec, exec, s[40:41]
	v_max_f32_e32 v1, v64, v64
	v_max_f32_e32 v32, v54, v54
	v_min_f32_e32 v33, v32, v1
	v_max_f32_e32 v1, v32, v1
	v_cndmask_b32_e32 v1, v1, v33, vcc
	v_and_b32_e32 v32, 0x7f800000, v1
	v_cmp_ne_u32_e64 s[26:27], s97, v32
                                        ; implicit-def: $vgpr32
	s_and_saveexec_b64 s[40:41], s[26:27]
	s_xor_b64 s[26:27], exec, s[40:41]
; %bb.2822:                             ;   in Loop: Header=BB29_47 Depth=1
	v_bfe_u32 v32, v1, 16, 1
	v_add3_u32 v32, v1, v32, s46
                                        ; implicit-def: $vgpr1
; %bb.2823:                             ;   in Loop: Header=BB29_47 Depth=1
	s_andn2_saveexec_b64 s[40:41], s[26:27]
; %bb.2824:                             ;   in Loop: Header=BB29_47 Depth=1
	v_or_b32_e32 v32, 0x10000, v1
	v_cmp_eq_u32_sdwa s[26:27], v1, v3 src0_sel:WORD_0 src1_sel:DWORD
	s_nop 1
	v_cndmask_b32_e64 v32, v32, v1, s[26:27]
; %bb.2825:                             ;   in Loop: Header=BB29_47 Depth=1
	s_or_b64 exec, exec, s[40:41]
	v_max_f32_e32 v1, v53, v53
	v_max_f32_e32 v33, v52, v52
	v_min_f32_e32 v34, v33, v1
	v_max_f32_e32 v1, v33, v1
	v_cndmask_b32_e32 v1, v1, v34, vcc
	v_and_b32_e32 v33, 0x7f800000, v1
	v_cmp_ne_u32_e64 s[26:27], s97, v33
                                        ; implicit-def: $vgpr33
	s_and_saveexec_b64 s[40:41], s[26:27]
	s_xor_b64 s[26:27], exec, s[40:41]
; %bb.2826:                             ;   in Loop: Header=BB29_47 Depth=1
	v_bfe_u32 v33, v1, 16, 1
	v_add3_u32 v33, v1, v33, s46
                                        ; implicit-def: $vgpr1
; %bb.2827:                             ;   in Loop: Header=BB29_47 Depth=1
	s_andn2_saveexec_b64 s[40:41], s[26:27]
; %bb.2828:                             ;   in Loop: Header=BB29_47 Depth=1
	v_or_b32_e32 v33, 0x10000, v1
	v_cmp_eq_u32_sdwa s[26:27], v1, v3 src0_sel:WORD_0 src1_sel:DWORD
	s_nop 1
	v_cndmask_b32_e64 v33, v33, v1, s[26:27]
; %bb.2829:                             ;   in Loop: Header=BB29_47 Depth=1
	s_or_b64 exec, exec, s[40:41]
	v_max_f32_e32 v1, v50, v50
	v_max_f32_e32 v34, v49, v49
	v_min_f32_e32 v35, v34, v1
	v_max_f32_e32 v1, v34, v1
	v_cndmask_b32_e32 v1, v1, v35, vcc
	v_and_b32_e32 v34, 0x7f800000, v1
	v_cmp_ne_u32_e64 s[26:27], s97, v34
                                        ; implicit-def: $vgpr34
	s_and_saveexec_b64 s[40:41], s[26:27]
	s_xor_b64 s[26:27], exec, s[40:41]
; %bb.2830:                             ;   in Loop: Header=BB29_47 Depth=1
	v_bfe_u32 v34, v1, 16, 1
	v_add3_u32 v34, v1, v34, s46
                                        ; implicit-def: $vgpr1
; %bb.2831:                             ;   in Loop: Header=BB29_47 Depth=1
	s_andn2_saveexec_b64 s[40:41], s[26:27]
; %bb.2832:                             ;   in Loop: Header=BB29_47 Depth=1
	v_or_b32_e32 v34, 0x10000, v1
	v_cmp_eq_u32_sdwa s[26:27], v1, v3 src0_sel:WORD_0 src1_sel:DWORD
	s_nop 1
	v_cndmask_b32_e64 v34, v34, v1, s[26:27]
; %bb.2833:                             ;   in Loop: Header=BB29_47 Depth=1
	s_or_b64 exec, exec, s[40:41]
	v_max_f32_e32 v0, v0, v0
	v_max_f32_e32 v1, v30, v30
	v_min_f32_e32 v30, v1, v0
	v_max_f32_e32 v0, v1, v0
	v_cndmask_b32_e32 v1, v0, v30, vcc
	v_and_b32_e32 v0, 0x7f800000, v1
	v_cmp_ne_u32_e64 s[26:27], s97, v0
                                        ; implicit-def: $vgpr0
	s_and_saveexec_b64 s[40:41], s[26:27]
	s_xor_b64 s[26:27], exec, s[40:41]
; %bb.2834:                             ;   in Loop: Header=BB29_47 Depth=1
	v_bfe_u32 v0, v1, 16, 1
	v_add3_u32 v0, v1, v0, s46
                                        ; implicit-def: $vgpr1
; %bb.2835:                             ;   in Loop: Header=BB29_47 Depth=1
	s_andn2_saveexec_b64 s[40:41], s[26:27]
; %bb.2836:                             ;   in Loop: Header=BB29_47 Depth=1
	v_or_b32_e32 v0, 0x10000, v1
	v_cmp_eq_u32_sdwa s[26:27], v1, v3 src0_sel:WORD_0 src1_sel:DWORD
	s_nop 1
	v_cndmask_b32_e64 v0, v0, v1, s[26:27]
; %bb.2837:                             ;   in Loop: Header=BB29_47 Depth=1
	s_or_b64 exec, exec, s[40:41]
	v_max_f32_e32 v1, v24, v24
	v_max_f32_e32 v23, v23, v23
	v_min_f32_e32 v24, v23, v1
	v_max_f32_e32 v1, v23, v1
	v_cndmask_b32_e32 v1, v1, v24, vcc
	v_and_b32_e32 v23, 0x7f800000, v1
	v_cmp_ne_u32_e64 s[26:27], s97, v23
                                        ; implicit-def: $vgpr23
	s_and_saveexec_b64 s[40:41], s[26:27]
	s_xor_b64 s[26:27], exec, s[40:41]
; %bb.2838:                             ;   in Loop: Header=BB29_47 Depth=1
	v_bfe_u32 v23, v1, 16, 1
	v_add3_u32 v23, v1, v23, s46
                                        ; implicit-def: $vgpr1
; %bb.2839:                             ;   in Loop: Header=BB29_47 Depth=1
	s_andn2_saveexec_b64 s[40:41], s[26:27]
; %bb.2840:                             ;   in Loop: Header=BB29_47 Depth=1
	v_or_b32_e32 v23, 0x10000, v1
	v_cmp_eq_u32_sdwa s[26:27], v1, v3 src0_sel:WORD_0 src1_sel:DWORD
	s_nop 1
	v_cndmask_b32_e64 v23, v23, v1, s[26:27]
; %bb.2841:                             ;   in Loop: Header=BB29_47 Depth=1
	s_or_b64 exec, exec, s[40:41]
	v_max_f32_e32 v1, v21, v21
	v_max_f32_e32 v20, v20, v20
	v_min_f32_e32 v21, v20, v1
	v_max_f32_e32 v1, v20, v1
	v_cndmask_b32_e32 v1, v1, v21, vcc
	v_and_b32_e32 v20, 0x7f800000, v1
	v_cmp_ne_u32_e64 s[26:27], s97, v20
                                        ; implicit-def: $vgpr20
	s_and_saveexec_b64 s[40:41], s[26:27]
	s_xor_b64 s[26:27], exec, s[40:41]
; %bb.2842:                             ;   in Loop: Header=BB29_47 Depth=1
	v_bfe_u32 v20, v1, 16, 1
	v_add3_u32 v20, v1, v20, s46
                                        ; implicit-def: $vgpr1
; %bb.2843:                             ;   in Loop: Header=BB29_47 Depth=1
	s_andn2_saveexec_b64 s[40:41], s[26:27]
; %bb.2844:                             ;   in Loop: Header=BB29_47 Depth=1
	v_or_b32_e32 v20, 0x10000, v1
	v_cmp_eq_u32_sdwa s[26:27], v1, v3 src0_sel:WORD_0 src1_sel:DWORD
	s_nop 1
	v_cndmask_b32_e64 v20, v20, v1, s[26:27]
; %bb.2845:                             ;   in Loop: Header=BB29_47 Depth=1
	s_or_b64 exec, exec, s[40:41]
	v_max_f32_e32 v1, v19, v19
	v_max_f32_e32 v18, v18, v18
	v_min_f32_e32 v19, v18, v1
	v_max_f32_e32 v1, v18, v1
	v_cndmask_b32_e32 v1, v1, v19, vcc
	v_and_b32_e32 v18, 0x7f800000, v1
	v_cmp_ne_u32_e64 s[26:27], s97, v18
                                        ; implicit-def: $vgpr18
	s_and_saveexec_b64 s[40:41], s[26:27]
	s_xor_b64 s[26:27], exec, s[40:41]
; %bb.2846:                             ;   in Loop: Header=BB29_47 Depth=1
	v_bfe_u32 v18, v1, 16, 1
	v_add3_u32 v18, v1, v18, s46
                                        ; implicit-def: $vgpr1
; %bb.2847:                             ;   in Loop: Header=BB29_47 Depth=1
	s_andn2_saveexec_b64 s[40:41], s[26:27]
; %bb.2848:                             ;   in Loop: Header=BB29_47 Depth=1
	v_or_b32_e32 v18, 0x10000, v1
	v_cmp_eq_u32_sdwa s[26:27], v1, v3 src0_sel:WORD_0 src1_sel:DWORD
	s_nop 1
	v_cndmask_b32_e64 v18, v18, v1, s[26:27]
; %bb.2849:                             ;   in Loop: Header=BB29_47 Depth=1
	s_or_b64 exec, exec, s[40:41]
	v_max_f32_e32 v1, v17, v17
	v_max_f32_e32 v16, v16, v16
	v_min_f32_e32 v17, v16, v1
	v_max_f32_e32 v1, v16, v1
	v_cndmask_b32_e32 v16, v1, v17, vcc
	v_and_b32_e32 v1, 0x7f800000, v16
	v_cmp_ne_u32_e64 s[26:27], s97, v1
                                        ; implicit-def: $vgpr1
	s_and_saveexec_b64 s[40:41], s[26:27]
	s_xor_b64 s[26:27], exec, s[40:41]
; %bb.2850:                             ;   in Loop: Header=BB29_47 Depth=1
	v_bfe_u32 v1, v16, 16, 1
	v_add3_u32 v1, v16, v1, s46
                                        ; implicit-def: $vgpr16
; %bb.2851:                             ;   in Loop: Header=BB29_47 Depth=1
	s_andn2_saveexec_b64 s[40:41], s[26:27]
; %bb.2852:                             ;   in Loop: Header=BB29_47 Depth=1
	v_or_b32_e32 v1, 0x10000, v16
	v_cmp_eq_u32_sdwa s[26:27], v16, v3 src0_sel:WORD_0 src1_sel:DWORD
	s_nop 1
	v_cndmask_b32_e64 v1, v1, v16, s[26:27]
; %bb.2853:                             ;   in Loop: Header=BB29_47 Depth=1
	s_or_b64 exec, exec, s[40:41]
	v_max_f32_e32 v9, v9, v9
	v_max_f32_e32 v8, v8, v8
	v_min_f32_e32 v16, v8, v9
	v_max_f32_e32 v8, v8, v9
	v_cndmask_b32_e32 v9, v8, v16, vcc
	v_and_b32_e32 v8, 0x7f800000, v9
	v_cmp_ne_u32_e64 s[26:27], s97, v8
                                        ; implicit-def: $vgpr8
	s_and_saveexec_b64 s[40:41], s[26:27]
	s_xor_b64 s[26:27], exec, s[40:41]
; %bb.2854:                             ;   in Loop: Header=BB29_47 Depth=1
	v_bfe_u32 v8, v9, 16, 1
	v_add3_u32 v8, v9, v8, s46
                                        ; implicit-def: $vgpr9
; %bb.2855:                             ;   in Loop: Header=BB29_47 Depth=1
	s_andn2_saveexec_b64 s[40:41], s[26:27]
; %bb.2856:                             ;   in Loop: Header=BB29_47 Depth=1
	v_or_b32_e32 v8, 0x10000, v9
	v_cmp_eq_u32_sdwa s[26:27], v9, v3 src0_sel:WORD_0 src1_sel:DWORD
	s_nop 1
	v_cndmask_b32_e64 v8, v8, v9, s[26:27]
; %bb.2857:                             ;   in Loop: Header=BB29_47 Depth=1
	s_or_b64 exec, exec, s[40:41]
	v_max_f32_e32 v7, v7, v7
	v_max_f32_e32 v6, v6, v6
	v_min_f32_e32 v9, v6, v7
	v_max_f32_e32 v6, v6, v7
	v_cndmask_b32_e32 v7, v6, v9, vcc
	v_and_b32_e32 v6, 0x7f800000, v7
	v_cmp_ne_u32_e32 vcc, s97, v6
                                        ; implicit-def: $vgpr6
	s_and_saveexec_b64 s[26:27], vcc
	s_xor_b64 s[26:27], exec, s[26:27]
; %bb.2858:                             ;   in Loop: Header=BB29_47 Depth=1
	v_bfe_u32 v6, v7, 16, 1
	v_add3_u32 v6, v7, v6, s46
                                        ; implicit-def: $vgpr7
; %bb.2859:                             ;   in Loop: Header=BB29_47 Depth=1
	s_andn2_saveexec_b64 s[26:27], s[26:27]
; %bb.2860:                             ;   in Loop: Header=BB29_47 Depth=1
	v_or_b32_e32 v6, 0x10000, v7
	v_cmp_eq_u32_sdwa vcc, v7, v3 src0_sel:WORD_0 src1_sel:DWORD
	s_nop 1
	v_cndmask_b32_e32 v6, v6, v7, vcc
; %bb.2861:                             ;   in Loop: Header=BB29_47 Depth=1
	s_or_b64 exec, exec, s[26:27]
	flat_store_short_d16_hi v[4:5], v10 nt
	flat_store_short_d16_hi v[4:5], v11 offset:128 nt
	flat_store_short_d16_hi v[4:5], v22 offset:256 nt
	;; [unrolled: 1-line block ×15, first 2 shown]
.LBB29_2862:                            ;   in Loop: Header=BB29_47 Depth=1
	s_or_b64 exec, exec, s[28:29]
	v_lshlrev_b32_e32 v0, 11, v14
	v_cmp_ne_u32_e32 vcc, v29, v0
	s_and_b64 exec, exec, vcc
	s_cbranch_execz .LBB29_2887
; %bb.2863:                             ;   in Loop: Header=BB29_47 Depth=1
	v_lshlrev_b32_e32 v1, 6, v15
	v_sub_u32_e32 v1, v13, v1
	v_ashrrev_i32_e32 v4, 31, v1
	v_lshrrev_b32_e32 v4, 26, v4
	v_add_u32_e32 v4, v1, v4
	v_and_b32_e32 v5, 0x7fffffc0, v4
	v_sub_u32_e32 v1, v1, v5
	v_lshlrev_b32_e32 v4, 1, v4
	v_and_b32_e32 v4, 0xffffff80, v4
	v_lshlrev_b32_e32 v1, 1, v1
	v_add3_u32 v1, v4, v1, v0
	v_sub_u32_e32 v0, v29, v1
	v_cmp_lt_i32_e32 vcc, 1, v0
	s_and_b64 exec, exec, vcc
	s_cbranch_execz .LBB29_2887
; %bb.2864:                             ;   in Loop: Header=BB29_47 Depth=1
	s_trap 2
	scratch_load_dwordx2 v[10:11], off, s33 offset:372 ; 8-byte Folded Reload
	ds_read_b64 v[6:7], v0
	v_add_u32_e32 v8, v1, v12
	s_and_b32 s13, s45, 0xff
	v_ashrrev_i32_e32 v9, 31, v8
	s_cmp_eq_u32 s13, 0
	v_lshl_add_u64 v[4:5], v[112:113], 0, v[8:9]
	s_mov_b64 s[36:37], 0
	s_mov_b64 s[30:31], 0
	s_cselect_b64 s[26:27], -1, 0
                                        ; implicit-def: $sgpr34_sgpr35
	s_waitcnt vmcnt(0)
	v_lshl_add_u64 v[10:11], v[8:9], 0, v[10:11]
	s_waitcnt lgkmcnt(0)
	v_lshl_add_u64 v[8:9], v[6:7], 0, v[8:9]
	s_branch .LBB29_2866
.LBB29_2865:                            ;   in Loop: Header=BB29_2866 Depth=2
	s_or_b64 exec, exec, s[28:29]
	v_lshrrev_b32_e32 v1, 16, v6
	scratch_store_short off, v1, s33 offset:192
	flat_store_short v[4:5], v1 nt
	scratch_load_dwordx2 v[14:15], off, s33 offset:256 ; 8-byte Folded Reload
	v_mov_b32_e32 v1, 0x80
	v_lshl_add_u64 v[6:7], v[10:11], 0, v[92:93]
	v_lshl_add_u64 v[12:13], v[8:9], 0, v[92:93]
	v_cndmask_b32_e64 v9, v9, v13, s[36:37]
	v_cndmask_b32_e64 v8, v8, v12, s[36:37]
	;; [unrolled: 1-line block ×4, first 2 shown]
	s_waitcnt vmcnt(0)
	v_cndmask_b32_e64 v14, v1, v14, s[36:37]
	v_cndmask_b32_e64 v1, 0, v31, s[36:37]
	v_sub_u32_e32 v0, v0, v1
	v_cmp_gt_i32_e32 vcc, 2, v0
	s_or_b64 s[30:31], vcc, s[30:31]
	v_cndmask_b32_e64 v15, 0, v15, s[36:37]
	s_andn2_b64 s[28:29], s[34:35], exec
	s_and_b64 s[40:41], s[36:37], exec
	v_lshl_add_u64 v[4:5], v[4:5], 0, v[14:15]
	s_or_b64 s[34:35], s[28:29], s[40:41]
	s_andn2_b64 exec, exec, s[30:31]
	s_cbranch_execz .LBB29_2881
.LBB29_2866:                            ;   Parent Loop BB29_47 Depth=1
                                        ; =>  This Loop Header: Depth=2
                                        ;       Child Loop BB29_2867 Depth 3
                                        ;       Child Loop BB29_2876 Depth 3
	s_add_i32 s28, s33, 0xc0
	s_mov_b32 s13, s28
	s_mov_b64 s[38:39], -1
	s_mov_b64 s[48:49], 0
.LBB29_2867:                            ;   Parent Loop BB29_47 Depth=1
                                        ;     Parent Loop BB29_2866 Depth=2
                                        ; =>    This Inner Loop Header: Depth=3
	s_cmp_eq_u32 s48, 1
	s_cselect_b64 vcc, -1, 0
	v_cndmask_b32_e32 v7, v11, v9, vcc
	v_cndmask_b32_e32 v6, v10, v8, vcc
	flat_load_ushort v1, v[6:7] nt
	s_cmp_eq_u32 s48, 0
	v_lshl_add_u64 v[6:7], v[6:7], 0, s[72:73]
	s_cselect_b64 s[28:29], -1, 0
	s_and_b64 s[40:41], exec, s[38:39]
	v_cndmask_b32_e64 v11, v11, v7, s[28:29]
	v_cndmask_b32_e64 v10, v10, v6, s[28:29]
	s_add_i32 s28, s33, 0xe0
	s_mov_b64 s[48:49], 1
	s_mov_b64 s[38:39], 0
	v_cndmask_b32_e32 v9, v9, v7, vcc
	v_cndmask_b32_e32 v8, v8, v6, vcc
	s_mov_b64 vcc, s[40:41]
	s_waitcnt vmcnt(0) lgkmcnt(0)
	scratch_store_short off, v1, s13
	s_mov_b32 s13, s28
	s_cbranch_vccnz .LBB29_2867
; %bb.2868:                             ;   in Loop: Header=BB29_2866 Depth=2
	s_and_saveexec_b64 s[28:29], s[36:37]
	s_cbranch_execz .LBB29_2874
; %bb.2869:                             ;   in Loop: Header=BB29_2866 Depth=2
	scratch_load_ushort v1, off, s33 offset:184
	scratch_load_ushort v6, off, s33 offset:186
	s_waitcnt vmcnt(1)
	v_lshlrev_b32_e32 v1, 16, v1
	s_waitcnt vmcnt(0)
	v_lshlrev_b32_e32 v6, 16, v6
	v_max_f32_e32 v6, v6, v6
	v_max_f32_e32 v1, v1, v1
	v_min_f32_e32 v7, v1, v6
	v_max_f32_e32 v1, v1, v6
	v_cndmask_b32_e64 v1, v1, v7, s[26:27]
	v_and_b32_e32 v6, 0x7f800000, v1
	v_cmp_ne_u32_e32 vcc, s97, v6
                                        ; implicit-def: $vgpr6
	s_and_saveexec_b64 s[40:41], vcc
	s_xor_b64 s[40:41], exec, s[40:41]
; %bb.2870:                             ;   in Loop: Header=BB29_2866 Depth=2
	v_bfe_u32 v6, v1, 16, 1
	v_add3_u32 v6, v1, v6, s46
                                        ; implicit-def: $vgpr1
; %bb.2871:                             ;   in Loop: Header=BB29_2866 Depth=2
	s_andn2_saveexec_b64 s[40:41], s[40:41]
; %bb.2872:                             ;   in Loop: Header=BB29_2866 Depth=2
	v_or_b32_e32 v6, 0x10000, v1
	v_cmp_eq_u32_sdwa vcc, v1, v3 src0_sel:WORD_0 src1_sel:DWORD
	s_nop 1
	v_cndmask_b32_e32 v6, v6, v1, vcc
; %bb.2873:                             ;   in Loop: Header=BB29_2866 Depth=2
	s_or_b64 exec, exec, s[40:41]
	v_lshrrev_b32_e32 v1, 16, v6
	scratch_store_short off, v1, s33 offset:184
	flat_store_short v[4:5], v1 nt
	scratch_load_dwordx2 v[6:7], off, s33 offset:256 ; 8-byte Folded Reload
	s_waitcnt vmcnt(0)
	v_lshl_add_u64 v[4:5], v[4:5], 0, v[6:7]
.LBB29_2874:                            ;   in Loop: Header=BB29_2866 Depth=2
	s_or_b64 exec, exec, s[28:29]
	v_sub_u32_e32 v0, v0, v31
	v_lshl_add_u64 v[10:11], v[10:11], 0, v[92:93]
	v_lshl_add_u64 v[8:9], v[8:9], 0, v[92:93]
	v_cmp_lt_i32_e64 s[36:37], 1, v0
	s_and_saveexec_b64 s[38:39], s[36:37]
	s_cbranch_execz .LBB29_2877
; %bb.2875:                             ;   in Loop: Header=BB29_2866 Depth=2
	s_add_i32 s13, s33, 0xb8
	s_mov_b32 s44, s13
	s_mov_b64 s[50:51], 0
	s_mov_b64 s[48:49], -1
.LBB29_2876:                            ;   Parent Loop BB29_47 Depth=1
                                        ;     Parent Loop BB29_2866 Depth=2
                                        ; =>    This Inner Loop Header: Depth=3
	s_cmp_eq_u32 s50, 1
	s_cselect_b64 vcc, -1, 0
	v_cndmask_b32_e32 v7, v11, v9, vcc
	v_cndmask_b32_e32 v6, v10, v8, vcc
	flat_load_ushort v1, v[6:7] nt
	s_cmp_eq_u32 s50, 0
	s_cselect_b64 s[28:29], -1, 0
	s_and_b64 s[40:41], exec, s[48:49]
	v_lshl_add_u64 v[6:7], v[6:7], 0, s[72:73]
	s_add_i32 s13, s33, 0xba
	s_mov_b64 s[50:51], 1
	s_mov_b64 s[48:49], 0
	v_cndmask_b32_e64 v11, v11, v7, s[28:29]
	v_cndmask_b32_e64 v10, v10, v6, s[28:29]
	v_cndmask_b32_e32 v9, v9, v7, vcc
	v_cndmask_b32_e32 v8, v8, v6, vcc
	s_mov_b64 vcc, s[40:41]
	s_waitcnt vmcnt(0) lgkmcnt(0)
	scratch_store_short off, v1, s44
	s_mov_b32 s44, s13
	s_cbranch_vccnz .LBB29_2876
.LBB29_2877:                            ;   in Loop: Header=BB29_2866 Depth=2
	s_or_b64 exec, exec, s[38:39]
	scratch_load_ushort v1, off, s33 offset:192
	scratch_load_ushort v6, off, s33 offset:224
	s_waitcnt vmcnt(0)
	v_lshlrev_b32_e32 v1, 16, v1
	v_lshlrev_b32_e32 v6, 16, v6
	v_max_f32_e32 v6, v6, v6
	v_max_f32_e32 v1, v1, v1
	v_min_f32_e32 v7, v1, v6
	v_max_f32_e32 v1, v1, v6
	v_cndmask_b32_e64 v1, v1, v7, s[26:27]
	v_and_b32_e32 v6, 0x7f800000, v1
	v_cmp_ne_u32_e32 vcc, s97, v6
                                        ; implicit-def: $vgpr6
	s_and_saveexec_b64 s[28:29], vcc
	s_xor_b64 s[28:29], exec, s[28:29]
; %bb.2878:                             ;   in Loop: Header=BB29_2866 Depth=2
	v_bfe_u32 v6, v1, 16, 1
	v_add3_u32 v6, v1, v6, s46
                                        ; implicit-def: $vgpr1
; %bb.2879:                             ;   in Loop: Header=BB29_2866 Depth=2
	s_andn2_saveexec_b64 s[28:29], s[28:29]
	s_cbranch_execz .LBB29_2865
; %bb.2880:                             ;   in Loop: Header=BB29_2866 Depth=2
	v_or_b32_e32 v6, 0x10000, v1
	v_cmp_eq_u32_sdwa vcc, v1, v3 src0_sel:WORD_0 src1_sel:DWORD
	s_nop 1
	v_cndmask_b32_e32 v6, v6, v1, vcc
	s_branch .LBB29_2865
.LBB29_2881:                            ;   in Loop: Header=BB29_47 Depth=1
	s_or_b64 exec, exec, s[30:31]
	s_and_b64 exec, exec, s[34:35]
	s_cbranch_execz .LBB29_2887
; %bb.2882:                             ;   in Loop: Header=BB29_47 Depth=1
	scratch_load_ushort v0, off, s33 offset:184
	scratch_load_ushort v1, off, s33 offset:186
	s_waitcnt vmcnt(0)
	v_lshlrev_b32_e32 v0, 16, v0
	v_lshlrev_b32_e32 v1, 16, v1
	v_max_f32_e32 v1, v1, v1
	v_max_f32_e32 v0, v0, v0
	v_min_f32_e32 v6, v0, v1
	v_max_f32_e32 v0, v0, v1
	v_cndmask_b32_e64 v0, v0, v6, s[26:27]
	v_and_b32_e32 v1, 0x7f800000, v0
	v_cmp_ne_u32_e32 vcc, s97, v1
                                        ; implicit-def: $vgpr1
	s_and_saveexec_b64 s[26:27], vcc
	s_xor_b64 s[26:27], exec, s[26:27]
; %bb.2883:                             ;   in Loop: Header=BB29_47 Depth=1
	v_bfe_u32 v1, v0, 16, 1
	v_add3_u32 v1, v0, v1, s46
                                        ; implicit-def: $vgpr0
; %bb.2884:                             ;   in Loop: Header=BB29_47 Depth=1
	s_andn2_saveexec_b64 s[26:27], s[26:27]
; %bb.2885:                             ;   in Loop: Header=BB29_47 Depth=1
	v_or_b32_e32 v1, 0x10000, v0
	v_cmp_eq_u32_sdwa vcc, v0, v3 src0_sel:WORD_0 src1_sel:DWORD
	s_nop 1
	v_cndmask_b32_e32 v1, v1, v0, vcc
; %bb.2886:                             ;   in Loop: Header=BB29_47 Depth=1
	s_or_b64 exec, exec, s[26:27]
	flat_store_short_d16_hi v[4:5], v1 nt
.LBB29_2887:                            ;   in Loop: Header=BB29_47 Depth=1
	s_or_b64 exec, exec, s[42:43]
	v_cmp_lt_i32_e64 s[26:27], 0, v2
	s_and_saveexec_b64 s[28:29], s[6:7]
	s_cbranch_execz .LBB29_2906
.LBB29_2888:                            ;   in Loop: Header=BB29_47 Depth=1
	s_and_saveexec_b64 s[40:41], s[56:57]
	s_xor_b64 s[40:41], exec, s[40:41]
	s_cbranch_execz .LBB29_2903
; %bb.2889:                             ;   in Loop: Header=BB29_47 Depth=1
	s_and_saveexec_b64 s[42:43], s[14:15]
	s_cbranch_execz .LBB29_2902
; %bb.2890:                             ;   in Loop: Header=BB29_47 Depth=1
	s_mov_b64 s[34:35], exec
	v_mbcnt_lo_u32_b32 v0, s34, 0
	v_mbcnt_hi_u32_b32 v0, s35, v0
	v_cmp_eq_u32_e32 vcc, 0, v0
	s_waitcnt lgkmcnt(0)
	s_and_saveexec_b64 s[30:31], vcc
	s_cbranch_execz .LBB29_2892
; %bb.2891:                             ;   in Loop: Header=BB29_47 Depth=1
	s_bcnt1_i32_b64 s13, s[34:35]
	v_mov_b32_e32 v2, s13
	ds_add_u64 v0, v[2:3]
	s_trap 2
.LBB29_2892:                            ;   in Loop: Header=BB29_47 Depth=1
	s_or_b64 exec, exec, s[30:31]
	s_trap 2
	ds_read_b64 v[0:1], v0
	s_waitcnt lgkmcnt(0)
	v_lshl_add_u64 v[46:47], v[46:47], 0, v[60:61]
	v_cmp_lt_u64_e32 vcc, v[0:1], v[46:47]
	s_and_saveexec_b64 s[30:31], vcc
	s_cbranch_execz .LBB29_2901
; %bb.2893:                             ;   in Loop: Header=BB29_47 Depth=1
	s_mov_b32 s44, 0
	s_mov_b64 s[34:35], 0
                                        ; implicit-def: $sgpr36_sgpr37
                                        ; implicit-def: $sgpr38_sgpr39
	s_branch .LBB29_2895
.LBB29_2894:                            ;   in Loop: Header=BB29_2895 Depth=2
	s_or_b64 exec, exec, s[50:51]
	s_and_b64 vcc, exec, vcc
	s_or_b64 s[34:35], vcc, s[34:35]
	s_andn2_b64 vcc, s[36:37], exec
	s_and_b64 s[36:37], s[38:39], exec
	s_or_b64 s[36:37], vcc, s[36:37]
	s_andn2_b64 exec, exec, s[34:35]
	s_cbranch_execz .LBB29_2899
.LBB29_2895:                            ;   Parent Loop BB29_47 Depth=1
                                        ; =>  This Inner Loop Header: Depth=2
	s_add_i32 s44, s44, 1
	s_cmpk_lg_i32 s44, 0x2710
	s_cselect_b64 s[48:49], -1, 0
	s_and_b64 vcc, exec, s[48:49]
	s_cbranch_vccz .LBB29_2897
; %bb.2896:                             ;   in Loop: Header=BB29_2895 Depth=2
	s_mov_b64 vcc, -1
	s_or_b64 s[38:39], s[38:39], exec
	s_and_saveexec_b64 s[50:51], s[48:49]
	s_cbranch_execz .LBB29_2894
	s_branch .LBB29_2898
.LBB29_2897:                            ;   in Loop: Header=BB29_2895 Depth=2
	s_trap 2
	ds_read_b64 v[0:1], v0
	s_andn2_b64 s[48:49], s[48:49], exec
	s_mov_b32 s44, 0
	s_waitcnt vmcnt(0) lgkmcnt(0)
	flat_load_dword v0, v[0:1] sc0 sc1
	s_waitcnt vmcnt(0) lgkmcnt(0)
	buffer_inv sc0 sc1
	v_cmp_eq_u32_e32 vcc, 0, v0
	s_and_b64 vcc, vcc, exec
	s_or_b64 s[48:49], s[48:49], vcc
	s_mov_b64 vcc, -1
	s_or_b64 s[38:39], s[38:39], exec
	s_and_saveexec_b64 s[50:51], s[48:49]
	s_cbranch_execz .LBB29_2894
.LBB29_2898:                            ;   in Loop: Header=BB29_2895 Depth=2
	s_sleep 1
	s_trap 2
	ds_read_b64 v[0:1], v0
	s_waitcnt lgkmcnt(0)
	s_andn2_b64 s[38:39], s[38:39], exec
	v_cmp_ge_u64_e32 vcc, v[0:1], v[46:47]
	s_orn2_b64 vcc, vcc, exec
	s_branch .LBB29_2894
.LBB29_2899:                            ;   in Loop: Header=BB29_47 Depth=1
	s_or_b64 exec, exec, s[34:35]
	s_and_saveexec_b64 s[44:45], s[36:37]
	s_xor_b64 s[44:45], exec, s[44:45]
	s_cbranch_execz .LBB29_2901
; %bb.2900:                             ;   in Loop: Header=BB29_47 Depth=1
	v_mov_b32_e32 v0, 1
	ds_write_b32 v0, v0
	s_trap 2
.LBB29_2901:                            ;   in Loop: Header=BB29_47 Depth=1
	s_or_b64 exec, exec, s[30:31]
	;;#ASMSTART
	s_wakeup
	;;#ASMEND
.LBB29_2902:                            ;   in Loop: Header=BB29_47 Depth=1
	s_or_b64 exec, exec, s[42:43]
.LBB29_2903:                            ;   in Loop: Header=BB29_47 Depth=1
	s_andn2_saveexec_b64 s[40:41], s[40:41]
	s_cbranch_execz .LBB29_2905
; %bb.2904:                             ;   in Loop: Header=BB29_47 Depth=1
	s_waitcnt lgkmcnt(0)
	s_barrier
.LBB29_2905:                            ;   in Loop: Header=BB29_47 Depth=1
	s_or_b64 exec, exec, s[40:41]
.LBB29_2906:                            ;   in Loop: Header=BB29_47 Depth=1
	s_or_b64 exec, exec, s[28:29]
	v_and_b32_e32 v0, 16, v110
	s_and_saveexec_b64 s[28:29], s[22:23]
	s_xor_b64 s[28:29], exec, s[28:29]
	s_cbranch_execz .LBB29_2910
; %bb.2907:                             ;   in Loop: Header=BB29_47 Depth=1
	v_and_b32_e32 v1, 16, v110
	v_cmp_ne_u32_e32 vcc, 0, v1
	v_and_b32_e32 v0, 16, v110
	s_and_b64 s[40:41], vcc, s[26:27]
	s_and_saveexec_b64 s[26:27], s[40:41]
	s_cbranch_execz .LBB29_2909
; %bb.2908:                             ;   in Loop: Header=BB29_47 Depth=1
	v_mov_b32_e32 v0, 1
	buffer_wbl2 sc1
	s_waitcnt vmcnt(0) lgkmcnt(0)
	buffer_inv sc1
.LBB29_2909:                            ;   in Loop: Header=BB29_47 Depth=1
	s_or_b64 exec, exec, s[26:27]
.LBB29_2910:                            ;   in Loop: Header=BB29_47 Depth=1
	s_andn2_saveexec_b64 s[26:27], s[28:29]
	s_cbranch_execz .LBB29_2929
; %bb.2911:                             ;   in Loop: Header=BB29_47 Depth=1
	s_and_saveexec_b64 s[28:29], s[56:57]
	s_xor_b64 s[28:29], exec, s[28:29]
	s_cbranch_execz .LBB29_2926
; %bb.2912:                             ;   in Loop: Header=BB29_47 Depth=1
	s_and_saveexec_b64 s[40:41], s[14:15]
	s_cbranch_execz .LBB29_2925
; %bb.2913:                             ;   in Loop: Header=BB29_47 Depth=1
	s_mov_b64 s[30:31], exec
	v_mbcnt_lo_u32_b32 v1, s30, 0
	v_mbcnt_hi_u32_b32 v1, s31, v1
	v_cmp_eq_u32_e32 vcc, 0, v1
	;;#ASMSTART
	s_waitcnt lgkmcnt(0) vmcnt(0)
	;;#ASMEND
	s_and_saveexec_b64 s[42:43], vcc
	s_cbranch_execz .LBB29_2915
; %bb.2914:                             ;   in Loop: Header=BB29_47 Depth=1
	s_bcnt1_i32_b64 s13, s[30:31]
	v_mov_b32_e32 v2, s13
	s_waitcnt lgkmcnt(0)
	ds_add_u64 v0, v[2:3]
	s_trap 2
.LBB29_2915:                            ;   in Loop: Header=BB29_47 Depth=1
	s_or_b64 exec, exec, s[42:43]
	s_trap 2
	ds_read_b64 v[4:5], v0
	s_waitcnt lgkmcnt(0)
	v_lshl_add_u64 v[46:47], v[46:47], 0, v[60:61]
	v_cmp_lt_u64_e32 vcc, v[4:5], v[46:47]
	s_and_saveexec_b64 s[42:43], vcc
	s_cbranch_execz .LBB29_2924
; %bb.2916:                             ;   in Loop: Header=BB29_47 Depth=1
	s_mov_b32 s44, 0
	s_mov_b64 s[30:31], 0
                                        ; implicit-def: $sgpr34_sgpr35
                                        ; implicit-def: $sgpr36_sgpr37
	s_branch .LBB29_2918
.LBB29_2917:                            ;   in Loop: Header=BB29_2918 Depth=2
	s_or_b64 exec, exec, s[48:49]
	s_and_b64 vcc, exec, vcc
	s_or_b64 s[30:31], vcc, s[30:31]
	s_andn2_b64 vcc, s[34:35], exec
	s_and_b64 s[34:35], s[36:37], exec
	s_or_b64 s[34:35], vcc, s[34:35]
	s_andn2_b64 exec, exec, s[30:31]
	s_cbranch_execz .LBB29_2922
.LBB29_2918:                            ;   Parent Loop BB29_47 Depth=1
                                        ; =>  This Inner Loop Header: Depth=2
	s_add_i32 s44, s44, 1
	s_cmpk_lg_i32 s44, 0x2710
	s_cselect_b64 s[38:39], -1, 0
	s_and_b64 vcc, exec, s[38:39]
	s_cbranch_vccz .LBB29_2920
; %bb.2919:                             ;   in Loop: Header=BB29_2918 Depth=2
	s_mov_b64 vcc, -1
	s_or_b64 s[36:37], s[36:37], exec
	s_and_saveexec_b64 s[48:49], s[38:39]
	s_cbranch_execz .LBB29_2917
	s_branch .LBB29_2921
.LBB29_2920:                            ;   in Loop: Header=BB29_2918 Depth=2
	s_trap 2
	ds_read_b64 v[4:5], v0
	s_andn2_b64 s[38:39], s[38:39], exec
	s_mov_b32 s44, 0
	s_waitcnt vmcnt(0) lgkmcnt(0)
	flat_load_dword v1, v[4:5] sc0 sc1
	s_waitcnt vmcnt(0) lgkmcnt(0)
	buffer_inv sc0 sc1
	v_cmp_eq_u32_e32 vcc, 0, v1
	s_and_b64 vcc, vcc, exec
	s_or_b64 s[38:39], s[38:39], vcc
	s_mov_b64 vcc, -1
	s_or_b64 s[36:37], s[36:37], exec
	s_and_saveexec_b64 s[48:49], s[38:39]
	s_cbranch_execz .LBB29_2917
.LBB29_2921:                            ;   in Loop: Header=BB29_2918 Depth=2
	s_sleep 1
	s_trap 2
	ds_read_b64 v[4:5], v0
	s_waitcnt lgkmcnt(0)
	s_andn2_b64 s[36:37], s[36:37], exec
	v_cmp_ge_u64_e32 vcc, v[4:5], v[46:47]
	s_orn2_b64 vcc, vcc, exec
	s_branch .LBB29_2917
.LBB29_2922:                            ;   in Loop: Header=BB29_47 Depth=1
	s_or_b64 exec, exec, s[30:31]
	s_and_saveexec_b64 s[44:45], s[34:35]
	s_xor_b64 s[44:45], exec, s[44:45]
	s_cbranch_execz .LBB29_2924
; %bb.2923:                             ;   in Loop: Header=BB29_47 Depth=1
	v_mov_b32_e32 v1, 1
	ds_write_b32 v0, v1
	s_trap 2
.LBB29_2924:                            ;   in Loop: Header=BB29_47 Depth=1
	s_or_b64 exec, exec, s[42:43]
	;;#ASMSTART
	s_wakeup
	;;#ASMEND
.LBB29_2925:                            ;   in Loop: Header=BB29_47 Depth=1
	s_or_b64 exec, exec, s[40:41]
.LBB29_2926:                            ;   in Loop: Header=BB29_47 Depth=1
	s_andn2_saveexec_b64 s[28:29], s[28:29]
	s_cbranch_execz .LBB29_2928
; %bb.2927:                             ;   in Loop: Header=BB29_47 Depth=1
	;;#ASMSTART
	s_waitcnt lgkmcnt(0) vmcnt(0)
	;;#ASMEND
	s_barrier
.LBB29_2928:                            ;   in Loop: Header=BB29_47 Depth=1
	s_or_b64 exec, exec, s[28:29]
.LBB29_2929:                            ;   in Loop: Header=BB29_47 Depth=1
	s_or_b64 exec, exec, s[26:27]
	v_cmp_ne_u32_e32 vcc, 0, v0
	s_xor_b64 s[26:27], s[10:11], -1
	s_and_b64 s[28:29], vcc, s[26:27]
	s_and_saveexec_b64 s[26:27], s[28:29]
	s_cbranch_execz .LBB29_2931
; %bb.2930:                             ;   in Loop: Header=BB29_47 Depth=1
	scratch_load_dwordx2 v[0:1], off, s33 offset:304 ; 8-byte Folded Reload
	v_mov_b32_e32 v2, 1
	s_waitcnt vmcnt(0)
	flat_store_dword v[0:1], v2 sc0 sc1
.LBB29_2931:                            ;   in Loop: Header=BB29_47 Depth=1
	s_or_b64 exec, exec, s[26:27]
	v_and_b32_e32 v0, 48, v110
	v_cmp_ne_u32_e32 vcc, 0, v0
	s_and_saveexec_b64 s[26:27], vcc
	s_cbranch_execz .LBB29_2933
; %bb.2932:                             ;   in Loop: Header=BB29_47 Depth=1
	v_lshl_add_u64 v[124:125], v[124:125], 0, 4
	flat_store_dwordx2 v[40:41], v[124:125] sc0 sc1
.LBB29_2933:                            ;   in Loop: Header=BB29_47 Depth=1
	s_or_b64 exec, exec, s[26:27]
	v_mov_b32_e32 v0, v28
	s_or_b64 exec, exec, s[94:95]
	s_and_saveexec_b64 s[28:29], s[92:93]
	s_cbranch_execnz .LBB29_1240
.LBB29_2934:                            ;   in Loop: Header=BB29_47 Depth=1
	s_or_b64 exec, exec, s[28:29]
	s_and_b64 vcc, exec, s[24:25]
	s_cbranch_vccnz .LBB29_3253
.LBB29_2935:                            ;   in Loop: Header=BB29_47 Depth=1
	s_mov_b32 s44, 1
.LBB29_2936:                            ;   Parent Loop BB29_47 Depth=1
                                        ; =>  This Loop Header: Depth=2
                                        ;       Child Loop BB29_2949 Depth 3
                                        ;       Child Loop BB29_2989 Depth 3
	;; [unrolled: 1-line block ×5, first 2 shown]
                                        ;         Child Loop BB29_3109 Depth 4
                                        ;         Child Loop BB29_3114 Depth 4
                                        ;       Child Loop BB29_3120 Depth 3
                                        ;       Child Loop BB29_3128 Depth 3
	;; [unrolled: 1-line block ×3, first 2 shown]
                                        ;         Child Loop BB29_3140 Depth 4
                                        ;         Child Loop BB29_3145 Depth 4
                                        ;       Child Loop BB29_3149 Depth 3
                                        ;       Child Loop BB29_3161 Depth 3
	;; [unrolled: 1-line block ×10, first 2 shown]
	s_sub_i32 s13, s66, s44
	s_cmp_ge_i32 s13, s64
	s_cselect_b32 s24, s64, 0
	s_sub_i32 s13, s13, s24
	s_ashr_i32 s24, s13, 31
	v_mul_lo_u32 v0, v122, s24
	v_mul_lo_u32 v1, v123, s13
	v_mad_u64_u32 v[8:9], s[24:25], v122, s13, 0
	v_add3_u32 v9, v9, v0, v1
	v_sub_co_u32_e32 v0, vcc, v116, v8
	s_nop 1
	v_subb_co_u32_e32 v1, vcc, v117, v9, vcc
	v_cmp_lt_i64_e32 vcc, v[122:123], v[0:1]
	s_nop 1
	v_cndmask_b32_e32 v0, v0, v122, vcc
	v_max_i32_e32 v74, 0, v0
	v_add_u32_e32 v1, 15, v74
	v_ashrrev_i32_e32 v2, 31, v1
	v_lshrrev_b32_e32 v2, 28, v2
	v_add_u32_e32 v1, v1, v2
	v_cmp_gt_i32_e32 vcc, 1, v0
	v_and_b32_e32 v1, -16, v1
	s_or_b64 s[40:41], s[2:3], vcc
	v_max_i32_e32 v4, s69, v1
	s_xor_b64 s[24:25], s[40:41], -1
	v_mov_b32_e32 v0, 0
	s_and_saveexec_b64 s[42:43], s[24:25]
	s_cbranch_execz .LBB29_2942
; %bb.2937:                             ;   in Loop: Header=BB29_2936 Depth=2
	s_and_saveexec_b64 s[24:25], s[0:1]
	s_cbranch_execz .LBB29_2939
; %bb.2938:                             ;   in Loop: Header=BB29_2936 Depth=2
	s_trap 2
	ds_read_b128 v[10:13], v0
	scratch_load_dwordx2 v[0:1], off, s33 offset:312 ; 8-byte Folded Reload
	s_waitcnt lgkmcnt(0)
	v_cmp_ne_u64_e32 vcc, 0, v[12:13]
	s_waitcnt vmcnt(0)
	v_lshl_add_u64 v[0:1], v[8:9], 0, v[0:1]
	v_lshlrev_b64 v[0:1], 1, v[0:1]
	v_lshl_add_u64 v[6:7], v[10:11], 0, v[0:1]
	v_lshl_add_u64 v[0:1], v[12:13], 0, v[0:1]
	ds_write_b64 v0, v[6:7]
	v_cndmask_b32_e32 v1, 0, v1, vcc
	v_cndmask_b32_e32 v0, 0, v0, vcc
	ds_write_b64 v0, v[0:1]
.LBB29_2939:                            ;   in Loop: Header=BB29_2936 Depth=2
	s_or_b64 exec, exec, s[24:25]
	v_and_b32_e32 v0, 12, v110
	v_min_i32_e32 v4, v4, v74
	v_cmp_ne_u32_e32 vcc, 0, v0
	s_and_saveexec_b64 s[26:27], vcc
	s_cbranch_execz .LBB29_2981
; %bb.2940:                             ;   in Loop: Header=BB29_2936 Depth=2
	v_and_b32_e32 v2, 8, v110
	s_waitcnt lgkmcnt(0)
	v_lshl_add_u64 v[0:1], v[56:57], 0, v[2:3]
	v_lshl_add_u64 v[8:9], v[124:125], 0, 4
	v_cmp_lt_u64_e32 vcc, v[0:1], v[8:9]
	s_and_saveexec_b64 s[28:29], vcc
	s_cbranch_execz .LBB29_2968
; %bb.2941:                             ;   in Loop: Header=BB29_2936 Depth=2
	v_and_b32_e32 v0, 64, v110
	s_mov_b32 s45, 0
	v_cmp_eq_u32_e32 vcc, 0, v0
	s_mov_b64 s[92:93], 0
                                        ; implicit-def: $sgpr94_sgpr95
                                        ; implicit-def: $sgpr30_sgpr31
                                        ; implicit-def: $sgpr34_sgpr35
	s_branch .LBB29_2949
.LBB29_2942:                            ;   in Loop: Header=BB29_2936 Depth=2
	s_or_b64 exec, exec, s[42:43]
	s_and_saveexec_b64 s[26:27], s[40:41]
	s_cbranch_execz .LBB29_3251
.LBB29_2943:                            ;   in Loop: Header=BB29_2936 Depth=2
	v_sub_u32_e32 v0, v74, v0
	v_min_i32_e32 v4, v4, v0
	v_and_b32_e32 v0, 12, v110
	v_cmp_ne_u32_e32 vcc, 0, v0
	s_and_saveexec_b64 s[28:29], vcc
	s_cbranch_execz .LBB29_2960
; %bb.2944:                             ;   in Loop: Header=BB29_2936 Depth=2
	v_and_b32_e32 v2, 8, v110
	s_waitcnt lgkmcnt(0)
	v_lshl_add_u64 v[0:1], v[56:57], 0, v[2:3]
	v_lshl_add_u64 v[8:9], v[124:125], 0, 4
	v_cmp_lt_u64_e32 vcc, v[0:1], v[8:9]
	s_and_saveexec_b64 s[40:41], vcc
	s_cbranch_execz .LBB29_2996
; %bb.2945:                             ;   in Loop: Header=BB29_2936 Depth=2
	v_and_b32_e32 v0, 64, v110
	s_mov_b32 s45, 0
	v_cmp_eq_u32_e32 vcc, 0, v0
	s_mov_b64 s[42:43], 0
                                        ; implicit-def: $sgpr92_sgpr93
                                        ; implicit-def: $sgpr94_sgpr95
                                        ; implicit-def: $sgpr30_sgpr31
	s_branch .LBB29_2956
.LBB29_2946:                            ;   in Loop: Header=BB29_2949 Depth=3
	s_waitcnt vmcnt(0) lgkmcnt(0)
	v_lshl_add_u64 v[6:7], v[56:57], 0, v[2:3]
	v_cmp_ge_u64_e64 s[24:25], v[6:7], v[8:9]
	s_or_b64 s[48:49], s[48:49], exec
	s_orn2_b64 s[38:39], s[24:25], exec
.LBB29_2947:                            ;   in Loop: Header=BB29_2949 Depth=3
	s_or_b64 exec, exec, s[52:53]
	s_andn2_b64 s[24:25], s[34:35], exec
	s_and_b64 s[34:35], s[48:49], exec
	s_or_b64 s[34:35], s[24:25], s[34:35]
	s_andn2_b64 s[24:25], s[30:31], exec
	s_and_b64 s[30:31], s[38:39], exec
	s_or_b64 s[30:31], s[24:25], s[30:31]
.LBB29_2948:                            ;   in Loop: Header=BB29_2949 Depth=3
	s_or_b64 exec, exec, s[36:37]
	s_and_b64 s[24:25], exec, s[30:31]
	s_or_b64 s[92:93], s[24:25], s[92:93]
	s_andn2_b64 s[24:25], s[94:95], exec
	s_and_b64 s[94:95], s[34:35], exec
	s_or_b64 s[94:95], s[24:25], s[94:95]
	s_andn2_b64 exec, exec, s[92:93]
	s_cbranch_execz .LBB29_2965
.LBB29_2949:                            ;   Parent Loop BB29_47 Depth=1
                                        ;     Parent Loop BB29_2936 Depth=2
                                        ; =>    This Inner Loop Header: Depth=3
	s_sleep 1
	s_waitcnt vmcnt(0) lgkmcnt(0)
	flat_load_dwordx2 v[56:57], v[40:41] sc0 sc1
	s_or_b64 s[34:35], s[34:35], exec
	s_or_b64 s[30:31], s[30:31], exec
                                        ; implicit-def: $vgpr0
	s_and_saveexec_b64 s[36:37], vcc
	s_cbranch_execz .LBB29_2948
; %bb.2950:                             ;   in Loop: Header=BB29_2949 Depth=3
	s_cmpk_lt_i32 s45, 0x270f
	s_cselect_b64 s[50:51], -1, 0
	s_cmpk_gt_i32 s45, 0x270e
	s_mov_b64 s[38:39], -1
	s_cbranch_scc0 .LBB29_2952
; %bb.2951:                             ;   in Loop: Header=BB29_2949 Depth=3
	s_trap 2
	ds_read_b64 v[0:1], v0
	s_andn2_b64 s[50:51], s[50:51], exec
	s_mov_b32 s45, 0
	s_mov_b64 s[48:49], 0
	s_waitcnt vmcnt(0) lgkmcnt(0)
	flat_load_dword v0, v[0:1] sc0 sc1
	s_waitcnt vmcnt(0) lgkmcnt(0)
	buffer_inv sc0 sc1
	v_cmp_eq_u32_e64 s[24:25], 0, v0
	s_and_b64 s[24:25], s[24:25], exec
	s_or_b64 s[50:51], s[50:51], s[24:25]
	s_and_saveexec_b64 s[52:53], s[50:51]
	s_cbranch_execz .LBB29_2947
	s_branch .LBB29_2946
.LBB29_2952:                            ;   in Loop: Header=BB29_2949 Depth=3
	s_add_i32 s45, s45, 1
	s_mov_b64 s[48:49], -1
                                        ; implicit-def: $vgpr0
	s_and_saveexec_b64 s[52:53], s[50:51]
	s_cbranch_execz .LBB29_2947
	s_branch .LBB29_2946
.LBB29_2953:                            ;   in Loop: Header=BB29_2956 Depth=3
	s_waitcnt vmcnt(0) lgkmcnt(0)
	v_lshl_add_u64 v[6:7], v[56:57], 0, v[2:3]
	v_cmp_ge_u64_e64 s[24:25], v[6:7], v[8:9]
	s_or_b64 s[38:39], s[38:39], exec
	s_orn2_b64 s[36:37], s[24:25], exec
.LBB29_2954:                            ;   in Loop: Header=BB29_2956 Depth=3
	s_or_b64 exec, exec, s[50:51]
	s_andn2_b64 s[24:25], s[30:31], exec
	s_and_b64 s[30:31], s[38:39], exec
	s_or_b64 s[30:31], s[24:25], s[30:31]
	s_andn2_b64 s[24:25], s[94:95], exec
	s_and_b64 s[94:95], s[36:37], exec
	s_or_b64 s[94:95], s[24:25], s[94:95]
.LBB29_2955:                            ;   in Loop: Header=BB29_2956 Depth=3
	s_or_b64 exec, exec, s[34:35]
	s_and_b64 s[24:25], exec, s[94:95]
	s_or_b64 s[42:43], s[24:25], s[42:43]
	s_andn2_b64 s[24:25], s[92:93], exec
	s_and_b64 s[92:93], s[30:31], exec
	s_or_b64 s[92:93], s[24:25], s[92:93]
	s_andn2_b64 exec, exec, s[42:43]
	s_cbranch_execz .LBB29_2993
.LBB29_2956:                            ;   Parent Loop BB29_47 Depth=1
                                        ;     Parent Loop BB29_2936 Depth=2
                                        ; =>    This Inner Loop Header: Depth=3
	s_sleep 1
	s_waitcnt vmcnt(0) lgkmcnt(0)
	flat_load_dwordx2 v[56:57], v[40:41] sc0 sc1
	s_or_b64 s[30:31], s[30:31], exec
	s_or_b64 s[94:95], s[94:95], exec
                                        ; implicit-def: $vgpr0
	s_and_saveexec_b64 s[34:35], vcc
	s_cbranch_execz .LBB29_2955
; %bb.2957:                             ;   in Loop: Header=BB29_2956 Depth=3
	s_cmpk_lt_i32 s45, 0x270f
	s_cselect_b64 s[48:49], -1, 0
	s_cmpk_gt_i32 s45, 0x270e
	s_mov_b64 s[36:37], -1
	s_cbranch_scc0 .LBB29_2959
; %bb.2958:                             ;   in Loop: Header=BB29_2956 Depth=3
	s_trap 2
	ds_read_b64 v[0:1], v0
	s_andn2_b64 s[48:49], s[48:49], exec
	s_mov_b32 s45, 0
	s_mov_b64 s[38:39], 0
	s_waitcnt vmcnt(0) lgkmcnt(0)
	flat_load_dword v0, v[0:1] sc0 sc1
	s_waitcnt vmcnt(0) lgkmcnt(0)
	buffer_inv sc0 sc1
	v_cmp_eq_u32_e64 s[24:25], 0, v0
	s_and_b64 s[24:25], s[24:25], exec
	s_or_b64 s[48:49], s[48:49], s[24:25]
	s_and_saveexec_b64 s[50:51], s[48:49]
	s_cbranch_execz .LBB29_2954
	s_branch .LBB29_2953
.LBB29_2959:                            ;   in Loop: Header=BB29_2956 Depth=3
	s_add_i32 s45, s45, 1
	s_mov_b64 s[38:39], -1
                                        ; implicit-def: $vgpr0
	s_and_saveexec_b64 s[50:51], s[48:49]
	s_cbranch_execz .LBB29_2954
	s_branch .LBB29_2953
.LBB29_2960:                            ;   in Loop: Header=BB29_2936 Depth=2
	s_or_b64 exec, exec, s[28:29]
	s_and_saveexec_b64 s[24:25], s[6:7]
	s_cbranch_execnz .LBB29_3009
.LBB29_2961:                            ;   in Loop: Header=BB29_2936 Depth=2
	s_or_b64 exec, exec, s[24:25]
                                        ; implicit-def: $vgpr0
	s_and_saveexec_b64 s[24:25], s[22:23]
	s_xor_b64 s[24:25], exec, s[24:25]
	s_cbranch_execz .LBB29_3046
.LBB29_2962:                            ;   in Loop: Header=BB29_2936 Depth=2
	s_trap 2
	ds_read_b32 v1, v0
	v_cmp_lt_i32_e32 vcc, 0, v4
	v_and_b32_e32 v2, 16, v110
	v_and_b32_e32 v0, 16, v110
	s_waitcnt lgkmcnt(0)
	v_readfirstlane_b32 s13, v1
	s_cmp_eq_u32 s13, 0
	s_cselect_b64 s[28:29], -1, 0
	s_and_b64 s[28:29], vcc, s[28:29]
	v_cmp_ne_u32_e32 vcc, 0, v2
	s_and_b64 s[40:41], vcc, s[28:29]
	s_and_saveexec_b64 s[28:29], s[40:41]
	s_cbranch_execz .LBB29_2964
; %bb.2963:                             ;   in Loop: Header=BB29_2936 Depth=2
	v_mov_b32_e32 v0, 1
	buffer_wbl2 sc1
	s_waitcnt vmcnt(0)
	buffer_inv sc1
.LBB29_2964:                            ;   in Loop: Header=BB29_2936 Depth=2
	s_or_b64 exec, exec, s[28:29]
	s_andn2_saveexec_b64 s[24:25], s[24:25]
	s_cbranch_execz .LBB29_3095
	s_branch .LBB29_3047
.LBB29_2965:                            ;   in Loop: Header=BB29_2936 Depth=2
	s_or_b64 exec, exec, s[92:93]
	s_xor_b64 s[24:25], s[94:95], -1
	s_and_saveexec_b64 s[92:93], s[24:25]
	s_xor_b64 s[24:25], exec, s[92:93]
	s_cbranch_execz .LBB29_2967
; %bb.2966:                             ;   in Loop: Header=BB29_2936 Depth=2
	v_or_b32_e32 v110, 64, v110
	s_waitcnt lgkmcnt(0)
	ds_write_b32 v0, v0
	s_trap 2
.LBB29_2967:                            ;   in Loop: Header=BB29_2936 Depth=2
	s_or_b64 exec, exec, s[24:25]
.LBB29_2968:                            ;   in Loop: Header=BB29_2936 Depth=2
	s_or_b64 exec, exec, s[28:29]
	v_and_b32_e32 v0, 0x108, v110
	v_cmp_ne_u32_e32 vcc, s96, v0
	;;#ASMSTART
	s_wakeup
	;;#ASMEND
                                        ; implicit-def: $vgpr10_vgpr11
	s_and_saveexec_b64 s[24:25], vcc
	s_xor_b64 s[24:25], exec, s[24:25]
; %bb.2969:                             ;   in Loop: Header=BB29_2936 Depth=2
	v_and_b32_e32 v10, 7, v124
	v_mov_b32_e32 v11, v3
                                        ; implicit-def: $vgpr124_vgpr125
; %bb.2970:                             ;   in Loop: Header=BB29_2936 Depth=2
	s_andn2_saveexec_b64 s[24:25], s[24:25]
	s_cbranch_execz .LBB29_2972
; %bb.2971:                             ;   in Loop: Header=BB29_2936 Depth=2
	scratch_load_dwordx4 v[12:15], off, s33 offset:288 ; 16-byte Folded Reload
	v_and_b32_e32 v10, 7, v124
	v_ashrrev_i32_e32 v5, 31, v4
	v_mov_b32_e32 v11, v3
	v_lshlrev_b64 v[6:7], 1, v[4:5]
	s_waitcnt vmcnt(0)
	v_mad_u64_u32 v[0:1], s[28:29], v10, 24, v[12:13]
	flat_store_dwordx2 v[0:1], v[6:7] offset:8
.LBB29_2972:                            ;   in Loop: Header=BB29_2936 Depth=2
	s_or_b64 exec, exec, s[24:25]
	v_and_b32_e32 v0, 0x100, v110
	v_cmp_ne_u32_e32 vcc, 0, v0
	s_mov_b64 s[24:25], -1
                                        ; implicit-def: $vgpr12_vgpr13
	s_and_saveexec_b64 s[28:29], vcc
	s_cbranch_execz .LBB29_2976
; %bb.2973:                             ;   in Loop: Header=BB29_2936 Depth=2
	scratch_load_dwordx4 v[12:15], off, s33 offset:288 ; 16-byte Folded Reload
	s_waitcnt vmcnt(0)
	v_mad_u64_u32 v[14:15], s[24:25], v10, 24, v[12:13]
	v_mov_b32_e32 v0, v15
	v_mad_u64_u32 v[0:1], s[24:25], v11, 24, v[0:1]
	v_mov_b32_e32 v15, v0
	flat_load_dword v0, v[14:15]
                                        ; implicit-def: $vgpr12_vgpr13
	s_waitcnt vmcnt(0) lgkmcnt(0)
	v_cmp_ne_u32_e32 vcc, 1, v0
	v_cmp_eq_u32_e64 s[24:25], 1, v0
	s_and_saveexec_b64 s[92:93], s[24:25]
	s_cbranch_execz .LBB29_2975
; %bb.2974:                             ;   in Loop: Header=BB29_2936 Depth=2
	flat_load_dword v0, v[14:15] offset:4 sc0 sc1
	s_waitcnt vmcnt(0) lgkmcnt(0)
	v_ashrrev_i32_e32 v1, 31, v0
	v_lshrrev_b64 v[12:13], 1, v[0:1]
.LBB29_2975:                            ;   in Loop: Header=BB29_2936 Depth=2
	s_or_b64 exec, exec, s[92:93]
	s_orn2_b64 s[24:25], vcc, exec
.LBB29_2976:                            ;   in Loop: Header=BB29_2936 Depth=2
	s_or_b64 exec, exec, s[28:29]
	s_and_saveexec_b64 s[28:29], s[24:25]
	s_cbranch_execz .LBB29_2978
; %bb.2977:                             ;   in Loop: Header=BB29_2936 Depth=2
	scratch_load_dwordx2 v[0:1], off, s33 offset:324 ; 8-byte Folded Reload
	scratch_load_dwordx2 v[12:13], off, s33 offset:332 ; 8-byte Folded Reload
	s_waitcnt vmcnt(0)
	v_mov_b32_e32 v6, v0
	v_mul_lo_u32 v0, v11, v6
	v_mul_lo_u32 v1, v10, v13
	v_mad_u64_u32 v[12:13], s[24:25], v10, v6, 0
	v_add3_u32 v13, v13, v1, v0
.LBB29_2978:                            ;   in Loop: Header=BB29_2936 Depth=2
	s_or_b64 exec, exec, s[28:29]
	v_cmp_eq_u32_e32 vcc, 0, v2
	v_mov_b32_e32 v0, 0xd0
	v_mov_b32_e32 v1, 0x88
	v_cndmask_b32_e32 v2, v0, v1, vcc
	scratch_load_dwordx2 v[0:1], off, s33 offset:280 ; 8-byte Folded Reload
	s_waitcnt vmcnt(0)
	v_lshl_add_u64 v[0:1], v[12:13], 1, v[0:1]
	v_add_u32_e32 v2, v0, v2
	ds_write_b64 v2, v[0:1] offset:584
	v_and_b32_e32 v0, 0x2000, v110
	v_cmp_ne_u32_e32 vcc, 0, v0
	s_and_saveexec_b64 s[24:25], vcc
	s_cbranch_execz .LBB29_2980
; %bb.2979:                             ;   in Loop: Header=BB29_2936 Depth=2
	ds_read_b64 v[0:1], v0 offset:872
	s_waitcnt lgkmcnt(0)
	v_lshl_add_u64 v[0:1], v[0:1], 0, 1
	ds_write_b64 v0, v[0:1] offset:872
.LBB29_2980:                            ;   in Loop: Header=BB29_2936 Depth=2
	s_or_b64 exec, exec, s[24:25]
	v_mov_b64_e32 v[124:125], v[8:9]
.LBB29_2981:                            ;   in Loop: Header=BB29_2936 Depth=2
	s_or_b64 exec, exec, s[26:27]
	s_and_saveexec_b64 s[24:25], s[6:7]
	s_cbranch_execz .LBB29_3027
; %bb.2982:                             ;   in Loop: Header=BB29_2936 Depth=2
	s_and_saveexec_b64 s[26:27], s[56:57]
	s_xor_b64 s[26:27], exec, s[26:27]
	s_cbranch_execz .LBB29_3024
; %bb.2983:                             ;   in Loop: Header=BB29_2936 Depth=2
	s_and_saveexec_b64 s[28:29], s[14:15]
	s_cbranch_execz .LBB29_3023
; %bb.2984:                             ;   in Loop: Header=BB29_2936 Depth=2
	s_mov_b64 s[94:95], exec
	v_mbcnt_lo_u32_b32 v0, s94, 0
	v_mbcnt_hi_u32_b32 v0, s95, v0
	v_cmp_eq_u32_e32 vcc, 0, v0
	s_waitcnt lgkmcnt(0)
	s_and_saveexec_b64 s[92:93], vcc
	s_cbranch_execz .LBB29_2986
; %bb.2985:                             ;   in Loop: Header=BB29_2936 Depth=2
	s_bcnt1_i32_b64 s13, s[94:95]
	v_mov_b32_e32 v2, s13
	ds_add_u64 v0, v[2:3]
	s_trap 2
.LBB29_2986:                            ;   in Loop: Header=BB29_2936 Depth=2
	s_or_b64 exec, exec, s[92:93]
	s_trap 2
	ds_read_b64 v[0:1], v0
	s_waitcnt lgkmcnt(0)
	v_lshl_add_u64 v[46:47], v[46:47], 0, v[60:61]
	v_cmp_lt_u64_e32 vcc, v[0:1], v[46:47]
	s_and_saveexec_b64 s[92:93], vcc
	s_cbranch_execz .LBB29_3022
; %bb.2987:                             ;   in Loop: Header=BB29_2936 Depth=2
	s_mov_b32 s45, 0
	s_mov_b64 s[94:95], 0
                                        ; implicit-def: $sgpr30_sgpr31
                                        ; implicit-def: $sgpr34_sgpr35
	s_branch .LBB29_2989
.LBB29_2988:                            ;   in Loop: Header=BB29_2989 Depth=3
	s_or_b64 exec, exec, s[38:39]
	s_and_b64 vcc, exec, vcc
	s_or_b64 s[94:95], vcc, s[94:95]
	s_andn2_b64 vcc, s[30:31], exec
	s_and_b64 s[30:31], s[34:35], exec
	s_or_b64 s[30:31], vcc, s[30:31]
	s_andn2_b64 exec, exec, s[94:95]
	s_cbranch_execz .LBB29_3020
.LBB29_2989:                            ;   Parent Loop BB29_47 Depth=1
                                        ;     Parent Loop BB29_2936 Depth=2
                                        ; =>    This Inner Loop Header: Depth=3
	s_add_i32 s45, s45, 1
	s_cmpk_lg_i32 s45, 0x2710
	s_cselect_b64 s[36:37], -1, 0
	s_and_b64 vcc, exec, s[36:37]
	s_cbranch_vccz .LBB29_2991
; %bb.2990:                             ;   in Loop: Header=BB29_2989 Depth=3
	s_mov_b64 vcc, -1
	s_or_b64 s[34:35], s[34:35], exec
	s_and_saveexec_b64 s[38:39], s[36:37]
	s_cbranch_execz .LBB29_2988
	s_branch .LBB29_2992
.LBB29_2991:                            ;   in Loop: Header=BB29_2989 Depth=3
	s_trap 2
	ds_read_b64 v[0:1], v0
	s_andn2_b64 s[36:37], s[36:37], exec
	s_mov_b32 s45, 0
	s_waitcnt vmcnt(0) lgkmcnt(0)
	flat_load_dword v0, v[0:1] sc0 sc1
	s_waitcnt vmcnt(0) lgkmcnt(0)
	buffer_inv sc0 sc1
	v_cmp_eq_u32_e32 vcc, 0, v0
	s_and_b64 vcc, vcc, exec
	s_or_b64 s[36:37], s[36:37], vcc
	s_mov_b64 vcc, -1
	s_or_b64 s[34:35], s[34:35], exec
	s_and_saveexec_b64 s[38:39], s[36:37]
	s_cbranch_execz .LBB29_2988
.LBB29_2992:                            ;   in Loop: Header=BB29_2989 Depth=3
	s_sleep 1
	s_trap 2
	ds_read_b64 v[0:1], v0
	s_waitcnt lgkmcnt(0)
	s_andn2_b64 s[34:35], s[34:35], exec
	v_cmp_ge_u64_e32 vcc, v[0:1], v[46:47]
	s_orn2_b64 vcc, vcc, exec
	s_branch .LBB29_2988
.LBB29_2993:                            ;   in Loop: Header=BB29_2936 Depth=2
	s_or_b64 exec, exec, s[42:43]
	s_xor_b64 s[24:25], s[92:93], -1
	s_and_saveexec_b64 s[42:43], s[24:25]
	s_xor_b64 s[24:25], exec, s[42:43]
	s_cbranch_execz .LBB29_2995
; %bb.2994:                             ;   in Loop: Header=BB29_2936 Depth=2
	v_or_b32_e32 v110, 64, v110
	s_waitcnt lgkmcnt(0)
	ds_write_b32 v0, v0
	s_trap 2
.LBB29_2995:                            ;   in Loop: Header=BB29_2936 Depth=2
	s_or_b64 exec, exec, s[24:25]
.LBB29_2996:                            ;   in Loop: Header=BB29_2936 Depth=2
	s_or_b64 exec, exec, s[40:41]
	v_and_b32_e32 v0, 0x108, v110
	v_cmp_ne_u32_e32 vcc, s96, v0
	;;#ASMSTART
	s_wakeup
	;;#ASMEND
                                        ; implicit-def: $vgpr10_vgpr11
	s_and_saveexec_b64 s[24:25], vcc
	s_xor_b64 s[24:25], exec, s[24:25]
; %bb.2997:                             ;   in Loop: Header=BB29_2936 Depth=2
	v_and_b32_e32 v10, 7, v124
	v_mov_b32_e32 v11, v3
                                        ; implicit-def: $vgpr124_vgpr125
; %bb.2998:                             ;   in Loop: Header=BB29_2936 Depth=2
	s_andn2_saveexec_b64 s[24:25], s[24:25]
	s_cbranch_execz .LBB29_3000
; %bb.2999:                             ;   in Loop: Header=BB29_2936 Depth=2
	scratch_load_dwordx4 v[12:15], off, s33 offset:288 ; 16-byte Folded Reload
	v_and_b32_e32 v10, 7, v124
	v_ashrrev_i32_e32 v5, 31, v4
	v_mov_b32_e32 v11, v3
	v_lshlrev_b64 v[6:7], 1, v[4:5]
	s_waitcnt vmcnt(0)
	v_mad_u64_u32 v[0:1], s[40:41], v10, 24, v[12:13]
	flat_store_dwordx2 v[0:1], v[6:7] offset:8
.LBB29_3000:                            ;   in Loop: Header=BB29_2936 Depth=2
	s_or_b64 exec, exec, s[24:25]
	v_and_b32_e32 v0, 0x100, v110
	v_cmp_ne_u32_e32 vcc, 0, v0
	s_mov_b64 s[24:25], -1
                                        ; implicit-def: $vgpr12_vgpr13
	s_and_saveexec_b64 s[40:41], vcc
	s_cbranch_execz .LBB29_3004
; %bb.3001:                             ;   in Loop: Header=BB29_2936 Depth=2
	scratch_load_dwordx4 v[12:15], off, s33 offset:288 ; 16-byte Folded Reload
	s_waitcnt vmcnt(0)
	v_mad_u64_u32 v[14:15], s[24:25], v10, 24, v[12:13]
	v_mov_b32_e32 v0, v15
	v_mad_u64_u32 v[0:1], s[24:25], v11, 24, v[0:1]
	v_mov_b32_e32 v15, v0
	flat_load_dword v0, v[14:15]
                                        ; implicit-def: $vgpr12_vgpr13
	s_waitcnt vmcnt(0) lgkmcnt(0)
	v_cmp_ne_u32_e32 vcc, 1, v0
	v_cmp_eq_u32_e64 s[24:25], 1, v0
	s_and_saveexec_b64 s[42:43], s[24:25]
	s_cbranch_execz .LBB29_3003
; %bb.3002:                             ;   in Loop: Header=BB29_2936 Depth=2
	flat_load_dword v0, v[14:15] offset:4 sc0 sc1
	s_waitcnt vmcnt(0) lgkmcnt(0)
	v_ashrrev_i32_e32 v1, 31, v0
	v_lshrrev_b64 v[12:13], 1, v[0:1]
.LBB29_3003:                            ;   in Loop: Header=BB29_2936 Depth=2
	s_or_b64 exec, exec, s[42:43]
	s_orn2_b64 s[24:25], vcc, exec
.LBB29_3004:                            ;   in Loop: Header=BB29_2936 Depth=2
	s_or_b64 exec, exec, s[40:41]
	s_and_saveexec_b64 s[40:41], s[24:25]
	s_cbranch_execz .LBB29_3006
; %bb.3005:                             ;   in Loop: Header=BB29_2936 Depth=2
	scratch_load_dwordx2 v[0:1], off, s33 offset:324 ; 8-byte Folded Reload
	scratch_load_dwordx2 v[12:13], off, s33 offset:332 ; 8-byte Folded Reload
	s_waitcnt vmcnt(0)
	v_mov_b32_e32 v6, v0
	v_mul_lo_u32 v0, v11, v6
	v_mul_lo_u32 v1, v10, v13
	v_mad_u64_u32 v[12:13], s[24:25], v10, v6, 0
	v_add3_u32 v13, v13, v1, v0
.LBB29_3006:                            ;   in Loop: Header=BB29_2936 Depth=2
	s_or_b64 exec, exec, s[40:41]
	v_cmp_eq_u32_e32 vcc, 0, v2
	v_mov_b32_e32 v0, 0xd0
	v_mov_b32_e32 v1, 0x88
	v_cndmask_b32_e32 v2, v0, v1, vcc
	scratch_load_dwordx2 v[0:1], off, s33 offset:280 ; 8-byte Folded Reload
	s_waitcnt vmcnt(0)
	v_lshl_add_u64 v[0:1], v[12:13], 1, v[0:1]
	v_add_u32_e32 v2, v0, v2
	ds_write_b64 v2, v[0:1] offset:584
	v_and_b32_e32 v0, 0x2000, v110
	v_cmp_ne_u32_e32 vcc, 0, v0
	s_and_saveexec_b64 s[24:25], vcc
	s_cbranch_execz .LBB29_3008
; %bb.3007:                             ;   in Loop: Header=BB29_2936 Depth=2
	ds_read_b64 v[0:1], v0 offset:872
	s_waitcnt lgkmcnt(0)
	v_lshl_add_u64 v[0:1], v[0:1], 0, 1
	ds_write_b64 v0, v[0:1] offset:872
.LBB29_3008:                            ;   in Loop: Header=BB29_2936 Depth=2
	s_or_b64 exec, exec, s[24:25]
	v_mov_b64_e32 v[124:125], v[8:9]
	s_or_b64 exec, exec, s[28:29]
	s_and_saveexec_b64 s[24:25], s[6:7]
	s_cbranch_execz .LBB29_2961
.LBB29_3009:                            ;   in Loop: Header=BB29_2936 Depth=2
	s_and_saveexec_b64 s[28:29], s[56:57]
	s_xor_b64 s[28:29], exec, s[28:29]
	s_cbranch_execz .LBB29_3043
; %bb.3010:                             ;   in Loop: Header=BB29_2936 Depth=2
	s_and_saveexec_b64 s[40:41], s[14:15]
	s_cbranch_execz .LBB29_3042
; %bb.3011:                             ;   in Loop: Header=BB29_2936 Depth=2
	s_mov_b64 s[92:93], exec
	v_mbcnt_lo_u32_b32 v0, s92, 0
	v_mbcnt_hi_u32_b32 v0, s93, v0
	v_cmp_eq_u32_e32 vcc, 0, v0
	s_waitcnt lgkmcnt(0)
	s_and_saveexec_b64 s[42:43], vcc
	s_cbranch_execz .LBB29_3013
; %bb.3012:                             ;   in Loop: Header=BB29_2936 Depth=2
	s_bcnt1_i32_b64 s13, s[92:93]
	v_mov_b32_e32 v2, s13
	ds_add_u64 v0, v[2:3]
	s_trap 2
.LBB29_3013:                            ;   in Loop: Header=BB29_2936 Depth=2
	s_or_b64 exec, exec, s[42:43]
	s_trap 2
	ds_read_b64 v[0:1], v0
	s_waitcnt lgkmcnt(0)
	v_lshl_add_u64 v[46:47], v[46:47], 0, v[60:61]
	v_cmp_lt_u64_e32 vcc, v[0:1], v[46:47]
	s_and_saveexec_b64 s[42:43], vcc
	s_cbranch_execz .LBB29_3041
; %bb.3014:                             ;   in Loop: Header=BB29_2936 Depth=2
	s_mov_b32 s45, 0
	s_mov_b64 s[92:93], 0
                                        ; implicit-def: $sgpr94_sgpr95
                                        ; implicit-def: $sgpr30_sgpr31
	s_branch .LBB29_3016
.LBB29_3015:                            ;   in Loop: Header=BB29_3016 Depth=3
	s_or_b64 exec, exec, s[36:37]
	s_and_b64 vcc, exec, vcc
	s_or_b64 s[92:93], vcc, s[92:93]
	s_andn2_b64 s[94:95], s[94:95], exec
	s_and_b64 vcc, s[30:31], exec
	s_or_b64 s[94:95], s[94:95], vcc
	s_andn2_b64 exec, exec, s[92:93]
	s_cbranch_execz .LBB29_3039
.LBB29_3016:                            ;   Parent Loop BB29_47 Depth=1
                                        ;     Parent Loop BB29_2936 Depth=2
                                        ; =>    This Inner Loop Header: Depth=3
	s_add_i32 s45, s45, 1
	s_cmpk_lg_i32 s45, 0x2710
	s_cselect_b64 s[34:35], -1, 0
	s_and_b64 vcc, exec, s[34:35]
	s_cbranch_vccz .LBB29_3018
; %bb.3017:                             ;   in Loop: Header=BB29_3016 Depth=3
	s_mov_b64 vcc, -1
	s_or_b64 s[30:31], s[30:31], exec
	s_and_saveexec_b64 s[36:37], s[34:35]
	s_cbranch_execz .LBB29_3015
	s_branch .LBB29_3019
.LBB29_3018:                            ;   in Loop: Header=BB29_3016 Depth=3
	s_trap 2
	ds_read_b64 v[0:1], v0
	s_andn2_b64 s[34:35], s[34:35], exec
	s_mov_b32 s45, 0
	s_waitcnt vmcnt(0) lgkmcnt(0)
	flat_load_dword v0, v[0:1] sc0 sc1
	s_waitcnt vmcnt(0) lgkmcnt(0)
	buffer_inv sc0 sc1
	v_cmp_eq_u32_e32 vcc, 0, v0
	s_and_b64 vcc, vcc, exec
	s_or_b64 s[34:35], s[34:35], vcc
	s_mov_b64 vcc, -1
	s_or_b64 s[30:31], s[30:31], exec
	s_and_saveexec_b64 s[36:37], s[34:35]
	s_cbranch_execz .LBB29_3015
.LBB29_3019:                            ;   in Loop: Header=BB29_3016 Depth=3
	s_sleep 1
	s_trap 2
	ds_read_b64 v[0:1], v0
	s_waitcnt lgkmcnt(0)
	s_andn2_b64 s[30:31], s[30:31], exec
	v_cmp_ge_u64_e32 vcc, v[0:1], v[46:47]
	s_orn2_b64 vcc, vcc, exec
	s_branch .LBB29_3015
.LBB29_3020:                            ;   in Loop: Header=BB29_2936 Depth=2
	s_or_b64 exec, exec, s[94:95]
	s_and_saveexec_b64 s[94:95], s[30:31]
	s_xor_b64 s[94:95], exec, s[94:95]
	s_cbranch_execz .LBB29_3022
; %bb.3021:                             ;   in Loop: Header=BB29_2936 Depth=2
	v_mov_b32_e32 v0, 1
	ds_write_b32 v0, v0
	s_trap 2
.LBB29_3022:                            ;   in Loop: Header=BB29_2936 Depth=2
	s_or_b64 exec, exec, s[92:93]
	;;#ASMSTART
	s_wakeup
	;;#ASMEND
.LBB29_3023:                            ;   in Loop: Header=BB29_2936 Depth=2
	s_or_b64 exec, exec, s[28:29]
.LBB29_3024:                            ;   in Loop: Header=BB29_2936 Depth=2
	s_andn2_saveexec_b64 s[26:27], s[26:27]
	s_cbranch_execz .LBB29_3026
; %bb.3025:                             ;   in Loop: Header=BB29_2936 Depth=2
	s_waitcnt lgkmcnt(0)
	s_barrier
.LBB29_3026:                            ;   in Loop: Header=BB29_2936 Depth=2
	s_or_b64 exec, exec, s[26:27]
.LBB29_3027:                            ;   in Loop: Header=BB29_2936 Depth=2
	s_or_b64 exec, exec, s[24:25]
	s_trap 2
	ds_read_b32 v0, v0
	v_and_b32_e32 v1, 0x4000, v110
	v_cmp_ne_u32_e32 vcc, 0, v1
	s_xor_b64 s[24:25], s[4:5], -1
	s_and_b64 s[26:27], s[24:25], vcc
	s_and_saveexec_b64 s[24:25], s[26:27]
	s_cbranch_execz .LBB29_3065
; %bb.3028:                             ;   in Loop: Header=BB29_2936 Depth=2
	s_and_saveexec_b64 s[26:27], s[56:57]
	s_xor_b64 s[26:27], exec, s[26:27]
	s_cbranch_execz .LBB29_3062
; %bb.3029:                             ;   in Loop: Header=BB29_2936 Depth=2
	s_and_saveexec_b64 s[28:29], s[14:15]
	s_cbranch_execz .LBB29_3061
; %bb.3030:                             ;   in Loop: Header=BB29_2936 Depth=2
	s_mov_b64 s[94:95], exec
	v_mbcnt_lo_u32_b32 v1, s94, 0
	v_mbcnt_hi_u32_b32 v1, s95, v1
	v_cmp_eq_u32_e32 vcc, 0, v1
	s_waitcnt lgkmcnt(0)
	s_and_saveexec_b64 s[92:93], vcc
	s_cbranch_execz .LBB29_3032
; %bb.3031:                             ;   in Loop: Header=BB29_2936 Depth=2
	s_bcnt1_i32_b64 s13, s[94:95]
	v_mov_b32_e32 v2, s13
	ds_add_u64 v0, v[2:3]
	s_trap 2
.LBB29_3032:                            ;   in Loop: Header=BB29_2936 Depth=2
	s_or_b64 exec, exec, s[92:93]
	s_trap 2
	ds_read_b64 v[6:7], v0
	s_waitcnt lgkmcnt(0)
	v_lshl_add_u64 v[46:47], v[46:47], 0, v[60:61]
	v_cmp_lt_u64_e32 vcc, v[6:7], v[46:47]
	s_and_saveexec_b64 s[92:93], vcc
	s_cbranch_execz .LBB29_3060
; %bb.3033:                             ;   in Loop: Header=BB29_2936 Depth=2
	s_mov_b32 s45, 0
	s_mov_b64 s[94:95], 0
                                        ; implicit-def: $sgpr30_sgpr31
                                        ; implicit-def: $sgpr34_sgpr35
	s_branch .LBB29_3035
.LBB29_3034:                            ;   in Loop: Header=BB29_3035 Depth=3
	s_or_b64 exec, exec, s[38:39]
	s_and_b64 vcc, exec, vcc
	s_or_b64 s[94:95], vcc, s[94:95]
	s_andn2_b64 vcc, s[30:31], exec
	s_and_b64 s[30:31], s[34:35], exec
	s_or_b64 s[30:31], vcc, s[30:31]
	s_andn2_b64 exec, exec, s[94:95]
	s_cbranch_execz .LBB29_3058
.LBB29_3035:                            ;   Parent Loop BB29_47 Depth=1
                                        ;     Parent Loop BB29_2936 Depth=2
                                        ; =>    This Inner Loop Header: Depth=3
	s_add_i32 s45, s45, 1
	s_cmpk_lg_i32 s45, 0x2710
	s_cselect_b64 s[36:37], -1, 0
	s_and_b64 vcc, exec, s[36:37]
	s_cbranch_vccz .LBB29_3037
; %bb.3036:                             ;   in Loop: Header=BB29_3035 Depth=3
	s_mov_b64 vcc, -1
	s_or_b64 s[34:35], s[34:35], exec
	s_and_saveexec_b64 s[38:39], s[36:37]
	s_cbranch_execz .LBB29_3034
	s_branch .LBB29_3038
.LBB29_3037:                            ;   in Loop: Header=BB29_3035 Depth=3
	s_trap 2
	ds_read_b64 v[6:7], v0
	s_andn2_b64 s[36:37], s[36:37], exec
	s_mov_b32 s45, 0
	s_waitcnt vmcnt(0) lgkmcnt(0)
	flat_load_dword v1, v[6:7] sc0 sc1
	s_waitcnt vmcnt(0) lgkmcnt(0)
	buffer_inv sc0 sc1
	v_cmp_eq_u32_e32 vcc, 0, v1
	s_and_b64 vcc, vcc, exec
	s_or_b64 s[36:37], s[36:37], vcc
	s_mov_b64 vcc, -1
	s_or_b64 s[34:35], s[34:35], exec
	s_and_saveexec_b64 s[38:39], s[36:37]
	s_cbranch_execz .LBB29_3034
.LBB29_3038:                            ;   in Loop: Header=BB29_3035 Depth=3
	s_sleep 1
	s_trap 2
	ds_read_b64 v[6:7], v0
	s_waitcnt lgkmcnt(0)
	s_andn2_b64 s[34:35], s[34:35], exec
	v_cmp_ge_u64_e32 vcc, v[6:7], v[46:47]
	s_orn2_b64 vcc, vcc, exec
	s_branch .LBB29_3034
.LBB29_3039:                            ;   in Loop: Header=BB29_2936 Depth=2
	s_or_b64 exec, exec, s[92:93]
	s_and_saveexec_b64 s[92:93], s[94:95]
	s_xor_b64 s[92:93], exec, s[92:93]
	s_cbranch_execz .LBB29_3041
; %bb.3040:                             ;   in Loop: Header=BB29_2936 Depth=2
	v_mov_b32_e32 v0, 1
	ds_write_b32 v0, v0
	s_trap 2
.LBB29_3041:                            ;   in Loop: Header=BB29_2936 Depth=2
	s_or_b64 exec, exec, s[42:43]
	;;#ASMSTART
	s_wakeup
	;;#ASMEND
.LBB29_3042:                            ;   in Loop: Header=BB29_2936 Depth=2
	s_or_b64 exec, exec, s[40:41]
.LBB29_3043:                            ;   in Loop: Header=BB29_2936 Depth=2
	s_andn2_saveexec_b64 s[28:29], s[28:29]
	s_cbranch_execz .LBB29_3045
; %bb.3044:                             ;   in Loop: Header=BB29_2936 Depth=2
	s_waitcnt lgkmcnt(0)
	s_barrier
.LBB29_3045:                            ;   in Loop: Header=BB29_2936 Depth=2
	s_or_b64 exec, exec, s[28:29]
	s_or_b64 exec, exec, s[24:25]
                                        ; implicit-def: $vgpr0
	s_and_saveexec_b64 s[24:25], s[22:23]
	s_xor_b64 s[24:25], exec, s[24:25]
	s_cbranch_execnz .LBB29_2962
.LBB29_3046:                            ;   in Loop: Header=BB29_2936 Depth=2
	s_andn2_saveexec_b64 s[24:25], s[24:25]
	s_cbranch_execz .LBB29_3095
.LBB29_3047:                            ;   in Loop: Header=BB29_2936 Depth=2
	s_and_saveexec_b64 s[28:29], s[56:57]
	s_xor_b64 s[28:29], exec, s[28:29]
	s_cbranch_execz .LBB29_3092
; %bb.3048:                             ;   in Loop: Header=BB29_2936 Depth=2
	s_and_saveexec_b64 s[40:41], s[14:15]
	s_cbranch_execz .LBB29_3091
; %bb.3049:                             ;   in Loop: Header=BB29_2936 Depth=2
	s_mov_b64 s[92:93], exec
	v_mbcnt_lo_u32_b32 v0, s92, 0
	v_mbcnt_hi_u32_b32 v0, s93, v0
	v_cmp_eq_u32_e32 vcc, 0, v0
	;;#ASMSTART
	s_waitcnt lgkmcnt(0) vmcnt(0)
	;;#ASMEND
	s_and_saveexec_b64 s[42:43], vcc
	s_cbranch_execz .LBB29_3051
; %bb.3050:                             ;   in Loop: Header=BB29_2936 Depth=2
	s_bcnt1_i32_b64 s13, s[92:93]
	v_mov_b32_e32 v2, s13
	s_waitcnt lgkmcnt(0)
	ds_add_u64 v0, v[2:3]
	s_trap 2
.LBB29_3051:                            ;   in Loop: Header=BB29_2936 Depth=2
	s_or_b64 exec, exec, s[42:43]
	s_trap 2
	ds_read_b64 v[0:1], v0
	s_waitcnt lgkmcnt(0)
	v_lshl_add_u64 v[46:47], v[46:47], 0, v[60:61]
	v_cmp_lt_u64_e32 vcc, v[0:1], v[46:47]
	s_and_saveexec_b64 s[42:43], vcc
	s_cbranch_execz .LBB29_3090
; %bb.3052:                             ;   in Loop: Header=BB29_2936 Depth=2
	s_mov_b32 s45, 0
	s_mov_b64 s[92:93], 0
                                        ; implicit-def: $sgpr94_sgpr95
                                        ; implicit-def: $sgpr30_sgpr31
	s_branch .LBB29_3054
.LBB29_3053:                            ;   in Loop: Header=BB29_3054 Depth=3
	s_or_b64 exec, exec, s[36:37]
	s_and_b64 vcc, exec, vcc
	s_or_b64 s[92:93], vcc, s[92:93]
	s_andn2_b64 s[94:95], s[94:95], exec
	s_and_b64 vcc, s[30:31], exec
	s_or_b64 s[94:95], s[94:95], vcc
	s_andn2_b64 exec, exec, s[92:93]
	s_cbranch_execz .LBB29_3088
.LBB29_3054:                            ;   Parent Loop BB29_47 Depth=1
                                        ;     Parent Loop BB29_2936 Depth=2
                                        ; =>    This Inner Loop Header: Depth=3
	s_add_i32 s45, s45, 1
	s_cmpk_lg_i32 s45, 0x2710
	s_cselect_b64 s[34:35], -1, 0
	s_and_b64 vcc, exec, s[34:35]
	s_cbranch_vccz .LBB29_3056
; %bb.3055:                             ;   in Loop: Header=BB29_3054 Depth=3
	s_mov_b64 vcc, -1
	s_or_b64 s[30:31], s[30:31], exec
	s_and_saveexec_b64 s[36:37], s[34:35]
	s_cbranch_execz .LBB29_3053
	s_branch .LBB29_3057
.LBB29_3056:                            ;   in Loop: Header=BB29_3054 Depth=3
	s_trap 2
	ds_read_b64 v[0:1], v0
	s_andn2_b64 s[34:35], s[34:35], exec
	s_mov_b32 s45, 0
	s_waitcnt vmcnt(0) lgkmcnt(0)
	flat_load_dword v0, v[0:1] sc0 sc1
	s_waitcnt vmcnt(0) lgkmcnt(0)
	buffer_inv sc0 sc1
	v_cmp_eq_u32_e32 vcc, 0, v0
	s_and_b64 vcc, vcc, exec
	s_or_b64 s[34:35], s[34:35], vcc
	s_mov_b64 vcc, -1
	s_or_b64 s[30:31], s[30:31], exec
	s_and_saveexec_b64 s[36:37], s[34:35]
	s_cbranch_execz .LBB29_3053
.LBB29_3057:                            ;   in Loop: Header=BB29_3054 Depth=3
	s_sleep 1
	s_trap 2
	ds_read_b64 v[0:1], v0
	s_waitcnt lgkmcnt(0)
	s_andn2_b64 s[30:31], s[30:31], exec
	v_cmp_ge_u64_e32 vcc, v[0:1], v[46:47]
	s_orn2_b64 vcc, vcc, exec
	s_branch .LBB29_3053
.LBB29_3058:                            ;   in Loop: Header=BB29_2936 Depth=2
	s_or_b64 exec, exec, s[94:95]
	s_and_saveexec_b64 s[94:95], s[30:31]
	s_xor_b64 s[94:95], exec, s[94:95]
	s_cbranch_execz .LBB29_3060
; %bb.3059:                             ;   in Loop: Header=BB29_2936 Depth=2
	v_mov_b32_e32 v1, 1
	ds_write_b32 v0, v1
	s_trap 2
.LBB29_3060:                            ;   in Loop: Header=BB29_2936 Depth=2
	s_or_b64 exec, exec, s[92:93]
	;;#ASMSTART
	s_wakeup
	;;#ASMEND
.LBB29_3061:                            ;   in Loop: Header=BB29_2936 Depth=2
	s_or_b64 exec, exec, s[28:29]
.LBB29_3062:                            ;   in Loop: Header=BB29_2936 Depth=2
	s_andn2_saveexec_b64 s[26:27], s[26:27]
	s_cbranch_execz .LBB29_3064
; %bb.3063:                             ;   in Loop: Header=BB29_2936 Depth=2
	s_waitcnt lgkmcnt(0)
	s_barrier
.LBB29_3064:                            ;   in Loop: Header=BB29_2936 Depth=2
	s_or_b64 exec, exec, s[26:27]
.LBB29_3065:                            ;   in Loop: Header=BB29_2936 Depth=2
	s_or_b64 exec, exec, s[24:25]
	s_trap 2
	s_waitcnt lgkmcnt(0)
	ds_read_b64 v[28:29], v0
	s_waitcnt lgkmcnt(0)
	v_cmp_eq_u64_e32 vcc, 0, v[28:29]
	s_cbranch_vccnz .LBB29_3081
; %bb.3066:                             ;   in Loop: Header=BB29_2936 Depth=2
	s_trap 2
	ds_read_b64 v[58:59], v0
	s_waitcnt lgkmcnt(0)
	v_cmp_eq_u64_e32 vcc, 0, v[58:59]
	s_cbranch_vccnz .LBB29_3081
; %bb.3067:                             ;   in Loop: Header=BB29_2936 Depth=2
	s_trap 2
	ds_read_b64 v[52:53], v0
	v_cmp_eq_u32_e32 vcc, 0, v0
	s_mov_b64 s[24:25], -1
	s_nop 0
	v_cndmask_b32_e32 v2, 0, v4, vcc
	s_waitcnt lgkmcnt(0)
	v_cmp_ne_u64_e32 vcc, 0, v[52:53]
	v_lshlrev_b32_e32 v5, 1, v2
	s_cbranch_vccz .LBB29_3151
; %bb.3068:                             ;   in Loop: Header=BB29_2936 Depth=2
	s_and_saveexec_b64 s[26:27], s[18:19]
	s_cbranch_execz .LBB29_3070
; %bb.3069:                             ;   in Loop: Header=BB29_2936 Depth=2
	ds_read_b32 v0, v0 offset:720
	s_waitcnt lgkmcnt(0)
	v_and_b32_e32 v0, 15, v0
	v_cmp_eq_u32_e32 vcc, 0, v0
	s_orn2_b64 s[24:25], vcc, exec
.LBB29_3070:                            ;   in Loop: Header=BB29_2936 Depth=2
	s_or_b64 exec, exec, s[26:27]
	s_and_saveexec_b64 s[26:27], s[20:21]
	s_cbranch_execz .LBB29_3072
; %bb.3071:                             ;   in Loop: Header=BB29_2936 Depth=2
	ds_read_b32 v0, v0 offset:784
	s_waitcnt lgkmcnt(0)
	v_and_b32_e32 v0, 15, v0
	v_cmp_eq_u32_e32 vcc, 0, v0
	s_and_b64 s[28:29], s[24:25], vcc
	s_andn2_b64 s[24:25], s[24:25], exec
	s_and_b64 s[28:29], s[28:29], exec
	s_or_b64 s[24:25], s[24:25], s[28:29]
.LBB29_3072:                            ;   in Loop: Header=BB29_2936 Depth=2
	s_or_b64 exec, exec, s[26:27]
	s_xor_b64 s[24:25], s[24:25], -1
	v_cndmask_b32_e64 v0, 0, 1, s[24:25]
	s_mov_b64 s[26:27], -1
	v_cmp_ne_u32_e32 vcc, 0, v0
	s_cbranch_vccz .LBB29_3086
; %bb.3073:                             ;   in Loop: Header=BB29_2936 Depth=2
	s_mov_b64 s[92:93], -1
	v_mov_b32_e32 v6, 0
	s_cbranch_execnz .LBB29_3087
.LBB29_3074:                            ;   in Loop: Header=BB29_2936 Depth=2
	scratch_load_dwordx2 v[6:7], off, s33 offset:356 ; 8-byte Folded Reload
	scratch_load_dword v1, off, s33 offset:320 ; 4-byte Folded Reload
	v_ashrrev_i32_e32 v0, 31, v5
	v_lshrrev_b32_e32 v0, 20, v0
	v_add_u32_e32 v0, v5, v0
	v_ashrrev_i32_e32 v0, 12, v0
	s_mov_b64 s[26:27], 0
                                        ; implicit-def: $vgpr8_vgpr9
                                        ; implicit-def: $vgpr12_vgpr13
                                        ; implicit-def: $vgpr16_vgpr17
                                        ; implicit-def: $vgpr20_vgpr21
	s_waitcnt vmcnt(0)
	v_lshl_add_u64 v[64:65], v[58:59], 0, v[6:7]
	v_lshrrev_b32_e32 v1, 6, v1
	v_sub_u32_e32 v30, v0, v1
	v_lshl_add_u64 v[54:55], v[52:53], 0, v[6:7]
	v_cmp_lt_i32_e32 vcc, 0, v30
	s_and_saveexec_b64 s[24:25], vcc
	s_cbranch_execz .LBB29_3101
; %bb.3075:                             ;   in Loop: Header=BB29_2936 Depth=2
	scratch_load_dwordx2 v[6:7], off, s33 offset:356 ; 8-byte Folded Reload
	s_mov_b64 s[94:95], 0
                                        ; implicit-def: $sgpr28_sgpr29
                                        ; implicit-def: $vgpr8_vgpr9
                                        ; implicit-def: $vgpr12_vgpr13
                                        ; implicit-def: $vgpr16_vgpr17
                                        ; implicit-def: $vgpr20_vgpr21
	s_waitcnt vmcnt(0)
	v_lshl_add_u64 v[66:67], v[28:29], 0, v[6:7]
	s_branch .LBB29_3077
.LBB29_3076:                            ;   in Loop: Header=BB29_3077 Depth=3
	s_or_b64 exec, exec, vcc
	v_sub_u32_e32 v30, v1, v6
	v_cmp_gt_i32_e32 vcc, 1, v30
	s_waitcnt vmcnt(3)
	global_store_dwordx4 v[64:65], v[24:27], off
	s_waitcnt vmcnt(3)
	global_store_dwordx4 v[64:65], v[32:35], off offset:1024
	s_waitcnt vmcnt(3)
	global_store_dwordx4 v[64:65], v[36:39], off offset:2048
	;; [unrolled: 2-line block ×3, first 2 shown]
	v_lshl_add_u64 v[64:65], v[64:65], 0, s[76:77]
	global_store_dwordx4 v[54:55], v[24:27], off
	global_store_dwordx4 v[54:55], v[32:35], off offset:1024
	global_store_dwordx4 v[54:55], v[36:39], off offset:2048
	;; [unrolled: 1-line block ×3, first 2 shown]
	v_lshl_add_u64 v[24:25], v[54:55], 0, s[76:77]
	s_or_b64 s[26:27], vcc, s[26:27]
	v_lshl_add_u64 v[26:27], v[64:65], 0, v[88:89]
	v_lshl_add_u64 v[32:33], v[24:25], 0, v[88:89]
	s_andn2_b64 s[28:29], s[28:29], exec
	s_and_b64 vcc, s[94:95], exec
	v_lshl_add_u64 v[66:67], v[66:67], 0, v[68:69]
	v_cndmask_b32_e64 v65, v65, v27, s[94:95]
	v_cndmask_b32_e64 v64, v64, v26, s[94:95]
	;; [unrolled: 1-line block ×4, first 2 shown]
	s_or_b64 s[28:29], s[28:29], vcc
	s_andn2_b64 exec, exec, s[26:27]
	s_cbranch_execz .LBB29_3100
.LBB29_3077:                            ;   Parent Loop BB29_47 Depth=1
                                        ;     Parent Loop BB29_2936 Depth=2
                                        ; =>    This Inner Loop Header: Depth=3
	global_load_dwordx4 v[24:27], v[66:67], off nt
	global_load_dwordx4 v[32:35], v[66:67], off offset:1024 nt
	global_load_dwordx4 v[36:39], v[66:67], off offset:2048 nt
	;; [unrolled: 1-line block ×3, first 2 shown]
	s_and_saveexec_b64 vcc, s[94:95]
	s_cbranch_execz .LBB29_3079
; %bb.3078:                             ;   in Loop: Header=BB29_3077 Depth=3
	global_store_dwordx4 v[64:65], v[8:11], off
	global_store_dwordx4 v[64:65], v[12:15], off offset:1024
	global_store_dwordx4 v[64:65], v[16:19], off offset:2048
	;; [unrolled: 1-line block ×3, first 2 shown]
	global_store_dwordx4 v[54:55], v[8:11], off
	global_store_dwordx4 v[54:55], v[12:15], off offset:1024
	global_store_dwordx4 v[54:55], v[16:19], off offset:2048
	global_store_dwordx4 v[54:55], v[20:23], off offset:3072
	v_lshl_add_u64 v[64:65], v[64:65], 0, v[106:107]
	v_lshl_add_u64 v[54:55], v[54:55], 0, v[106:107]
.LBB29_3079:                            ;   in Loop: Header=BB29_3077 Depth=3
	s_or_b64 exec, exec, vcc
	v_sub_u32_e32 v1, v30, v60
	v_lshl_add_u64 v[66:67], v[66:67], 0, v[106:107]
	v_mov_b32_e32 v6, 0
	v_cmp_lt_i32_e64 s[94:95], 0, v1
	v_mov_b64_e32 v[68:69], 0
	s_and_saveexec_b64 vcc, s[94:95]
	s_cbranch_execz .LBB29_3076
; %bb.3080:                             ;   in Loop: Header=BB29_3077 Depth=3
	global_load_dwordx4 v[8:11], v[66:67], off nt
	global_load_dwordx4 v[12:15], v[66:67], off offset:1024 nt
	global_load_dwordx4 v[16:19], v[66:67], off offset:2048 nt
	;; [unrolled: 1-line block ×3, first 2 shown]
	v_lshl_add_u64 v[66:67], v[66:67], 0, s[76:77]
	v_mov_b32_e32 v6, v60
	v_mov_b64_e32 v[68:69], v[88:89]
	s_branch .LBB29_3076
.LBB29_3081:                            ;   in Loop: Header=BB29_2936 Depth=2
	s_mov_b64 s[24:25], 0
	s_and_saveexec_b64 s[26:27], s[6:7]
	s_cbranch_execnz .LBB29_3209
.LBB29_3082:                            ;   in Loop: Header=BB29_2936 Depth=2
	s_or_b64 exec, exec, s[26:27]
                                        ; implicit-def: $vgpr0
	s_and_saveexec_b64 s[26:27], s[22:23]
	s_xor_b64 s[26:27], exec, s[26:27]
	s_cbranch_execz .LBB29_3227
.LBB29_3083:                            ;   in Loop: Header=BB29_2936 Depth=2
	v_and_b32_e32 v1, 16, v110
	v_cmp_ne_u32_e32 vcc, 0, v1
	s_waitcnt vmcnt(0)
	v_and_b32_e32 v0, 16, v110
	s_and_b64 s[28:29], vcc, s[24:25]
	s_and_saveexec_b64 s[24:25], s[28:29]
	s_cbranch_execz .LBB29_3085
; %bb.3084:                             ;   in Loop: Header=BB29_2936 Depth=2
	v_mov_b32_e32 v0, 1
	buffer_wbl2 sc1
	s_waitcnt lgkmcnt(0)
	buffer_inv sc1
.LBB29_3085:                            ;   in Loop: Header=BB29_2936 Depth=2
	s_or_b64 exec, exec, s[24:25]
	s_andn2_saveexec_b64 s[24:25], s[26:27]
	s_cbranch_execz .LBB29_3246
	s_branch .LBB29_3228
.LBB29_3086:                            ;   in Loop: Header=BB29_2936 Depth=2
	s_mov_b64 s[92:93], 0
	s_andn2_b64 vcc, exec, s[26:27]
	v_mov_b32_e32 v6, 0
	s_cbranch_vccz .LBB29_3074
.LBB29_3087:                            ;   in Loop: Header=BB29_2936 Depth=2
	scratch_load_dword v0, off, s33 offset:320 ; 4-byte Folded Reload
	v_mov_b32_e32 v7, v5
	s_waitcnt vmcnt(0)
	v_mov_b32_e32 v1, v0
	v_and_b32_e32 v16, 63, v0
	s_and_saveexec_b64 s[28:29], s[92:93]
	s_cbranch_execnz .LBB29_3125
	s_branch .LBB29_3150
.LBB29_3088:                            ;   in Loop: Header=BB29_2936 Depth=2
	s_or_b64 exec, exec, s[92:93]
	s_and_saveexec_b64 s[92:93], s[94:95]
	s_xor_b64 s[92:93], exec, s[92:93]
	s_cbranch_execz .LBB29_3090
; %bb.3089:                             ;   in Loop: Header=BB29_2936 Depth=2
	v_mov_b32_e32 v0, 1
	ds_write_b32 v0, v0
	s_trap 2
.LBB29_3090:                            ;   in Loop: Header=BB29_2936 Depth=2
	s_or_b64 exec, exec, s[42:43]
	;;#ASMSTART
	s_wakeup
	;;#ASMEND
.LBB29_3091:                            ;   in Loop: Header=BB29_2936 Depth=2
	s_or_b64 exec, exec, s[40:41]
.LBB29_3092:                            ;   in Loop: Header=BB29_2936 Depth=2
	s_andn2_saveexec_b64 s[28:29], s[28:29]
	s_cbranch_execz .LBB29_3094
; %bb.3093:                             ;   in Loop: Header=BB29_2936 Depth=2
	;;#ASMSTART
	s_waitcnt lgkmcnt(0) vmcnt(0)
	;;#ASMEND
	s_barrier
.LBB29_3094:                            ;   in Loop: Header=BB29_2936 Depth=2
	s_or_b64 exec, exec, s[28:29]
	v_and_b32_e32 v0, 16, v110
.LBB29_3095:                            ;   in Loop: Header=BB29_2936 Depth=2
	s_or_b64 exec, exec, s[24:25]
	v_cmp_ne_u32_e32 vcc, 0, v0
	s_xor_b64 s[24:25], s[10:11], -1
	s_and_b64 s[28:29], vcc, s[24:25]
	s_and_saveexec_b64 s[24:25], s[28:29]
	s_cbranch_execz .LBB29_3097
; %bb.3096:                             ;   in Loop: Header=BB29_2936 Depth=2
	scratch_load_dwordx2 v[0:1], off, s33 offset:304 ; 8-byte Folded Reload
	v_mov_b32_e32 v2, 1
	s_waitcnt vmcnt(0)
	flat_store_dword v[0:1], v2 sc0 sc1
.LBB29_3097:                            ;   in Loop: Header=BB29_2936 Depth=2
	s_or_b64 exec, exec, s[24:25]
	v_and_b32_e32 v0, 48, v110
	v_cmp_ne_u32_e32 vcc, 0, v0
	s_and_saveexec_b64 s[24:25], vcc
	s_cbranch_execz .LBB29_3099
; %bb.3098:                             ;   in Loop: Header=BB29_2936 Depth=2
	v_lshl_add_u64 v[124:125], v[124:125], 0, 4
	flat_store_dwordx2 v[40:41], v[124:125] sc0 sc1
.LBB29_3099:                            ;   in Loop: Header=BB29_2936 Depth=2
	s_or_b64 exec, exec, s[24:25]
	s_or_b64 exec, exec, s[26:27]
	s_add_i32 s13, s44, 1
	s_cmp_eq_u32 s44, s86
	s_cbranch_scc0 .LBB29_3252
	s_branch .LBB29_3253
.LBB29_3100:                            ;   in Loop: Header=BB29_2936 Depth=2
	s_or_b64 exec, exec, s[26:27]
	s_and_b64 s[26:27], s[28:29], exec
.LBB29_3101:                            ;   in Loop: Header=BB29_2936 Depth=2
	s_or_b64 exec, exec, s[24:25]
	s_and_saveexec_b64 s[24:25], s[26:27]
	s_cbranch_execz .LBB29_3103
; %bb.3102:                             ;   in Loop: Header=BB29_2936 Depth=2
	global_store_dwordx4 v[64:65], v[8:11], off
	global_store_dwordx4 v[64:65], v[12:15], off offset:1024
	global_store_dwordx4 v[64:65], v[16:19], off offset:2048
	;; [unrolled: 1-line block ×3, first 2 shown]
	global_store_dwordx4 v[54:55], v[8:11], off
	global_store_dwordx4 v[54:55], v[12:15], off offset:1024
	global_store_dwordx4 v[54:55], v[16:19], off offset:2048
	;; [unrolled: 1-line block ×3, first 2 shown]
.LBB29_3103:                            ;   in Loop: Header=BB29_2936 Depth=2
	s_or_b64 exec, exec, s[24:25]
	v_lshlrev_b32_e32 v0, 12, v0
	v_cmp_ne_u32_e32 vcc, v5, v0
                                        ; implicit-def: $vgpr7
                                        ; implicit-def: $vgpr6
                                        ; implicit-def: $vgpr1
                                        ; implicit-def: $vgpr16
	s_and_saveexec_b64 s[94:95], vcc
	s_cbranch_execz .LBB29_3124
; %bb.3104:                             ;   in Loop: Header=BB29_2936 Depth=2
	scratch_load_dword v7, off, s33 offset:320 ; 4-byte Folded Reload
	v_lshlrev_b32_e32 v6, 6, v30
	v_sub_u32_e32 v1, v5, v0
	s_mov_b64 s[26:27], 0
	s_waitcnt vmcnt(0)
	v_and_b32_e32 v7, 63, v7
	v_sub_u32_e32 v6, v7, v6
	v_ashrrev_i32_e32 v7, 31, v6
	v_lshrrev_b32_e32 v7, 26, v7
	v_add_u32_e32 v7, v6, v7
	v_ashrrev_i32_e32 v8, 6, v7
	v_and_b32_e32 v7, 0xffffffc0, v7
	v_sub_u32_e32 v22, v6, v7
	v_ashrrev_i32_e32 v7, 31, v1
	v_lshrrev_b32_e32 v7, 22, v7
	v_add_u32_e32 v7, v1, v7
	v_lshlrev_b32_e32 v6, 4, v22
	v_and_b32_e32 v23, 0xfffffc00, v7
	v_lshl_add_u32 v6, v8, 10, v6
	v_sub_u32_e32 v24, v1, v23
	v_add_u32_e32 v10, v6, v0
	v_ashrrev_i32_e32 v9, 10, v7
	v_cmp_lt_i32_e64 s[24:25], 15, v24
	v_sub_u32_e32 v6, v1, v6
	v_ashrrev_i32_e32 v11, 31, v10
	v_addc_co_u32_e64 v1, vcc, 0, v9, s[24:25]
	v_lshl_add_u64 v[16:17], v[10:11], 0, v[58:59]
	v_lshl_add_u64 v[18:19], v[10:11], 0, v[52:53]
	v_sub_u32_e32 v25, v1, v8
	v_cmp_lt_i32_e32 vcc, 15, v6
                                        ; implicit-def: $vgpr8_vgpr9
	s_and_saveexec_b64 s[30:31], vcc
	s_cbranch_execz .LBB29_3118
; %bb.3105:                             ;   in Loop: Header=BB29_2936 Depth=2
	v_lshl_add_u64 v[20:21], v[10:11], 0, v[28:29]
	s_mov_b64 s[38:39], 0
	s_mov_b64 s[34:35], 0
                                        ; implicit-def: $sgpr36_sgpr37
                                        ; implicit-def: $vgpr8_vgpr9
	s_branch .LBB29_3107
.LBB29_3106:                            ;   in Loop: Header=BB29_3107 Depth=3
	s_or_b64 exec, exec, s[26:27]
	v_cmp_gt_i32_e32 vcc, 16, v6
	s_or_b64 s[34:35], vcc, s[34:35]
	s_andn2_b64 s[26:27], s[36:37], exec
	s_and_b64 s[28:29], s[38:39], exec
	s_or_b64 s[36:37], s[26:27], s[28:29]
	s_andn2_b64 exec, exec, s[34:35]
	s_cbranch_execz .LBB29_3117
.LBB29_3107:                            ;   Parent Loop BB29_47 Depth=1
                                        ;     Parent Loop BB29_2936 Depth=2
                                        ; =>    This Loop Header: Depth=3
                                        ;         Child Loop BB29_3109 Depth 4
                                        ;         Child Loop BB29_3114 Depth 4
	global_load_dwordx4 v[12:15], v[20:21], off nt
	s_and_saveexec_b64 s[48:49], s[38:39]
	s_cbranch_execz .LBB29_3111
; %bb.3108:                             ;   in Loop: Header=BB29_3107 Depth=3
	s_mov_b64 s[50:51], 0
	s_mov_b64 s[38:39], -1
.LBB29_3109:                            ;   Parent Loop BB29_47 Depth=1
                                        ;     Parent Loop BB29_2936 Depth=2
                                        ;       Parent Loop BB29_3107 Depth=3
                                        ; =>      This Inner Loop Header: Depth=4
	s_cmp_eq_u32 s50, 1
	s_cselect_b64 vcc, -1, 0
	v_cndmask_b32_e32 v27, v17, v19, vcc
	s_cmp_eq_u32 s50, 0
	v_cndmask_b32_e32 v26, v16, v18, vcc
	s_waitcnt vmcnt(2)
	global_store_dwordx4 v[26:27], v[8:11], off
	v_lshl_add_u64 v[26:27], v[26:27], 0, s[60:61]
	s_cselect_b64 s[26:27], -1, 0
	s_and_b64 s[28:29], exec, s[38:39]
	s_mov_b64 s[50:51], 1
	s_mov_b64 s[38:39], 0
	v_cndmask_b32_e32 v19, v19, v27, vcc
	v_cndmask_b32_e32 v18, v18, v26, vcc
	v_cndmask_b32_e64 v17, v17, v27, s[26:27]
	v_cndmask_b32_e64 v16, v16, v26, s[26:27]
	s_mov_b64 vcc, s[28:29]
	s_cbranch_vccnz .LBB29_3109
; %bb.3110:                             ;   in Loop: Header=BB29_3107 Depth=3
	v_lshl_add_u64 v[16:17], v[16:17], 0, v[90:91]
	v_lshl_add_u64 v[18:19], v[18:19], 0, v[90:91]
.LBB29_3111:                            ;   in Loop: Header=BB29_3107 Depth=3
	s_or_b64 exec, exec, s[48:49]
	scratch_load_dwordx2 v[26:27], off, s33 offset:264 ; 8-byte Folded Reload
	v_lshlrev_b32_e32 v1, 10, v60
	v_sub_u32_e32 v6, v6, v1
	v_cmp_lt_i32_e64 s[38:39], 15, v6
	s_waitcnt vmcnt(0)
	v_lshl_add_u64 v[20:21], v[26:27], 0, v[20:21]
	s_and_saveexec_b64 s[26:27], s[38:39]
	s_cbranch_execz .LBB29_3113
; %bb.3112:                             ;   in Loop: Header=BB29_3107 Depth=3
	global_load_dwordx4 v[8:11], v[20:21], off nt
	v_lshl_add_u64 v[20:21], v[20:21], 0, s[60:61]
.LBB29_3113:                            ;   in Loop: Header=BB29_3107 Depth=3
	s_or_b64 exec, exec, s[26:27]
	s_mov_b64 s[50:51], 0
	s_mov_b64 s[48:49], -1
.LBB29_3114:                            ;   Parent Loop BB29_47 Depth=1
                                        ;     Parent Loop BB29_2936 Depth=2
                                        ;       Parent Loop BB29_3107 Depth=3
                                        ; =>      This Inner Loop Header: Depth=4
	s_cmp_eq_u32 s50, 1
	s_cselect_b64 vcc, -1, 0
	v_cndmask_b32_e32 v27, v17, v19, vcc
	s_cmp_eq_u32 s50, 0
	v_cndmask_b32_e32 v26, v16, v18, vcc
	global_store_dwordx4 v[26:27], v[12:15], off
	v_lshl_add_u64 v[26:27], v[26:27], 0, s[60:61]
	s_cselect_b64 s[26:27], -1, 0
	s_and_b64 s[28:29], exec, s[48:49]
	s_mov_b64 s[50:51], 1
	s_mov_b64 s[48:49], 0
	v_cndmask_b32_e32 v19, v19, v27, vcc
	v_cndmask_b32_e32 v18, v18, v26, vcc
	v_cndmask_b32_e64 v17, v17, v27, s[26:27]
	v_cndmask_b32_e64 v16, v16, v26, s[26:27]
	s_mov_b64 vcc, s[28:29]
	s_cbranch_vccnz .LBB29_3114
; %bb.3115:                             ;   in Loop: Header=BB29_3107 Depth=3
	v_sub_u32_e32 v25, v25, v60
	s_and_saveexec_b64 s[26:27], s[38:39]
	s_cbranch_execz .LBB29_3106
; %bb.3116:                             ;   in Loop: Header=BB29_3107 Depth=3
	v_lshlrev_b32_e32 v1, 10, v60
	v_lshl_add_u64 v[16:17], v[16:17], 0, v[90:91]
	v_lshl_add_u64 v[18:19], v[18:19], 0, v[90:91]
	;; [unrolled: 1-line block ×3, first 2 shown]
	v_sub_u32_e32 v6, v6, v1
	v_sub_u32_e32 v25, v25, v60
	s_branch .LBB29_3106
.LBB29_3117:                            ;   in Loop: Header=BB29_2936 Depth=2
	s_or_b64 exec, exec, s[34:35]
	s_and_b64 s[26:27], s[36:37], exec
.LBB29_3118:                            ;   in Loop: Header=BB29_2936 Depth=2
	s_or_b64 exec, exec, s[30:31]
	s_and_saveexec_b64 s[30:31], s[26:27]
	s_cbranch_execz .LBB29_3121
; %bb.3119:                             ;   in Loop: Header=BB29_2936 Depth=2
	s_mov_b64 s[36:37], 0
	s_mov_b64 s[34:35], -1
	s_waitcnt vmcnt(0)
.LBB29_3120:                            ;   Parent Loop BB29_47 Depth=1
                                        ;     Parent Loop BB29_2936 Depth=2
                                        ; =>    This Inner Loop Header: Depth=3
	s_cmp_eq_u32 s36, 1
	s_cselect_b64 vcc, -1, 0
	v_cndmask_b32_e32 v7, v17, v19, vcc
	s_cmp_eq_u32 s36, 0
	v_cndmask_b32_e32 v6, v16, v18, vcc
	global_store_dwordx4 v[6:7], v[8:11], off
	v_lshl_add_u64 v[6:7], v[6:7], 0, s[60:61]
	s_cselect_b64 s[26:27], -1, 0
	s_and_b64 s[28:29], exec, s[34:35]
	s_mov_b64 s[36:37], 1
	s_mov_b64 s[34:35], 0
	v_cndmask_b32_e32 v19, v19, v7, vcc
	v_cndmask_b32_e32 v18, v18, v6, vcc
	v_cndmask_b32_e64 v17, v17, v7, s[26:27]
	v_cndmask_b32_e64 v16, v16, v6, s[26:27]
	s_mov_b64 vcc, s[28:29]
	s_cbranch_vccnz .LBB29_3120
.LBB29_3121:                            ;   in Loop: Header=BB29_2936 Depth=2
	s_or_b64 exec, exec, s[30:31]
	s_waitcnt vmcnt(1)
	v_and_b32_e32 v8, 14, v5
	v_cndmask_b32_e64 v7, v24, v8, s[24:25]
	v_cmp_ne_u32_e32 vcc, 0, v7
	s_mov_b64 s[26:27], s[92:93]
                                        ; implicit-def: $vgpr6
                                        ; implicit-def: $vgpr1
                                        ; implicit-def: $vgpr16
	s_and_saveexec_b64 s[28:29], vcc
	s_cbranch_execz .LBB29_3123
; %bb.3122:                             ;   in Loop: Header=BB29_2936 Depth=2
	v_sub_u32_e32 v1, v24, v8
	v_cndmask_b32_e64 v1, 0, v1, s[24:25]
	v_cmp_lt_i32_e32 vcc, 0, v25
	v_add3_u32 v6, v23, v0, v1
	s_or_b64 s[26:27], s[92:93], exec
	v_cndmask_b32_e32 v0, 0, v60, vcc
	v_sub_u32_e32 v0, v0, v25
	v_lshl_add_u32 v1, v0, 6, v22
	v_ashrrev_i32_e32 v0, 31, v1
	v_lshrrev_b32_e32 v0, 26, v0
	v_add_u32_e32 v0, v1, v0
	v_and_b32_e32 v0, 0xffffffc0, v0
	v_sub_u32_e32 v16, v1, v0
.LBB29_3123:                            ;   in Loop: Header=BB29_2936 Depth=2
	s_or_b64 exec, exec, s[28:29]
	s_andn2_b64 s[24:25], s[92:93], exec
	s_and_b64 s[26:27], s[26:27], exec
	s_or_b64 s[92:93], s[24:25], s[26:27]
.LBB29_3124:                            ;   in Loop: Header=BB29_2936 Depth=2
	s_or_b64 exec, exec, s[94:95]
	s_and_saveexec_b64 s[28:29], s[92:93]
	s_cbranch_execz .LBB29_3150
.LBB29_3125:                            ;   in Loop: Header=BB29_2936 Depth=2
	v_ashrrev_i32_e32 v0, 31, v1
	v_lshrrev_b32_e32 v0, 26, v0
	v_add_u32_e32 v0, v1, v0
	v_ashrrev_i32_e32 v1, 6, v0
	v_lshlrev_b32_e32 v0, 11, v1
	v_lshlrev_b32_e32 v8, 1, v16
	v_add3_u32 v12, v6, v8, v0
	v_ashrrev_i32_e32 v0, 31, v7
	v_lshrrev_b32_e32 v0, 21, v0
	v_add_u32_e32 v0, v7, v0
	v_ashrrev_i32_e32 v0, 11, v0
	v_ashrrev_i32_e32 v13, 31, v12
	v_sub_u32_e32 v14, v0, v1
	v_lshl_add_u64 v[10:11], v[58:59], 0, v[12:13]
	v_lshl_add_u64 v[8:9], v[52:53], 0, v[12:13]
	v_cmp_lt_i32_e32 vcc, 0, v14
	s_mov_b64 s[26:27], 0
                                        ; implicit-def: $vgpr17
                                        ; implicit-def: $vgpr18
                                        ; implicit-def: $vgpr19
                                        ; implicit-def: $vgpr20
                                        ; implicit-def: $vgpr21
                                        ; implicit-def: $vgpr22
                                        ; implicit-def: $vgpr23
                                        ; implicit-def: $vgpr24
                                        ; implicit-def: $vgpr25
                                        ; implicit-def: $vgpr26
                                        ; implicit-def: $vgpr27
                                        ; implicit-def: $vgpr30
                                        ; implicit-def: $vgpr32
                                        ; implicit-def: $vgpr33
                                        ; implicit-def: $vgpr34
                                        ; implicit-def: $vgpr35
	s_and_saveexec_b64 s[24:25], vcc
	s_cbranch_execz .LBB29_3133
; %bb.3126:                             ;   in Loop: Header=BB29_2936 Depth=2
	v_lshl_add_u64 v[12:13], v[12:13], 0, v[28:29]
	s_mov_b64 s[94:95], 0
                                        ; implicit-def: $sgpr92_sgpr93
                                        ; implicit-def: $vgpr17
                                        ; implicit-def: $vgpr18
                                        ; implicit-def: $vgpr19
                                        ; implicit-def: $vgpr20
                                        ; implicit-def: $vgpr21
                                        ; implicit-def: $vgpr22
                                        ; implicit-def: $vgpr23
                                        ; implicit-def: $vgpr24
                                        ; implicit-def: $vgpr25
                                        ; implicit-def: $vgpr26
                                        ; implicit-def: $vgpr27
                                        ; implicit-def: $vgpr30
                                        ; implicit-def: $vgpr32
                                        ; implicit-def: $vgpr33
                                        ; implicit-def: $vgpr34
                                        ; implicit-def: $vgpr35
	s_branch .LBB29_3128
.LBB29_3127:                            ;   in Loop: Header=BB29_3128 Depth=3
	s_or_b64 exec, exec, vcc
	v_lshl_add_u64 v[12:13], v[12:13], 0, v[14:15]
	v_sub_u32_e32 v14, v70, v1
	v_cmp_gt_i32_e32 vcc, 1, v14
	s_waitcnt vmcnt(0) lgkmcnt(0)
	flat_store_short v[10:11], v36 nt
	flat_store_short v[10:11], v37 offset:128 nt
	flat_store_short v[10:11], v38 offset:256 nt
	;; [unrolled: 1-line block ×15, first 2 shown]
	v_lshl_add_u64 v[10:11], v[10:11], 0, s[62:63]
	flat_store_short v[8:9], v36 nt
	flat_store_short v[8:9], v37 offset:128 nt
	flat_store_short v[8:9], v38 offset:256 nt
	;; [unrolled: 1-line block ×15, first 2 shown]
	v_lshl_add_u64 v[8:9], v[8:9], 0, s[62:63]
	s_or_b64 s[26:27], vcc, s[26:27]
	v_lshl_add_u64 v[36:37], v[10:11], 0, v[76:77]
	v_lshl_add_u64 v[38:39], v[8:9], 0, v[76:77]
	s_andn2_b64 s[92:93], s[92:93], exec
	s_and_b64 vcc, s[94:95], exec
	v_cndmask_b32_e64 v11, v11, v37, s[94:95]
	v_cndmask_b32_e64 v10, v10, v36, s[94:95]
	;; [unrolled: 1-line block ×4, first 2 shown]
	s_or_b64 s[92:93], s[92:93], vcc
	s_andn2_b64 exec, exec, s[26:27]
	s_cbranch_execz .LBB29_3132
.LBB29_3128:                            ;   Parent Loop BB29_47 Depth=1
                                        ;     Parent Loop BB29_2936 Depth=2
                                        ; =>    This Inner Loop Header: Depth=3
	flat_load_ushort v36, v[12:13] nt
	flat_load_ushort v37, v[12:13] offset:128 nt
	flat_load_ushort v38, v[12:13] offset:256 nt
	;; [unrolled: 1-line block ×15, first 2 shown]
	s_and_saveexec_b64 vcc, s[94:95]
	s_cbranch_execz .LBB29_3130
; %bb.3129:                             ;   in Loop: Header=BB29_3128 Depth=3
	flat_store_short v[10:11], v17 nt
	flat_store_short v[10:11], v18 offset:128 nt
	flat_store_short v[10:11], v19 offset:256 nt
	;; [unrolled: 1-line block ×15, first 2 shown]
	flat_store_short v[8:9], v17 nt
	flat_store_short v[8:9], v18 offset:128 nt
	flat_store_short v[8:9], v19 offset:256 nt
	flat_store_short v[8:9], v20 offset:384 nt
	flat_store_short v[8:9], v21 offset:512 nt
	flat_store_short v[8:9], v22 offset:640 nt
	flat_store_short v[8:9], v23 offset:768 nt
	flat_store_short v[8:9], v24 offset:896 nt
	flat_store_short v[8:9], v25 offset:1024 nt
	flat_store_short v[8:9], v26 offset:1152 nt
	flat_store_short v[8:9], v27 offset:1280 nt
	flat_store_short v[8:9], v30 offset:1408 nt
	flat_store_short v[8:9], v32 offset:1536 nt
	flat_store_short v[8:9], v33 offset:1664 nt
	flat_store_short v[8:9], v34 offset:1792 nt
	flat_store_short v[8:9], v35 offset:1920 nt
	v_lshl_add_u64 v[10:11], v[10:11], 0, v[104:105]
	v_lshl_add_u64 v[8:9], v[8:9], 0, v[104:105]
.LBB29_3130:                            ;   in Loop: Header=BB29_3128 Depth=3
	s_or_b64 exec, exec, vcc
	v_sub_u32_e32 v70, v14, v60
	v_lshl_add_u64 v[12:13], v[12:13], 0, v[104:105]
	v_mov_b32_e32 v1, 0
	v_cmp_lt_i32_e64 s[94:95], 0, v70
	v_mov_b64_e32 v[14:15], 0
	s_and_saveexec_b64 vcc, s[94:95]
	s_cbranch_execz .LBB29_3127
; %bb.3131:                             ;   in Loop: Header=BB29_3128 Depth=3
	flat_load_ushort v17, v[12:13] nt
	flat_load_ushort v18, v[12:13] offset:128 nt
	flat_load_ushort v19, v[12:13] offset:256 nt
	;; [unrolled: 1-line block ×15, first 2 shown]
	v_lshl_add_u64 v[12:13], v[12:13], 0, s[62:63]
	v_mov_b32_e32 v1, v60
	v_mov_b64_e32 v[14:15], v[76:77]
	s_branch .LBB29_3127
.LBB29_3132:                            ;   in Loop: Header=BB29_2936 Depth=2
	s_or_b64 exec, exec, s[26:27]
	s_and_b64 s[26:27], s[92:93], exec
.LBB29_3133:                            ;   in Loop: Header=BB29_2936 Depth=2
	s_or_b64 exec, exec, s[24:25]
	s_and_saveexec_b64 s[24:25], s[26:27]
	s_cbranch_execz .LBB29_3135
; %bb.3134:                             ;   in Loop: Header=BB29_2936 Depth=2
	flat_store_short v[10:11], v17 nt
	flat_store_short v[10:11], v18 offset:128 nt
	flat_store_short v[10:11], v19 offset:256 nt
	;; [unrolled: 1-line block ×15, first 2 shown]
	flat_store_short v[8:9], v17 nt
	flat_store_short v[8:9], v18 offset:128 nt
	flat_store_short v[8:9], v19 offset:256 nt
	;; [unrolled: 1-line block ×15, first 2 shown]
.LBB29_3135:                            ;   in Loop: Header=BB29_2936 Depth=2
	s_or_b64 exec, exec, s[24:25]
	v_lshlrev_b32_e32 v0, 11, v0
	v_cmp_ne_u32_e32 vcc, v7, v0
	s_and_b64 exec, exec, vcc
	s_cbranch_execz .LBB29_3150
; %bb.3136:                             ;   in Loop: Header=BB29_2936 Depth=2
	v_lshlrev_b32_e32 v1, 6, v14
	v_sub_u32_e32 v1, v16, v1
	v_ashrrev_i32_e32 v8, 31, v1
	v_lshrrev_b32_e32 v8, 26, v8
	v_add_u32_e32 v8, v1, v8
	v_and_b32_e32 v9, 0x7fffffc0, v8
	v_sub_u32_e32 v1, v1, v9
	v_lshlrev_b32_e32 v8, 1, v8
	v_and_b32_e32 v8, 0xffffff80, v8
	v_lshlrev_b32_e32 v1, 1, v1
	v_add3_u32 v0, v8, v1, v0
	v_sub_u32_e32 v7, v7, v0
	v_cmp_lt_i32_e32 vcc, 1, v7
	s_and_b64 exec, exec, vcc
	s_cbranch_execz .LBB29_3150
; %bb.3137:                             ;   in Loop: Header=BB29_2936 Depth=2
	s_trap 2
	ds_read_b64 v[12:13], v0
	v_add_u32_e32 v0, v0, v6
	v_ashrrev_i32_e32 v1, 31, v0
	v_lshl_add_u64 v[8:9], v[58:59], 0, v[0:1]
	v_lshl_add_u64 v[10:11], v[52:53], 0, v[0:1]
	s_waitcnt lgkmcnt(0)
	v_lshl_add_u64 v[12:13], v[12:13], 0, v[0:1]
	s_mov_b64 s[30:31], 0
	s_mov_b64 s[92:93], 0
                                        ; implicit-def: $sgpr94_sgpr95
                                        ; implicit-def: $vgpr0
.LBB29_3138:                            ;   Parent Loop BB29_47 Depth=1
                                        ;     Parent Loop BB29_2936 Depth=2
                                        ; =>    This Loop Header: Depth=3
                                        ;         Child Loop BB29_3140 Depth 4
                                        ;         Child Loop BB29_3145 Depth 4
	flat_load_ushort v6, v[12:13] nt
	s_and_saveexec_b64 s[34:35], s[30:31]
	s_cbranch_execz .LBB29_3142
; %bb.3139:                             ;   in Loop: Header=BB29_3138 Depth=3
	s_mov_b64 s[36:37], 0
	s_mov_b64 s[30:31], -1
.LBB29_3140:                            ;   Parent Loop BB29_47 Depth=1
                                        ;     Parent Loop BB29_2936 Depth=2
                                        ;       Parent Loop BB29_3138 Depth=3
                                        ; =>      This Inner Loop Header: Depth=4
	s_cmp_eq_u32 s36, 1
	s_cselect_b64 vcc, -1, 0
	v_cndmask_b32_e32 v15, v9, v11, vcc
	s_cmp_eq_u32 s36, 0
	v_cndmask_b32_e32 v14, v8, v10, vcc
	s_waitcnt vmcnt(0)
	flat_store_short v[14:15], v0 nt
	v_lshl_add_u64 v[14:15], v[14:15], 0, s[72:73]
	s_cselect_b64 s[24:25], -1, 0
	s_and_b64 s[26:27], exec, s[30:31]
	s_mov_b64 s[36:37], 1
	s_mov_b64 s[30:31], 0
	v_cndmask_b32_e32 v11, v11, v15, vcc
	v_cndmask_b32_e32 v10, v10, v14, vcc
	v_cndmask_b32_e64 v9, v9, v15, s[24:25]
	v_cndmask_b32_e64 v8, v8, v14, s[24:25]
	s_mov_b64 vcc, s[26:27]
	s_cbranch_vccnz .LBB29_3140
; %bb.3141:                             ;   in Loop: Header=BB29_3138 Depth=3
	v_lshl_add_u64 v[8:9], v[8:9], 0, v[92:93]
	v_lshl_add_u64 v[10:11], v[10:11], 0, v[92:93]
.LBB29_3142:                            ;   in Loop: Header=BB29_3138 Depth=3
	s_or_b64 exec, exec, s[34:35]
	scratch_load_dwordx2 v[14:15], off, s33 offset:256 ; 8-byte Folded Reload
	v_sub_u32_e32 v1, v7, v31
	v_cmp_lt_i32_e64 s[30:31], 1, v1
	s_waitcnt vmcnt(0)
	v_lshl_add_u64 v[12:13], v[14:15], 0, v[12:13]
	s_and_saveexec_b64 s[24:25], s[30:31]
	s_cbranch_execz .LBB29_3144
; %bb.3143:                             ;   in Loop: Header=BB29_3138 Depth=3
	flat_load_ushort v0, v[12:13] nt
	v_lshl_add_u64 v[12:13], v[12:13], 0, s[72:73]
.LBB29_3144:                            ;   in Loop: Header=BB29_3138 Depth=3
	s_or_b64 exec, exec, s[24:25]
	s_mov_b64 s[36:37], 0
	s_mov_b64 s[34:35], -1
.LBB29_3145:                            ;   Parent Loop BB29_47 Depth=1
                                        ;     Parent Loop BB29_2936 Depth=2
                                        ;       Parent Loop BB29_3138 Depth=3
                                        ; =>      This Inner Loop Header: Depth=4
	s_cmp_eq_u32 s36, 1
	s_cselect_b64 vcc, -1, 0
	v_cndmask_b32_e32 v15, v9, v11, vcc
	s_cmp_eq_u32 s36, 0
	v_cndmask_b32_e32 v14, v8, v10, vcc
	s_waitcnt lgkmcnt(0)
	flat_store_short v[14:15], v6 nt
	v_lshl_add_u64 v[14:15], v[14:15], 0, s[72:73]
	s_cselect_b64 s[24:25], -1, 0
	s_and_b64 s[26:27], exec, s[34:35]
	s_mov_b64 s[36:37], 1
	s_mov_b64 s[34:35], 0
	v_cndmask_b32_e32 v11, v11, v15, vcc
	v_cndmask_b32_e32 v10, v10, v14, vcc
	v_cndmask_b32_e64 v9, v9, v15, s[24:25]
	v_cndmask_b32_e64 v8, v8, v14, s[24:25]
	s_mov_b64 vcc, s[26:27]
	s_cbranch_vccnz .LBB29_3145
; %bb.3146:                             ;   in Loop: Header=BB29_3138 Depth=3
	v_cndmask_b32_e64 v7, 0, v93, s[30:31]
	v_cndmask_b32_e64 v6, 0, v92, s[30:31]
	v_lshl_add_u64 v[12:13], v[12:13], 0, v[6:7]
	v_cndmask_b32_e64 v6, 0, v31, s[30:31]
	v_sub_u32_e32 v7, v1, v6
	v_cmp_gt_i32_e32 vcc, 2, v7
	s_or_b64 s[92:93], vcc, s[92:93]
	v_lshl_add_u64 v[14:15], v[8:9], 0, v[92:93]
	v_lshl_add_u64 v[16:17], v[10:11], 0, v[92:93]
	s_andn2_b64 s[24:25], s[94:95], exec
	s_and_b64 s[26:27], s[30:31], exec
	v_cndmask_b32_e64 v11, v11, v17, s[30:31]
	v_cndmask_b32_e64 v10, v10, v16, s[30:31]
	;; [unrolled: 1-line block ×4, first 2 shown]
	s_or_b64 s[94:95], s[24:25], s[26:27]
	s_andn2_b64 exec, exec, s[92:93]
	s_cbranch_execnz .LBB29_3138
; %bb.3147:                             ;   in Loop: Header=BB29_2936 Depth=2
	s_or_b64 exec, exec, s[92:93]
	s_and_b64 exec, exec, s[94:95]
	s_cbranch_execz .LBB29_3150
; %bb.3148:                             ;   in Loop: Header=BB29_2936 Depth=2
	s_mov_b64 s[94:95], 0
	s_mov_b64 s[92:93], -1
	s_waitcnt vmcnt(0)
.LBB29_3149:                            ;   Parent Loop BB29_47 Depth=1
                                        ;     Parent Loop BB29_2936 Depth=2
                                        ; =>    This Inner Loop Header: Depth=3
	s_cmp_eq_u32 s94, 1
	s_cselect_b64 vcc, -1, 0
	v_cndmask_b32_e32 v7, v15, v17, vcc
	s_cmp_eq_u32 s94, 0
	v_cndmask_b32_e32 v6, v14, v16, vcc
	flat_store_short v[6:7], v0 nt
	v_lshl_add_u64 v[6:7], v[6:7], 0, s[72:73]
	s_cselect_b64 s[24:25], -1, 0
	s_and_b64 s[26:27], exec, s[92:93]
	s_mov_b64 s[94:95], 1
	s_mov_b64 s[92:93], 0
	v_cndmask_b32_e64 v15, v15, v7, s[24:25]
	v_cndmask_b32_e64 v14, v14, v6, s[24:25]
	v_cndmask_b32_e32 v17, v17, v7, vcc
	v_cndmask_b32_e32 v16, v16, v6, vcc
	s_mov_b64 vcc, s[26:27]
	s_cbranch_vccnz .LBB29_3149
.LBB29_3150:                            ;   in Loop: Header=BB29_2936 Depth=2
	s_or_b64 exec, exec, s[28:29]
	s_mov_b64 s[24:25], 0
.LBB29_3151:                            ;   in Loop: Header=BB29_2936 Depth=2
	s_and_b64 vcc, exec, s[24:25]
	s_cbranch_vccz .LBB29_3165
; %bb.3152:                             ;   in Loop: Header=BB29_2936 Depth=2
	s_mov_b64 s[24:25], -1
	s_and_saveexec_b64 s[26:27], s[18:19]
	s_cbranch_execz .LBB29_3154
; %bb.3153:                             ;   in Loop: Header=BB29_2936 Depth=2
	s_waitcnt vmcnt(0)
	ds_read_b32 v0, v0 offset:720
	s_waitcnt lgkmcnt(0)
	v_and_b32_e32 v0, 15, v0
	v_cmp_eq_u32_e32 vcc, 0, v0
	s_orn2_b64 s[24:25], vcc, exec
.LBB29_3154:                            ;   in Loop: Header=BB29_2936 Depth=2
	s_or_b64 exec, exec, s[26:27]
	s_and_saveexec_b64 s[26:27], s[16:17]
	s_cbranch_execz .LBB29_3156
; %bb.3155:                             ;   in Loop: Header=BB29_2936 Depth=2
	s_waitcnt vmcnt(0)
	ds_read_b32 v0, v0 offset:784
	s_waitcnt lgkmcnt(0)
	v_and_b32_e32 v0, 15, v0
	v_cmp_eq_u32_e32 vcc, 0, v0
	s_and_b64 s[28:29], s[24:25], vcc
	s_andn2_b64 s[24:25], s[24:25], exec
	s_and_b64 s[28:29], s[28:29], exec
	s_or_b64 s[24:25], s[24:25], s[28:29]
.LBB29_3156:                            ;   in Loop: Header=BB29_2936 Depth=2
	s_or_b64 exec, exec, s[26:27]
	s_xor_b64 s[24:25], s[24:25], -1
	s_waitcnt vmcnt(0)
	v_cndmask_b32_e64 v0, 0, 1, s[24:25]
	s_mov_b64 s[28:29], -1
	v_cmp_ne_u32_e32 vcc, 0, v0
	s_cbranch_vccz .LBB29_3166
; %bb.3157:                             ;   in Loop: Header=BB29_2936 Depth=2
	s_mov_b64 s[26:27], -1
	v_mov_b32_e32 v0, 0
	s_cbranch_execnz .LBB29_3167
.LBB29_3158:                            ;   in Loop: Header=BB29_2936 Depth=2
	scratch_load_dword v1, off, s33 offset:320 ; 4-byte Folded Reload
	scratch_load_dwordx2 v[8:9], off, s33 offset:380 ; 8-byte Folded Reload
	v_ashrrev_i32_e32 v0, 31, v5
	v_lshrrev_b32_e32 v0, 19, v0
	v_add_u32_e32 v0, v5, v0
	v_ashrrev_i32_e32 v0, 13, v0
	s_mov_b64 s[28:29], 0
                                        ; implicit-def: $vgpr12_vgpr13
                                        ; implicit-def: $vgpr16_vgpr17
                                        ; implicit-def: $vgpr20_vgpr21
                                        ; implicit-def: $vgpr24_vgpr25
                                        ; implicit-def: $vgpr32_vgpr33
                                        ; implicit-def: $vgpr36_vgpr37
                                        ; implicit-def: $vgpr48_vgpr49
	s_waitcnt vmcnt(0)
	v_lshrrev_b32_e32 v1, 6, v1
	v_sub_u32_e32 v7, v0, v1
	v_lshl_add_u64 v[62:63], v[58:59], 0, v[8:9]
	v_cmp_lt_i32_e32 vcc, 0, v7
                                        ; implicit-def: $vgpr8_vgpr9
	s_and_saveexec_b64 s[24:25], vcc
	s_cbranch_execz .LBB29_3169
; %bb.3159:                             ;   in Loop: Header=BB29_2936 Depth=2
	scratch_load_dwordx2 v[8:9], off, s33 offset:380 ; 8-byte Folded Reload
	s_mov_b64 s[94:95], 0
                                        ; implicit-def: $sgpr92_sgpr93
                                        ; implicit-def: $vgpr12_vgpr13
                                        ; implicit-def: $vgpr16_vgpr17
                                        ; implicit-def: $vgpr20_vgpr21
                                        ; implicit-def: $vgpr24_vgpr25
                                        ; implicit-def: $vgpr32_vgpr33
                                        ; implicit-def: $vgpr36_vgpr37
                                        ; implicit-def: $vgpr48_vgpr49
	s_waitcnt vmcnt(0)
	v_lshl_add_u64 v[72:73], v[28:29], 0, v[8:9]
                                        ; implicit-def: $vgpr8_vgpr9
	s_branch .LBB29_3161
.LBB29_3160:                            ;   in Loop: Header=BB29_3161 Depth=3
	s_or_b64 exec, exec, s[30:31]
	global_store_dwordx4 v[62:63], v[52:55], off
	global_store_dwordx4 v[62:63], v[64:67], off offset:1024
	global_store_dwordx4 v[62:63], v[68:71], off offset:2048
	;; [unrolled: 1-line block ×3, first 2 shown]
	v_add_co_u32_e32 v52, vcc, s87, v62
	v_sub_u32_e32 v7, v6, v1
	s_nop 0
	v_addc_co_u32_e32 v53, vcc, 0, v63, vcc
	v_cmp_gt_i32_e32 vcc, 1, v7
	s_or_b64 s[28:29], vcc, s[28:29]
	global_store_dwordx4 v[52:53], v[84:87], off
	global_store_dwordx4 v[52:53], v[96:99], off offset:1024
	global_store_dwordx4 v[52:53], v[100:103], off offset:2048
	global_store_dwordx4 v[52:53], v[112:115], off offset:3072
	s_waitcnt vmcnt(0)
	v_lshl_add_u64 v[52:53], v[62:63], 0, v[78:79]
	s_andn2_b64 s[92:93], s[92:93], exec
	s_and_b64 vcc, s[94:95], exec
	v_lshl_add_u64 v[62:63], v[52:53], 0, s[58:59]
	v_lshl_add_u64 v[72:73], v[72:73], 0, v[78:79]
	s_or_b64 s[92:93], s[92:93], vcc
	s_andn2_b64 exec, exec, s[28:29]
	s_cbranch_execz .LBB29_3168
.LBB29_3161:                            ;   Parent Loop BB29_47 Depth=1
                                        ;     Parent Loop BB29_2936 Depth=2
                                        ; =>    This Inner Loop Header: Depth=3
	v_add_co_u32_e32 v112, vcc, 0x1000, v72
	global_load_dwordx4 v[52:55], v[72:73], off nt
	global_load_dwordx4 v[64:67], v[72:73], off offset:1024 nt
	global_load_dwordx4 v[68:71], v[72:73], off offset:2048 nt
	;; [unrolled: 1-line block ×3, first 2 shown]
	v_addc_co_u32_e32 v113, vcc, 0, v73, vcc
	global_load_dwordx4 v[84:87], v[112:113], off nt
	global_load_dwordx4 v[96:99], v[112:113], off offset:1024 nt
	global_load_dwordx4 v[100:103], v[112:113], off offset:2048 nt
	s_nop 0
	global_load_dwordx4 v[112:115], v[112:113], off offset:3072 nt
	s_and_saveexec_b64 s[30:31], s[94:95]
	s_cbranch_execz .LBB29_3163
; %bb.3162:                             ;   in Loop: Header=BB29_3161 Depth=3
	v_add_co_u32_e32 v118, vcc, 0x1000, v62
	global_store_dwordx4 v[62:63], v[8:11], off
	global_store_dwordx4 v[62:63], v[12:15], off offset:1024
	global_store_dwordx4 v[62:63], v[16:19], off offset:2048
	;; [unrolled: 1-line block ×3, first 2 shown]
	v_addc_co_u32_e32 v119, vcc, 0, v63, vcc
	global_store_dwordx4 v[118:119], v[24:27], off
	global_store_dwordx4 v[118:119], v[32:35], off offset:1024
	global_store_dwordx4 v[118:119], v[36:39], off offset:2048
	;; [unrolled: 1-line block ×3, first 2 shown]
	scratch_load_dwordx2 v[118:119], off, s33 offset:272 ; 8-byte Folded Reload
	s_waitcnt vmcnt(0)
	v_lshl_add_u64 v[62:63], v[62:63], 0, v[118:119]
.LBB29_3163:                            ;   in Loop: Header=BB29_3161 Depth=3
	s_or_b64 exec, exec, s[30:31]
	scratch_load_dwordx2 v[118:119], off, s33 offset:272 ; 8-byte Folded Reload
	v_sub_u32_e32 v6, v7, v60
	v_mov_b32_e32 v1, 0
	v_cmp_lt_i32_e64 s[94:95], 0, v6
	v_mov_b64_e32 v[78:79], 0
	s_waitcnt vmcnt(0)
	v_lshl_add_u64 v[72:73], v[72:73], 0, v[118:119]
	s_and_saveexec_b64 s[30:31], s[94:95]
	s_cbranch_execz .LBB29_3160
; %bb.3164:                             ;   in Loop: Header=BB29_3161 Depth=3
	v_add_co_u32_e32 v48, vcc, s87, v72
	global_load_dwordx4 v[8:11], v[72:73], off nt
	global_load_dwordx4 v[12:15], v[72:73], off offset:1024 nt
	global_load_dwordx4 v[16:19], v[72:73], off offset:2048 nt
	;; [unrolled: 1-line block ×3, first 2 shown]
	v_addc_co_u32_e32 v49, vcc, 0, v73, vcc
	global_load_dwordx4 v[24:27], v[48:49], off nt
	global_load_dwordx4 v[32:35], v[48:49], off offset:1024 nt
	global_load_dwordx4 v[36:39], v[48:49], off offset:2048 nt
	s_nop 0
	global_load_dwordx4 v[48:51], v[48:49], off offset:3072 nt
	v_lshl_add_u64 v[72:73], v[72:73], 0, s[58:59]
	scratch_load_dwordx2 v[78:79], off, s33 offset:340 ; 8-byte Folded Reload
	v_mov_b32_e32 v1, v60
	s_branch .LBB29_3160
.LBB29_3165:                            ;   in Loop: Header=BB29_2936 Depth=2
	v_cmp_lt_i32_e64 s[24:25], 0, v2
	s_and_saveexec_b64 s[26:27], s[6:7]
	s_cbranch_execnz .LBB29_3209
	s_branch .LBB29_3082
.LBB29_3166:                            ;   in Loop: Header=BB29_2936 Depth=2
	s_mov_b64 s[26:27], 0
	s_andn2_b64 vcc, exec, s[28:29]
	v_mov_b32_e32 v0, 0
	s_cbranch_vccz .LBB29_3158
.LBB29_3167:                            ;   in Loop: Header=BB29_2936 Depth=2
	scratch_load_dword v6, off, s33 offset:320 ; 4-byte Folded Reload
	s_waitcnt vmcnt(0)
	v_mov_b32_e32 v1, v6
	v_and_b32_e32 v6, 63, v6
	s_and_saveexec_b64 s[24:25], s[26:27]
	s_cbranch_execnz .LBB29_3188
	s_branch .LBB29_3208
.LBB29_3168:                            ;   in Loop: Header=BB29_2936 Depth=2
	s_or_b64 exec, exec, s[28:29]
	s_and_b64 s[28:29], s[92:93], exec
.LBB29_3169:                            ;   in Loop: Header=BB29_2936 Depth=2
	s_or_b64 exec, exec, s[24:25]
	s_and_saveexec_b64 s[24:25], s[28:29]
	s_cbranch_execz .LBB29_3171
; %bb.3170:                             ;   in Loop: Header=BB29_2936 Depth=2
	global_store_dwordx4 v[62:63], v[8:11], off
	global_store_dwordx4 v[62:63], v[12:15], off offset:1024
	global_store_dwordx4 v[62:63], v[16:19], off offset:2048
	global_store_dwordx4 v[62:63], v[20:23], off offset:3072
	v_add_co_u32_e32 v8, vcc, 0x1000, v62
	s_nop 1
	v_addc_co_u32_e32 v9, vcc, 0, v63, vcc
	global_store_dwordx4 v[8:9], v[24:27], off
	global_store_dwordx4 v[8:9], v[32:35], off offset:1024
	global_store_dwordx4 v[8:9], v[36:39], off offset:2048
	;; [unrolled: 1-line block ×3, first 2 shown]
.LBB29_3171:                            ;   in Loop: Header=BB29_2936 Depth=2
	s_or_b64 exec, exec, s[24:25]
	v_lshlrev_b32_e32 v20, 13, v0
	v_cmp_ne_u32_e32 vcc, v5, v20
                                        ; implicit-def: $vgpr0
                                        ; implicit-def: $vgpr1
                                        ; implicit-def: $vgpr6
	s_and_saveexec_b64 s[28:29], vcc
	s_cbranch_execz .LBB29_3187
; %bb.3172:                             ;   in Loop: Header=BB29_2936 Depth=2
	scratch_load_dword v6, off, s33 offset:320 ; 4-byte Folded Reload
	v_lshlrev_b32_e32 v0, 6, v7
	v_sub_u32_e32 v1, v5, v20
	s_mov_b64 s[94:95], 0
	s_waitcnt vmcnt(0)
	v_and_b32_e32 v6, 63, v6
	v_sub_u32_e32 v0, v6, v0
	v_ashrrev_i32_e32 v6, 31, v0
	v_lshrrev_b32_e32 v6, 26, v6
	v_add_u32_e32 v6, v0, v6
	v_ashrrev_i32_e32 v8, 6, v6
	v_and_b32_e32 v6, 0xffffffc0, v6
	v_sub_u32_e32 v7, v0, v6
	v_ashrrev_i32_e32 v6, 31, v1
	v_lshrrev_b32_e32 v6, 22, v6
	v_add_u32_e32 v6, v1, v6
	v_lshlrev_b32_e32 v0, 4, v7
	v_and_b32_e32 v21, 0xfffffc00, v6
	v_lshl_add_u32 v0, v8, 10, v0
	v_sub_u32_e32 v23, v1, v21
	v_add_u32_e32 v10, v0, v20
	v_ashrrev_i32_e32 v9, 10, v6
	v_cmp_lt_i32_e32 vcc, 15, v23
	v_sub_u32_e32 v0, v1, v0
	v_ashrrev_i32_e32 v11, 31, v10
	v_addc_co_u32_e64 v1, s[24:25], 0, v9, vcc
	v_sub_u32_e32 v22, v1, v8
	v_lshl_add_u64 v[16:17], v[10:11], 0, v[58:59]
	v_cmp_lt_i32_e64 s[24:25], 15, v0
                                        ; implicit-def: $vgpr8_vgpr9
	s_and_saveexec_b64 s[92:93], s[24:25]
	s_cbranch_execz .LBB29_3182
; %bb.3173:                             ;   in Loop: Header=BB29_2936 Depth=2
	v_lshl_add_u64 v[18:19], v[10:11], 0, v[28:29]
	s_mov_b64 s[34:35], 0
                                        ; implicit-def: $sgpr30_sgpr31
                                        ; implicit-def: $vgpr8_vgpr9
	s_branch .LBB29_3175
.LBB29_3174:                            ;   in Loop: Header=BB29_3175 Depth=3
	s_or_b64 exec, exec, s[24:25]
	v_cmp_gt_i32_e64 s[24:25], 16, v0
	s_or_b64 s[94:95], s[24:25], s[94:95]
	s_andn2_b64 s[24:25], s[30:31], exec
	s_and_b64 s[30:31], s[34:35], exec
	s_or_b64 s[30:31], s[24:25], s[30:31]
	s_andn2_b64 exec, exec, s[94:95]
	s_cbranch_execz .LBB29_3181
.LBB29_3175:                            ;   Parent Loop BB29_47 Depth=1
                                        ;     Parent Loop BB29_2936 Depth=2
                                        ; =>    This Inner Loop Header: Depth=3
	global_load_dwordx4 v[12:15], v[18:19], off nt
	s_and_saveexec_b64 s[24:25], s[34:35]
	s_cbranch_execz .LBB29_3177
; %bb.3176:                             ;   in Loop: Header=BB29_3175 Depth=3
	scratch_load_dwordx2 v[24:25], off, s33 offset:264 ; 8-byte Folded Reload
	s_waitcnt vmcnt(0)
	v_lshl_add_u64 v[24:25], v[16:17], 0, v[24:25]
	global_store_dwordx4 v[16:17], v[8:11], off
	v_mov_b64_e32 v[16:17], v[24:25]
.LBB29_3177:                            ;   in Loop: Header=BB29_3175 Depth=3
	s_or_b64 exec, exec, s[24:25]
	scratch_load_dwordx2 v[24:25], off, s33 offset:264 ; 8-byte Folded Reload
	v_lshlrev_b32_e32 v1, 10, v60
	v_sub_u32_e32 v0, v0, v1
	v_cmp_lt_i32_e64 s[34:35], 15, v0
	s_waitcnt vmcnt(0)
	v_lshl_add_u64 v[18:19], v[18:19], 0, v[24:25]
	s_and_saveexec_b64 s[24:25], s[34:35]
	s_cbranch_execz .LBB29_3179
; %bb.3178:                             ;   in Loop: Header=BB29_3175 Depth=3
	global_load_dwordx4 v[8:11], v[18:19], off nt
	v_lshl_add_u64 v[18:19], v[18:19], 0, s[60:61]
.LBB29_3179:                            ;   in Loop: Header=BB29_3175 Depth=3
	s_or_b64 exec, exec, s[24:25]
	v_sub_u32_e32 v22, v22, v60
	global_store_dwordx4 v[16:17], v[12:15], off
	v_lshl_add_u64 v[16:17], v[16:17], 0, s[60:61]
	s_and_saveexec_b64 s[24:25], s[34:35]
	s_cbranch_execz .LBB29_3174
; %bb.3180:                             ;   in Loop: Header=BB29_3175 Depth=3
	v_lshlrev_b32_e32 v1, 10, v60
	v_sub_u32_e32 v22, v22, v60
	v_sub_u32_e32 v0, v0, v1
	v_lshl_add_u64 v[18:19], v[18:19], 0, v[90:91]
	v_lshl_add_u64 v[16:17], v[16:17], 0, v[90:91]
	s_branch .LBB29_3174
.LBB29_3181:                            ;   in Loop: Header=BB29_2936 Depth=2
	s_or_b64 exec, exec, s[94:95]
	s_and_b64 s[94:95], s[30:31], exec
.LBB29_3182:                            ;   in Loop: Header=BB29_2936 Depth=2
	s_or_b64 exec, exec, s[92:93]
	s_and_saveexec_b64 s[24:25], s[94:95]
	s_cbranch_execz .LBB29_3184
; %bb.3183:                             ;   in Loop: Header=BB29_2936 Depth=2
	s_waitcnt vmcnt(0)
	global_store_dwordx4 v[16:17], v[8:11], off
.LBB29_3184:                            ;   in Loop: Header=BB29_2936 Depth=2
	s_or_b64 exec, exec, s[24:25]
	s_waitcnt vmcnt(0)
	v_and_b32_e32 v8, 14, v5
	v_cndmask_b32_e32 v5, v23, v8, vcc
	v_cmp_ne_u32_e64 s[24:25], 0, v5
	s_mov_b64 s[94:95], s[26:27]
                                        ; implicit-def: $vgpr0
                                        ; implicit-def: $vgpr1
                                        ; implicit-def: $vgpr6
	s_and_saveexec_b64 s[92:93], s[24:25]
	s_cbranch_execz .LBB29_3186
; %bb.3185:                             ;   in Loop: Header=BB29_2936 Depth=2
	v_sub_u32_e32 v0, v23, v8
	v_cndmask_b32_e32 v0, 0, v0, vcc
	v_cmp_lt_i32_e32 vcc, 0, v22
	v_add3_u32 v0, v21, v20, v0
	s_or_b64 s[94:95], s[26:27], exec
	v_cndmask_b32_e32 v1, 0, v60, vcc
	v_sub_u32_e32 v1, v1, v22
	v_lshl_add_u32 v1, v1, 6, v7
	v_ashrrev_i32_e32 v6, 31, v1
	v_lshrrev_b32_e32 v6, 26, v6
	v_add_u32_e32 v6, v1, v6
	v_and_b32_e32 v6, 0xffffffc0, v6
	v_sub_u32_e32 v6, v1, v6
.LBB29_3186:                            ;   in Loop: Header=BB29_2936 Depth=2
	s_or_b64 exec, exec, s[92:93]
	s_andn2_b64 s[24:25], s[26:27], exec
	s_and_b64 s[26:27], s[94:95], exec
	s_or_b64 s[26:27], s[24:25], s[26:27]
.LBB29_3187:                            ;   in Loop: Header=BB29_2936 Depth=2
	s_or_b64 exec, exec, s[28:29]
	s_and_saveexec_b64 s[24:25], s[26:27]
	s_cbranch_execz .LBB29_3208
.LBB29_3188:                            ;   in Loop: Header=BB29_2936 Depth=2
	v_ashrrev_i32_e32 v7, 31, v1
	v_lshrrev_b32_e32 v7, 26, v7
	v_add_u32_e32 v1, v1, v7
	v_ashrrev_i32_e32 v1, 6, v1
	v_lshlrev_b32_e32 v7, 11, v1
	v_lshlrev_b32_e32 v8, 1, v6
	v_add3_u32 v10, v0, v8, v7
	v_ashrrev_i32_e32 v7, 31, v5
	v_lshrrev_b32_e32 v7, 21, v7
	v_add_u32_e32 v7, v5, v7
	v_ashrrev_i32_e32 v7, 11, v7
	v_sub_u32_e32 v12, v7, v1
	v_ashrrev_i32_e32 v11, 31, v10
	v_lshl_add_u64 v[8:9], v[58:59], 0, v[10:11]
	v_cmp_lt_i32_e32 vcc, 0, v12
	s_mov_b64 s[28:29], 0
                                        ; implicit-def: $vgpr14
                                        ; implicit-def: $vgpr15
                                        ; implicit-def: $vgpr16
                                        ; implicit-def: $vgpr17
                                        ; implicit-def: $vgpr18
                                        ; implicit-def: $vgpr19
                                        ; implicit-def: $vgpr20
                                        ; implicit-def: $vgpr21
                                        ; implicit-def: $vgpr22
                                        ; implicit-def: $vgpr23
                                        ; implicit-def: $vgpr24
                                        ; implicit-def: $vgpr25
                                        ; implicit-def: $vgpr26
                                        ; implicit-def: $vgpr27
                                        ; implicit-def: $vgpr30
                                        ; implicit-def: $vgpr32
	s_and_saveexec_b64 s[26:27], vcc
	s_cbranch_execz .LBB29_3196
; %bb.3189:                             ;   in Loop: Header=BB29_2936 Depth=2
	v_lshl_add_u64 v[10:11], v[10:11], 0, v[28:29]
	s_mov_b64 s[94:95], 0
                                        ; implicit-def: $sgpr92_sgpr93
                                        ; implicit-def: $vgpr14
                                        ; implicit-def: $vgpr15
                                        ; implicit-def: $vgpr16
                                        ; implicit-def: $vgpr17
                                        ; implicit-def: $vgpr18
                                        ; implicit-def: $vgpr19
                                        ; implicit-def: $vgpr20
                                        ; implicit-def: $vgpr21
                                        ; implicit-def: $vgpr22
                                        ; implicit-def: $vgpr23
                                        ; implicit-def: $vgpr24
                                        ; implicit-def: $vgpr25
                                        ; implicit-def: $vgpr26
                                        ; implicit-def: $vgpr27
                                        ; implicit-def: $vgpr30
                                        ; implicit-def: $vgpr32
	s_branch .LBB29_3191
.LBB29_3190:                            ;   in Loop: Header=BB29_3191 Depth=3
	s_or_b64 exec, exec, vcc
	s_waitcnt vmcnt(0) lgkmcnt(0)
	flat_store_short v[8:9], v33 nt
	flat_store_short v[8:9], v34 offset:128 nt
	flat_store_short v[8:9], v35 offset:256 nt
	;; [unrolled: 1-line block ×15, first 2 shown]
	v_lshl_add_u64 v[8:9], v[8:9], 0, v[12:13]
	v_lshl_add_u64 v[10:11], v[10:11], 0, v[12:13]
	v_sub_u32_e32 v12, v1, v65
	v_cmp_gt_i32_e32 vcc, 1, v12
	s_or_b64 s[28:29], vcc, s[28:29]
	s_andn2_b64 s[92:93], s[92:93], exec
	s_and_b64 vcc, s[94:95], exec
	v_lshl_add_u64 v[8:9], v[8:9], 0, s[62:63]
	s_or_b64 s[92:93], s[92:93], vcc
	s_andn2_b64 exec, exec, s[28:29]
	s_cbranch_execz .LBB29_3195
.LBB29_3191:                            ;   Parent Loop BB29_47 Depth=1
                                        ;     Parent Loop BB29_2936 Depth=2
                                        ; =>    This Inner Loop Header: Depth=3
	flat_load_ushort v33, v[10:11] nt
	flat_load_ushort v34, v[10:11] offset:128 nt
	flat_load_ushort v35, v[10:11] offset:256 nt
	;; [unrolled: 1-line block ×15, first 2 shown]
	s_and_saveexec_b64 vcc, s[94:95]
	s_cbranch_execz .LBB29_3193
; %bb.3192:                             ;   in Loop: Header=BB29_3191 Depth=3
	flat_store_short v[8:9], v14 nt
	flat_store_short v[8:9], v15 offset:128 nt
	flat_store_short v[8:9], v16 offset:256 nt
	;; [unrolled: 1-line block ×15, first 2 shown]
	v_lshl_add_u64 v[8:9], v[8:9], 0, v[104:105]
.LBB29_3193:                            ;   in Loop: Header=BB29_3191 Depth=3
	s_or_b64 exec, exec, vcc
	v_sub_u32_e32 v1, v12, v60
	v_lshl_add_u64 v[10:11], v[10:11], 0, v[104:105]
	v_mov_b32_e32 v65, 0
	v_cmp_lt_i32_e64 s[94:95], 0, v1
	v_mov_b64_e32 v[12:13], 0
	s_and_saveexec_b64 vcc, s[94:95]
	s_cbranch_execz .LBB29_3190
; %bb.3194:                             ;   in Loop: Header=BB29_3191 Depth=3
	flat_load_ushort v14, v[10:11] nt
	flat_load_ushort v15, v[10:11] offset:128 nt
	flat_load_ushort v16, v[10:11] offset:256 nt
	;; [unrolled: 1-line block ×15, first 2 shown]
	v_lshl_add_u64 v[10:11], v[10:11], 0, s[62:63]
	v_mov_b32_e32 v65, v60
	v_mov_b64_e32 v[12:13], v[76:77]
	s_branch .LBB29_3190
.LBB29_3195:                            ;   in Loop: Header=BB29_2936 Depth=2
	s_or_b64 exec, exec, s[28:29]
	s_and_b64 s[28:29], s[92:93], exec
.LBB29_3196:                            ;   in Loop: Header=BB29_2936 Depth=2
	s_or_b64 exec, exec, s[26:27]
	s_and_saveexec_b64 s[26:27], s[28:29]
	s_cbranch_execz .LBB29_3198
; %bb.3197:                             ;   in Loop: Header=BB29_2936 Depth=2
	flat_store_short v[8:9], v14 nt
	flat_store_short v[8:9], v15 offset:128 nt
	flat_store_short v[8:9], v16 offset:256 nt
	;; [unrolled: 1-line block ×15, first 2 shown]
.LBB29_3198:                            ;   in Loop: Header=BB29_2936 Depth=2
	s_or_b64 exec, exec, s[26:27]
	v_lshlrev_b32_e32 v1, 11, v7
	v_cmp_ne_u32_e32 vcc, v5, v1
	s_and_b64 exec, exec, vcc
	s_cbranch_execz .LBB29_3208
; %bb.3199:                             ;   in Loop: Header=BB29_2936 Depth=2
	v_lshlrev_b32_e32 v7, 6, v12
	v_sub_u32_e32 v6, v6, v7
	v_ashrrev_i32_e32 v7, 31, v6
	v_lshrrev_b32_e32 v7, 26, v7
	v_add_u32_e32 v7, v6, v7
	v_and_b32_e32 v8, 0x7fffffc0, v7
	v_sub_u32_e32 v6, v6, v8
	v_lshlrev_b32_e32 v7, 1, v7
	v_and_b32_e32 v7, 0xffffff80, v7
	v_lshlrev_b32_e32 v6, 1, v6
	v_add3_u32 v6, v7, v6, v1
	v_sub_u32_e32 v1, v5, v6
	v_cmp_lt_i32_e32 vcc, 1, v1
	s_and_b64 exec, exec, vcc
	s_cbranch_execz .LBB29_3208
; %bb.3200:                             ;   in Loop: Header=BB29_2936 Depth=2
	v_add_u32_e32 v6, v6, v0
	v_ashrrev_i32_e32 v7, 31, v6
	v_lshl_add_u64 v[8:9], v[58:59], 0, v[6:7]
	v_lshl_add_u64 v[10:11], v[6:7], 0, v[28:29]
	s_mov_b64 s[92:93], 0
	s_mov_b64 s[26:27], 0
                                        ; implicit-def: $sgpr28_sgpr29
                                        ; implicit-def: $vgpr0
	s_branch .LBB29_3202
.LBB29_3201:                            ;   in Loop: Header=BB29_3202 Depth=3
	s_or_b64 exec, exec, s[94:95]
	v_sub_u32_e32 v1, v1, v6
	v_cmp_gt_i32_e32 vcc, 2, v1
	s_or_b64 s[26:27], vcc, s[26:27]
	s_waitcnt lgkmcnt(0)
	flat_store_short v[8:9], v5 nt
	v_lshl_add_u64 v[8:9], v[8:9], 0, v[12:13]
	s_andn2_b64 s[28:29], s[28:29], exec
	s_and_b64 s[94:95], s[92:93], exec
	v_lshl_add_u64 v[10:11], v[10:11], 0, v[12:13]
	v_lshl_add_u64 v[8:9], v[8:9], 0, s[72:73]
	s_or_b64 s[28:29], s[28:29], s[94:95]
	s_andn2_b64 exec, exec, s[26:27]
	s_cbranch_execz .LBB29_3206
.LBB29_3202:                            ;   Parent Loop BB29_47 Depth=1
                                        ;     Parent Loop BB29_2936 Depth=2
                                        ; =>    This Inner Loop Header: Depth=3
	flat_load_ushort v5, v[10:11] nt
	s_and_saveexec_b64 s[94:95], s[92:93]
	s_cbranch_execz .LBB29_3204
; %bb.3203:                             ;   in Loop: Header=BB29_3202 Depth=3
	scratch_load_dwordx2 v[6:7], off, s33 offset:256 ; 8-byte Folded Reload
	s_waitcnt vmcnt(0)
	v_lshl_add_u64 v[6:7], v[8:9], 0, v[6:7]
	flat_store_short v[8:9], v0 nt
	v_mov_b64_e32 v[8:9], v[6:7]
.LBB29_3204:                            ;   in Loop: Header=BB29_3202 Depth=3
	s_or_b64 exec, exec, s[94:95]
	scratch_load_dwordx2 v[6:7], off, s33 offset:256 ; 8-byte Folded Reload
	v_sub_u32_e32 v1, v1, v31
	v_cmp_lt_i32_e64 s[92:93], 1, v1
	v_mov_b64_e32 v[12:13], 0
	s_waitcnt vmcnt(0)
	v_lshl_add_u64 v[10:11], v[10:11], 0, v[6:7]
	v_mov_b32_e32 v6, 0
	s_and_saveexec_b64 s[94:95], s[92:93]
	s_cbranch_execz .LBB29_3201
; %bb.3205:                             ;   in Loop: Header=BB29_3202 Depth=3
	flat_load_ushort v0, v[10:11] nt
	v_lshl_add_u64 v[10:11], v[10:11], 0, s[72:73]
	v_mov_b32_e32 v6, v31
	v_mov_b64_e32 v[12:13], v[92:93]
	s_branch .LBB29_3201
.LBB29_3206:                            ;   in Loop: Header=BB29_2936 Depth=2
	s_or_b64 exec, exec, s[26:27]
	s_and_b64 exec, exec, s[28:29]
	s_cbranch_execz .LBB29_3208
; %bb.3207:                             ;   in Loop: Header=BB29_2936 Depth=2
	s_waitcnt vmcnt(0)
	flat_store_short v[8:9], v0 nt
.LBB29_3208:                            ;   in Loop: Header=BB29_2936 Depth=2
	s_or_b64 exec, exec, s[24:25]
	v_cmp_lt_i32_e64 s[24:25], 0, v2
	s_and_saveexec_b64 s[26:27], s[6:7]
	s_cbranch_execz .LBB29_3082
.LBB29_3209:                            ;   in Loop: Header=BB29_2936 Depth=2
	s_and_saveexec_b64 s[28:29], s[56:57]
	s_xor_b64 s[28:29], exec, s[28:29]
	s_cbranch_execz .LBB29_3224
; %bb.3210:                             ;   in Loop: Header=BB29_2936 Depth=2
	s_and_saveexec_b64 s[92:93], s[14:15]
	s_cbranch_execz .LBB29_3223
; %bb.3211:                             ;   in Loop: Header=BB29_2936 Depth=2
	s_mov_b64 s[30:31], exec
	s_waitcnt vmcnt(0)
	v_mbcnt_lo_u32_b32 v0, s30, 0
	v_mbcnt_hi_u32_b32 v0, s31, v0
	v_cmp_eq_u32_e32 vcc, 0, v0
	s_waitcnt lgkmcnt(0)
	s_and_saveexec_b64 s[94:95], vcc
	s_cbranch_execz .LBB29_3213
; %bb.3212:                             ;   in Loop: Header=BB29_2936 Depth=2
	s_bcnt1_i32_b64 s13, s[30:31]
	v_mov_b32_e32 v2, s13
	ds_add_u64 v0, v[2:3]
	s_trap 2
.LBB29_3213:                            ;   in Loop: Header=BB29_2936 Depth=2
	s_or_b64 exec, exec, s[94:95]
	s_trap 2
	ds_read_b64 v[0:1], v0
	s_waitcnt lgkmcnt(0)
	v_lshl_add_u64 v[46:47], v[46:47], 0, v[60:61]
	v_cmp_lt_u64_e32 vcc, v[0:1], v[46:47]
	s_and_saveexec_b64 s[94:95], vcc
	s_cbranch_execz .LBB29_3222
; %bb.3214:                             ;   in Loop: Header=BB29_2936 Depth=2
	s_mov_b32 s45, 0
	s_mov_b64 s[30:31], 0
                                        ; implicit-def: $sgpr34_sgpr35
                                        ; implicit-def: $sgpr36_sgpr37
	s_branch .LBB29_3216
.LBB29_3215:                            ;   in Loop: Header=BB29_3216 Depth=3
	s_or_b64 exec, exec, s[48:49]
	s_and_b64 vcc, exec, vcc
	s_or_b64 s[30:31], vcc, s[30:31]
	s_andn2_b64 vcc, s[34:35], exec
	s_and_b64 s[34:35], s[36:37], exec
	s_or_b64 s[34:35], vcc, s[34:35]
	s_andn2_b64 exec, exec, s[30:31]
	s_cbranch_execz .LBB29_3220
.LBB29_3216:                            ;   Parent Loop BB29_47 Depth=1
                                        ;     Parent Loop BB29_2936 Depth=2
                                        ; =>    This Inner Loop Header: Depth=3
	s_add_i32 s45, s45, 1
	s_cmpk_lg_i32 s45, 0x2710
	s_cselect_b64 s[38:39], -1, 0
	s_and_b64 vcc, exec, s[38:39]
	s_cbranch_vccz .LBB29_3218
; %bb.3217:                             ;   in Loop: Header=BB29_3216 Depth=3
	s_mov_b64 vcc, -1
	s_or_b64 s[36:37], s[36:37], exec
	s_and_saveexec_b64 s[48:49], s[38:39]
	s_cbranch_execz .LBB29_3215
	s_branch .LBB29_3219
.LBB29_3218:                            ;   in Loop: Header=BB29_3216 Depth=3
	s_trap 2
	ds_read_b64 v[0:1], v0
	s_andn2_b64 s[38:39], s[38:39], exec
	s_mov_b32 s45, 0
	s_waitcnt lgkmcnt(0)
	flat_load_dword v0, v[0:1] sc0 sc1
	s_waitcnt vmcnt(0) lgkmcnt(0)
	buffer_inv sc0 sc1
	v_cmp_eq_u32_e32 vcc, 0, v0
	s_and_b64 vcc, vcc, exec
	s_or_b64 s[38:39], s[38:39], vcc
	s_mov_b64 vcc, -1
	s_or_b64 s[36:37], s[36:37], exec
	s_and_saveexec_b64 s[48:49], s[38:39]
	s_cbranch_execz .LBB29_3215
.LBB29_3219:                            ;   in Loop: Header=BB29_3216 Depth=3
	s_sleep 1
	s_trap 2
	ds_read_b64 v[0:1], v0
	s_waitcnt lgkmcnt(0)
	s_andn2_b64 s[36:37], s[36:37], exec
	v_cmp_ge_u64_e32 vcc, v[0:1], v[46:47]
	s_orn2_b64 vcc, vcc, exec
	s_branch .LBB29_3215
.LBB29_3220:                            ;   in Loop: Header=BB29_2936 Depth=2
	s_or_b64 exec, exec, s[30:31]
	s_and_saveexec_b64 vcc, s[34:35]
	s_xor_b64 vcc, exec, vcc
	s_cbranch_execz .LBB29_3222
; %bb.3221:                             ;   in Loop: Header=BB29_2936 Depth=2
	v_mov_b32_e32 v0, 1
	ds_write_b32 v0, v0
	s_trap 2
.LBB29_3222:                            ;   in Loop: Header=BB29_2936 Depth=2
	s_or_b64 exec, exec, s[94:95]
	;;#ASMSTART
	s_wakeup
	;;#ASMEND
.LBB29_3223:                            ;   in Loop: Header=BB29_2936 Depth=2
	s_or_b64 exec, exec, s[92:93]
.LBB29_3224:                            ;   in Loop: Header=BB29_2936 Depth=2
	s_andn2_saveexec_b64 s[28:29], s[28:29]
	s_cbranch_execz .LBB29_3226
; %bb.3225:                             ;   in Loop: Header=BB29_2936 Depth=2
	s_waitcnt lgkmcnt(0)
	s_barrier
.LBB29_3226:                            ;   in Loop: Header=BB29_2936 Depth=2
	s_or_b64 exec, exec, s[28:29]
	s_or_b64 exec, exec, s[26:27]
                                        ; implicit-def: $vgpr0
	s_and_saveexec_b64 s[26:27], s[22:23]
	s_xor_b64 s[26:27], exec, s[26:27]
	s_cbranch_execnz .LBB29_3083
.LBB29_3227:                            ;   in Loop: Header=BB29_2936 Depth=2
	s_andn2_saveexec_b64 s[24:25], s[26:27]
	s_cbranch_execz .LBB29_3246
.LBB29_3228:                            ;   in Loop: Header=BB29_2936 Depth=2
	s_and_saveexec_b64 s[26:27], s[56:57]
	s_xor_b64 s[26:27], exec, s[26:27]
	s_cbranch_execz .LBB29_3243
; %bb.3229:                             ;   in Loop: Header=BB29_2936 Depth=2
	s_and_saveexec_b64 s[28:29], s[14:15]
	s_cbranch_execz .LBB29_3242
; %bb.3230:                             ;   in Loop: Header=BB29_2936 Depth=2
	s_mov_b64 s[94:95], exec
	s_waitcnt vmcnt(0)
	v_mbcnt_lo_u32_b32 v0, s94, 0
	v_mbcnt_hi_u32_b32 v0, s95, v0
	v_cmp_eq_u32_e32 vcc, 0, v0
	;;#ASMSTART
	s_waitcnt lgkmcnt(0) vmcnt(0)
	;;#ASMEND
	s_and_saveexec_b64 s[92:93], vcc
	s_cbranch_execz .LBB29_3232
; %bb.3231:                             ;   in Loop: Header=BB29_2936 Depth=2
	s_bcnt1_i32_b64 s13, s[94:95]
	v_mov_b32_e32 v2, s13
	s_waitcnt lgkmcnt(0)
	ds_add_u64 v0, v[2:3]
	s_trap 2
.LBB29_3232:                            ;   in Loop: Header=BB29_2936 Depth=2
	s_or_b64 exec, exec, s[92:93]
	s_trap 2
	ds_read_b64 v[0:1], v0
	s_waitcnt lgkmcnt(0)
	v_lshl_add_u64 v[46:47], v[46:47], 0, v[60:61]
	v_cmp_lt_u64_e32 vcc, v[0:1], v[46:47]
	s_and_saveexec_b64 s[92:93], vcc
	s_cbranch_execz .LBB29_3241
; %bb.3233:                             ;   in Loop: Header=BB29_2936 Depth=2
	s_mov_b32 s45, 0
	s_mov_b64 s[94:95], 0
                                        ; implicit-def: $sgpr30_sgpr31
                                        ; implicit-def: $sgpr34_sgpr35
	s_branch .LBB29_3235
.LBB29_3234:                            ;   in Loop: Header=BB29_3235 Depth=3
	s_or_b64 exec, exec, s[38:39]
	s_and_b64 vcc, exec, vcc
	s_or_b64 s[94:95], vcc, s[94:95]
	s_andn2_b64 vcc, s[30:31], exec
	s_and_b64 s[30:31], s[34:35], exec
	s_or_b64 s[30:31], vcc, s[30:31]
	s_andn2_b64 exec, exec, s[94:95]
	s_cbranch_execz .LBB29_3239
.LBB29_3235:                            ;   Parent Loop BB29_47 Depth=1
                                        ;     Parent Loop BB29_2936 Depth=2
                                        ; =>    This Inner Loop Header: Depth=3
	s_add_i32 s45, s45, 1
	s_cmpk_lg_i32 s45, 0x2710
	s_cselect_b64 s[36:37], -1, 0
	s_and_b64 vcc, exec, s[36:37]
	s_cbranch_vccz .LBB29_3237
; %bb.3236:                             ;   in Loop: Header=BB29_3235 Depth=3
	s_mov_b64 vcc, -1
	s_or_b64 s[34:35], s[34:35], exec
	s_and_saveexec_b64 s[38:39], s[36:37]
	s_cbranch_execz .LBB29_3234
	s_branch .LBB29_3238
.LBB29_3237:                            ;   in Loop: Header=BB29_3235 Depth=3
	s_trap 2
	ds_read_b64 v[0:1], v0
	s_andn2_b64 s[36:37], s[36:37], exec
	s_mov_b32 s45, 0
	s_waitcnt lgkmcnt(0)
	flat_load_dword v0, v[0:1] sc0 sc1
	s_waitcnt vmcnt(0) lgkmcnt(0)
	buffer_inv sc0 sc1
	v_cmp_eq_u32_e32 vcc, 0, v0
	s_and_b64 vcc, vcc, exec
	s_or_b64 s[36:37], s[36:37], vcc
	s_mov_b64 vcc, -1
	s_or_b64 s[34:35], s[34:35], exec
	s_and_saveexec_b64 s[38:39], s[36:37]
	s_cbranch_execz .LBB29_3234
.LBB29_3238:                            ;   in Loop: Header=BB29_3235 Depth=3
	s_sleep 1
	s_trap 2
	ds_read_b64 v[0:1], v0
	s_waitcnt lgkmcnt(0)
	s_andn2_b64 s[34:35], s[34:35], exec
	v_cmp_ge_u64_e32 vcc, v[0:1], v[46:47]
	s_orn2_b64 vcc, vcc, exec
	s_branch .LBB29_3234
.LBB29_3239:                            ;   in Loop: Header=BB29_2936 Depth=2
	s_or_b64 exec, exec, s[94:95]
	s_and_saveexec_b64 s[94:95], s[30:31]
	s_xor_b64 s[94:95], exec, s[94:95]
	s_cbranch_execz .LBB29_3241
; %bb.3240:                             ;   in Loop: Header=BB29_2936 Depth=2
	v_mov_b32_e32 v0, 1
	ds_write_b32 v0, v0
	s_trap 2
.LBB29_3241:                            ;   in Loop: Header=BB29_2936 Depth=2
	s_or_b64 exec, exec, s[92:93]
	;;#ASMSTART
	s_wakeup
	;;#ASMEND
.LBB29_3242:                            ;   in Loop: Header=BB29_2936 Depth=2
	s_or_b64 exec, exec, s[28:29]
.LBB29_3243:                            ;   in Loop: Header=BB29_2936 Depth=2
	s_andn2_saveexec_b64 s[26:27], s[26:27]
	s_cbranch_execz .LBB29_3245
; %bb.3244:                             ;   in Loop: Header=BB29_2936 Depth=2
	;;#ASMSTART
	s_waitcnt lgkmcnt(0) vmcnt(0)
	;;#ASMEND
	s_barrier
.LBB29_3245:                            ;   in Loop: Header=BB29_2936 Depth=2
	s_or_b64 exec, exec, s[26:27]
	s_waitcnt vmcnt(0)
	v_and_b32_e32 v0, 16, v110
.LBB29_3246:                            ;   in Loop: Header=BB29_2936 Depth=2
	s_or_b64 exec, exec, s[24:25]
	s_waitcnt vmcnt(0)
	v_cmp_ne_u32_e32 vcc, 0, v0
	s_xor_b64 s[24:25], s[10:11], -1
	s_and_b64 s[26:27], vcc, s[24:25]
	s_and_saveexec_b64 s[24:25], s[26:27]
	s_cbranch_execz .LBB29_3248
; %bb.3247:                             ;   in Loop: Header=BB29_2936 Depth=2
	scratch_load_dwordx2 v[0:1], off, s33 offset:304 ; 8-byte Folded Reload
	v_mov_b32_e32 v2, 1
	s_waitcnt vmcnt(0)
	flat_store_dword v[0:1], v2 sc0 sc1
.LBB29_3248:                            ;   in Loop: Header=BB29_2936 Depth=2
	s_or_b64 exec, exec, s[24:25]
	v_and_b32_e32 v0, 48, v110
	v_cmp_ne_u32_e32 vcc, 0, v0
	s_and_saveexec_b64 s[24:25], vcc
	s_cbranch_execz .LBB29_3250
; %bb.3249:                             ;   in Loop: Header=BB29_2936 Depth=2
	v_lshl_add_u64 v[124:125], v[124:125], 0, 4
	flat_store_dwordx2 v[40:41], v[124:125] sc0 sc1
.LBB29_3250:                            ;   in Loop: Header=BB29_2936 Depth=2
	s_or_b64 exec, exec, s[24:25]
	v_mov_b32_e32 v0, v4
	s_or_b64 exec, exec, s[42:43]
	s_and_saveexec_b64 s[26:27], s[40:41]
	s_cbranch_execnz .LBB29_2943
.LBB29_3251:                            ;   in Loop: Header=BB29_2936 Depth=2
	s_or_b64 exec, exec, s[26:27]
	s_add_i32 s13, s44, 1
	s_cmp_eq_u32 s44, s86
	s_cbranch_scc1 .LBB29_3253
.LBB29_3252:                            ;   in Loop: Header=BB29_2936 Depth=2
	s_mov_b32 s44, s13
	s_branch .LBB29_2936
.LBB29_3253:                            ;   in Loop: Header=BB29_47 Depth=1
	v_mul_lo_u32 v0, v123, s84
	v_mul_lo_u32 v1, v122, s85
	v_mad_u64_u32 v[4:5], s[24:25], v122, s84, 0
	v_add3_u32 v5, v5, v1, v0
	v_sub_co_u32_e32 v0, vcc, v116, v4
	v_mov_b32_e32 v6, 0
	s_nop 0
	v_subb_co_u32_e32 v1, vcc, v117, v5, vcc
	v_cmp_lt_i64_e32 vcc, v[122:123], v[0:1]
	s_nop 1
	v_cndmask_b32_e32 v0, v0, v122, vcc
	v_max_i32_e32 v62, 0, v0
	v_add_u32_e32 v1, 15, v62
	v_ashrrev_i32_e32 v2, 31, v1
	v_lshrrev_b32_e32 v2, 28, v2
	v_add_u32_e32 v1, v1, v2
	v_and_b32_e32 v1, -16, v1
	v_cmp_gt_i32_e32 vcc, 1, v0
	v_max_i32_e32 v63, s69, v1
	s_or_b64 s[26:27], s[2:3], vcc
	s_xor_b64 s[24:25], s[26:27], -1
	s_mov_b64 s[28:29], exec
	scratch_load_dwordx4 v[66:69], off, s33 offset:388 ; 16-byte Folded Reload
	scratch_load_dwordx2 v[68:69], off, s33 offset:404 ; 8-byte Folded Reload
	scratch_load_dwordx2 v[70:71], off, s33 offset:364 ; 8-byte Folded Reload
	s_and_b64 s[24:25], s[28:29], s[24:25]
	s_mov_b64 exec, s[24:25]
	s_cbranch_execz .LBB29_3420
; %bb.3254:                             ;   in Loop: Header=BB29_47 Depth=1
	s_and_saveexec_b64 s[24:25], s[0:1]
	s_cbranch_execz .LBB29_3256
; %bb.3255:                             ;   in Loop: Header=BB29_47 Depth=1
	s_trap 2
	ds_read_b128 v[6:9], v0
	scratch_load_dwordx2 v[0:1], off, s33 offset:312 ; 8-byte Folded Reload
	s_waitcnt lgkmcnt(0)
	v_cmp_ne_u64_e32 vcc, 0, v[8:9]
	s_waitcnt vmcnt(0)
	v_lshl_add_u64 v[0:1], v[4:5], 0, v[0:1]
	v_lshlrev_b64 v[0:1], 1, v[0:1]
	v_lshl_add_u64 v[4:5], v[6:7], 0, v[0:1]
	v_lshl_add_u64 v[0:1], v[8:9], 0, v[0:1]
	ds_write_b64 v0, v[4:5]
	v_cndmask_b32_e32 v1, 0, v1, vcc
	v_cndmask_b32_e32 v0, 0, v0, vcc
	ds_write_b64 v0, v[0:1]
.LBB29_3256:                            ;   in Loop: Header=BB29_47 Depth=1
	s_or_b64 exec, exec, s[24:25]
	v_and_b32_e32 v0, 4, v110
	v_cmp_ne_u32_e32 vcc, 0, v0
	s_and_saveexec_b64 s[40:41], vcc
	s_cbranch_execz .LBB29_3278
; %bb.3257:                             ;   in Loop: Header=BB29_47 Depth=1
	v_lshl_add_u64 v[4:5], v[124:125], 0, 4
	s_waitcnt lgkmcnt(0)
	v_cmp_lt_u64_e32 vcc, v[56:57], v[4:5]
	s_and_saveexec_b64 s[42:43], vcc
	s_cbranch_execz .LBB29_3269
; %bb.3258:                             ;   in Loop: Header=BB29_47 Depth=1
	v_and_b32_e32 v0, 64, v110
	s_mov_b32 s44, 0
	v_cmp_eq_u32_e32 vcc, 0, v0
	s_mov_b64 s[92:93], 0
                                        ; implicit-def: $sgpr94_sgpr95
                                        ; implicit-def: $sgpr30_sgpr31
                                        ; implicit-def: $sgpr34_sgpr35
	s_branch .LBB29_3262
.LBB29_3259:                            ;   in Loop: Header=BB29_3262 Depth=2
	s_waitcnt vmcnt(0) lgkmcnt(0)
	v_cmp_ge_u64_e64 s[24:25], v[56:57], v[4:5]
	s_or_b64 s[48:49], s[48:49], exec
	s_orn2_b64 s[38:39], s[24:25], exec
.LBB29_3260:                            ;   in Loop: Header=BB29_3262 Depth=2
	s_or_b64 exec, exec, s[52:53]
	s_andn2_b64 s[24:25], s[34:35], exec
	s_and_b64 s[34:35], s[48:49], exec
	s_or_b64 s[34:35], s[24:25], s[34:35]
	s_andn2_b64 s[24:25], s[30:31], exec
	s_and_b64 s[30:31], s[38:39], exec
	s_or_b64 s[30:31], s[24:25], s[30:31]
.LBB29_3261:                            ;   in Loop: Header=BB29_3262 Depth=2
	s_or_b64 exec, exec, s[36:37]
	s_and_b64 s[24:25], exec, s[30:31]
	s_or_b64 s[92:93], s[24:25], s[92:93]
	s_andn2_b64 s[24:25], s[94:95], exec
	s_and_b64 s[94:95], s[34:35], exec
	s_or_b64 s[94:95], s[24:25], s[94:95]
	s_andn2_b64 exec, exec, s[92:93]
	s_cbranch_execz .LBB29_3266
.LBB29_3262:                            ;   Parent Loop BB29_47 Depth=1
                                        ; =>  This Inner Loop Header: Depth=2
	s_sleep 1
	s_waitcnt vmcnt(0) lgkmcnt(0)
	flat_load_dwordx2 v[56:57], v[40:41] sc0 sc1
	s_or_b64 s[34:35], s[34:35], exec
	s_or_b64 s[30:31], s[30:31], exec
                                        ; implicit-def: $vgpr0
	s_and_saveexec_b64 s[36:37], vcc
	s_cbranch_execz .LBB29_3261
; %bb.3263:                             ;   in Loop: Header=BB29_3262 Depth=2
	s_cmpk_lt_i32 s44, 0x270f
	s_cselect_b64 s[50:51], -1, 0
	s_cmpk_gt_i32 s44, 0x270e
	s_mov_b64 s[38:39], -1
	s_cbranch_scc0 .LBB29_3265
; %bb.3264:                             ;   in Loop: Header=BB29_3262 Depth=2
	s_trap 2
	ds_read_b64 v[0:1], v0
	s_andn2_b64 s[50:51], s[50:51], exec
	s_mov_b32 s44, 0
	s_mov_b64 s[48:49], 0
	s_waitcnt vmcnt(0) lgkmcnt(0)
	flat_load_dword v0, v[0:1] sc0 sc1
	s_waitcnt vmcnt(0) lgkmcnt(0)
	buffer_inv sc0 sc1
	v_cmp_eq_u32_e64 s[24:25], 0, v0
	s_and_b64 s[24:25], s[24:25], exec
	s_or_b64 s[50:51], s[50:51], s[24:25]
	s_and_saveexec_b64 s[52:53], s[50:51]
	s_cbranch_execz .LBB29_3260
	s_branch .LBB29_3259
.LBB29_3265:                            ;   in Loop: Header=BB29_3262 Depth=2
	s_add_i32 s44, s44, 1
	s_mov_b64 s[48:49], -1
                                        ; implicit-def: $vgpr0
	s_and_saveexec_b64 s[52:53], s[50:51]
	s_cbranch_execz .LBB29_3260
	s_branch .LBB29_3259
.LBB29_3266:                            ;   in Loop: Header=BB29_47 Depth=1
	s_or_b64 exec, exec, s[92:93]
	s_xor_b64 s[24:25], s[94:95], -1
	s_and_saveexec_b64 s[44:45], s[24:25]
	s_xor_b64 s[24:25], exec, s[44:45]
	s_cbranch_execz .LBB29_3268
; %bb.3267:                             ;   in Loop: Header=BB29_47 Depth=1
	v_or_b32_e32 v110, 64, v110
	s_waitcnt lgkmcnt(0)
	ds_write_b32 v0, v0
	s_trap 2
.LBB29_3268:                            ;   in Loop: Header=BB29_47 Depth=1
	s_or_b64 exec, exec, s[24:25]
.LBB29_3269:                            ;   in Loop: Header=BB29_47 Depth=1
	s_or_b64 exec, exec, s[42:43]
	v_and_b32_e32 v0, 0x100, v110
	v_cmp_ne_u32_e32 vcc, 0, v0
	v_and_b32_e32 v0, 7, v124
	s_mov_b64 s[24:25], -1
	;;#ASMSTART
	s_wakeup
	;;#ASMEND
                                        ; implicit-def: $vgpr8_vgpr9
	s_and_saveexec_b64 s[42:43], vcc
	s_cbranch_execz .LBB29_3273
; %bb.3270:                             ;   in Loop: Header=BB29_47 Depth=1
	scratch_load_dwordx4 v[6:9], off, s33 offset:288 ; 16-byte Folded Reload
                                        ; implicit-def: $vgpr8_vgpr9
	s_waitcnt vmcnt(0)
	v_mad_u64_u32 v[10:11], s[24:25], v0, 24, v[6:7]
	flat_load_dword v1, v[10:11]
	s_waitcnt vmcnt(0) lgkmcnt(0)
	v_cmp_ne_u32_e32 vcc, 1, v1
	v_cmp_eq_u32_e64 s[24:25], 1, v1
	s_and_saveexec_b64 s[92:93], s[24:25]
	s_cbranch_execz .LBB29_3272
; %bb.3271:                             ;   in Loop: Header=BB29_47 Depth=1
	flat_load_dword v6, v[10:11] offset:4 sc0 sc1
	s_waitcnt vmcnt(0) lgkmcnt(0)
	v_ashrrev_i32_e32 v7, 31, v6
	v_lshrrev_b64 v[8:9], 1, v[6:7]
.LBB29_3272:                            ;   in Loop: Header=BB29_47 Depth=1
	s_or_b64 exec, exec, s[92:93]
	s_orn2_b64 s[24:25], vcc, exec
.LBB29_3273:                            ;   in Loop: Header=BB29_47 Depth=1
	s_or_b64 exec, exec, s[42:43]
	s_and_saveexec_b64 s[42:43], s[24:25]
	s_cbranch_execz .LBB29_3275
; %bb.3274:                             ;   in Loop: Header=BB29_47 Depth=1
	scratch_load_dwordx2 v[6:7], off, s33 offset:324 ; 8-byte Folded Reload
	s_waitcnt vmcnt(0)
	v_mad_i64_i32 v[8:9], s[24:25], v0, v6, 0
.LBB29_3275:                            ;   in Loop: Header=BB29_47 Depth=1
	s_or_b64 exec, exec, s[42:43]
	scratch_load_dwordx2 v[0:1], off, s33 offset:280 ; 8-byte Folded Reload
	s_waitcnt vmcnt(0)
	v_lshl_add_u64 v[0:1], v[8:9], 1, v[0:1]
	ds_write_b64 v0, v[0:1] offset:720
	v_and_b32_e32 v0, 0x2000, v110
	v_cmp_ne_u32_e32 vcc, 0, v0
	s_and_saveexec_b64 s[24:25], vcc
	s_cbranch_execz .LBB29_3277
; %bb.3276:                             ;   in Loop: Header=BB29_47 Depth=1
	ds_read_b64 v[0:1], v0 offset:872
	s_waitcnt lgkmcnt(0)
	v_lshl_add_u64 v[0:1], v[0:1], 0, 1
	ds_write_b64 v0, v[0:1] offset:872
.LBB29_3277:                            ;   in Loop: Header=BB29_47 Depth=1
	s_or_b64 exec, exec, s[24:25]
	v_mov_b64_e32 v[124:125], v[4:5]
.LBB29_3278:                            ;   in Loop: Header=BB29_47 Depth=1
	s_or_b64 exec, exec, s[40:41]
	s_and_saveexec_b64 s[24:25], s[6:7]
	s_cbranch_execz .LBB29_3297
; %bb.3279:                             ;   in Loop: Header=BB29_47 Depth=1
	s_and_saveexec_b64 s[40:41], s[56:57]
	s_xor_b64 s[40:41], exec, s[40:41]
	s_cbranch_execz .LBB29_3294
; %bb.3280:                             ;   in Loop: Header=BB29_47 Depth=1
	s_and_saveexec_b64 s[42:43], s[14:15]
	s_cbranch_execz .LBB29_3293
; %bb.3281:                             ;   in Loop: Header=BB29_47 Depth=1
	s_mov_b64 s[94:95], exec
	v_mbcnt_lo_u32_b32 v0, s94, 0
	v_mbcnt_hi_u32_b32 v0, s95, v0
	v_cmp_eq_u32_e32 vcc, 0, v0
	s_waitcnt lgkmcnt(0)
	s_and_saveexec_b64 s[92:93], vcc
	s_cbranch_execz .LBB29_3283
; %bb.3282:                             ;   in Loop: Header=BB29_47 Depth=1
	s_bcnt1_i32_b64 s13, s[94:95]
	v_mov_b32_e32 v2, s13
	ds_add_u64 v0, v[2:3]
	s_trap 2
.LBB29_3283:                            ;   in Loop: Header=BB29_47 Depth=1
	s_or_b64 exec, exec, s[92:93]
	s_trap 2
	ds_read_b64 v[0:1], v0
	s_waitcnt lgkmcnt(0)
	v_lshl_add_u64 v[46:47], v[46:47], 0, v[60:61]
	v_cmp_lt_u64_e32 vcc, v[0:1], v[46:47]
	s_and_saveexec_b64 s[92:93], vcc
	s_cbranch_execz .LBB29_3292
; %bb.3284:                             ;   in Loop: Header=BB29_47 Depth=1
	s_mov_b32 s44, 0
	s_mov_b64 s[94:95], 0
                                        ; implicit-def: $sgpr30_sgpr31
                                        ; implicit-def: $sgpr34_sgpr35
	s_branch .LBB29_3286
.LBB29_3285:                            ;   in Loop: Header=BB29_3286 Depth=2
	s_or_b64 exec, exec, s[38:39]
	s_and_b64 vcc, exec, vcc
	s_or_b64 s[94:95], vcc, s[94:95]
	s_andn2_b64 vcc, s[30:31], exec
	s_and_b64 s[30:31], s[34:35], exec
	s_or_b64 s[30:31], vcc, s[30:31]
	s_andn2_b64 exec, exec, s[94:95]
	s_cbranch_execz .LBB29_3290
.LBB29_3286:                            ;   Parent Loop BB29_47 Depth=1
                                        ; =>  This Inner Loop Header: Depth=2
	s_add_i32 s44, s44, 1
	s_cmpk_lg_i32 s44, 0x2710
	s_cselect_b64 s[36:37], -1, 0
	s_and_b64 vcc, exec, s[36:37]
	s_cbranch_vccz .LBB29_3288
; %bb.3287:                             ;   in Loop: Header=BB29_3286 Depth=2
	s_mov_b64 vcc, -1
	s_or_b64 s[34:35], s[34:35], exec
	s_and_saveexec_b64 s[38:39], s[36:37]
	s_cbranch_execz .LBB29_3285
	s_branch .LBB29_3289
.LBB29_3288:                            ;   in Loop: Header=BB29_3286 Depth=2
	s_trap 2
	ds_read_b64 v[0:1], v0
	s_andn2_b64 s[36:37], s[36:37], exec
	s_mov_b32 s44, 0
	s_waitcnt vmcnt(0) lgkmcnt(0)
	flat_load_dword v0, v[0:1] sc0 sc1
	s_waitcnt vmcnt(0) lgkmcnt(0)
	buffer_inv sc0 sc1
	v_cmp_eq_u32_e32 vcc, 0, v0
	s_and_b64 vcc, vcc, exec
	s_or_b64 s[36:37], s[36:37], vcc
	s_mov_b64 vcc, -1
	s_or_b64 s[34:35], s[34:35], exec
	s_and_saveexec_b64 s[38:39], s[36:37]
	s_cbranch_execz .LBB29_3285
.LBB29_3289:                            ;   in Loop: Header=BB29_3286 Depth=2
	s_sleep 1
	s_trap 2
	ds_read_b64 v[0:1], v0
	s_waitcnt lgkmcnt(0)
	s_andn2_b64 s[34:35], s[34:35], exec
	v_cmp_ge_u64_e32 vcc, v[0:1], v[46:47]
	s_orn2_b64 vcc, vcc, exec
	s_branch .LBB29_3285
.LBB29_3290:                            ;   in Loop: Header=BB29_47 Depth=1
	s_or_b64 exec, exec, s[94:95]
	s_and_saveexec_b64 s[44:45], s[30:31]
	s_xor_b64 s[44:45], exec, s[44:45]
	s_cbranch_execz .LBB29_3292
; %bb.3291:                             ;   in Loop: Header=BB29_47 Depth=1
	v_mov_b32_e32 v0, 1
	ds_write_b32 v0, v0
	s_trap 2
.LBB29_3292:                            ;   in Loop: Header=BB29_47 Depth=1
	s_or_b64 exec, exec, s[92:93]
	;;#ASMSTART
	s_wakeup
	;;#ASMEND
.LBB29_3293:                            ;   in Loop: Header=BB29_47 Depth=1
	s_or_b64 exec, exec, s[42:43]
.LBB29_3294:                            ;   in Loop: Header=BB29_47 Depth=1
	s_andn2_saveexec_b64 s[40:41], s[40:41]
	s_cbranch_execz .LBB29_3296
; %bb.3295:                             ;   in Loop: Header=BB29_47 Depth=1
	s_waitcnt lgkmcnt(0)
	s_barrier
.LBB29_3296:                            ;   in Loop: Header=BB29_47 Depth=1
	s_or_b64 exec, exec, s[40:41]
.LBB29_3297:                            ;   in Loop: Header=BB29_47 Depth=1
	s_or_b64 exec, exec, s[24:25]
	s_trap 2
	ds_read_b32 v0, v0
	v_and_b32_e32 v1, 0x4000, v110
	v_cmp_ne_u32_e32 vcc, 0, v1
	s_xor_b64 s[24:25], s[4:5], -1
	s_and_b64 s[40:41], s[24:25], vcc
	s_and_saveexec_b64 s[24:25], s[40:41]
	s_cbranch_execz .LBB29_3316
; %bb.3298:                             ;   in Loop: Header=BB29_47 Depth=1
	s_and_saveexec_b64 s[40:41], s[56:57]
	s_xor_b64 s[40:41], exec, s[40:41]
	s_cbranch_execz .LBB29_3313
; %bb.3299:                             ;   in Loop: Header=BB29_47 Depth=1
	s_and_saveexec_b64 s[42:43], s[14:15]
	s_cbranch_execz .LBB29_3312
; %bb.3300:                             ;   in Loop: Header=BB29_47 Depth=1
	s_mov_b64 s[94:95], exec
	v_mbcnt_lo_u32_b32 v1, s94, 0
	v_mbcnt_hi_u32_b32 v1, s95, v1
	v_cmp_eq_u32_e32 vcc, 0, v1
	s_waitcnt lgkmcnt(0)
	s_and_saveexec_b64 s[92:93], vcc
	s_cbranch_execz .LBB29_3302
; %bb.3301:                             ;   in Loop: Header=BB29_47 Depth=1
	s_bcnt1_i32_b64 s13, s[94:95]
	v_mov_b32_e32 v2, s13
	ds_add_u64 v0, v[2:3]
	s_trap 2
.LBB29_3302:                            ;   in Loop: Header=BB29_47 Depth=1
	s_or_b64 exec, exec, s[92:93]
	s_trap 2
	ds_read_b64 v[4:5], v0
	s_waitcnt lgkmcnt(0)
	v_lshl_add_u64 v[46:47], v[46:47], 0, v[60:61]
	v_cmp_lt_u64_e32 vcc, v[4:5], v[46:47]
	s_and_saveexec_b64 s[92:93], vcc
	s_cbranch_execz .LBB29_3311
; %bb.3303:                             ;   in Loop: Header=BB29_47 Depth=1
	s_mov_b32 s44, 0
	s_mov_b64 s[94:95], 0
                                        ; implicit-def: $sgpr30_sgpr31
                                        ; implicit-def: $sgpr34_sgpr35
	s_branch .LBB29_3305
.LBB29_3304:                            ;   in Loop: Header=BB29_3305 Depth=2
	s_or_b64 exec, exec, s[38:39]
	s_and_b64 vcc, exec, vcc
	s_or_b64 s[94:95], vcc, s[94:95]
	s_andn2_b64 vcc, s[30:31], exec
	s_and_b64 s[30:31], s[34:35], exec
	s_or_b64 s[30:31], vcc, s[30:31]
	s_andn2_b64 exec, exec, s[94:95]
	s_cbranch_execz .LBB29_3309
.LBB29_3305:                            ;   Parent Loop BB29_47 Depth=1
                                        ; =>  This Inner Loop Header: Depth=2
	s_add_i32 s44, s44, 1
	s_cmpk_lg_i32 s44, 0x2710
	s_cselect_b64 s[36:37], -1, 0
	s_and_b64 vcc, exec, s[36:37]
	s_cbranch_vccz .LBB29_3307
; %bb.3306:                             ;   in Loop: Header=BB29_3305 Depth=2
	s_mov_b64 vcc, -1
	s_or_b64 s[34:35], s[34:35], exec
	s_and_saveexec_b64 s[38:39], s[36:37]
	s_cbranch_execz .LBB29_3304
	s_branch .LBB29_3308
.LBB29_3307:                            ;   in Loop: Header=BB29_3305 Depth=2
	s_trap 2
	ds_read_b64 v[4:5], v0
	s_andn2_b64 s[36:37], s[36:37], exec
	s_mov_b32 s44, 0
	s_waitcnt vmcnt(0) lgkmcnt(0)
	flat_load_dword v1, v[4:5] sc0 sc1
	s_waitcnt vmcnt(0) lgkmcnt(0)
	buffer_inv sc0 sc1
	v_cmp_eq_u32_e32 vcc, 0, v1
	s_and_b64 vcc, vcc, exec
	s_or_b64 s[36:37], s[36:37], vcc
	s_mov_b64 vcc, -1
	s_or_b64 s[34:35], s[34:35], exec
	s_and_saveexec_b64 s[38:39], s[36:37]
	s_cbranch_execz .LBB29_3304
.LBB29_3308:                            ;   in Loop: Header=BB29_3305 Depth=2
	s_sleep 1
	s_trap 2
	ds_read_b64 v[4:5], v0
	s_waitcnt lgkmcnt(0)
	s_andn2_b64 s[34:35], s[34:35], exec
	v_cmp_ge_u64_e32 vcc, v[4:5], v[46:47]
	s_orn2_b64 vcc, vcc, exec
	s_branch .LBB29_3304
.LBB29_3309:                            ;   in Loop: Header=BB29_47 Depth=1
	s_or_b64 exec, exec, s[94:95]
	s_and_saveexec_b64 s[44:45], s[30:31]
	s_xor_b64 s[44:45], exec, s[44:45]
	s_cbranch_execz .LBB29_3311
; %bb.3310:                             ;   in Loop: Header=BB29_47 Depth=1
	v_mov_b32_e32 v1, 1
	ds_write_b32 v0, v1
	s_trap 2
.LBB29_3311:                            ;   in Loop: Header=BB29_47 Depth=1
	s_or_b64 exec, exec, s[92:93]
	;;#ASMSTART
	s_wakeup
	;;#ASMEND
.LBB29_3312:                            ;   in Loop: Header=BB29_47 Depth=1
	s_or_b64 exec, exec, s[42:43]
.LBB29_3313:                            ;   in Loop: Header=BB29_47 Depth=1
	s_andn2_saveexec_b64 s[40:41], s[40:41]
	s_cbranch_execz .LBB29_3315
; %bb.3314:                             ;   in Loop: Header=BB29_47 Depth=1
	s_waitcnt lgkmcnt(0)
	s_barrier
.LBB29_3315:                            ;   in Loop: Header=BB29_47 Depth=1
	s_or_b64 exec, exec, s[40:41]
.LBB29_3316:                            ;   in Loop: Header=BB29_47 Depth=1
	s_or_b64 exec, exec, s[24:25]
	s_trap 2
	s_waitcnt lgkmcnt(0)
	ds_read_b64 v[4:5], v0
	v_min_i32_e32 v63, v63, v62
	s_waitcnt lgkmcnt(0)
	v_cmp_eq_u64_e32 vcc, 0, v[4:5]
	s_cbranch_vccnz .LBB29_3324
; %bb.3317:                             ;   in Loop: Header=BB29_47 Depth=1
	s_trap 2
	ds_read_b64 v[28:29], v0
	s_waitcnt lgkmcnt(0)
	v_cmp_eq_u64_e32 vcc, 0, v[28:29]
	s_cbranch_vccnz .LBB29_3324
; %bb.3318:                             ;   in Loop: Header=BB29_47 Depth=1
	s_mov_b64 s[40:41], -1
	s_and_saveexec_b64 s[24:25], s[18:19]
	s_cbranch_execz .LBB29_3320
; %bb.3319:                             ;   in Loop: Header=BB29_47 Depth=1
	ds_read_b32 v1, v0 offset:720
	s_waitcnt lgkmcnt(0)
	v_and_b32_e32 v1, 15, v1
	v_cmp_eq_u32_e32 vcc, 0, v1
	s_orn2_b64 s[40:41], vcc, exec
.LBB29_3320:                            ;   in Loop: Header=BB29_47 Depth=1
	s_or_b64 exec, exec, s[24:25]
	s_and_saveexec_b64 s[24:25], s[16:17]
	s_cbranch_execz .LBB29_3322
; %bb.3321:                             ;   in Loop: Header=BB29_47 Depth=1
	ds_read_b32 v1, v0 offset:784
	s_waitcnt lgkmcnt(0)
	v_and_b32_e32 v1, 15, v1
	v_cmp_eq_u32_e32 vcc, 0, v1
	s_and_b64 s[42:43], s[40:41], vcc
	s_andn2_b64 s[40:41], s[40:41], exec
	s_and_b64 s[42:43], s[42:43], exec
	s_or_b64 s[40:41], s[40:41], s[42:43]
.LBB29_3322:                            ;   in Loop: Header=BB29_47 Depth=1
	s_or_b64 exec, exec, s[24:25]
	s_xor_b64 s[40:41], s[40:41], -1
	v_cmp_eq_u32_e64 s[24:25], 0, v0
	v_cndmask_b32_e64 v0, 0, 1, s[40:41]
	s_mov_b64 s[42:43], -1
	v_cmp_ne_u32_e32 vcc, 0, v0
	s_cbranch_vccz .LBB29_3329
; %bb.3323:                             ;   in Loop: Header=BB29_47 Depth=1
	s_mov_b64 s[42:43], 0
	s_mov_b64 s[40:41], -1
	s_branch .LBB29_3330
.LBB29_3324:                            ;   in Loop: Header=BB29_47 Depth=1
	s_mov_b64 s[24:25], 0
	s_and_saveexec_b64 s[40:41], s[6:7]
	s_cbranch_execnz .LBB29_3380
.LBB29_3325:                            ;   in Loop: Header=BB29_47 Depth=1
	s_or_b64 exec, exec, s[40:41]
	s_and_saveexec_b64 s[40:41], s[22:23]
	s_xor_b64 s[40:41], exec, s[40:41]
	s_cbranch_execz .LBB29_3398
.LBB29_3326:                            ;   in Loop: Header=BB29_47 Depth=1
	s_waitcnt vmcnt(0)
	v_and_b32_e32 v0, 16, v110
	v_cmp_ne_u32_e32 vcc, 0, v0
	s_and_b64 s[42:43], vcc, s[24:25]
	s_and_saveexec_b64 s[24:25], s[42:43]
	s_cbranch_execz .LBB29_3328
; %bb.3327:                             ;   in Loop: Header=BB29_47 Depth=1
	buffer_wbl2 sc1
	s_waitcnt lgkmcnt(0)
	buffer_inv sc1
.LBB29_3328:                            ;   in Loop: Header=BB29_47 Depth=1
	s_or_b64 exec, exec, s[24:25]
	s_andn2_saveexec_b64 s[24:25], s[40:41]
	s_cbranch_execz .LBB29_3417
	s_branch .LBB29_3399
.LBB29_3329:                            ;   in Loop: Header=BB29_47 Depth=1
	s_mov_b64 s[40:41], 0
.LBB29_3330:                            ;   in Loop: Header=BB29_47 Depth=1
	v_cndmask_b32_e64 v2, 0, v63, s[24:25]
	v_lshlrev_b32_e32 v72, 1, v2
	s_andn2_b64 vcc, exec, s[42:43]
	v_mov_b32_e32 v0, 0
	s_cbranch_vccnz .LBB29_3338
; %bb.3331:                             ;   in Loop: Header=BB29_47 Depth=1
	scratch_load_dword v1, off, s33 offset:320 ; 4-byte Folded Reload
	scratch_load_dwordx2 v[8:9], off, s33 offset:380 ; 8-byte Folded Reload
	v_ashrrev_i32_e32 v0, 31, v72
	v_lshrrev_b32_e32 v0, 19, v0
	v_add_u32_e32 v0, v72, v0
	v_ashrrev_i32_e32 v0, 13, v0
	s_mov_b64 s[42:43], 0
                                        ; implicit-def: $vgpr12_vgpr13
                                        ; implicit-def: $vgpr16_vgpr17
                                        ; implicit-def: $vgpr20_vgpr21
                                        ; implicit-def: $vgpr24_vgpr25
                                        ; implicit-def: $vgpr32_vgpr33
                                        ; implicit-def: $vgpr36_vgpr37
                                        ; implicit-def: $vgpr48_vgpr49
	s_waitcnt vmcnt(0)
	v_lshrrev_b32_e32 v1, 6, v1
	v_sub_u32_e32 v7, v0, v1
	v_lshl_add_u64 v[116:117], v[28:29], 0, v[8:9]
	v_cmp_lt_i32_e32 vcc, 0, v7
                                        ; implicit-def: $vgpr8_vgpr9
	s_and_saveexec_b64 s[24:25], vcc
	s_cbranch_execz .LBB29_3340
; %bb.3332:                             ;   in Loop: Header=BB29_47 Depth=1
	scratch_load_dwordx2 v[8:9], off, s33 offset:380 ; 8-byte Folded Reload
	s_mov_b64 s[94:95], 0
                                        ; implicit-def: $sgpr92_sgpr93
                                        ; implicit-def: $vgpr12_vgpr13
                                        ; implicit-def: $vgpr16_vgpr17
                                        ; implicit-def: $vgpr20_vgpr21
                                        ; implicit-def: $vgpr24_vgpr25
                                        ; implicit-def: $vgpr32_vgpr33
                                        ; implicit-def: $vgpr36_vgpr37
                                        ; implicit-def: $vgpr48_vgpr49
	s_waitcnt vmcnt(0)
	v_lshl_add_u64 v[118:119], v[4:5], 0, v[8:9]
                                        ; implicit-def: $vgpr8_vgpr9
	s_branch .LBB29_3334
.LBB29_3333:                            ;   in Loop: Header=BB29_3334 Depth=2
	s_or_b64 exec, exec, s[30:31]
	global_store_dwordx4 v[116:117], v[52:55], off
	global_store_dwordx4 v[116:117], v[64:67], off offset:1024
	global_store_dwordx4 v[116:117], v[68:71], off offset:2048
	;; [unrolled: 1-line block ×3, first 2 shown]
	v_add_co_u32_e32 v52, vcc, s87, v116
	v_sub_u32_e32 v7, v6, v1
	s_nop 0
	v_addc_co_u32_e32 v53, vcc, 0, v117, vcc
	v_cmp_gt_i32_e32 vcc, 1, v7
	s_or_b64 s[42:43], vcc, s[42:43]
	global_store_dwordx4 v[52:53], v[84:87], off
	global_store_dwordx4 v[52:53], v[96:99], off offset:1024
	global_store_dwordx4 v[52:53], v[100:103], off offset:2048
	;; [unrolled: 1-line block ×3, first 2 shown]
	s_waitcnt vmcnt(8)
	v_lshl_add_u64 v[52:53], v[116:117], 0, v[58:59]
	s_andn2_b64 s[44:45], s[92:93], exec
	s_and_b64 s[92:93], s[94:95], exec
	v_lshl_add_u64 v[116:117], v[52:53], 0, s[58:59]
	v_lshl_add_u64 v[118:119], v[118:119], 0, v[58:59]
	s_or_b64 s[92:93], s[44:45], s[92:93]
	s_andn2_b64 exec, exec, s[42:43]
	s_cbranch_execz .LBB29_3339
.LBB29_3334:                            ;   Parent Loop BB29_47 Depth=1
                                        ; =>  This Inner Loop Header: Depth=2
	v_add_co_u32_e32 v112, vcc, 0x1000, v118
	global_load_dwordx4 v[52:55], v[118:119], off nt
	global_load_dwordx4 v[64:67], v[118:119], off offset:1024 nt
	global_load_dwordx4 v[68:71], v[118:119], off offset:2048 nt
	;; [unrolled: 1-line block ×3, first 2 shown]
	v_addc_co_u32_e32 v113, vcc, 0, v119, vcc
	global_load_dwordx4 v[84:87], v[112:113], off nt
	global_load_dwordx4 v[96:99], v[112:113], off offset:1024 nt
	global_load_dwordx4 v[100:103], v[112:113], off offset:2048 nt
	s_nop 0
	global_load_dwordx4 v[112:115], v[112:113], off offset:3072 nt
	s_and_saveexec_b64 s[30:31], s[94:95]
	s_cbranch_execz .LBB29_3336
; %bb.3335:                             ;   in Loop: Header=BB29_3334 Depth=2
	v_add_co_u32_e32 v42, vcc, 0x1000, v116
	global_store_dwordx4 v[116:117], v[8:11], off
	global_store_dwordx4 v[116:117], v[12:15], off offset:1024
	global_store_dwordx4 v[116:117], v[16:19], off offset:2048
	;; [unrolled: 1-line block ×3, first 2 shown]
	v_addc_co_u32_e32 v43, vcc, 0, v117, vcc
	global_store_dwordx4 v[42:43], v[24:27], off
	global_store_dwordx4 v[42:43], v[32:35], off offset:1024
	global_store_dwordx4 v[42:43], v[36:39], off offset:2048
	;; [unrolled: 1-line block ×3, first 2 shown]
	scratch_load_dwordx2 v[42:43], off, s33 offset:272 ; 8-byte Folded Reload
	s_waitcnt vmcnt(0)
	v_lshl_add_u64 v[116:117], v[116:117], 0, v[42:43]
.LBB29_3336:                            ;   in Loop: Header=BB29_3334 Depth=2
	s_or_b64 exec, exec, s[30:31]
	scratch_load_dwordx2 v[42:43], off, s33 offset:272 ; 8-byte Folded Reload
	v_sub_u32_e32 v6, v7, v60
	v_mov_b32_e32 v1, 0
	v_cmp_lt_i32_e64 s[94:95], 0, v6
	v_mov_b64_e32 v[58:59], 0
	s_waitcnt vmcnt(0)
	v_lshl_add_u64 v[118:119], v[118:119], 0, v[42:43]
	s_and_saveexec_b64 s[30:31], s[94:95]
	s_cbranch_execz .LBB29_3333
; %bb.3337:                             ;   in Loop: Header=BB29_3334 Depth=2
	v_add_co_u32_e32 v48, vcc, s87, v118
	global_load_dwordx4 v[8:11], v[118:119], off nt
	global_load_dwordx4 v[12:15], v[118:119], off offset:1024 nt
	global_load_dwordx4 v[16:19], v[118:119], off offset:2048 nt
	;; [unrolled: 1-line block ×3, first 2 shown]
	v_addc_co_u32_e32 v49, vcc, 0, v119, vcc
	global_load_dwordx4 v[24:27], v[48:49], off nt
	global_load_dwordx4 v[32:35], v[48:49], off offset:1024 nt
	global_load_dwordx4 v[36:39], v[48:49], off offset:2048 nt
	s_nop 0
	global_load_dwordx4 v[48:51], v[48:49], off offset:3072 nt
	v_lshl_add_u64 v[118:119], v[118:119], 0, s[58:59]
	scratch_load_dwordx2 v[58:59], off, s33 offset:340 ; 8-byte Folded Reload
	v_mov_b32_e32 v1, v60
	s_branch .LBB29_3333
.LBB29_3338:                            ;   in Loop: Header=BB29_47 Depth=1
	scratch_load_dword v6, off, s33 offset:320 ; 4-byte Folded Reload
	s_waitcnt vmcnt(0)
	v_mov_b32_e32 v1, v6
	v_and_b32_e32 v6, 63, v6
	s_and_saveexec_b64 s[24:25], s[40:41]
	s_cbranch_execnz .LBB29_3359
	s_branch .LBB29_3379
.LBB29_3339:                            ;   in Loop: Header=BB29_47 Depth=1
	s_or_b64 exec, exec, s[42:43]
	s_and_b64 s[42:43], s[92:93], exec
.LBB29_3340:                            ;   in Loop: Header=BB29_47 Depth=1
	s_or_b64 exec, exec, s[24:25]
	s_and_saveexec_b64 s[24:25], s[42:43]
	s_cbranch_execz .LBB29_3342
; %bb.3341:                             ;   in Loop: Header=BB29_47 Depth=1
	global_store_dwordx4 v[116:117], v[8:11], off
	global_store_dwordx4 v[116:117], v[12:15], off offset:1024
	global_store_dwordx4 v[116:117], v[16:19], off offset:2048
	;; [unrolled: 1-line block ×3, first 2 shown]
	v_add_co_u32_e32 v8, vcc, 0x1000, v116
	s_nop 1
	v_addc_co_u32_e32 v9, vcc, 0, v117, vcc
	global_store_dwordx4 v[8:9], v[24:27], off
	global_store_dwordx4 v[8:9], v[32:35], off offset:1024
	global_store_dwordx4 v[8:9], v[36:39], off offset:2048
	;; [unrolled: 1-line block ×3, first 2 shown]
.LBB29_3342:                            ;   in Loop: Header=BB29_47 Depth=1
	s_or_b64 exec, exec, s[24:25]
	v_lshlrev_b32_e32 v20, 13, v0
	v_cmp_ne_u32_e32 vcc, v72, v20
                                        ; implicit-def: $vgpr0
                                        ; implicit-def: $vgpr1
                                        ; implicit-def: $vgpr6
	s_mov_b64 s[42:43], exec
	scratch_load_dwordx4 v[66:69], off, s33 offset:388 ; 16-byte Folded Reload
	scratch_load_dwordx2 v[68:69], off, s33 offset:404 ; 8-byte Folded Reload
	scratch_load_dwordx2 v[70:71], off, s33 offset:364 ; 8-byte Folded Reload
	s_and_b64 s[24:25], s[42:43], vcc
	s_mov_b64 exec, s[24:25]
	s_cbranch_execz .LBB29_3358
; %bb.3343:                             ;   in Loop: Header=BB29_47 Depth=1
	scratch_load_dword v6, off, s33 offset:320 ; 4-byte Folded Reload
	v_lshlrev_b32_e32 v0, 6, v7
	v_sub_u32_e32 v1, v72, v20
	s_mov_b64 s[94:95], 0
	s_waitcnt vmcnt(0)
	v_and_b32_e32 v6, 63, v6
	v_sub_u32_e32 v0, v6, v0
	v_ashrrev_i32_e32 v6, 31, v0
	v_lshrrev_b32_e32 v6, 26, v6
	v_add_u32_e32 v6, v0, v6
	v_ashrrev_i32_e32 v8, 6, v6
	v_and_b32_e32 v6, 0xffffffc0, v6
	v_sub_u32_e32 v7, v0, v6
	v_ashrrev_i32_e32 v6, 31, v1
	v_lshrrev_b32_e32 v6, 22, v6
	v_add_u32_e32 v6, v1, v6
	v_lshlrev_b32_e32 v0, 4, v7
	v_and_b32_e32 v21, 0xfffffc00, v6
	v_lshl_add_u32 v0, v8, 10, v0
	v_sub_u32_e32 v23, v1, v21
	v_add_u32_e32 v10, v0, v20
	v_ashrrev_i32_e32 v9, 10, v6
	v_cmp_lt_i32_e32 vcc, 15, v23
	v_sub_u32_e32 v0, v1, v0
	v_ashrrev_i32_e32 v11, 31, v10
	v_addc_co_u32_e64 v1, s[24:25], 0, v9, vcc
	v_sub_u32_e32 v22, v1, v8
	v_lshl_add_u64 v[16:17], v[10:11], 0, v[28:29]
	v_cmp_lt_i32_e64 s[24:25], 15, v0
                                        ; implicit-def: $vgpr8_vgpr9
	s_and_saveexec_b64 s[92:93], s[24:25]
	s_cbranch_execz .LBB29_3353
; %bb.3344:                             ;   in Loop: Header=BB29_47 Depth=1
	v_lshl_add_u64 v[18:19], v[10:11], 0, v[4:5]
	s_mov_b64 s[34:35], 0
                                        ; implicit-def: $sgpr30_sgpr31
                                        ; implicit-def: $vgpr8_vgpr9
	s_branch .LBB29_3346
.LBB29_3345:                            ;   in Loop: Header=BB29_3346 Depth=2
	s_or_b64 exec, exec, s[24:25]
	v_cmp_gt_i32_e64 s[24:25], 16, v0
	s_or_b64 s[94:95], s[24:25], s[94:95]
	s_andn2_b64 s[24:25], s[30:31], exec
	s_and_b64 s[44:45], s[34:35], exec
	s_or_b64 s[30:31], s[24:25], s[44:45]
	s_andn2_b64 exec, exec, s[94:95]
	s_cbranch_execz .LBB29_3352
.LBB29_3346:                            ;   Parent Loop BB29_47 Depth=1
                                        ; =>  This Inner Loop Header: Depth=2
	global_load_dwordx4 v[12:15], v[18:19], off nt
	s_and_saveexec_b64 s[24:25], s[34:35]
	s_cbranch_execz .LBB29_3348
; %bb.3347:                             ;   in Loop: Header=BB29_3346 Depth=2
	scratch_load_dwordx2 v[24:25], off, s33 offset:264 ; 8-byte Folded Reload
	s_waitcnt vmcnt(0)
	v_lshl_add_u64 v[24:25], v[16:17], 0, v[24:25]
	global_store_dwordx4 v[16:17], v[8:11], off
	v_mov_b64_e32 v[16:17], v[24:25]
.LBB29_3348:                            ;   in Loop: Header=BB29_3346 Depth=2
	s_or_b64 exec, exec, s[24:25]
	scratch_load_dwordx2 v[24:25], off, s33 offset:264 ; 8-byte Folded Reload
	v_lshlrev_b32_e32 v1, 10, v60
	v_sub_u32_e32 v0, v0, v1
	v_cmp_lt_i32_e64 s[34:35], 15, v0
	s_waitcnt vmcnt(0)
	v_lshl_add_u64 v[18:19], v[18:19], 0, v[24:25]
	s_and_saveexec_b64 s[24:25], s[34:35]
	s_cbranch_execz .LBB29_3350
; %bb.3349:                             ;   in Loop: Header=BB29_3346 Depth=2
	global_load_dwordx4 v[8:11], v[18:19], off nt
	v_lshl_add_u64 v[18:19], v[18:19], 0, s[60:61]
.LBB29_3350:                            ;   in Loop: Header=BB29_3346 Depth=2
	s_or_b64 exec, exec, s[24:25]
	v_sub_u32_e32 v22, v22, v60
	global_store_dwordx4 v[16:17], v[12:15], off
	v_lshl_add_u64 v[16:17], v[16:17], 0, s[60:61]
	s_and_saveexec_b64 s[24:25], s[34:35]
	s_cbranch_execz .LBB29_3345
; %bb.3351:                             ;   in Loop: Header=BB29_3346 Depth=2
	v_lshlrev_b32_e32 v1, 10, v60
	v_sub_u32_e32 v22, v22, v60
	v_sub_u32_e32 v0, v0, v1
	v_lshl_add_u64 v[18:19], v[18:19], 0, v[90:91]
	v_lshl_add_u64 v[16:17], v[16:17], 0, v[90:91]
	s_branch .LBB29_3345
.LBB29_3352:                            ;   in Loop: Header=BB29_47 Depth=1
	s_or_b64 exec, exec, s[94:95]
	s_and_b64 s[94:95], s[30:31], exec
.LBB29_3353:                            ;   in Loop: Header=BB29_47 Depth=1
	s_or_b64 exec, exec, s[92:93]
	s_and_saveexec_b64 s[24:25], s[94:95]
	s_cbranch_execz .LBB29_3355
; %bb.3354:                             ;   in Loop: Header=BB29_47 Depth=1
	s_waitcnt vmcnt(1)
	global_store_dwordx4 v[16:17], v[8:11], off
.LBB29_3355:                            ;   in Loop: Header=BB29_47 Depth=1
	s_or_b64 exec, exec, s[24:25]
	s_waitcnt vmcnt(1)
	v_and_b32_e32 v8, 14, v72
	v_cndmask_b32_e32 v72, v23, v8, vcc
	v_cmp_ne_u32_e64 s[24:25], 0, v72
	s_mov_b64 s[94:95], s[40:41]
                                        ; implicit-def: $vgpr0
                                        ; implicit-def: $vgpr1
                                        ; implicit-def: $vgpr6
	s_and_saveexec_b64 s[92:93], s[24:25]
	s_cbranch_execz .LBB29_3357
; %bb.3356:                             ;   in Loop: Header=BB29_47 Depth=1
	v_sub_u32_e32 v0, v23, v8
	v_cndmask_b32_e32 v0, 0, v0, vcc
	v_cmp_lt_i32_e32 vcc, 0, v22
	v_add3_u32 v0, v21, v20, v0
	s_or_b64 s[94:95], s[40:41], exec
	v_cndmask_b32_e32 v1, 0, v60, vcc
	v_sub_u32_e32 v1, v1, v22
	v_lshl_add_u32 v1, v1, 6, v7
	v_ashrrev_i32_e32 v6, 31, v1
	v_lshrrev_b32_e32 v6, 26, v6
	v_add_u32_e32 v6, v1, v6
	v_and_b32_e32 v6, 0xffffffc0, v6
	v_sub_u32_e32 v6, v1, v6
.LBB29_3357:                            ;   in Loop: Header=BB29_47 Depth=1
	s_or_b64 exec, exec, s[92:93]
	s_andn2_b64 s[24:25], s[40:41], exec
	s_and_b64 s[40:41], s[94:95], exec
	s_or_b64 s[40:41], s[24:25], s[40:41]
.LBB29_3358:                            ;   in Loop: Header=BB29_47 Depth=1
	s_or_b64 exec, exec, s[42:43]
	s_and_saveexec_b64 s[24:25], s[40:41]
	s_cbranch_execz .LBB29_3379
.LBB29_3359:                            ;   in Loop: Header=BB29_47 Depth=1
	v_ashrrev_i32_e32 v7, 31, v1
	v_lshrrev_b32_e32 v7, 26, v7
	v_add_u32_e32 v1, v1, v7
	v_ashrrev_i32_e32 v1, 6, v1
	v_lshlrev_b32_e32 v7, 11, v1
	v_lshlrev_b32_e32 v8, 1, v6
	v_add3_u32 v10, v0, v8, v7
	v_ashrrev_i32_e32 v7, 31, v72
	v_lshrrev_b32_e32 v7, 21, v7
	v_add_u32_e32 v7, v72, v7
	v_ashrrev_i32_e32 v7, 11, v7
	v_sub_u32_e32 v12, v7, v1
	v_ashrrev_i32_e32 v11, 31, v10
	v_lshl_add_u64 v[8:9], v[28:29], 0, v[10:11]
	v_cmp_lt_i32_e32 vcc, 0, v12
	s_mov_b64 s[42:43], 0
                                        ; implicit-def: $vgpr14
                                        ; implicit-def: $vgpr15
                                        ; implicit-def: $vgpr16
                                        ; implicit-def: $vgpr17
                                        ; implicit-def: $vgpr18
                                        ; implicit-def: $vgpr19
                                        ; implicit-def: $vgpr20
                                        ; implicit-def: $vgpr21
                                        ; implicit-def: $vgpr22
                                        ; implicit-def: $vgpr23
                                        ; implicit-def: $vgpr24
                                        ; implicit-def: $vgpr25
                                        ; implicit-def: $vgpr26
                                        ; implicit-def: $vgpr27
                                        ; implicit-def: $vgpr30
                                        ; implicit-def: $vgpr32
	s_and_saveexec_b64 s[40:41], vcc
	s_cbranch_execz .LBB29_3367
; %bb.3360:                             ;   in Loop: Header=BB29_47 Depth=1
	v_lshl_add_u64 v[10:11], v[10:11], 0, v[4:5]
	s_mov_b64 s[94:95], 0
                                        ; implicit-def: $sgpr92_sgpr93
                                        ; implicit-def: $vgpr14
                                        ; implicit-def: $vgpr15
                                        ; implicit-def: $vgpr16
                                        ; implicit-def: $vgpr17
                                        ; implicit-def: $vgpr18
                                        ; implicit-def: $vgpr19
                                        ; implicit-def: $vgpr20
                                        ; implicit-def: $vgpr21
                                        ; implicit-def: $vgpr22
                                        ; implicit-def: $vgpr23
                                        ; implicit-def: $vgpr24
                                        ; implicit-def: $vgpr25
                                        ; implicit-def: $vgpr26
                                        ; implicit-def: $vgpr27
                                        ; implicit-def: $vgpr30
                                        ; implicit-def: $vgpr32
	s_branch .LBB29_3362
.LBB29_3361:                            ;   in Loop: Header=BB29_3362 Depth=2
	s_or_b64 exec, exec, vcc
	s_waitcnt vmcnt(0) lgkmcnt(0)
	flat_store_short v[8:9], v33 nt
	flat_store_short v[8:9], v34 offset:128 nt
	flat_store_short v[8:9], v35 offset:256 nt
	;; [unrolled: 1-line block ×15, first 2 shown]
	v_lshl_add_u64 v[8:9], v[8:9], 0, v[12:13]
	v_lshl_add_u64 v[10:11], v[10:11], 0, v[12:13]
	v_sub_u32_e32 v12, v1, v65
	v_cmp_gt_i32_e32 vcc, 1, v12
	s_or_b64 s[42:43], vcc, s[42:43]
	s_andn2_b64 s[44:45], s[92:93], exec
	s_and_b64 s[92:93], s[94:95], exec
	v_lshl_add_u64 v[8:9], v[8:9], 0, s[62:63]
	s_or_b64 s[92:93], s[44:45], s[92:93]
	s_andn2_b64 exec, exec, s[42:43]
	s_cbranch_execz .LBB29_3366
.LBB29_3362:                            ;   Parent Loop BB29_47 Depth=1
                                        ; =>  This Inner Loop Header: Depth=2
	flat_load_ushort v33, v[10:11] nt
	flat_load_ushort v34, v[10:11] offset:128 nt
	flat_load_ushort v35, v[10:11] offset:256 nt
	;; [unrolled: 1-line block ×15, first 2 shown]
	s_and_saveexec_b64 vcc, s[94:95]
	s_cbranch_execz .LBB29_3364
; %bb.3363:                             ;   in Loop: Header=BB29_3362 Depth=2
	flat_store_short v[8:9], v14 nt
	flat_store_short v[8:9], v15 offset:128 nt
	flat_store_short v[8:9], v16 offset:256 nt
	;; [unrolled: 1-line block ×15, first 2 shown]
	v_lshl_add_u64 v[8:9], v[8:9], 0, v[104:105]
.LBB29_3364:                            ;   in Loop: Header=BB29_3362 Depth=2
	s_or_b64 exec, exec, vcc
	v_sub_u32_e32 v1, v12, v60
	v_lshl_add_u64 v[10:11], v[10:11], 0, v[104:105]
	v_mov_b32_e32 v65, 0
	v_cmp_lt_i32_e64 s[94:95], 0, v1
	v_mov_b64_e32 v[12:13], 0
	s_and_saveexec_b64 vcc, s[94:95]
	s_cbranch_execz .LBB29_3361
; %bb.3365:                             ;   in Loop: Header=BB29_3362 Depth=2
	flat_load_ushort v14, v[10:11] nt
	flat_load_ushort v15, v[10:11] offset:128 nt
	flat_load_ushort v16, v[10:11] offset:256 nt
	;; [unrolled: 1-line block ×15, first 2 shown]
	v_lshl_add_u64 v[10:11], v[10:11], 0, s[62:63]
	v_mov_b32_e32 v65, v60
	v_mov_b64_e32 v[12:13], v[76:77]
	s_branch .LBB29_3361
.LBB29_3366:                            ;   in Loop: Header=BB29_47 Depth=1
	s_or_b64 exec, exec, s[42:43]
	s_and_b64 s[42:43], s[92:93], exec
.LBB29_3367:                            ;   in Loop: Header=BB29_47 Depth=1
	s_or_b64 exec, exec, s[40:41]
	s_and_saveexec_b64 s[40:41], s[42:43]
	s_cbranch_execz .LBB29_3369
; %bb.3368:                             ;   in Loop: Header=BB29_47 Depth=1
	flat_store_short v[8:9], v14 nt
	flat_store_short v[8:9], v15 offset:128 nt
	flat_store_short v[8:9], v16 offset:256 nt
	;; [unrolled: 1-line block ×15, first 2 shown]
.LBB29_3369:                            ;   in Loop: Header=BB29_47 Depth=1
	s_or_b64 exec, exec, s[40:41]
	v_lshlrev_b32_e32 v1, 11, v7
	v_cmp_ne_u32_e32 vcc, v72, v1
	s_and_b64 exec, exec, vcc
	s_cbranch_execz .LBB29_3379
; %bb.3370:                             ;   in Loop: Header=BB29_47 Depth=1
	v_lshlrev_b32_e32 v7, 6, v12
	v_sub_u32_e32 v6, v6, v7
	v_ashrrev_i32_e32 v7, 31, v6
	v_lshrrev_b32_e32 v7, 26, v7
	v_add_u32_e32 v7, v6, v7
	v_and_b32_e32 v8, 0x7fffffc0, v7
	v_sub_u32_e32 v6, v6, v8
	v_lshlrev_b32_e32 v7, 1, v7
	v_and_b32_e32 v7, 0xffffff80, v7
	v_lshlrev_b32_e32 v6, 1, v6
	v_add3_u32 v6, v7, v6, v1
	v_sub_u32_e32 v1, v72, v6
	v_cmp_lt_i32_e32 vcc, 1, v1
	s_and_b64 exec, exec, vcc
	s_cbranch_execz .LBB29_3379
; %bb.3371:                             ;   in Loop: Header=BB29_47 Depth=1
	v_add_u32_e32 v6, v6, v0
	v_ashrrev_i32_e32 v7, 31, v6
	v_lshl_add_u64 v[8:9], v[28:29], 0, v[6:7]
	v_lshl_add_u64 v[4:5], v[6:7], 0, v[4:5]
	s_mov_b64 s[92:93], 0
	s_mov_b64 s[40:41], 0
                                        ; implicit-def: $sgpr42_sgpr43
                                        ; implicit-def: $vgpr0
	s_branch .LBB29_3373
.LBB29_3372:                            ;   in Loop: Header=BB29_3373 Depth=2
	s_or_b64 exec, exec, s[94:95]
	v_sub_u32_e32 v1, v1, v7
	v_cmp_gt_i32_e32 vcc, 2, v1
	s_or_b64 s[40:41], vcc, s[40:41]
	s_waitcnt lgkmcnt(0)
	flat_store_short v[8:9], v6 nt
	v_lshl_add_u64 v[8:9], v[8:9], 0, v[10:11]
	s_andn2_b64 s[42:43], s[42:43], exec
	s_and_b64 s[44:45], s[92:93], exec
	v_lshl_add_u64 v[4:5], v[4:5], 0, v[10:11]
	v_lshl_add_u64 v[8:9], v[8:9], 0, s[72:73]
	s_or_b64 s[42:43], s[42:43], s[44:45]
	s_andn2_b64 exec, exec, s[40:41]
	s_cbranch_execz .LBB29_3377
.LBB29_3373:                            ;   Parent Loop BB29_47 Depth=1
                                        ; =>  This Inner Loop Header: Depth=2
	flat_load_ushort v6, v[4:5] nt
	s_and_saveexec_b64 s[94:95], s[92:93]
	s_cbranch_execz .LBB29_3375
; %bb.3374:                             ;   in Loop: Header=BB29_3373 Depth=2
	scratch_load_dwordx2 v[10:11], off, s33 offset:256 ; 8-byte Folded Reload
	s_waitcnt vmcnt(0)
	v_lshl_add_u64 v[10:11], v[8:9], 0, v[10:11]
	flat_store_short v[8:9], v0 nt
	v_mov_b64_e32 v[8:9], v[10:11]
.LBB29_3375:                            ;   in Loop: Header=BB29_3373 Depth=2
	s_or_b64 exec, exec, s[94:95]
	scratch_load_dwordx2 v[10:11], off, s33 offset:256 ; 8-byte Folded Reload
	v_sub_u32_e32 v1, v1, v31
	v_cmp_lt_i32_e64 s[92:93], 1, v1
	v_mov_b32_e32 v7, 0
	s_waitcnt vmcnt(0)
	v_lshl_add_u64 v[4:5], v[4:5], 0, v[10:11]
	v_mov_b64_e32 v[10:11], 0
	s_and_saveexec_b64 s[94:95], s[92:93]
	s_cbranch_execz .LBB29_3372
; %bb.3376:                             ;   in Loop: Header=BB29_3373 Depth=2
	flat_load_ushort v0, v[4:5] nt
	v_lshl_add_u64 v[4:5], v[4:5], 0, s[72:73]
	v_mov_b32_e32 v7, v31
	v_mov_b64_e32 v[10:11], v[92:93]
	s_branch .LBB29_3372
.LBB29_3377:                            ;   in Loop: Header=BB29_47 Depth=1
	s_or_b64 exec, exec, s[40:41]
	s_and_b64 exec, exec, s[42:43]
	s_cbranch_execz .LBB29_3379
; %bb.3378:                             ;   in Loop: Header=BB29_47 Depth=1
	s_waitcnt vmcnt(0)
	flat_store_short v[8:9], v0 nt
.LBB29_3379:                            ;   in Loop: Header=BB29_47 Depth=1
	s_or_b64 exec, exec, s[24:25]
	v_cmp_lt_i32_e64 s[24:25], 0, v2
	s_and_saveexec_b64 s[40:41], s[6:7]
	s_cbranch_execz .LBB29_3325
.LBB29_3380:                            ;   in Loop: Header=BB29_47 Depth=1
	s_and_saveexec_b64 s[42:43], s[56:57]
	s_xor_b64 s[42:43], exec, s[42:43]
	s_cbranch_execz .LBB29_3395
; %bb.3381:                             ;   in Loop: Header=BB29_47 Depth=1
	s_and_saveexec_b64 s[92:93], s[14:15]
	s_cbranch_execz .LBB29_3394
; %bb.3382:                             ;   in Loop: Header=BB29_47 Depth=1
	s_mov_b64 s[30:31], exec
	s_waitcnt vmcnt(0)
	v_mbcnt_lo_u32_b32 v0, s30, 0
	v_mbcnt_hi_u32_b32 v0, s31, v0
	v_cmp_eq_u32_e32 vcc, 0, v0
	s_waitcnt lgkmcnt(0)
	s_and_saveexec_b64 s[94:95], vcc
	s_cbranch_execz .LBB29_3384
; %bb.3383:                             ;   in Loop: Header=BB29_47 Depth=1
	s_bcnt1_i32_b64 s13, s[30:31]
	v_mov_b32_e32 v2, s13
	ds_add_u64 v0, v[2:3]
	s_trap 2
.LBB29_3384:                            ;   in Loop: Header=BB29_47 Depth=1
	s_or_b64 exec, exec, s[94:95]
	s_trap 2
	ds_read_b64 v[0:1], v0
	s_waitcnt lgkmcnt(0)
	v_lshl_add_u64 v[46:47], v[46:47], 0, v[60:61]
	v_cmp_lt_u64_e32 vcc, v[0:1], v[46:47]
	s_and_saveexec_b64 s[94:95], vcc
	s_cbranch_execz .LBB29_3393
; %bb.3385:                             ;   in Loop: Header=BB29_47 Depth=1
	s_mov_b32 s44, 0
	s_mov_b64 s[30:31], 0
                                        ; implicit-def: $sgpr34_sgpr35
                                        ; implicit-def: $sgpr36_sgpr37
	s_branch .LBB29_3387
.LBB29_3386:                            ;   in Loop: Header=BB29_3387 Depth=2
	s_or_b64 exec, exec, s[48:49]
	s_and_b64 vcc, exec, vcc
	s_or_b64 s[30:31], vcc, s[30:31]
	s_andn2_b64 vcc, s[34:35], exec
	s_and_b64 s[34:35], s[36:37], exec
	s_or_b64 s[34:35], vcc, s[34:35]
	s_andn2_b64 exec, exec, s[30:31]
	s_cbranch_execz .LBB29_3391
.LBB29_3387:                            ;   Parent Loop BB29_47 Depth=1
                                        ; =>  This Inner Loop Header: Depth=2
	s_add_i32 s44, s44, 1
	s_cmpk_lg_i32 s44, 0x2710
	s_cselect_b64 s[38:39], -1, 0
	s_and_b64 vcc, exec, s[38:39]
	s_cbranch_vccz .LBB29_3389
; %bb.3388:                             ;   in Loop: Header=BB29_3387 Depth=2
	s_mov_b64 vcc, -1
	s_or_b64 s[36:37], s[36:37], exec
	s_and_saveexec_b64 s[48:49], s[38:39]
	s_cbranch_execz .LBB29_3386
	s_branch .LBB29_3390
.LBB29_3389:                            ;   in Loop: Header=BB29_3387 Depth=2
	s_trap 2
	ds_read_b64 v[0:1], v0
	s_andn2_b64 s[38:39], s[38:39], exec
	s_mov_b32 s44, 0
	s_waitcnt lgkmcnt(0)
	flat_load_dword v0, v[0:1] sc0 sc1
	s_waitcnt vmcnt(0) lgkmcnt(0)
	buffer_inv sc0 sc1
	v_cmp_eq_u32_e32 vcc, 0, v0
	s_and_b64 vcc, vcc, exec
	s_or_b64 s[38:39], s[38:39], vcc
	s_mov_b64 vcc, -1
	s_or_b64 s[36:37], s[36:37], exec
	s_and_saveexec_b64 s[48:49], s[38:39]
	s_cbranch_execz .LBB29_3386
.LBB29_3390:                            ;   in Loop: Header=BB29_3387 Depth=2
	s_sleep 1
	s_trap 2
	ds_read_b64 v[0:1], v0
	s_waitcnt lgkmcnt(0)
	s_andn2_b64 s[36:37], s[36:37], exec
	v_cmp_ge_u64_e32 vcc, v[0:1], v[46:47]
	s_orn2_b64 vcc, vcc, exec
	s_branch .LBB29_3386
.LBB29_3391:                            ;   in Loop: Header=BB29_47 Depth=1
	s_or_b64 exec, exec, s[30:31]
	s_and_saveexec_b64 s[44:45], s[34:35]
	s_xor_b64 s[44:45], exec, s[44:45]
	s_cbranch_execz .LBB29_3393
; %bb.3392:                             ;   in Loop: Header=BB29_47 Depth=1
	v_mov_b32_e32 v0, 1
	ds_write_b32 v0, v0
	s_trap 2
.LBB29_3393:                            ;   in Loop: Header=BB29_47 Depth=1
	s_or_b64 exec, exec, s[94:95]
	;;#ASMSTART
	s_wakeup
	;;#ASMEND
.LBB29_3394:                            ;   in Loop: Header=BB29_47 Depth=1
	s_or_b64 exec, exec, s[92:93]
.LBB29_3395:                            ;   in Loop: Header=BB29_47 Depth=1
	s_andn2_saveexec_b64 s[42:43], s[42:43]
	s_cbranch_execz .LBB29_3397
; %bb.3396:                             ;   in Loop: Header=BB29_47 Depth=1
	s_waitcnt lgkmcnt(0)
	s_barrier
.LBB29_3397:                            ;   in Loop: Header=BB29_47 Depth=1
	s_or_b64 exec, exec, s[42:43]
	s_or_b64 exec, exec, s[40:41]
	s_and_saveexec_b64 s[40:41], s[22:23]
	s_xor_b64 s[40:41], exec, s[40:41]
	s_cbranch_execnz .LBB29_3326
.LBB29_3398:                            ;   in Loop: Header=BB29_47 Depth=1
	s_andn2_saveexec_b64 s[24:25], s[40:41]
	s_cbranch_execz .LBB29_3417
.LBB29_3399:                            ;   in Loop: Header=BB29_47 Depth=1
	s_and_saveexec_b64 s[40:41], s[56:57]
	s_xor_b64 s[40:41], exec, s[40:41]
	s_cbranch_execz .LBB29_3414
; %bb.3400:                             ;   in Loop: Header=BB29_47 Depth=1
	s_and_saveexec_b64 s[42:43], s[14:15]
	s_cbranch_execz .LBB29_3413
; %bb.3401:                             ;   in Loop: Header=BB29_47 Depth=1
	s_mov_b64 s[94:95], exec
	s_waitcnt vmcnt(0)
	v_mbcnt_lo_u32_b32 v0, s94, 0
	v_mbcnt_hi_u32_b32 v0, s95, v0
	v_cmp_eq_u32_e32 vcc, 0, v0
	;;#ASMSTART
	s_waitcnt lgkmcnt(0) vmcnt(0)
	;;#ASMEND
	s_and_saveexec_b64 s[92:93], vcc
	s_cbranch_execz .LBB29_3403
; %bb.3402:                             ;   in Loop: Header=BB29_47 Depth=1
	s_bcnt1_i32_b64 s13, s[94:95]
	v_mov_b32_e32 v2, s13
	s_waitcnt lgkmcnt(0)
	ds_add_u64 v0, v[2:3]
	s_trap 2
.LBB29_3403:                            ;   in Loop: Header=BB29_47 Depth=1
	s_or_b64 exec, exec, s[92:93]
	s_trap 2
	ds_read_b64 v[0:1], v0
	s_waitcnt lgkmcnt(0)
	v_lshl_add_u64 v[46:47], v[46:47], 0, v[60:61]
	v_cmp_lt_u64_e32 vcc, v[0:1], v[46:47]
	s_and_saveexec_b64 s[92:93], vcc
	s_cbranch_execz .LBB29_3412
; %bb.3404:                             ;   in Loop: Header=BB29_47 Depth=1
	s_mov_b32 s44, 0
	s_mov_b64 s[94:95], 0
                                        ; implicit-def: $sgpr30_sgpr31
                                        ; implicit-def: $sgpr34_sgpr35
	s_branch .LBB29_3406
.LBB29_3405:                            ;   in Loop: Header=BB29_3406 Depth=2
	s_or_b64 exec, exec, s[38:39]
	s_and_b64 vcc, exec, vcc
	s_or_b64 s[94:95], vcc, s[94:95]
	s_andn2_b64 vcc, s[30:31], exec
	s_and_b64 s[30:31], s[34:35], exec
	s_or_b64 s[30:31], vcc, s[30:31]
	s_andn2_b64 exec, exec, s[94:95]
	s_cbranch_execz .LBB29_3410
.LBB29_3406:                            ;   Parent Loop BB29_47 Depth=1
                                        ; =>  This Inner Loop Header: Depth=2
	s_add_i32 s44, s44, 1
	s_cmpk_lg_i32 s44, 0x2710
	s_cselect_b64 s[36:37], -1, 0
	s_and_b64 vcc, exec, s[36:37]
	s_cbranch_vccz .LBB29_3408
; %bb.3407:                             ;   in Loop: Header=BB29_3406 Depth=2
	s_mov_b64 vcc, -1
	s_or_b64 s[34:35], s[34:35], exec
	s_and_saveexec_b64 s[38:39], s[36:37]
	s_cbranch_execz .LBB29_3405
	s_branch .LBB29_3409
.LBB29_3408:                            ;   in Loop: Header=BB29_3406 Depth=2
	s_trap 2
	ds_read_b64 v[0:1], v0
	s_andn2_b64 s[36:37], s[36:37], exec
	s_mov_b32 s44, 0
	s_waitcnt lgkmcnt(0)
	flat_load_dword v0, v[0:1] sc0 sc1
	s_waitcnt vmcnt(0) lgkmcnt(0)
	buffer_inv sc0 sc1
	v_cmp_eq_u32_e32 vcc, 0, v0
	s_and_b64 vcc, vcc, exec
	s_or_b64 s[36:37], s[36:37], vcc
	s_mov_b64 vcc, -1
	s_or_b64 s[34:35], s[34:35], exec
	s_and_saveexec_b64 s[38:39], s[36:37]
	s_cbranch_execz .LBB29_3405
.LBB29_3409:                            ;   in Loop: Header=BB29_3406 Depth=2
	s_sleep 1
	s_trap 2
	ds_read_b64 v[0:1], v0
	s_waitcnt lgkmcnt(0)
	s_andn2_b64 s[34:35], s[34:35], exec
	v_cmp_ge_u64_e32 vcc, v[0:1], v[46:47]
	s_orn2_b64 vcc, vcc, exec
	s_branch .LBB29_3405
.LBB29_3410:                            ;   in Loop: Header=BB29_47 Depth=1
	s_or_b64 exec, exec, s[94:95]
	s_and_saveexec_b64 s[44:45], s[30:31]
	s_xor_b64 s[44:45], exec, s[44:45]
	s_cbranch_execz .LBB29_3412
; %bb.3411:                             ;   in Loop: Header=BB29_47 Depth=1
	v_mov_b32_e32 v0, 1
	ds_write_b32 v0, v0
	s_trap 2
.LBB29_3412:                            ;   in Loop: Header=BB29_47 Depth=1
	s_or_b64 exec, exec, s[92:93]
	;;#ASMSTART
	s_wakeup
	;;#ASMEND
.LBB29_3413:                            ;   in Loop: Header=BB29_47 Depth=1
	s_or_b64 exec, exec, s[42:43]
.LBB29_3414:                            ;   in Loop: Header=BB29_47 Depth=1
	s_andn2_saveexec_b64 s[40:41], s[40:41]
	s_cbranch_execz .LBB29_3416
; %bb.3415:                             ;   in Loop: Header=BB29_47 Depth=1
	;;#ASMSTART
	s_waitcnt lgkmcnt(0) vmcnt(0)
	;;#ASMEND
	s_barrier
.LBB29_3416:                            ;   in Loop: Header=BB29_47 Depth=1
	s_or_b64 exec, exec, s[40:41]
.LBB29_3417:                            ;   in Loop: Header=BB29_47 Depth=1
	s_or_b64 exec, exec, s[24:25]
	s_waitcnt vmcnt(0)
	v_and_b32_e32 v0, 32, v110
	v_cmp_ne_u32_e32 vcc, 0, v0
	s_and_saveexec_b64 s[24:25], vcc
	s_cbranch_execz .LBB29_3419
; %bb.3418:                             ;   in Loop: Header=BB29_47 Depth=1
	v_lshl_add_u64 v[124:125], v[124:125], 0, 4
	flat_store_dwordx2 v[40:41], v[124:125] sc0 sc1
.LBB29_3419:                            ;   in Loop: Header=BB29_47 Depth=1
	s_or_b64 exec, exec, s[24:25]
	v_mov_b32_e32 v6, v63
.LBB29_3420:                            ;   in Loop: Header=BB29_47 Depth=1
	s_or_b64 exec, exec, s[28:29]
	s_and_saveexec_b64 s[28:29], s[26:27]
	s_cbranch_execz .LBB29_46
; %bb.3421:                             ;   in Loop: Header=BB29_47 Depth=1
	v_and_b32_e32 v0, 4, v110
	v_cmp_ne_u32_e32 vcc, 0, v0
	s_and_saveexec_b64 s[26:27], vcc
	s_cbranch_execz .LBB29_3431
; %bb.3422:                             ;   in Loop: Header=BB29_47 Depth=1
	v_lshl_add_u64 v[4:5], v[124:125], 0, 4
	s_waitcnt lgkmcnt(0)
	v_cmp_lt_u64_e32 vcc, v[56:57], v[4:5]
	s_and_saveexec_b64 s[40:41], vcc
	s_cbranch_execz .LBB29_3446
; %bb.3423:                             ;   in Loop: Header=BB29_47 Depth=1
	v_and_b32_e32 v0, 64, v110
	s_mov_b32 s44, 0
	v_cmp_eq_u32_e32 vcc, 0, v0
	s_mov_b64 s[42:43], 0
                                        ; implicit-def: $sgpr92_sgpr93
                                        ; implicit-def: $sgpr94_sgpr95
                                        ; implicit-def: $sgpr30_sgpr31
	s_branch .LBB29_3427
.LBB29_3424:                            ;   in Loop: Header=BB29_3427 Depth=2
	s_waitcnt vmcnt(0) lgkmcnt(0)
	v_cmp_ge_u64_e64 s[24:25], v[56:57], v[4:5]
	s_or_b64 s[38:39], s[38:39], exec
	s_orn2_b64 s[36:37], s[24:25], exec
.LBB29_3425:                            ;   in Loop: Header=BB29_3427 Depth=2
	s_or_b64 exec, exec, s[50:51]
	s_andn2_b64 s[24:25], s[30:31], exec
	s_and_b64 s[30:31], s[38:39], exec
	s_or_b64 s[30:31], s[24:25], s[30:31]
	s_andn2_b64 s[24:25], s[94:95], exec
	s_and_b64 s[94:95], s[36:37], exec
	s_or_b64 s[94:95], s[24:25], s[94:95]
.LBB29_3426:                            ;   in Loop: Header=BB29_3427 Depth=2
	s_or_b64 exec, exec, s[34:35]
	s_and_b64 s[24:25], exec, s[94:95]
	s_or_b64 s[42:43], s[24:25], s[42:43]
	s_andn2_b64 s[24:25], s[92:93], exec
	s_and_b64 s[92:93], s[30:31], exec
	s_or_b64 s[92:93], s[24:25], s[92:93]
	s_andn2_b64 exec, exec, s[42:43]
	s_cbranch_execz .LBB29_3443
.LBB29_3427:                            ;   Parent Loop BB29_47 Depth=1
                                        ; =>  This Inner Loop Header: Depth=2
	s_sleep 1
	s_waitcnt vmcnt(0) lgkmcnt(0)
	flat_load_dwordx2 v[56:57], v[40:41] sc0 sc1
	s_or_b64 s[30:31], s[30:31], exec
	s_or_b64 s[94:95], s[94:95], exec
                                        ; implicit-def: $vgpr0
	s_and_saveexec_b64 s[34:35], vcc
	s_cbranch_execz .LBB29_3426
; %bb.3428:                             ;   in Loop: Header=BB29_3427 Depth=2
	s_cmpk_lt_i32 s44, 0x270f
	s_cselect_b64 s[48:49], -1, 0
	s_cmpk_gt_i32 s44, 0x270e
	s_mov_b64 s[36:37], -1
	s_cbranch_scc0 .LBB29_3430
; %bb.3429:                             ;   in Loop: Header=BB29_3427 Depth=2
	s_trap 2
	ds_read_b64 v[0:1], v0
	s_andn2_b64 s[48:49], s[48:49], exec
	s_mov_b32 s44, 0
	s_mov_b64 s[38:39], 0
	s_waitcnt vmcnt(0) lgkmcnt(0)
	flat_load_dword v0, v[0:1] sc0 sc1
	s_waitcnt vmcnt(0) lgkmcnt(0)
	buffer_inv sc0 sc1
	v_cmp_eq_u32_e64 s[24:25], 0, v0
	s_and_b64 s[24:25], s[24:25], exec
	s_or_b64 s[48:49], s[48:49], s[24:25]
	s_and_saveexec_b64 s[50:51], s[48:49]
	s_cbranch_execz .LBB29_3425
	s_branch .LBB29_3424
.LBB29_3430:                            ;   in Loop: Header=BB29_3427 Depth=2
	s_add_i32 s44, s44, 1
	s_mov_b64 s[38:39], -1
                                        ; implicit-def: $vgpr0
	s_and_saveexec_b64 s[50:51], s[48:49]
	s_cbranch_execz .LBB29_3425
	s_branch .LBB29_3424
.LBB29_3431:                            ;   in Loop: Header=BB29_47 Depth=1
	s_or_b64 exec, exec, s[26:27]
	s_and_saveexec_b64 s[24:25], s[6:7]
	s_cbranch_execz .LBB29_3455
.LBB29_3432:                            ;   in Loop: Header=BB29_47 Depth=1
	s_and_saveexec_b64 s[26:27], s[56:57]
	s_xor_b64 s[26:27], exec, s[26:27]
	s_cbranch_execz .LBB29_3463
; %bb.3433:                             ;   in Loop: Header=BB29_47 Depth=1
	s_and_saveexec_b64 s[40:41], s[14:15]
	s_cbranch_execz .LBB29_3462
; %bb.3434:                             ;   in Loop: Header=BB29_47 Depth=1
	s_mov_b64 s[92:93], exec
	v_mbcnt_lo_u32_b32 v0, s92, 0
	v_mbcnt_hi_u32_b32 v0, s93, v0
	v_cmp_eq_u32_e32 vcc, 0, v0
	s_waitcnt lgkmcnt(0)
	s_and_saveexec_b64 s[42:43], vcc
	s_cbranch_execz .LBB29_3436
; %bb.3435:                             ;   in Loop: Header=BB29_47 Depth=1
	s_bcnt1_i32_b64 s13, s[92:93]
	v_mov_b32_e32 v2, s13
	ds_add_u64 v0, v[2:3]
	s_trap 2
.LBB29_3436:                            ;   in Loop: Header=BB29_47 Depth=1
	s_or_b64 exec, exec, s[42:43]
	s_trap 2
	ds_read_b64 v[0:1], v0
	s_waitcnt lgkmcnt(0)
	v_lshl_add_u64 v[46:47], v[46:47], 0, v[60:61]
	v_cmp_lt_u64_e32 vcc, v[0:1], v[46:47]
	s_and_saveexec_b64 s[42:43], vcc
	s_cbranch_execz .LBB29_3461
; %bb.3437:                             ;   in Loop: Header=BB29_47 Depth=1
	s_mov_b32 s44, 0
	s_mov_b64 s[92:93], 0
                                        ; implicit-def: $sgpr94_sgpr95
                                        ; implicit-def: $sgpr30_sgpr31
	s_branch .LBB29_3439
.LBB29_3438:                            ;   in Loop: Header=BB29_3439 Depth=2
	s_or_b64 exec, exec, s[36:37]
	s_and_b64 vcc, exec, vcc
	s_or_b64 s[92:93], vcc, s[92:93]
	s_andn2_b64 s[94:95], s[94:95], exec
	s_and_b64 vcc, s[30:31], exec
	s_or_b64 s[94:95], s[94:95], vcc
	s_andn2_b64 exec, exec, s[92:93]
	s_cbranch_execz .LBB29_3459
.LBB29_3439:                            ;   Parent Loop BB29_47 Depth=1
                                        ; =>  This Inner Loop Header: Depth=2
	s_add_i32 s44, s44, 1
	s_cmpk_lg_i32 s44, 0x2710
	s_cselect_b64 s[34:35], -1, 0
	s_and_b64 vcc, exec, s[34:35]
	s_cbranch_vccz .LBB29_3441
; %bb.3440:                             ;   in Loop: Header=BB29_3439 Depth=2
	s_mov_b64 vcc, -1
	s_or_b64 s[30:31], s[30:31], exec
	s_and_saveexec_b64 s[36:37], s[34:35]
	s_cbranch_execz .LBB29_3438
	s_branch .LBB29_3442
.LBB29_3441:                            ;   in Loop: Header=BB29_3439 Depth=2
	s_trap 2
	ds_read_b64 v[0:1], v0
	s_andn2_b64 s[34:35], s[34:35], exec
	s_mov_b32 s44, 0
	s_waitcnt vmcnt(0) lgkmcnt(0)
	flat_load_dword v0, v[0:1] sc0 sc1
	s_waitcnt vmcnt(0) lgkmcnt(0)
	buffer_inv sc0 sc1
	v_cmp_eq_u32_e32 vcc, 0, v0
	s_and_b64 vcc, vcc, exec
	s_or_b64 s[34:35], s[34:35], vcc
	s_mov_b64 vcc, -1
	s_or_b64 s[30:31], s[30:31], exec
	s_and_saveexec_b64 s[36:37], s[34:35]
	s_cbranch_execz .LBB29_3438
.LBB29_3442:                            ;   in Loop: Header=BB29_3439 Depth=2
	s_sleep 1
	s_trap 2
	ds_read_b64 v[0:1], v0
	s_waitcnt lgkmcnt(0)
	s_andn2_b64 s[30:31], s[30:31], exec
	v_cmp_ge_u64_e32 vcc, v[0:1], v[46:47]
	s_orn2_b64 vcc, vcc, exec
	s_branch .LBB29_3438
.LBB29_3443:                            ;   in Loop: Header=BB29_47 Depth=1
	s_or_b64 exec, exec, s[42:43]
	s_xor_b64 s[24:25], s[92:93], -1
	s_and_saveexec_b64 s[42:43], s[24:25]
	s_xor_b64 s[24:25], exec, s[42:43]
	s_cbranch_execz .LBB29_3445
; %bb.3444:                             ;   in Loop: Header=BB29_47 Depth=1
	v_or_b32_e32 v110, 64, v110
	s_waitcnt lgkmcnt(0)
	ds_write_b32 v0, v0
	s_trap 2
.LBB29_3445:                            ;   in Loop: Header=BB29_47 Depth=1
	s_or_b64 exec, exec, s[24:25]
.LBB29_3446:                            ;   in Loop: Header=BB29_47 Depth=1
	s_or_b64 exec, exec, s[40:41]
	v_and_b32_e32 v0, 0x100, v110
	v_cmp_ne_u32_e32 vcc, 0, v0
	v_and_b32_e32 v0, 7, v124
	s_mov_b64 s[24:25], -1
	;;#ASMSTART
	s_wakeup
	;;#ASMEND
                                        ; implicit-def: $vgpr8_vgpr9
	s_and_saveexec_b64 s[40:41], vcc
	s_cbranch_execz .LBB29_3450
; %bb.3447:                             ;   in Loop: Header=BB29_47 Depth=1
	scratch_load_dwordx4 v[8:11], off, s33 offset:288 ; 16-byte Folded Reload
	s_waitcnt vmcnt(0)
	v_mad_u64_u32 v[10:11], s[24:25], v0, 24, v[8:9]
	flat_load_dword v1, v[10:11]
                                        ; implicit-def: $vgpr8_vgpr9
	s_waitcnt vmcnt(0) lgkmcnt(0)
	v_cmp_ne_u32_e32 vcc, 1, v1
	v_cmp_eq_u32_e64 s[24:25], 1, v1
	s_and_saveexec_b64 s[42:43], s[24:25]
	s_cbranch_execz .LBB29_3449
; %bb.3448:                             ;   in Loop: Header=BB29_47 Depth=1
	flat_load_dword v8, v[10:11] offset:4 sc0 sc1
	s_waitcnt vmcnt(0) lgkmcnt(0)
	v_ashrrev_i32_e32 v9, 31, v8
	v_lshrrev_b64 v[8:9], 1, v[8:9]
.LBB29_3449:                            ;   in Loop: Header=BB29_47 Depth=1
	s_or_b64 exec, exec, s[42:43]
	s_orn2_b64 s[24:25], vcc, exec
.LBB29_3450:                            ;   in Loop: Header=BB29_47 Depth=1
	s_or_b64 exec, exec, s[40:41]
	s_and_saveexec_b64 s[40:41], s[24:25]
	s_cbranch_execz .LBB29_3452
; %bb.3451:                             ;   in Loop: Header=BB29_47 Depth=1
	scratch_load_dwordx2 v[8:9], off, s33 offset:324 ; 8-byte Folded Reload
	s_waitcnt vmcnt(0)
	v_mad_i64_i32 v[8:9], s[24:25], v0, v8, 0
.LBB29_3452:                            ;   in Loop: Header=BB29_47 Depth=1
	s_or_b64 exec, exec, s[40:41]
	scratch_load_dwordx2 v[0:1], off, s33 offset:280 ; 8-byte Folded Reload
	s_waitcnt vmcnt(0)
	v_lshl_add_u64 v[0:1], v[8:9], 1, v[0:1]
	ds_write_b64 v0, v[0:1] offset:720
	v_and_b32_e32 v0, 0x2000, v110
	v_cmp_ne_u32_e32 vcc, 0, v0
	s_and_saveexec_b64 s[24:25], vcc
	s_cbranch_execz .LBB29_3454
; %bb.3453:                             ;   in Loop: Header=BB29_47 Depth=1
	ds_read_b64 v[0:1], v0 offset:872
	s_waitcnt lgkmcnt(0)
	v_lshl_add_u64 v[0:1], v[0:1], 0, 1
	ds_write_b64 v0, v[0:1] offset:872
.LBB29_3454:                            ;   in Loop: Header=BB29_47 Depth=1
	s_or_b64 exec, exec, s[24:25]
	v_mov_b64_e32 v[124:125], v[4:5]
	s_or_b64 exec, exec, s[26:27]
	s_and_saveexec_b64 s[24:25], s[6:7]
	s_cbranch_execnz .LBB29_3432
.LBB29_3455:                            ;   in Loop: Header=BB29_47 Depth=1
	s_or_b64 exec, exec, s[24:25]
	s_and_saveexec_b64 s[24:25], s[22:23]
	s_xor_b64 s[24:25], exec, s[24:25]
	s_cbranch_execz .LBB29_3466
.LBB29_3456:                            ;   in Loop: Header=BB29_47 Depth=1
	s_trap 2
	ds_read_b32 v0, v0
	v_sub_u32_e32 v1, v62, v6
	v_min_i32_e32 v1, v63, v1
	v_cmp_lt_i32_e32 vcc, 0, v1
	s_waitcnt lgkmcnt(0)
	v_readfirstlane_b32 s13, v0
	s_cmp_eq_u32 s13, 0
	s_cselect_b64 s[26:27], -1, 0
	v_and_b32_e32 v0, 16, v110
	s_and_b64 s[26:27], vcc, s[26:27]
	v_cmp_ne_u32_e32 vcc, 0, v0
	s_and_b64 s[40:41], vcc, s[26:27]
	s_and_saveexec_b64 s[26:27], s[40:41]
	s_cbranch_execz .LBB29_3458
; %bb.3457:                             ;   in Loop: Header=BB29_47 Depth=1
	buffer_wbl2 sc1
	s_waitcnt vmcnt(0)
	buffer_inv sc1
.LBB29_3458:                            ;   in Loop: Header=BB29_47 Depth=1
	s_or_b64 exec, exec, s[26:27]
	s_andn2_saveexec_b64 s[24:25], s[24:25]
	s_cbranch_execz .LBB29_3485
	s_branch .LBB29_3467
.LBB29_3459:                            ;   in Loop: Header=BB29_47 Depth=1
	s_or_b64 exec, exec, s[92:93]
	s_and_saveexec_b64 s[44:45], s[94:95]
	s_xor_b64 s[44:45], exec, s[44:45]
	s_cbranch_execz .LBB29_3461
; %bb.3460:                             ;   in Loop: Header=BB29_47 Depth=1
	v_mov_b32_e32 v0, 1
	ds_write_b32 v0, v0
	s_trap 2
.LBB29_3461:                            ;   in Loop: Header=BB29_47 Depth=1
	s_or_b64 exec, exec, s[42:43]
	;;#ASMSTART
	s_wakeup
	;;#ASMEND
.LBB29_3462:                            ;   in Loop: Header=BB29_47 Depth=1
	s_or_b64 exec, exec, s[40:41]
.LBB29_3463:                            ;   in Loop: Header=BB29_47 Depth=1
	s_andn2_saveexec_b64 s[26:27], s[26:27]
	s_cbranch_execz .LBB29_3465
; %bb.3464:                             ;   in Loop: Header=BB29_47 Depth=1
	s_waitcnt lgkmcnt(0)
	s_barrier
.LBB29_3465:                            ;   in Loop: Header=BB29_47 Depth=1
	s_or_b64 exec, exec, s[26:27]
	s_or_b64 exec, exec, s[24:25]
	s_and_saveexec_b64 s[24:25], s[22:23]
	s_xor_b64 s[24:25], exec, s[24:25]
	s_cbranch_execnz .LBB29_3456
.LBB29_3466:                            ;   in Loop: Header=BB29_47 Depth=1
	s_andn2_saveexec_b64 s[24:25], s[24:25]
	s_cbranch_execz .LBB29_3485
.LBB29_3467:                            ;   in Loop: Header=BB29_47 Depth=1
	s_and_saveexec_b64 s[26:27], s[56:57]
	s_xor_b64 s[26:27], exec, s[26:27]
	s_cbranch_execz .LBB29_3482
; %bb.3468:                             ;   in Loop: Header=BB29_47 Depth=1
	s_and_saveexec_b64 s[40:41], s[14:15]
	s_cbranch_execz .LBB29_3481
; %bb.3469:                             ;   in Loop: Header=BB29_47 Depth=1
	s_mov_b64 s[92:93], exec
	v_mbcnt_lo_u32_b32 v0, s92, 0
	v_mbcnt_hi_u32_b32 v0, s93, v0
	v_cmp_eq_u32_e32 vcc, 0, v0
	;;#ASMSTART
	s_waitcnt lgkmcnt(0) vmcnt(0)
	;;#ASMEND
	s_and_saveexec_b64 s[42:43], vcc
	s_cbranch_execz .LBB29_3471
; %bb.3470:                             ;   in Loop: Header=BB29_47 Depth=1
	s_bcnt1_i32_b64 s13, s[92:93]
	v_mov_b32_e32 v2, s13
	s_waitcnt lgkmcnt(0)
	ds_add_u64 v0, v[2:3]
	s_trap 2
.LBB29_3471:                            ;   in Loop: Header=BB29_47 Depth=1
	s_or_b64 exec, exec, s[42:43]
	s_trap 2
	ds_read_b64 v[0:1], v0
	s_waitcnt lgkmcnt(0)
	v_lshl_add_u64 v[46:47], v[46:47], 0, v[60:61]
	v_cmp_lt_u64_e32 vcc, v[0:1], v[46:47]
	s_and_saveexec_b64 s[42:43], vcc
	s_cbranch_execz .LBB29_3480
; %bb.3472:                             ;   in Loop: Header=BB29_47 Depth=1
	s_mov_b32 s44, 0
	s_mov_b64 s[92:93], 0
                                        ; implicit-def: $sgpr94_sgpr95
                                        ; implicit-def: $sgpr30_sgpr31
	s_branch .LBB29_3474
.LBB29_3473:                            ;   in Loop: Header=BB29_3474 Depth=2
	s_or_b64 exec, exec, s[36:37]
	s_and_b64 vcc, exec, vcc
	s_or_b64 s[92:93], vcc, s[92:93]
	s_andn2_b64 s[94:95], s[94:95], exec
	s_and_b64 vcc, s[30:31], exec
	s_or_b64 s[94:95], s[94:95], vcc
	s_andn2_b64 exec, exec, s[92:93]
	s_cbranch_execz .LBB29_3478
.LBB29_3474:                            ;   Parent Loop BB29_47 Depth=1
                                        ; =>  This Inner Loop Header: Depth=2
	s_add_i32 s44, s44, 1
	s_cmpk_lg_i32 s44, 0x2710
	s_cselect_b64 s[34:35], -1, 0
	s_and_b64 vcc, exec, s[34:35]
	s_cbranch_vccz .LBB29_3476
; %bb.3475:                             ;   in Loop: Header=BB29_3474 Depth=2
	s_mov_b64 vcc, -1
	s_or_b64 s[30:31], s[30:31], exec
	s_and_saveexec_b64 s[36:37], s[34:35]
	s_cbranch_execz .LBB29_3473
	s_branch .LBB29_3477
.LBB29_3476:                            ;   in Loop: Header=BB29_3474 Depth=2
	s_trap 2
	ds_read_b64 v[0:1], v0
	s_andn2_b64 s[34:35], s[34:35], exec
	s_mov_b32 s44, 0
	s_waitcnt vmcnt(0) lgkmcnt(0)
	flat_load_dword v0, v[0:1] sc0 sc1
	s_waitcnt vmcnt(0) lgkmcnt(0)
	buffer_inv sc0 sc1
	v_cmp_eq_u32_e32 vcc, 0, v0
	s_and_b64 vcc, vcc, exec
	s_or_b64 s[34:35], s[34:35], vcc
	s_mov_b64 vcc, -1
	s_or_b64 s[30:31], s[30:31], exec
	s_and_saveexec_b64 s[36:37], s[34:35]
	s_cbranch_execz .LBB29_3473
.LBB29_3477:                            ;   in Loop: Header=BB29_3474 Depth=2
	s_sleep 1
	s_trap 2
	ds_read_b64 v[0:1], v0
	s_waitcnt lgkmcnt(0)
	s_andn2_b64 s[30:31], s[30:31], exec
	v_cmp_ge_u64_e32 vcc, v[0:1], v[46:47]
	s_orn2_b64 vcc, vcc, exec
	s_branch .LBB29_3473
.LBB29_3478:                            ;   in Loop: Header=BB29_47 Depth=1
	s_or_b64 exec, exec, s[92:93]
	s_and_saveexec_b64 s[44:45], s[94:95]
	s_xor_b64 s[44:45], exec, s[44:45]
	s_cbranch_execz .LBB29_3480
; %bb.3479:                             ;   in Loop: Header=BB29_47 Depth=1
	v_mov_b32_e32 v0, 1
	ds_write_b32 v0, v0
	s_trap 2
.LBB29_3480:                            ;   in Loop: Header=BB29_47 Depth=1
	s_or_b64 exec, exec, s[42:43]
	;;#ASMSTART
	s_wakeup
	;;#ASMEND
.LBB29_3481:                            ;   in Loop: Header=BB29_47 Depth=1
	s_or_b64 exec, exec, s[40:41]
.LBB29_3482:                            ;   in Loop: Header=BB29_47 Depth=1
	s_andn2_saveexec_b64 s[26:27], s[26:27]
	s_cbranch_execz .LBB29_3484
; %bb.3483:                             ;   in Loop: Header=BB29_47 Depth=1
	;;#ASMSTART
	s_waitcnt lgkmcnt(0) vmcnt(0)
	;;#ASMEND
	s_barrier
.LBB29_3484:                            ;   in Loop: Header=BB29_47 Depth=1
	s_or_b64 exec, exec, s[26:27]
.LBB29_3485:                            ;   in Loop: Header=BB29_47 Depth=1
	s_or_b64 exec, exec, s[24:25]
	v_and_b32_e32 v0, 32, v110
	v_cmp_ne_u32_e32 vcc, 0, v0
	s_and_saveexec_b64 s[24:25], vcc
	s_cbranch_execz .LBB29_45
; %bb.3486:                             ;   in Loop: Header=BB29_47 Depth=1
	v_lshl_add_u64 v[124:125], v[124:125], 0, 4
	flat_store_dwordx2 v[40:41], v[124:125] sc0 sc1
	s_branch .LBB29_45
.LBB29_3487:
	s_or_b64 exec, exec, s[74:75]
	scratch_load_dword v18, off, s33 offset:436 ; 4-byte Folded Reload
	scratch_load_dword v31, off, s33 offset:444 ; 4-byte Folded Reload
	;; [unrolled: 1-line block ×3, first 2 shown]
	v_readlane_b32 s24, v126, 4
	v_readlane_b32 s25, v126, 5
.LBB29_3488:
	v_readlane_b32 s0, v126, 2
	v_readlane_b32 s1, v126, 3
	s_or_b64 exec, exec, s[0:1]
	v_and_b32_e32 v0, 0x800, v110
	v_cmp_eq_u32_e32 vcc, 0, v0
	s_and_saveexec_b64 s[2:3], vcc
	s_cbranch_execz .LBB29_3521
; %bb.3489:
	v_and_b32_e32 v0, 48, v110
	v_cmp_ne_u32_e32 vcc, 0, v0
	s_and_saveexec_b64 s[0:1], vcc
	s_cbranch_execz .LBB29_3491
; %bb.3490:
	scratch_load_dwordx2 v[0:1], off, s33 offset:420 ; 8-byte Folded Reload
	s_waitcnt vmcnt(0)
	flat_store_dwordx2 v[0:1], v[124:125] offset:104
.LBB29_3491:
	s_or_b64 exec, exec, s[0:1]
	s_movk_i32 s0, 0x88
	v_and_b32_e32 v0, 0x88, v110
	v_cmp_eq_u32_e32 vcc, s0, v0
	s_and_saveexec_b64 s[4:5], vcc
	s_cbranch_execz .LBB29_3501
; %bb.3492:
	scratch_load_dwordx4 v[2:5], off, s33 offset:288 ; 16-byte Folded Reload
	v_bitop3_b32 v0, v124, 4, 7 bitop3:0x6c
	s_waitcnt vmcnt(0)
	v_and_b32_e32 v4, 64, v110
	s_mov_b32 s18, 0
	v_mad_u64_u32 v[0:1], s[0:1], v0, 24, v[2:3]
	flat_load_dwordx2 v[2:3], v[0:1] offset:8 sc0 sc1
	s_waitcnt vmcnt(0)
	v_cmp_eq_u32_e64 s[0:1], 0, v4
	s_waitcnt lgkmcnt(0)
	v_cmp_ne_u64_e32 vcc, -1, v[2:3]
	s_and_b64 s[0:1], vcc, s[0:1]
	s_and_b64 exec, exec, s[0:1]
	s_cbranch_execz .LBB29_3501
; %bb.3493:
	s_mov_b64 s[0:1], 0
                                        ; implicit-def: $sgpr6_sgpr7
                                        ; implicit-def: $sgpr10_sgpr11
	s_branch .LBB29_3496
.LBB29_3494:                            ;   in Loop: Header=BB29_3496 Depth=1
	flat_load_dwordx2 v[4:5], v[0:1] offset:8 sc0 sc1
	s_waitcnt vmcnt(0)
	s_andn2_b64 s[10:11], s[10:11], exec
	s_waitcnt lgkmcnt(0)
	v_cmp_eq_u64_e32 vcc, -1, v[4:5]
	s_orn2_b64 s[14:15], vcc, exec
.LBB29_3495:                            ;   in Loop: Header=BB29_3496 Depth=1
	s_or_b64 exec, exec, s[16:17]
	s_and_b64 s[8:9], exec, s[14:15]
	s_or_b64 s[0:1], s[8:9], s[0:1]
	s_andn2_b64 s[6:7], s[6:7], exec
	s_and_b64 s[8:9], s[10:11], exec
	s_or_b64 s[6:7], s[6:7], s[8:9]
	s_andn2_b64 exec, exec, s[0:1]
	s_cbranch_execz .LBB29_3499
.LBB29_3496:                            ; =>This Inner Loop Header: Depth=1
	s_cmpk_lt_i32 s18, 0x270f
	s_cselect_b64 s[12:13], -1, 0
	s_and_b64 vcc, exec, s[12:13]
	s_cbranch_vccnz .LBB29_3498
; %bb.3497:                             ;   in Loop: Header=BB29_3496 Depth=1
	s_trap 2
	ds_read_b64 v[2:3], v0
	s_andn2_b64 s[8:9], s[12:13], exec
	s_mov_b32 s18, 0
	s_waitcnt lgkmcnt(0)
	flat_load_dword v2, v[2:3] sc0 sc1
	s_waitcnt vmcnt(0) lgkmcnt(0)
	buffer_inv sc0 sc1
	v_cmp_eq_u32_e32 vcc, 0, v2
	s_and_b64 s[12:13], vcc, exec
	s_or_b64 s[12:13], s[8:9], s[12:13]
	s_mov_b64 s[14:15], -1
	s_or_b64 s[10:11], s[10:11], exec
	s_and_saveexec_b64 s[16:17], s[12:13]
	s_cbranch_execz .LBB29_3495
	s_branch .LBB29_3494
.LBB29_3498:                            ;   in Loop: Header=BB29_3496 Depth=1
	s_add_i32 s18, s18, 1
                                        ; implicit-def: $vgpr2
	s_mov_b64 s[14:15], -1
	s_or_b64 s[10:11], s[10:11], exec
	s_and_saveexec_b64 s[16:17], s[12:13]
	s_cbranch_execz .LBB29_3495
	s_branch .LBB29_3494
.LBB29_3499:
	s_or_b64 exec, exec, s[0:1]
	s_and_saveexec_b64 s[0:1], s[6:7]
	s_xor_b64 s[0:1], exec, s[0:1]
	s_cbranch_execz .LBB29_3501
; %bb.3500:
	ds_write_b32 v0, v2
	s_trap 2
.LBB29_3501:
	s_or_b64 exec, exec, s[4:5]
	v_and_b32_e32 v0, 0x2000, v110
	v_cmp_ne_u32_e32 vcc, 0, v0
	s_and_saveexec_b64 s[0:1], vcc
	s_cbranch_execz .LBB29_3503
; %bb.3502:
	scratch_load_dwordx2 v[2:3], off, s33 offset:456 ; 8-byte Folded Reload
	ds_read_b64 v[0:1], v0 offset:872
	s_waitcnt vmcnt(0) lgkmcnt(0)
	flat_store_dwordx2 v[2:3], v[0:1] offset:16
.LBB29_3503:
	s_or_b64 exec, exec, s[0:1]
	s_waitcnt vmcnt(0)
	v_cmp_ne_u32_e32 vcc, 64, v18
	s_and_b64 exec, exec, vcc
	s_cbranch_execz .LBB29_3521
; %bb.3504:
	v_cmp_ne_u32_sdwa s[0:1], v18, v19 src0_sel:DWORD src1_sel:WORD_0
	s_and_saveexec_b64 s[4:5], s[0:1]
	s_xor_b64 s[0:1], exec, s[4:5]
	s_cbranch_execz .LBB29_3519
; %bb.3505:
	v_and_b32_e32 v0, 63, v31
	v_cmp_eq_u32_e32 vcc, 0, v0
	s_and_saveexec_b64 s[4:5], vcc
	s_cbranch_execz .LBB29_3518
; %bb.3506:
	s_mov_b64 s[10:11], exec
	v_mbcnt_lo_u32_b32 v0, s10, 0
	v_mbcnt_hi_u32_b32 v0, s11, v0
	v_cmp_eq_u32_e32 vcc, 0, v0
	s_waitcnt lgkmcnt(0)
	s_and_saveexec_b64 s[6:7], vcc
	s_cbranch_execz .LBB29_3508
; %bb.3507:
	s_bcnt1_i32_b64 s8, s[10:11]
	v_mov_b32_e32 v0, s8
	v_mov_b32_e32 v1, 0
	ds_add_u64 v0, v[0:1]
	s_trap 2
.LBB29_3508:
	s_or_b64 exec, exec, s[6:7]
	s_trap 2
	ds_read_b64 v[2:3], v0
	s_waitcnt lgkmcnt(0)
	v_lshrrev_b32_e32 v0, 6, v18
	v_mov_b32_e32 v1, 0
	v_lshl_add_u64 v[0:1], v[46:47], 0, v[0:1]
	v_cmp_lt_u64_e32 vcc, v[2:3], v[0:1]
	s_and_saveexec_b64 s[6:7], vcc
	s_cbranch_execz .LBB29_3517
; %bb.3509:
	s_mov_b32 s22, 0
	s_mov_b64 s[10:11], 0
                                        ; implicit-def: $sgpr12_sgpr13
                                        ; implicit-def: $sgpr14_sgpr15
	s_branch .LBB29_3511
.LBB29_3510:                            ;   in Loop: Header=BB29_3511 Depth=1
	s_or_b64 exec, exec, s[18:19]
	s_and_b64 s[8:9], exec, s[20:21]
	s_or_b64 s[10:11], s[8:9], s[10:11]
	s_andn2_b64 s[8:9], s[12:13], exec
	s_and_b64 s[12:13], s[14:15], exec
	s_or_b64 s[12:13], s[8:9], s[12:13]
	s_andn2_b64 exec, exec, s[10:11]
	s_cbranch_execz .LBB29_3515
.LBB29_3511:                            ; =>This Inner Loop Header: Depth=1
	s_add_i32 s22, s22, 1
	s_cmpk_lg_i32 s22, 0x2710
	s_cselect_b64 s[16:17], -1, 0
	s_and_b64 vcc, exec, s[16:17]
	s_cbranch_vccz .LBB29_3513
; %bb.3512:                             ;   in Loop: Header=BB29_3511 Depth=1
	s_mov_b64 s[20:21], -1
	s_or_b64 s[14:15], s[14:15], exec
	s_and_saveexec_b64 s[18:19], s[16:17]
	s_cbranch_execz .LBB29_3510
	s_branch .LBB29_3514
.LBB29_3513:                            ;   in Loop: Header=BB29_3511 Depth=1
	s_trap 2
	ds_read_b64 v[2:3], v0
	s_andn2_b64 s[8:9], s[16:17], exec
	s_mov_b32 s22, 0
	s_waitcnt lgkmcnt(0)
	flat_load_dword v2, v[2:3] sc0 sc1
	s_waitcnt vmcnt(0) lgkmcnt(0)
	buffer_inv sc0 sc1
	v_cmp_eq_u32_e32 vcc, 0, v2
	s_and_b64 s[16:17], vcc, exec
	s_or_b64 s[16:17], s[8:9], s[16:17]
	s_mov_b64 s[20:21], -1
	s_or_b64 s[14:15], s[14:15], exec
	s_and_saveexec_b64 s[18:19], s[16:17]
	s_cbranch_execz .LBB29_3510
.LBB29_3514:                            ;   in Loop: Header=BB29_3511 Depth=1
	s_sleep 1
	s_trap 2
	ds_read_b64 v[2:3], v0
	s_waitcnt lgkmcnt(0)
	s_andn2_b64 s[14:15], s[14:15], exec
	v_cmp_ge_u64_e32 vcc, v[2:3], v[0:1]
	s_orn2_b64 s[20:21], vcc, exec
	s_branch .LBB29_3510
.LBB29_3515:
	s_or_b64 exec, exec, s[10:11]
	s_and_saveexec_b64 s[8:9], s[12:13]
	s_xor_b64 s[8:9], exec, s[8:9]
	s_cbranch_execz .LBB29_3517
; %bb.3516:
	v_mov_b32_e32 v0, 1
	ds_write_b32 v0, v0
	s_trap 2
.LBB29_3517:
	s_or_b64 exec, exec, s[6:7]
	;;#ASMSTART
	s_wakeup
	;;#ASMEND
.LBB29_3518:
	s_or_b64 exec, exec, s[4:5]
.LBB29_3519:
	s_andn2_saveexec_b64 s[0:1], s[0:1]
	s_cbranch_execz .LBB29_3521
; %bb.3520:
	s_waitcnt lgkmcnt(0)
	s_barrier
.LBB29_3521:
	s_or_b64 exec, exec, s[2:3]
.LBB29_3522:
	v_readlane_b32 s0, v126, 0
	v_readlane_b32 s1, v126, 1
	s_andn2_saveexec_b64 s[22:23], s[0:1]
	s_cbranch_execz .LBB29_3524
; %bb.3523:
	s_getpc_b64 s[0:1]
	s_add_u32 s0, s0, __PRETTY_FUNCTION__._ZN10PrimitivesI12hip_bfloat1610FuncMinMaxIS0_E12FanSymmetricILi1EELi0E11ProtoSimpleILi1ELi4ELi0ELi4ELi0ELi0EELi0ELb0ELi0ELi1ELi0EEC2EiiPKiS9_PKvPvmhhhP15ncclDevWorkCollP14ncclDevWorkP2pii@rel32@lo+4
	s_addc_u32 s1, s1, __PRETTY_FUNCTION__._ZN10PrimitivesI12hip_bfloat1610FuncMinMaxIS0_E12FanSymmetricILi1EELi0E11ProtoSimpleILi1ELi4ELi0ELi4ELi0ELi0EELi0ELb0ELi0ELi1ELi0EEC2EiiPKiS9_PKvPvmhhhP15ncclDevWorkCollP14ncclDevWorkP2pii@rel32@hi+12
	s_getpc_b64 s[2:3]
	s_add_u32 s2, s2, __assert_fail@rel32@lo+4
	s_addc_u32 s3, s3, __assert_fail@rel32@hi+12
	s_mov_b64 s[8:9], s[24:25]
	v_mov_b32_e32 v0, s0
	v_mov_b32_e32 v1, s1
	s_swappc_b64 s[30:31], s[2:3]
	; divergent unreachable
.LBB29_3524:
	s_or_b64 exec, exec, s[22:23]
	scratch_load_dword v125, off, s33       ; 4-byte Folded Reload
	scratch_load_dword v124, off, s33 offset:4 ; 4-byte Folded Reload
	scratch_load_dword v123, off, s33 offset:8 ; 4-byte Folded Reload
	;; [unrolled: 1-line block ×35, first 2 shown]
	s_waitcnt lgkmcnt(0)
	scratch_load_dword v57, off, s33 offset:144 ; 4-byte Folded Reload
	scratch_load_dword v56, off, s33 offset:148 ; 4-byte Folded Reload
	;; [unrolled: 1-line block ×10, first 2 shown]
	v_readlane_b32 s30, v127, 32
	v_readlane_b32 s31, v127, 33
	;; [unrolled: 1-line block ×34, first 2 shown]
	s_mov_b32 s32, s33
	v_readlane_b32 s0, v127, 34
	s_or_saveexec_b64 s[2:3], -1
	scratch_load_dword v127, off, s33 offset:464 ; 4-byte Folded Reload
	scratch_load_dword v126, off, s33 offset:468 ; 4-byte Folded Reload
	s_mov_b64 exec, s[2:3]
	s_mov_b32 s33, s0
	s_waitcnt vmcnt(0)
	s_setpc_b64 s[30:31]
.Lfunc_end29:
	.size	_ZN12_GLOBAL__N_17runRingI12hip_bfloat1610FuncMinMaxIS1_E11ProtoSimpleILi1ELi4ELi0ELi4ELi0ELi0EELi0ELi0ELi4ELi1EEEviiP15ncclDevWorkColl, .Lfunc_end29-_ZN12_GLOBAL__N_17runRingI12hip_bfloat1610FuncMinMaxIS1_E11ProtoSimpleILi1ELi4ELi0ELi4ELi0ELi0EELi0ELi0ELi4ELi1EEEviiP15ncclDevWorkColl
                                        ; -- End function
	.set .L_ZN12_GLOBAL__N_17runRingI12hip_bfloat1610FuncMinMaxIS1_E11ProtoSimpleILi1ELi4ELi0ELi4ELi0ELi0EELi0ELi0ELi4ELi1EEEviiP15ncclDevWorkColl.num_vgpr, max(128, .L__assert_fail.num_vgpr)
	.set .L_ZN12_GLOBAL__N_17runRingI12hip_bfloat1610FuncMinMaxIS1_E11ProtoSimpleILi1ELi4ELi0ELi4ELi0ELi0EELi0ELi0ELi4ELi1EEEviiP15ncclDevWorkColl.num_agpr, max(0, .L__assert_fail.num_agpr)
	.set .L_ZN12_GLOBAL__N_17runRingI12hip_bfloat1610FuncMinMaxIS1_E11ProtoSimpleILi1ELi4ELi0ELi4ELi0ELi0EELi0ELi0ELi4ELi1EEEviiP15ncclDevWorkColl.numbered_sgpr, max(98, .L__assert_fail.numbered_sgpr)
	.set .L_ZN12_GLOBAL__N_17runRingI12hip_bfloat1610FuncMinMaxIS1_E11ProtoSimpleILi1ELi4ELi0ELi4ELi0ELi0EELi0ELi0ELi4ELi1EEEviiP15ncclDevWorkColl.num_named_barrier, max(0, .L__assert_fail.num_named_barrier)
	.set .L_ZN12_GLOBAL__N_17runRingI12hip_bfloat1610FuncMinMaxIS1_E11ProtoSimpleILi1ELi4ELi0ELi4ELi0ELi0EELi0ELi0ELi4ELi1EEEviiP15ncclDevWorkColl.private_seg_size, 480+max(.L__assert_fail.private_seg_size)
	.set .L_ZN12_GLOBAL__N_17runRingI12hip_bfloat1610FuncMinMaxIS1_E11ProtoSimpleILi1ELi4ELi0ELi4ELi0ELi0EELi0ELi0ELi4ELi1EEEviiP15ncclDevWorkColl.uses_vcc, or(1, .L__assert_fail.uses_vcc)
	.set .L_ZN12_GLOBAL__N_17runRingI12hip_bfloat1610FuncMinMaxIS1_E11ProtoSimpleILi1ELi4ELi0ELi4ELi0ELi0EELi0ELi0ELi4ELi1EEEviiP15ncclDevWorkColl.uses_flat_scratch, or(0, .L__assert_fail.uses_flat_scratch)
	.set .L_ZN12_GLOBAL__N_17runRingI12hip_bfloat1610FuncMinMaxIS1_E11ProtoSimpleILi1ELi4ELi0ELi4ELi0ELi0EELi0ELi0ELi4ELi1EEEviiP15ncclDevWorkColl.has_dyn_sized_stack, or(0, .L__assert_fail.has_dyn_sized_stack)
	.set .L_ZN12_GLOBAL__N_17runRingI12hip_bfloat1610FuncMinMaxIS1_E11ProtoSimpleILi1ELi4ELi0ELi4ELi0ELi0EELi0ELi0ELi4ELi1EEEviiP15ncclDevWorkColl.has_recursion, or(1, .L__assert_fail.has_recursion)
	.set .L_ZN12_GLOBAL__N_17runRingI12hip_bfloat1610FuncMinMaxIS1_E11ProtoSimpleILi1ELi4ELi0ELi4ELi0ELi0EELi0ELi0ELi4ELi1EEEviiP15ncclDevWorkColl.has_indirect_call, or(0, .L__assert_fail.has_indirect_call)
	.section	.AMDGPU.csdata,"",@progbits
; Function info:
; codeLenInByte = 110308
; TotalNumSgprs: 104
; NumVgprs: 128
; NumAgprs: 0
; TotalNumVgprs: 128
; ScratchSize: 544
; MemoryBound: 1
	.text
	.p2align	2                               ; -- Begin function _ZN12_GLOBAL__N_17runRingI12hip_bfloat1610FuncMinMaxIS1_E11ProtoSimpleILi2ELi2ELi0ELi4ELi0ELi0EELi0ELi0ELi4ELi1EEEviiP15ncclDevWorkColl
	.type	_ZN12_GLOBAL__N_17runRingI12hip_bfloat1610FuncMinMaxIS1_E11ProtoSimpleILi2ELi2ELi0ELi4ELi0ELi0EELi0ELi0ELi4ELi1EEEviiP15ncclDevWorkColl,@function
_ZN12_GLOBAL__N_17runRingI12hip_bfloat1610FuncMinMaxIS1_E11ProtoSimpleILi2ELi2ELi0ELi4ELi0ELi0EELi0ELi0ELi4ELi1EEEviiP15ncclDevWorkColl: ; @_ZN12_GLOBAL__N_17runRingI12hip_bfloat1610FuncMinMaxIS1_E11ProtoSimpleILi2ELi2ELi0ELi4ELi0ELi0EELi0ELi0ELi4ELi1EEEviiP15ncclDevWorkColl
; %bb.0:
	s_waitcnt vmcnt(0) expcnt(0) lgkmcnt(0)
	s_mov_b32 s0, s33
	s_mov_b32 s33, s32
	s_or_saveexec_b64 s[2:3], -1
	scratch_store_dword off, v127, s33 offset:480 ; 4-byte Folded Spill
	scratch_store_dword off, v126, s33 offset:484 ; 4-byte Folded Spill
	s_mov_b64 exec, s[2:3]
	v_writelane_b32 v127, s0, 34
	s_addk_i32 s32, 0x1f0
	scratch_store_dword off, v40, s33 offset:180 ; 4-byte Folded Spill
	scratch_store_dword off, v41, s33 offset:176 ; 4-byte Folded Spill
	;; [unrolled: 1-line block ×45, first 2 shown]
	scratch_store_dword off, v125, s33      ; 4-byte Folded Spill
	v_writelane_b32 v127, s34, 0
	v_writelane_b32 v127, s35, 1
	;; [unrolled: 1-line block ×33, first 2 shown]
	s_nop 1
	v_writelane_b32 v127, s31, 33
	s_trap 2
	flat_load_dword v5, v[2:3]
	ds_read_b32 v6, v0
	s_mov_b64 s[24:25], s[8:9]
                                        ; implicit-def: $vgpr18_vgpr19
                                        ; implicit-def: $vgpr8_vgpr9
                                        ; kill: killed $vgpr8_vgpr9
                                        ; implicit-def: $vgpr22_vgpr23
	s_waitcnt lgkmcnt(0)
	v_readfirstlane_b32 s66, v6
	s_waitcnt vmcnt(0)
	v_cmp_ne_u32_sdwa s[0:1], v6, v5 src0_sel:DWORD src1_sel:BYTE_0
	s_and_saveexec_b64 s[2:3], s[0:1]
	s_xor_b64 s[0:1], exec, s[2:3]
	s_cbranch_execz .LBB30_6
; %bb.1:
	v_not_b32_sdwa v4, v5 dst_sel:DWORD dst_unused:UNUSED_PAD src0_sel:BYTE_0
	v_cmp_ne_u32_sdwa s[2:3], v6, v5 src0_sel:DWORD src1_sel:BYTE_1
                                        ; implicit-def: $vgpr18_vgpr19
                                        ; implicit-def: $vgpr8_vgpr9
                                        ; kill: killed $vgpr8_vgpr9
                                        ; implicit-def: $vgpr22_vgpr23
	s_and_saveexec_b64 s[4:5], s[2:3]
	s_xor_b64 s[2:3], exec, s[4:5]
	s_cbranch_execz .LBB30_3
; %bb.2:
	flat_load_dwordx4 v[8:11], v[2:3] offset:72
	flat_load_dwordx2 v[12:13], v[2:3] offset:96
	v_add_u32_e32 v4, v6, v4
	v_ashrrev_i32_e32 v5, 31, v4
	s_waitcnt vmcnt(0) lgkmcnt(0)
	v_mul_lo_u32 v5, v10, v5
	v_mad_u64_u32 v[6:7], s[4:5], v10, v4, v[8:9]
	v_mul_lo_u32 v4, v11, v4
	v_add3_u32 v7, v4, v7, v5
	v_lshrrev_b64 v[18:19], 13, v[12:13]
	scratch_store_dwordx2 off, v[6:7], s33 offset:428 ; 8-byte Folded Spill
	v_mov_b64_e32 v[22:23], v[10:11]
                                        ; implicit-def: $vgpr5
                                        ; implicit-def: $vgpr4
.LBB30_3:
	s_andn2_saveexec_b64 s[2:3], s[2:3]
	s_cbranch_execz .LBB30_5
; %bb.4:
	flat_load_dwordx4 v[6:9], v[2:3] offset:72
	flat_load_dwordx4 v[22:25], v[2:3] offset:88
	v_add_u32_sdwa v5, v5, v4 dst_sel:DWORD dst_unused:UNUSED_PAD src0_sel:BYTE_1 src1_sel:DWORD
	v_ashrrev_i32_e32 v4, 31, v5
	s_waitcnt vmcnt(0) lgkmcnt(0)
	v_mul_lo_u32 v4, v8, v4
	v_mad_u64_u32 v[6:7], s[4:5], v8, v5, v[6:7]
	v_mul_lo_u32 v5, v9, v5
	v_add3_u32 v7, v5, v7, v4
	v_lshrrev_b32_e32 v18, 2, v25
	scratch_store_dwordx2 off, v[6:7], s33 offset:428 ; 8-byte Folded Spill
.LBB30_5:
	s_or_b64 exec, exec, s[2:3]
.LBB30_6:
	s_andn2_saveexec_b64 s[0:1], s[0:1]
	s_cbranch_execz .LBB30_8
; %bb.7:
	flat_load_dwordx2 v[4:5], v[2:3] offset:96
	flat_load_dwordx2 v[22:23], v[2:3] offset:72
	s_waitcnt vmcnt(0) lgkmcnt(0)
	v_lshlrev_b64 v[18:19], 8, v[4:5]
	v_mov_b64_e32 v[4:5], 0
	scratch_store_dwordx2 off, v[4:5], s33 offset:428 ; 8-byte Folded Spill
.LBB30_8:
	s_or_b64 exec, exec, s[0:1]
	s_trap 2
	ds_read_b64 v[4:5], v0
	s_waitcnt lgkmcnt(0)
	v_cmp_ne_u32_e32 vcc, -1, v4
	s_nop 1
	v_cndmask_b32_e64 v19, 0, 1, vcc
	v_cmp_ne_u32_e32 vcc, -1, v5
	s_nop 1
	v_addc_co_u32_e64 v8, s[0:1], 0, v19, vcc
	v_lshlrev_b32_e32 v4, 1, v8
	v_cmp_le_u32_e64 s[0:1], v4, v1
	s_and_saveexec_b64 s[2:3], s[0:1]
	s_xor_b64 s[2:3], exec, s[2:3]
                                        ; implicit-def: $vgpr126 : SGPR spill to VGPR lane
	v_writelane_b32 v126, s2, 0
	s_nop 1
	v_writelane_b32 v126, s3, 1
	s_cbranch_execz .LBB30_3541
; %bb.9:
	flat_load_dwordx4 v[10:13], v[2:3] offset:16
	flat_load_dwordx2 v[4:5], v[2:3] offset:104
	flat_load_ushort v7, v[2:3] offset:8
	flat_load_dword v6, v[2:3] offset:4
	s_trap 2
	s_load_dword s0, s[24:25], 0x0
	v_mov_b32_e32 v9, 0
	v_mov_b32_e32 v110, 4
	s_waitcnt lgkmcnt(0)
	s_cmp_lt_u32 s12, s0
	s_cselect_b32 s0, 12, 18
	s_add_u32 s0, s24, s0
	s_addc_u32 s1, s25, 0
	global_load_ushort v20, v9, s[0:1]
	ds_read_b32 v9, v0
	v_cmp_ge_u32_e64 s[0:1], v0, v19
	s_waitcnt lgkmcnt(0)
	v_readfirstlane_b32 s8, v9
	s_and_saveexec_b64 s[2:3], s[0:1]
	s_cbranch_execz .LBB30_19
; %bb.10:
	v_cmp_ge_u32_e64 s[0:1], v0, v8
                                        ; implicit-def: $vgpr110
	s_and_saveexec_b64 s[4:5], s[0:1]
	s_xor_b64 s[0:1], exec, s[4:5]
	s_cbranch_execz .LBB30_16
; %bb.11:
	v_cndmask_b32_e64 v9, 0, 1, vcc
	v_sub_u32_e32 v9, v1, v9
	v_cmp_ge_u32_e32 vcc, v0, v9
	s_and_saveexec_b64 s[4:5], vcc
	s_xor_b64 s[4:5], exec, s[4:5]
; %bb.12:
                                        ; implicit-def: $vgpr8
; %bb.13:
	s_or_saveexec_b64 s[4:5], s[4:5]
	v_mov_b32_e32 v110, 16
	s_xor_b64 exec, exec, s[4:5]
; %bb.14:
	v_sub_u32_e32 v8, v1, v8
	v_cmp_lt_i32_e32 vcc, v0, v8
	s_nop 1
	v_cndmask_b32_e64 v110, 32, 0, vcc
; %bb.15:
	s_or_b64 exec, exec, s[4:5]
.LBB30_16:
	s_andn2_saveexec_b64 s[0:1], s[0:1]
; %bb.17:
	v_mov_b32_e32 v110, 8
; %bb.18:
	s_or_b64 exec, exec, s[0:1]
.LBB30_19:
	s_or_b64 exec, exec, s[2:3]
	v_and_b32_e32 v8, 36, v110
	v_cmp_ne_u32_e32 vcc, 0, v8
	v_mov_b32_e32 v8, -1
	s_and_saveexec_b64 s[0:1], vcc
	s_cbranch_execz .LBB30_21
; %bb.20:
	s_trap 2
	ds_read_b32 v8, v0
.LBB30_21:
	s_or_b64 exec, exec, s[0:1]
	v_and_b32_e32 v9, 24, v110
	v_cmp_ne_u32_e64 s[0:1], 0, v9
	s_and_saveexec_b64 s[2:3], s[0:1]
	s_cbranch_execz .LBB30_23
; %bb.22:
	s_trap 2
	s_waitcnt lgkmcnt(0)
	ds_read_b32 v8, v0
.LBB30_23:
	s_or_b64 exec, exec, s[2:3]
	v_mov_b64_e32 v[14:15], 0
	scratch_store_dwordx2 off, v[14:15], s33 offset:452 ; 8-byte Folded Spill
                                        ; implicit-def: $vgpr14_vgpr15
	s_waitcnt vmcnt(0)
	v_lshrrev_b64 v[6:7], 31, v[6:7]
                                        ; kill: killed $vgpr14_vgpr15
                                        ; implicit-def: $vgpr14
	v_and_b32_e32 v6, 3, v6
	s_waitcnt lgkmcnt(0)
	v_ashrrev_i32_e32 v9, 31, v8
	scratch_store_dwordx2 off, v[14:15], s33 offset:316 ; 8-byte Folded Spill
	v_mov_b64_e32 v[14:15], 0
                                        ; implicit-def: $vgpr124_vgpr125
	scratch_store_dwordx4 off, v[14:17], s33 offset:288 ; 16-byte Folded Spill
                                        ; implicit-def: $vgpr14_vgpr15
                                        ; kill: killed $vgpr14_vgpr15
                                        ; implicit-def: $vgpr56_vgpr57
                                        ; implicit-def: $vgpr40_vgpr41
	s_and_saveexec_b64 s[0:1], vcc
	s_cbranch_execz .LBB30_33
; %bb.24:
	s_trap 2
	ds_read_b64 v[14:15], v0
	v_and_b32_e32 v7, 0xffff, v6
	s_movk_i32 s2, 0xa8
                                        ; implicit-def: $vgpr16_vgpr17
                                        ; kill: killed $vgpr16_vgpr17
	s_waitcnt lgkmcnt(0)
	v_lshl_add_u64 v[14:15], v[8:9], 3, v[14:15]
	flat_load_dwordx2 v[14:15], v[14:15]
	s_waitcnt vmcnt(0) lgkmcnt(0)
	v_mad_u64_u32 v[14:15], s[2:3], v7, s2, v[14:15]
	flat_load_dword v7, v[14:15] offset:640
	s_waitcnt vmcnt(0) lgkmcnt(0)
	v_cmp_eq_u32_e32 vcc, 1, v7
	s_and_saveexec_b64 s[2:3], vcc
	s_cbranch_execz .LBB30_26
; %bb.25:
	flat_load_dwordx2 v[24:25], v[14:15] offset:648
	v_or_b32_e32 v110, 0x2000, v110
	s_waitcnt vmcnt(0) lgkmcnt(0)
	flat_load_dwordx2 v[16:17], v[24:25]
	s_trap 2
	scratch_store_dwordx2 off, v[24:25], s33 offset:472 ; 8-byte Folded Spill
	s_waitcnt vmcnt(0) lgkmcnt(0)
	ds_write_b64 v0, v[16:17]
	flat_load_dwordx2 v[16:17], v[24:25] offset:8
	s_waitcnt vmcnt(0) lgkmcnt(0)
	ds_write_b64 v0, v[16:17]
	flat_load_dwordx2 v[16:17], v[24:25] offset:16
	s_waitcnt vmcnt(0) lgkmcnt(0)
	ds_write_b64 v0, v[16:17]
.LBB30_26:
	s_or_b64 exec, exec, s[2:3]
	flat_load_dwordx2 v[16:17], v[14:15] offset:608
	v_and_b32_e32 v7, 32, v110
	v_cmp_ne_u32_e32 vcc, 0, v7
                                        ; implicit-def: $vgpr40_vgpr41
	s_waitcnt vmcnt(0) lgkmcnt(0)
	v_lshl_add_u64 v[124:125], v[16:17], 0, 3
	v_and_b32_e32 v124, -4, v124
	s_and_saveexec_b64 s[2:3], vcc
	s_cbranch_execz .LBB30_28
; %bb.27:
	flat_load_dwordx2 v[40:41], v[14:15] offset:560
	s_waitcnt vmcnt(0) lgkmcnt(0)
	flat_store_dwordx2 v[40:41], v[124:125] sc0 sc1
.LBB30_28:
	s_or_b64 exec, exec, s[2:3]
	s_mov_b64 s[2:3], 0x1f8
	v_lshl_add_u64 v[16:17], v[14:15], 0, s[2:3]
	scratch_store_dwordx2 off, v[16:17], s33 offset:452 ; 8-byte Folded Spill
	v_and_b32_e32 v7, 4, v110
	v_mov_b64_e32 v[16:17], 0
	v_cmp_ne_u32_e32 vcc, 0, v7
	scratch_store_dwordx4 off, v[16:19], s33 offset:288 ; 16-byte Folded Spill
                                        ; implicit-def: $vgpr16
	scratch_store_dwordx2 off, v[16:17], s33 offset:316 ; 8-byte Folded Spill
                                        ; implicit-def: $vgpr16_vgpr17
                                        ; kill: killed $vgpr16_vgpr17
                                        ; implicit-def: $vgpr56_vgpr57
	s_and_saveexec_b64 s[2:3], vcc
	s_cbranch_execz .LBB30_32
; %bb.29:
	v_and_b32_e32 v7, 0x800, v110
	v_cmp_eq_u32_e32 vcc, 0, v7
	s_and_saveexec_b64 s[4:5], vcc
	s_cbranch_execz .LBB30_31
; %bb.30:
	s_trap 2
	scratch_load_dwordx2 v[16:17], off, s33 offset:452 ; 8-byte Folded Reload
	s_waitcnt vmcnt(0)
	ds_write_b64 v0, v[16:17]
.LBB30_31:
	s_or_b64 exec, exec, s[4:5]
	flat_load_dwordx2 v[40:41], v[14:15] offset:552
                                        ; kill: killed $vgpr14_vgpr15
	s_waitcnt vmcnt(0) lgkmcnt(0)
	flat_load_dwordx2 v[56:57], v[40:41] sc0 sc1
	flat_load_dword v7, v[14:15] offset:576
	flat_load_dwordx2 v[24:25], v[14:15] offset:600
	flat_load_dwordx2 v[16:17], v[14:15] offset:520
	v_or_b32_e32 v14, 0x100, v110
	s_waitcnt vmcnt(0) lgkmcnt(0)
	v_cmp_eq_u64_e32 vcc, 0, v[24:25]
	scratch_store_dwordx2 off, v[16:17], s33 offset:280 ; 8-byte Folded Spill
	v_ashrrev_i32_e32 v16, 1, v7
	scratch_store_dwordx2 off, v[16:17], s33 offset:316 ; 8-byte Folded Spill
	v_mov_b64_e32 v[16:17], v[24:25]
	v_cndmask_b32_e32 v110, v14, v110, vcc
	scratch_store_dwordx4 off, v[16:19], s33 offset:288 ; 16-byte Folded Spill
.LBB30_32:
	s_or_b64 exec, exec, s[2:3]
.LBB30_33:
	s_or_b64 exec, exec, s[0:1]
	v_and_b32_e32 v7, 24, v110
	v_cmp_ne_u32_e32 vcc, 0, v7
                                        ; implicit-def: $vgpr14_vgpr15
                                        ; kill: killed $vgpr14_vgpr15
	s_and_saveexec_b64 s[0:1], vcc
	s_cbranch_execz .LBB30_41
; %bb.34:
	s_trap 2
	ds_read_b64 v[14:15], v0
	v_and_b32_e32 v6, 0xffff, v6
	s_movk_i32 s2, 0xa8
	s_waitcnt lgkmcnt(0)
	v_lshl_add_u64 v[8:9], v[8:9], 3, v[14:15]
	flat_load_dwordx2 v[8:9], v[8:9]
	s_waitcnt vmcnt(0) lgkmcnt(0)
	v_mad_u64_u32 v[6:7], s[2:3], v6, s2, v[8:9]
	flat_load_dwordx4 v[14:17], v[6:7] offset:96
	s_waitcnt vmcnt(0) lgkmcnt(0)
	v_cmp_eq_u64_e32 vcc, 0, v[14:15]
	scratch_store_dwordx2 off, v[6:7], s33 offset:452 ; 8-byte Folded Spill
	v_or_b32_e32 v6, 0x100, v110
	v_cndmask_b32_e32 v110, v6, v110, vcc
	v_and_b32_e32 v6, 16, v110
	v_cmp_ne_u32_e32 vcc, 0, v6
	scratch_store_dwordx4 off, v[14:17], s33 offset:288 ; 16-byte Folded Spill
                                        ; implicit-def: $vgpr6_vgpr7
                                        ; kill: killed $vgpr6_vgpr7
	s_and_saveexec_b64 s[2:3], vcc
	s_cbranch_execz .LBB30_36
; %bb.35:
	scratch_load_dwordx2 v[6:7], off, s33 offset:452 ; 8-byte Folded Reload
	s_waitcnt vmcnt(0)
	flat_load_dwordx2 v[40:41], v[6:7] offset:48
	flat_load_dwordx2 v[8:9], v[6:7] offset:120
	s_nop 0
	flat_load_dwordx2 v[6:7], v[6:7] offset:16
	s_waitcnt vmcnt(0) lgkmcnt(0)
	scratch_store_dwordx2 off, v[8:9], s33 offset:304 ; 8-byte Folded Spill
	scratch_store_dwordx2 off, v[6:7], s33 offset:280 ; 8-byte Folded Spill
.LBB30_36:
	s_or_b64 exec, exec, s[2:3]
	scratch_load_dwordx4 v[6:9], off, s33 offset:288 ; 16-byte Folded Reload
	s_waitcnt vmcnt(0)
	v_and_b32_e32 v6, 8, v110
	v_cmp_ne_u32_e32 vcc, 0, v6
	v_lshl_add_u64 v[124:125], v[8:9], 0, 3
	v_and_b32_e32 v124, -4, v124
	s_and_saveexec_b64 s[2:3], vcc
	s_cbranch_execz .LBB30_40
; %bb.37:
	v_and_b32_e32 v6, 0x800, v110
	v_cmp_eq_u32_e32 vcc, 0, v6
	s_and_saveexec_b64 s[4:5], vcc
	s_cbranch_execz .LBB30_39
; %bb.38:
	s_trap 2
	scratch_load_dwordx2 v[6:7], off, s33 offset:452 ; 8-byte Folded Reload
	s_waitcnt vmcnt(0)
	ds_write_b64 v0, v[6:7]
.LBB30_39:
	s_or_b64 exec, exec, s[4:5]
	scratch_load_dwordx2 v[8:9], off, s33 offset:452 ; 8-byte Folded Reload
	s_waitcnt vmcnt(0)
	flat_load_dwordx2 v[40:41], v[8:9] offset:56
	s_waitcnt vmcnt(0) lgkmcnt(0)
	flat_load_dwordx2 v[56:57], v[40:41] sc0 sc1
	flat_load_dword v6, v[8:9] offset:72
	s_nop 0
	flat_load_dwordx2 v[8:9], v[8:9] offset:16
	s_waitcnt vmcnt(0) lgkmcnt(0)
	v_ashrrev_i32_e32 v6, 1, v6
	scratch_store_dwordx2 off, v[8:9], s33 offset:280 ; 8-byte Folded Spill
	scratch_store_dwordx2 off, v[6:7], s33 offset:316 ; 8-byte Folded Spill
.LBB30_40:
	s_or_b64 exec, exec, s[2:3]
.LBB30_41:
	s_or_b64 exec, exec, s[0:1]
	v_cmp_eq_u32_e64 s[0:1], 0, v0
	s_and_saveexec_b64 s[2:3], s[0:1]
	s_cbranch_execz .LBB30_43
; %bb.42:
	flat_load_dwordx2 v[6:7], v[2:3] offset:32
	v_mov_b32_e32 v8, v12
	v_mov_b32_e32 v9, v13
	ds_write2_b64 v0, v[8:9], v[10:11] offset1:1
	s_trap 2
	s_waitcnt vmcnt(0) lgkmcnt(0)
	ds_write_b64 v0, v[6:7]
	ds_write_b64 v0, v[4:5]
.LBB30_43:
	s_or_b64 exec, exec, s[2:3]
	v_mov_b64_e32 v[46:47], 0
	v_cmp_lt_i64_e32 vcc, 0, v[22:23]
	s_mov_b64 s[2:3], exec
	v_writelane_b32 v126, s2, 2
	s_nop 1
	v_writelane_b32 v126, s3, 3
	s_and_b64 s[2:3], s[2:3], vcc
	s_mov_b64 exec, s[2:3]
	s_cbranch_execz .LBB30_3507
; %bb.44:
	scratch_load_dwordx2 v[6:7], off, s33 offset:316 ; 8-byte Folded Reload
	flat_load_dword v4, v[2:3] offset:4
	v_mov_b32_e32 v5, v0
	v_cmp_ge_u32_e32 vcc, v5, v1
	v_mov_b32_e32 v8, v5
	scratch_store_dword off, v31, s33 offset:464 ; 4-byte Folded Spill
	v_cmp_eq_u32_e64 s[2:3], 64, v1
	v_cmp_ne_u32_e64 s[4:5], 64, v1
	v_cmp_ne_u32_sdwa s[44:45], v1, v20 src0_sel:DWORD src1_sel:WORD_0
	v_lshrrev_b32_e32 v60, 6, v1
	v_lshrrev_b32_e32 v10, 6, v8
	s_ashr_i32 s9, s8, 31
	s_lshr_b32 s9, s9, 29
	s_add_i32 s8, s8, s9
	s_ashr_i32 s67, s66, 31
	s_ashr_i32 s9, s8, 4
	v_writelane_b32 v126, s24, 4
	s_add_u32 s20, s66, -1
	v_and_b32_e32 v2, 0x1fffff00, v18
	v_writelane_b32 v126, s25, 5
	s_addc_u32 s21, s67, -1
	v_and_b32_e32 v0, 63, v31
	v_mad_i64_i32 v[12:13], s[12:13], v2, s66, 0
	v_writelane_b32 v126, s20, 6
	v_mov_b32_e32 v3, 0
	v_cmp_eq_u32_e64 s[12:13], 0, v0
	v_writelane_b32 v126, s21, 7
	s_add_i32 s68, s66, s66
	s_not_b32 s20, s66
	s_mov_b64 s[46:47], 0x2000
	s_cmp_gt_i32 s66, 0
	s_mov_b64 s[56:57], 0x400
	s_cselect_b32 s20, s20, -1
	s_ashr_i32 s8, s8, 31
	s_mov_b64 s[60:61], 0x80
	s_lshr_b32 s8, s8, 28
	s_add_i32 s69, s20, s68
	s_add_i32 s9, s9, s8
	s_ashr_i32 s70, s69, 31
	s_ashr_i32 s71, s9, 4
	s_cmp_gt_i32 s66, 2
	s_cselect_b64 s[76:77], -1, 0
	s_add_i32 s80, s33, 0xf0
	s_add_i32 s81, s33, 0xd0
	;; [unrolled: 1-line block ×7, first 2 shown]
	s_waitcnt vmcnt(0)
	v_mov_b32_e32 v7, 0xfffff000
	v_lshl_add_u32 v88, v60, 12, v7
	s_mov_b64 s[58:59], 0x800
	s_mov_b64 s[72:73], 0x1000
	v_ashrrev_i32_e32 v89, 31, v88
	s_mov_b64 s[62:63], 0
	v_mov_b32_e32 v61, v3
	v_lshl_add_u64 v[106:107], v[88:89], 0, s[72:73]
	v_mov_b64_e32 v[46:47], 0
	s_movk_i32 s97, 0x1000
	s_movk_i32 s42, 0x108
	s_mov_b32 s43, 0x7f800000
	s_movk_i32 s40, 0x7fff
	s_mov_b32 s41, 0xffff0000
	v_ashrrev_i32_e32 v5, 31, v6
	s_waitcnt lgkmcnt(0)
	scratch_store_dwordx2 off, v[4:5], s33 offset:324 ; 8-byte Folded Spill
	s_trap 2
	scratch_store_dword off, v1, s33 offset:460 ; 4-byte Folded Spill
	v_and_b32_e32 v1, 63, v8
	scratch_store_dword off, v8, s33 offset:312 ; 4-byte Folded Spill
	scratch_load_dwordx2 v[8:9], off, s33 offset:304 ; 8-byte Folded Reload
	v_mov_b32_e32 v5, 0xffffe000
	v_mov_b32_e32 v6, 0xfffff800
	v_lshlrev_b32_e32 v0, 4, v1
	v_lshl_add_u32 v14, v60, 13, v5
	v_lshlrev_b32_e32 v5, 10, v60
	v_cmp_eq_u32_e64 s[14:15], 0, v1
	v_cmp_lt_u32_e64 s[16:17], v1, v19
	v_lshl_add_u32 v76, v60, 11, v6
	v_lshlrev_b32_e32 v6, 7, v60
	v_cmp_le_u32_e64 s[18:19], v1, v19
	v_mov_b32_e32 v1, v3
	v_ashrrev_i32_e32 v15, 31, v14
	v_add_u32_e32 v90, 0xfffffc00, v5
	v_add_u32_e32 v92, 0xffffff80, v6
	v_ashrrev_i32_e32 v91, 31, v90
	v_ashrrev_i32_e32 v93, 31, v92
	;; [unrolled: 1-line block ×3, first 2 shown]
	v_mov_b32_e32 v111, v5
	v_mov_b32_e32 v31, v6
	scratch_store_dwordx2 off, v[14:15], s33 offset:332 ; 8-byte Folded Spill
	v_lshl_add_u64 v[104:105], v[76:77], 0, s[58:59]
	scratch_store_dword off, v20, s33 offset:468 ; 4-byte Folded Spill
	s_waitcnt vmcnt(2)
	v_cmp_eq_u64_e64 s[6:7], 0, v[8:9]
	v_cmp_ne_u64_e64 s[10:11], 0, v[8:9]
	v_lshl_or_b32 v8, v10, 13, v0
	v_lshl_or_b32 v0, v10, 12, v0
	scratch_store_dwordx2 off, v[0:1], s33 offset:356 ; 8-byte Folded Spill
	v_lshl_add_u64 v[0:1], v[14:15], 0, s[46:47]
	scratch_store_dwordx2 off, v[0:1], s33 offset:272 ; 8-byte Folded Spill
	v_lshl_add_u64 v[0:1], v[90:91], 0, s[56:57]
	;; [unrolled: 2-line block ×3, first 2 shown]
	scratch_store_dwordx2 off, v[0:1], s33 offset:256 ; 8-byte Folded Spill
	v_and_b32_e32 v0, 1, v4
	v_cmp_eq_u32_e64 s[20:21], 1, v0
	s_xor_b64 s[78:79], s[20:21], -1
	s_cmp_ge_i32 s8, s66
	s_cselect_b32 s9, s66, 0
	s_sub_i32 s86, s8, s9
	v_mov_b32_e32 v9, v3
	s_ashr_i32 s87, s86, 31
	s_add_i32 s96, s66, -2
	v_mov_b64_e32 v[14:15], 0
	s_xor_b64 s[88:89], vcc, -1
	v_mov_b32_e32 v0, v3
	v_mov_b32_e32 v1, v3
	scratch_store_dwordx2 off, v[8:9], s33 offset:372 ; 8-byte Folded Spill
	scratch_store_dwordx2 off, v[0:1], s33 offset:348 ; 8-byte Folded Spill
	;; [unrolled: 1-line block ×3, first 2 shown]
	scratch_store_dwordx4 off, v[22:25], s33 offset:436 ; 16-byte Folded Spill
	scratch_store_dwordx2 off, v[12:13], s33 offset:404 ; 8-byte Folded Spill
	s_branch .LBB30_47
.LBB30_45:                              ;   in Loop: Header=BB30_47 Depth=1
	s_or_b64 exec, exec, s[26:27]
.LBB30_46:                              ;   in Loop: Header=BB30_47 Depth=1
	s_or_b64 exec, exec, s[24:25]
	s_waitcnt vmcnt(0)
	v_lshl_add_u64 v[14:15], v[14:15], 0, v[12:13]
	v_cmp_ge_i64_e32 vcc, v[14:15], v[22:23]
	s_or_b64 s[62:63], vcc, s[62:63]
	s_andn2_b64 exec, exec, s[62:63]
	s_cbranch_execz .LBB30_3506
.LBB30_47:                              ; =>This Loop Header: Depth=1
                                        ;     Child Loop BB30_57 Depth 2
                                        ;       Child Loop BB30_65 Depth 3
                                        ;       Child Loop BB30_89 Depth 3
	;; [unrolled: 1-line block ×9, first 2 shown]
                                        ;     Child Loop BB30_228 Depth 2
                                        ;       Child Loop BB30_234 Depth 3
                                        ;       Child Loop BB30_258 Depth 3
                                        ;       Child Loop BB30_282 Depth 3
                                        ;     Child Loop BB30_300 Depth 2
                                        ;       Child Loop BB30_303 Depth 3
                                        ;         Child Loop BB30_311 Depth 4
                                        ;         Child Loop BB30_339 Depth 4
	;; [unrolled: 1-line block ×5, first 2 shown]
                                        ;           Child Loop BB30_784 Depth 5
                                        ;           Child Loop BB30_821 Depth 5
                                        ;         Child Loop BB30_898 Depth 4
                                        ;         Child Loop BB30_1101 Depth 4
                                        ;           Child Loop BB30_1102 Depth 5
                                        ;           Child Loop BB30_1111 Depth 5
                                        ;         Child Loop BB30_1130 Depth 4
                                        ;         Child Loop BB30_1149 Depth 4
                                        ;       Child Loop BB30_1168 Depth 3
                                        ;         Child Loop BB30_1174 Depth 4
                                        ;         Child Loop BB30_1202 Depth 4
                                        ;         Child Loop BB30_1221 Depth 4
                                        ;     Child Loop BB30_1243 Depth 2
                                        ;       Child Loop BB30_1251 Depth 3
                                        ;       Child Loop BB30_1279 Depth 3
	;; [unrolled: 1-line block ×5, first 2 shown]
                                        ;         Child Loop BB30_1722 Depth 4
                                        ;         Child Loop BB30_1757 Depth 4
	;; [unrolled: 1-line block ×4, first 2 shown]
                                        ;       Child Loop BB30_1833 Depth 3
                                        ;       Child Loop BB30_1841 Depth 3
	;; [unrolled: 1-line block ×3, first 2 shown]
                                        ;         Child Loop BB30_2047 Depth 4
                                        ;         Child Loop BB30_2054 Depth 4
	;; [unrolled: 1-line block ×4, first 2 shown]
                                        ;       Child Loop BB30_2073 Depth 3
                                        ;       Child Loop BB30_2085 Depth 3
	;; [unrolled: 1-line block ×3, first 2 shown]
                                        ;         Child Loop BB30_2484 Depth 4
                                        ;         Child Loop BB30_2521 Depth 4
                                        ;       Child Loop BB30_2598 Depth 3
                                        ;       Child Loop BB30_2801 Depth 3
                                        ;         Child Loop BB30_2802 Depth 4
                                        ;         Child Loop BB30_2811 Depth 4
                                        ;       Child Loop BB30_2830 Depth 3
                                        ;       Child Loop BB30_2853 Depth 3
                                        ;     Child Loop BB30_2872 Depth 2
                                        ;       Child Loop BB30_2878 Depth 3
                                        ;       Child Loop BB30_2906 Depth 3
	;; [unrolled: 1-line block ×3, first 2 shown]
                                        ;     Child Loop BB30_2947 Depth 2
                                        ;       Child Loop BB30_2950 Depth 3
                                        ;         Child Loop BB30_2958 Depth 4
                                        ;         Child Loop BB30_2986 Depth 4
	;; [unrolled: 1-line block ×5, first 2 shown]
                                        ;           Child Loop BB30_3048 Depth 5
                                        ;           Child Loop BB30_3053 Depth 5
                                        ;         Child Loop BB30_3059 Depth 4
                                        ;         Child Loop BB30_3067 Depth 4
	;; [unrolled: 1-line block ×3, first 2 shown]
                                        ;           Child Loop BB30_3079 Depth 5
                                        ;           Child Loop BB30_3084 Depth 5
                                        ;         Child Loop BB30_3088 Depth 4
                                        ;         Child Loop BB30_3100 Depth 4
	;; [unrolled: 1-line block ×7, first 2 shown]
                                        ;       Child Loop BB30_3193 Depth 3
                                        ;         Child Loop BB30_3199 Depth 4
                                        ;         Child Loop BB30_3227 Depth 4
	;; [unrolled: 1-line block ×3, first 2 shown]
                                        ;     Child Loop BB30_3271 Depth 2
                                        ;       Child Loop BB30_3279 Depth 3
                                        ;       Child Loop BB30_3303 Depth 3
	;; [unrolled: 1-line block ×9, first 2 shown]
                                        ;     Child Loop BB30_3440 Depth 2
                                        ;       Child Loop BB30_3446 Depth 3
                                        ;       Child Loop BB30_3470 Depth 3
	;; [unrolled: 1-line block ×3, first 2 shown]
	v_sub_co_u32_e32 v0, vcc, v22, v14
	s_nop 1
	v_subb_co_u32_e32 v1, vcc, v23, v15, vcc
	v_cmp_lt_i64_e32 vcc, v[0:1], v[12:13]
	scratch_store_dwordx2 off, v[0:1], s33 offset:380 ; 8-byte Folded Spill
	s_and_saveexec_b64 s[24:25], vcc
	s_cbranch_execz .LBB30_53
; %bb.48:                               ;   in Loop: Header=BB30_47 Depth=1
	scratch_load_dwordx2 v[0:1], off, s33 offset:380 ; 8-byte Folded Reload
	v_readlane_b32 s8, v126, 6
	v_readlane_b32 s9, v126, 7
	v_mov_b32_e32 v4, v3
	s_waitcnt vmcnt(0)
	v_lshl_add_u64 v[0:1], s[8:9], 0, v[0:1]
	v_or_b32_e32 v5, s67, v1
	v_cmp_ne_u64_e32 vcc, 0, v[4:5]
                                        ; implicit-def: $vgpr4_vgpr5
	s_and_saveexec_b64 s[8:9], vcc
	s_xor_b64 s[26:27], exec, s[8:9]
	s_cbranch_execz .LBB30_50
; %bb.49:                               ;   in Loop: Header=BB30_47 Depth=1
	s_ashr_i32 s28, s67, 31
	s_add_u32 s8, s66, s28
	s_mov_b32 s29, s28
	s_addc_u32 s9, s67, s28
	s_xor_b64 s[90:91], s[8:9], s[28:29]
	v_cvt_f32_u32_e32 v2, s90
	v_cvt_f32_u32_e32 v4, s91
	s_sub_u32 s22, 0, s90
	s_subb_u32 s23, 0, s91
	v_fmac_f32_e32 v2, 0x4f800000, v4
	v_rcp_f32_e32 v2, v2
	s_nop 0
	v_mul_f32_e32 v2, 0x5f7ffffc, v2
	v_mul_f32_e32 v4, 0x2f800000, v2
	v_trunc_f32_e32 v4, v4
	v_fmac_f32_e32 v2, 0xcf800000, v4
	v_cvt_u32_f32_e32 v4, v4
	v_cvt_u32_f32_e32 v2, v2
	v_readfirstlane_b32 s29, v4
	v_readfirstlane_b32 s8, v2
	s_mul_i32 s9, s22, s29
	s_mul_hi_u32 s75, s22, s8
	s_mul_i32 s74, s23, s8
	s_add_i32 s9, s75, s9
	s_add_i32 s9, s9, s74
	s_mul_i32 s92, s22, s8
	s_mul_i32 s75, s8, s9
	s_mul_hi_u32 s93, s8, s92
	s_mul_hi_u32 s74, s8, s9
	s_add_u32 s75, s93, s75
	s_addc_u32 s74, 0, s74
	s_mul_hi_u32 s94, s29, s92
	s_mul_i32 s92, s29, s92
	s_add_u32 s75, s75, s92
	s_mul_hi_u32 s93, s29, s9
	s_addc_u32 s74, s74, s94
	s_addc_u32 s75, s93, 0
	s_mul_i32 s9, s29, s9
	s_add_u32 s9, s74, s9
	s_addc_u32 s74, 0, s75
	s_add_u32 s75, s8, s9
	s_cselect_b64 s[8:9], -1, 0
	s_cmp_lg_u64 s[8:9], 0
	s_addc_u32 s29, s29, s74
	s_mul_i32 s8, s22, s29
	s_mul_hi_u32 s9, s22, s75
	s_add_i32 s8, s9, s8
	s_mul_i32 s23, s23, s75
	s_add_i32 s8, s8, s23
	s_mul_i32 s22, s22, s75
	s_mul_hi_u32 s23, s29, s22
	s_mul_i32 s74, s29, s22
	s_mul_i32 s93, s75, s8
	s_mul_hi_u32 s22, s75, s22
	s_mul_hi_u32 s92, s75, s8
	s_add_u32 s22, s22, s93
	s_addc_u32 s92, 0, s92
	s_add_u32 s22, s22, s74
	s_mul_hi_u32 s9, s29, s8
	s_addc_u32 s22, s92, s23
	s_addc_u32 s9, s9, 0
	s_mul_i32 s8, s29, s8
	s_add_u32 s8, s22, s8
	s_addc_u32 s22, 0, s9
	s_add_u32 s23, s75, s8
	v_ashrrev_i32_e32 v4, 31, v1
	s_cselect_b64 s[8:9], -1, 0
	v_mov_b32_e32 v5, v4
	s_cmp_lg_u64 s[8:9], 0
	v_lshl_add_u64 v[0:1], v[0:1], 0, v[4:5]
	s_addc_u32 s22, s29, s22
	v_xor_b32_e32 v10, v0, v4
	v_xor_b32_e32 v5, v1, v4
	v_mad_u64_u32 v[0:1], s[8:9], v10, s22, 0
	v_mul_hi_u32 v2, v10, s23
	v_lshl_add_u64 v[0:1], v[2:3], 0, v[0:1]
	v_mad_u64_u32 v[8:9], s[8:9], v5, s23, 0
	v_add_co_u32_e32 v0, vcc, v0, v8
	v_mad_u64_u32 v[6:7], s[8:9], v5, s22, 0
	s_nop 0
	v_addc_co_u32_e32 v2, vcc, v1, v9, vcc
	s_nop 1
	v_addc_co_u32_e32 v7, vcc, 0, v7, vcc
	v_lshl_add_u64 v[0:1], v[2:3], 0, v[6:7]
	v_mul_lo_u32 v2, s91, v0
	v_mul_lo_u32 v8, s90, v1
	v_mad_u64_u32 v[6:7], s[8:9], s90, v0, 0
	v_add3_u32 v2, v7, v8, v2
	v_sub_u32_e32 v7, v5, v2
	v_mov_b32_e32 v8, s91
	v_sub_co_u32_e32 v10, vcc, v10, v6
	s_nop 1
	v_subb_co_u32_e64 v6, s[22:23], v7, v8, vcc
	v_subrev_co_u32_e64 v7, s[22:23], s90, v10
	v_subb_co_u32_e32 v2, vcc, v5, v2, vcc
	s_nop 0
	v_subbrev_co_u32_e64 v6, s[22:23], 0, v6, s[22:23]
	v_cmp_le_u32_e64 s[22:23], s91, v6
	v_cmp_le_u32_e32 vcc, s91, v2
	s_nop 0
	v_cndmask_b32_e64 v8, 0, -1, s[22:23]
	v_cmp_le_u32_e64 s[22:23], s90, v7
	v_cndmask_b32_e64 v5, 0, -1, vcc
	v_cmp_le_u32_e32 vcc, s90, v10
	v_cndmask_b32_e64 v7, 0, -1, s[22:23]
	v_cmp_eq_u32_e64 s[22:23], s91, v6
	s_nop 1
	v_cndmask_b32_e64 v11, v8, v7, s[22:23]
	v_lshl_add_u64 v[6:7], v[0:1], 0, 2
	v_lshl_add_u64 v[8:9], v[0:1], 0, 1
	v_cmp_ne_u32_e64 s[22:23], 0, v11
	s_nop 1
	v_cndmask_b32_e64 v7, v9, v7, s[22:23]
	v_cndmask_b32_e64 v9, 0, -1, vcc
	v_cmp_eq_u32_e32 vcc, s91, v2
	s_nop 1
	v_cndmask_b32_e32 v2, v5, v9, vcc
	v_cmp_ne_u32_e32 vcc, 0, v2
	v_cndmask_b32_e64 v2, v8, v6, s[22:23]
	s_nop 0
	v_cndmask_b32_e32 v0, v0, v2, vcc
	v_xor_b32_e32 v2, s28, v4
	v_cndmask_b32_e32 v1, v1, v7, vcc
	v_xor_b32_e32 v0, v0, v2
	v_xor_b32_e32 v1, v1, v2
	v_sub_co_u32_e32 v4, vcc, v0, v2
	s_nop 1
	v_subb_co_u32_e32 v5, vcc, v1, v2, vcc
                                        ; implicit-def: $vgpr0_vgpr1
.LBB30_50:                              ;   in Loop: Header=BB30_47 Depth=1
	s_andn2_saveexec_b64 s[22:23], s[26:27]
	s_cbranch_execz .LBB30_52
; %bb.51:                               ;   in Loop: Header=BB30_47 Depth=1
	v_cvt_f32_u32_e32 v1, s66
	s_sub_i32 s8, 0, s66
	v_rcp_iflag_f32_e32 v1, v1
	s_nop 0
	v_mul_f32_e32 v1, 0x4f7ffffe, v1
	v_cvt_u32_f32_e32 v1, v1
	v_mul_lo_u32 v2, s8, v1
	v_mul_hi_u32 v2, v1, v2
	v_add_u32_e32 v1, v1, v2
	v_mul_hi_u32 v1, v0, v1
	v_mul_lo_u32 v2, v1, s66
	v_sub_u32_e32 v0, v0, v2
	v_add_u32_e32 v4, 1, v1
	v_subrev_u32_e32 v2, s66, v0
	v_cmp_le_u32_e32 vcc, s66, v0
	s_nop 1
	v_cndmask_b32_e32 v0, v0, v2, vcc
	v_cndmask_b32_e32 v1, v1, v4, vcc
	v_add_u32_e32 v2, 1, v1
	v_cmp_le_u32_e32 vcc, s66, v0
	s_nop 1
	v_cndmask_b32_e32 v2, v1, v2, vcc
	v_mov_b64_e32 v[4:5], v[2:3]
.LBB30_52:                              ;   in Loop: Header=BB30_47 Depth=1
	s_or_b64 exec, exec, s[22:23]
	v_lshl_add_u64 v[0:1], v[4:5], 0, 7
	v_and_b32_e32 v0, -8, v0
	scratch_store_dwordx2 off, v[0:1], s33 offset:388 ; 8-byte Folded Spill
.LBB30_53:                              ;   in Loop: Header=BB30_47 Depth=1
	s_or_b64 exec, exec, s[24:25]
	scratch_load_dwordx2 v[4:5], off, s33 offset:388 ; 8-byte Folded Reload
	v_mov_b32_e32 v28, 0
	scratch_store_dwordx2 off, v[14:15], s33 offset:396 ; 8-byte Folded Spill
	s_waitcnt vmcnt(0)
	v_mul_lo_u32 v0, v5, s69
	v_mul_lo_u32 v1, v4, s70
	v_mad_u64_u32 v[116:117], s[8:9], v4, s69, 0
	v_add3_u32 v117, v117, v1, v0
	scratch_load_dwordx2 v[0:1], off, s33 offset:428 ; 8-byte Folded Reload
	s_waitcnt vmcnt(0)
	v_lshl_add_u64 v[0:1], v[14:15], 0, v[0:1]
	scratch_store_dwordx2 off, v[0:1], s33 offset:340 ; 8-byte Folded Spill
	scratch_load_dwordx2 v[0:1], off, s33 offset:380 ; 8-byte Folded Reload
	s_waitcnt vmcnt(0)
	v_sub_co_u32_e32 v0, vcc, v0, v116
	s_nop 1
	v_subb_co_u32_e32 v1, vcc, v1, v117, vcc
	v_cmp_lt_i64_e32 vcc, v[4:5], v[0:1]
	v_mov_b32_e32 v1, 0
	s_nop 0
	v_cndmask_b32_e32 v2, v0, v4, vcc
	v_max_i32_e32 v0, 0, v2
	v_add_u32_e32 v4, 31, v0
	v_ashrrev_i32_e32 v5, 31, v4
	v_lshrrev_b32_e32 v5, 27, v5
	v_add_u32_e32 v4, v4, v5
	v_ashrrev_i32_e32 v4, 5, v4
	v_lshlrev_b32_e32 v4, 4, v4
	v_cmp_lt_i32_e32 vcc, 0, v2
	v_max_i32_e32 v4, s71, v4
	s_and_b64 s[8:9], s[88:89], vcc
	s_and_saveexec_b64 s[24:25], s[8:9]
	s_cbranch_execz .LBB30_224
; %bb.54:                               ;   in Loop: Header=BB30_47 Depth=1
	s_mov_b32 s74, 1
	s_mov_b64 s[28:29], -1
	v_mov_b32_e32 v28, 0
	s_mov_b64 s[26:27], 0
	s_branch .LBB30_57
.LBB30_55:                              ;   in Loop: Header=BB30_57 Depth=2
	s_or_b64 exec, exec, s[90:91]
	v_lshl_add_u64 v[124:125], v[124:125], 0, 2
	flat_store_dwordx2 v[40:41], v[124:125] sc0 sc1
.LBB30_56:                              ;   in Loop: Header=BB30_57 Depth=2
	s_or_b64 exec, exec, s[22:23]
	v_add_u32_e32 v28, v4, v28
	v_cmp_ge_i32_e32 vcc, v28, v0
	s_xor_b64 s[8:9], s[28:29], -1
	s_or_b64 s[8:9], s[8:9], vcc
	s_and_b64 s[8:9], exec, s[8:9]
	s_or_b64 s[26:27], s[8:9], s[26:27]
	s_mov_b64 s[28:29], 0
	v_mov_b32_e32 v1, s74
	s_mov_b32 s74, 2
	s_andn2_b64 exec, exec, s[26:27]
	s_cbranch_execz .LBB30_223
.LBB30_57:                              ;   Parent Loop BB30_47 Depth=1
                                        ; =>  This Loop Header: Depth=2
                                        ;       Child Loop BB30_65 Depth 3
                                        ;       Child Loop BB30_89 Depth 3
	;; [unrolled: 1-line block ×9, first 2 shown]
	s_and_saveexec_b64 s[22:23], s[0:1]
	s_cbranch_execz .LBB30_59
; %bb.58:                               ;   in Loop: Header=BB30_57 Depth=2
	s_trap 2
	scratch_load_dwordx2 v[8:9], off, s33 offset:340 ; 8-byte Folded Reload
	ds_read_b64 v[6:7], v0
	v_ashrrev_i32_e32 v29, 31, v28
	s_waitcnt vmcnt(0) lgkmcnt(0)
	v_lshl_add_u64 v[6:7], v[8:9], 1, v[6:7]
	v_lshl_add_u64 v[6:7], v[116:117], 1, v[6:7]
	;; [unrolled: 1-line block ×3, first 2 shown]
	ds_write_b64 v0, v[6:7]
	scratch_load_dwordx2 v[6:7], off, s33 offset:348 ; 8-byte Folded Reload
	s_waitcnt vmcnt(0)
	ds_write_b64 v0, v[6:7]
.LBB30_59:                              ;   in Loop: Header=BB30_57 Depth=2
	s_or_b64 exec, exec, s[22:23]
	v_sub_u32_e32 v1, v0, v28
	v_min_i32_e32 v4, v4, v1
	v_and_b32_e32 v1, 8, v110
	v_cmp_ne_u32_e32 vcc, 0, v1
	s_and_saveexec_b64 s[90:91], vcc
	s_cbranch_execz .LBB30_81
; %bb.60:                               ;   in Loop: Header=BB30_57 Depth=2
	s_waitcnt lgkmcnt(0)
	v_lshl_add_u64 v[6:7], v[56:57], 0, 8
	v_lshl_add_u64 v[8:9], v[124:125], 0, 2
	v_cmp_lt_u64_e32 vcc, v[6:7], v[8:9]
	s_and_saveexec_b64 s[92:93], vcc
	s_cbranch_execz .LBB30_72
; %bb.61:                               ;   in Loop: Header=BB30_57 Depth=2
	v_and_b32_e32 v1, 64, v110
	s_mov_b32 s75, 0
	v_cmp_eq_u32_e32 vcc, 0, v1
	s_mov_b64 s[94:95], 0
                                        ; implicit-def: $sgpr30_sgpr31
                                        ; implicit-def: $sgpr34_sgpr35
                                        ; implicit-def: $sgpr36_sgpr37
	s_branch .LBB30_65
.LBB30_62:                              ;   in Loop: Header=BB30_65 Depth=3
	s_waitcnt vmcnt(0) lgkmcnt(0)
	v_lshl_add_u64 v[6:7], v[56:57], 0, 8
	v_cmp_ge_u64_e64 s[22:23], v[6:7], v[8:9]
	s_or_b64 s[50:51], s[50:51], exec
	s_orn2_b64 s[48:49], s[22:23], exec
.LBB30_63:                              ;   in Loop: Header=BB30_65 Depth=3
	s_or_b64 exec, exec, s[54:55]
	s_andn2_b64 s[8:9], s[36:37], exec
	s_and_b64 s[22:23], s[50:51], exec
	s_or_b64 s[36:37], s[8:9], s[22:23]
	s_andn2_b64 s[8:9], s[34:35], exec
	s_and_b64 s[22:23], s[48:49], exec
	s_or_b64 s[34:35], s[8:9], s[22:23]
.LBB30_64:                              ;   in Loop: Header=BB30_65 Depth=3
	s_or_b64 exec, exec, s[38:39]
	s_and_b64 s[8:9], exec, s[34:35]
	s_or_b64 s[94:95], s[8:9], s[94:95]
	s_andn2_b64 s[8:9], s[30:31], exec
	s_and_b64 s[22:23], s[36:37], exec
	s_or_b64 s[30:31], s[8:9], s[22:23]
	s_andn2_b64 exec, exec, s[94:95]
	s_cbranch_execz .LBB30_69
.LBB30_65:                              ;   Parent Loop BB30_47 Depth=1
                                        ;     Parent Loop BB30_57 Depth=2
                                        ; =>    This Inner Loop Header: Depth=3
	s_sleep 1
	s_waitcnt vmcnt(0) lgkmcnt(0)
	flat_load_dwordx2 v[56:57], v[40:41] sc0 sc1
	s_or_b64 s[36:37], s[36:37], exec
	s_or_b64 s[34:35], s[34:35], exec
                                        ; implicit-def: $vgpr1
	s_and_saveexec_b64 s[38:39], vcc
	s_cbranch_execz .LBB30_64
; %bb.66:                               ;   in Loop: Header=BB30_65 Depth=3
	s_cmpk_lt_i32 s75, 0x270f
	s_cselect_b64 s[52:53], -1, 0
	s_cmpk_gt_i32 s75, 0x270e
	s_mov_b64 s[48:49], -1
	s_cbranch_scc0 .LBB30_68
; %bb.67:                               ;   in Loop: Header=BB30_65 Depth=3
	s_trap 2
	ds_read_b64 v[6:7], v0
	s_andn2_b64 s[8:9], s[52:53], exec
	s_mov_b32 s75, 0
	s_mov_b64 s[50:51], 0
	s_waitcnt vmcnt(0) lgkmcnt(0)
	flat_load_dword v1, v[6:7] sc0 sc1
	s_waitcnt vmcnt(0) lgkmcnt(0)
	buffer_inv sc0 sc1
	v_cmp_eq_u32_e64 s[22:23], 0, v1
	s_and_b64 s[22:23], s[22:23], exec
	s_or_b64 s[52:53], s[8:9], s[22:23]
	s_and_saveexec_b64 s[54:55], s[52:53]
	s_cbranch_execz .LBB30_63
	s_branch .LBB30_62
.LBB30_68:                              ;   in Loop: Header=BB30_65 Depth=3
	s_add_i32 s75, s75, 1
	s_mov_b64 s[50:51], -1
                                        ; implicit-def: $vgpr1
	s_and_saveexec_b64 s[54:55], s[52:53]
	s_cbranch_execz .LBB30_63
	s_branch .LBB30_62
.LBB30_69:                              ;   in Loop: Header=BB30_57 Depth=2
	s_or_b64 exec, exec, s[94:95]
	s_xor_b64 s[8:9], s[30:31], -1
	s_and_saveexec_b64 s[22:23], s[8:9]
	s_xor_b64 s[22:23], exec, s[22:23]
	s_cbranch_execz .LBB30_71
; %bb.70:                               ;   in Loop: Header=BB30_57 Depth=2
	v_or_b32_e32 v110, 64, v110
	s_waitcnt lgkmcnt(0)
	ds_write_b32 v0, v1
	s_trap 2
.LBB30_71:                              ;   in Loop: Header=BB30_57 Depth=2
	s_or_b64 exec, exec, s[22:23]
.LBB30_72:                              ;   in Loop: Header=BB30_57 Depth=2
	s_or_b64 exec, exec, s[92:93]
	v_and_b32_e32 v1, 0x100, v110
	v_cmp_ne_u32_e32 vcc, 0, v1
	v_and_b32_e32 v1, 7, v124
	s_mov_b64 s[22:23], -1
	;;#ASMSTART
	s_wakeup
	;;#ASMEND
                                        ; implicit-def: $vgpr10_vgpr11
	s_and_saveexec_b64 s[92:93], vcc
	s_cbranch_execz .LBB30_76
; %bb.73:                               ;   in Loop: Header=BB30_57 Depth=2
	scratch_load_dwordx4 v[10:13], off, s33 offset:288 ; 16-byte Folded Reload
	v_ashrrev_i32_e32 v5, 31, v4
	v_lshlrev_b64 v[6:7], 1, v[4:5]
	s_waitcnt vmcnt(0)
	v_mad_u64_u32 v[12:13], s[8:9], v1, 24, v[10:11]
	flat_load_dword v2, v[12:13]
                                        ; implicit-def: $vgpr10_vgpr11
	s_waitcnt vmcnt(0) lgkmcnt(0)
	v_cmp_ne_u32_e32 vcc, 1, v2
	v_cmp_eq_u32_e64 s[22:23], 1, v2
	flat_store_dwordx2 v[12:13], v[6:7] offset:8
	s_and_saveexec_b64 s[94:95], s[22:23]
	s_cbranch_execz .LBB30_75
; %bb.74:                               ;   in Loop: Header=BB30_57 Depth=2
	flat_load_dword v6, v[12:13] offset:4 sc0 sc1
	s_waitcnt vmcnt(0) lgkmcnt(0)
	v_ashrrev_i32_e32 v7, 31, v6
	v_lshrrev_b64 v[10:11], 1, v[6:7]
.LBB30_75:                              ;   in Loop: Header=BB30_57 Depth=2
	s_or_b64 exec, exec, s[94:95]
	s_orn2_b64 s[22:23], vcc, exec
.LBB30_76:                              ;   in Loop: Header=BB30_57 Depth=2
	s_or_b64 exec, exec, s[92:93]
	s_and_saveexec_b64 s[92:93], s[22:23]
	s_cbranch_execz .LBB30_78
; %bb.77:                               ;   in Loop: Header=BB30_57 Depth=2
	scratch_load_dwordx2 v[6:7], off, s33 offset:316 ; 8-byte Folded Reload
	s_waitcnt vmcnt(0)
	v_mad_i64_i32 v[10:11], s[8:9], v1, v6, 0
.LBB30_78:                              ;   in Loop: Header=BB30_57 Depth=2
	s_or_b64 exec, exec, s[92:93]
	scratch_load_dwordx2 v[6:7], off, s33 offset:280 ; 8-byte Folded Reload
	v_and_b32_e32 v1, 0x2000, v110
	v_cmp_ne_u32_e32 vcc, 0, v1
	s_waitcnt vmcnt(0)
	v_lshl_add_u64 v[6:7], v[10:11], 1, v[6:7]
	ds_write_b64 v0, v[6:7] offset:784
	s_and_saveexec_b64 s[22:23], vcc
	s_cbranch_execz .LBB30_80
; %bb.79:                               ;   in Loop: Header=BB30_57 Depth=2
	ds_read_b64 v[6:7], v0 offset:872
	s_waitcnt lgkmcnt(0)
	v_lshl_add_u64 v[6:7], v[6:7], 0, 1
	ds_write_b64 v0, v[6:7] offset:872
.LBB30_80:                              ;   in Loop: Header=BB30_57 Depth=2
	s_or_b64 exec, exec, s[22:23]
	v_mov_b64_e32 v[124:125], v[8:9]
.LBB30_81:                              ;   in Loop: Header=BB30_57 Depth=2
	s_or_b64 exec, exec, s[90:91]
	s_and_saveexec_b64 s[22:23], s[4:5]
	s_cbranch_execz .LBB30_100
; %bb.82:                               ;   in Loop: Header=BB30_57 Depth=2
	s_and_saveexec_b64 s[8:9], s[44:45]
	s_xor_b64 s[90:91], exec, s[8:9]
	s_cbranch_execz .LBB30_97
; %bb.83:                               ;   in Loop: Header=BB30_57 Depth=2
	s_and_saveexec_b64 s[92:93], s[12:13]
	s_cbranch_execz .LBB30_96
; %bb.84:                               ;   in Loop: Header=BB30_57 Depth=2
	s_mov_b64 s[30:31], exec
	v_mbcnt_lo_u32_b32 v1, s30, 0
	v_mbcnt_hi_u32_b32 v1, s31, v1
	v_cmp_eq_u32_e32 vcc, 0, v1
	s_waitcnt lgkmcnt(0)
	s_and_saveexec_b64 s[94:95], vcc
	s_cbranch_execz .LBB30_86
; %bb.85:                               ;   in Loop: Header=BB30_57 Depth=2
	s_bcnt1_i32_b64 s8, s[30:31]
	s_waitcnt vmcnt(0)
	v_mov_b32_e32 v2, s8
	ds_add_u64 v0, v[2:3]
	s_trap 2
.LBB30_86:                              ;   in Loop: Header=BB30_57 Depth=2
	s_or_b64 exec, exec, s[94:95]
	s_trap 2
	ds_read_b64 v[6:7], v0
	s_waitcnt lgkmcnt(0)
	v_lshl_add_u64 v[46:47], v[46:47], 0, v[60:61]
	v_cmp_lt_u64_e32 vcc, v[6:7], v[46:47]
	s_and_saveexec_b64 s[94:95], vcc
	s_cbranch_execz .LBB30_95
; %bb.87:                               ;   in Loop: Header=BB30_57 Depth=2
	s_mov_b32 s8, 0
	s_mov_b64 s[30:31], 0
                                        ; implicit-def: $sgpr34_sgpr35
                                        ; implicit-def: $sgpr36_sgpr37
	s_branch .LBB30_89
.LBB30_88:                              ;   in Loop: Header=BB30_89 Depth=3
	s_or_b64 exec, exec, s[48:49]
	s_and_b64 vcc, exec, vcc
	s_or_b64 s[30:31], vcc, s[30:31]
	s_andn2_b64 vcc, s[34:35], exec
	s_and_b64 s[34:35], s[36:37], exec
	s_or_b64 s[34:35], vcc, s[34:35]
	s_andn2_b64 exec, exec, s[30:31]
	s_cbranch_execz .LBB30_93
.LBB30_89:                              ;   Parent Loop BB30_47 Depth=1
                                        ;     Parent Loop BB30_57 Depth=2
                                        ; =>    This Inner Loop Header: Depth=3
	s_add_i32 s8, s8, 1
	s_cmpk_lg_i32 s8, 0x2710
	s_cselect_b64 s[38:39], -1, 0
	s_and_b64 vcc, exec, s[38:39]
	s_cbranch_vccz .LBB30_91
; %bb.90:                               ;   in Loop: Header=BB30_89 Depth=3
	s_mov_b64 vcc, -1
	s_or_b64 s[36:37], s[36:37], exec
	s_and_saveexec_b64 s[48:49], s[38:39]
	s_cbranch_execz .LBB30_88
	s_branch .LBB30_92
.LBB30_91:                              ;   in Loop: Header=BB30_89 Depth=3
	s_trap 2
	ds_read_b64 v[6:7], v0
	s_andn2_b64 s[38:39], s[38:39], exec
	s_mov_b32 s8, 0
	s_waitcnt lgkmcnt(0)
	flat_load_dword v1, v[6:7] sc0 sc1
	s_waitcnt vmcnt(0) lgkmcnt(0)
	buffer_inv sc0 sc1
	v_cmp_eq_u32_e32 vcc, 0, v1
	s_and_b64 vcc, vcc, exec
	s_or_b64 s[38:39], s[38:39], vcc
	s_mov_b64 vcc, -1
	s_or_b64 s[36:37], s[36:37], exec
	s_and_saveexec_b64 s[48:49], s[38:39]
	s_cbranch_execz .LBB30_88
.LBB30_92:                              ;   in Loop: Header=BB30_89 Depth=3
	s_sleep 1
	s_trap 2
	ds_read_b64 v[6:7], v0
	s_waitcnt lgkmcnt(0)
	s_andn2_b64 s[36:37], s[36:37], exec
	v_cmp_ge_u64_e32 vcc, v[6:7], v[46:47]
	s_orn2_b64 vcc, vcc, exec
	s_branch .LBB30_88
.LBB30_93:                              ;   in Loop: Header=BB30_57 Depth=2
	s_or_b64 exec, exec, s[30:31]
	s_and_saveexec_b64 s[8:9], s[34:35]
	s_xor_b64 s[8:9], exec, s[8:9]
	s_cbranch_execz .LBB30_95
; %bb.94:                               ;   in Loop: Header=BB30_57 Depth=2
	v_mov_b32_e32 v1, 1
	ds_write_b32 v0, v1
	s_trap 2
.LBB30_95:                              ;   in Loop: Header=BB30_57 Depth=2
	s_or_b64 exec, exec, s[94:95]
	;;#ASMSTART
	s_wakeup
	;;#ASMEND
.LBB30_96:                              ;   in Loop: Header=BB30_57 Depth=2
	s_or_b64 exec, exec, s[92:93]
.LBB30_97:                              ;   in Loop: Header=BB30_57 Depth=2
	s_andn2_saveexec_b64 s[90:91], s[90:91]
	s_cbranch_execz .LBB30_99
; %bb.98:                               ;   in Loop: Header=BB30_57 Depth=2
	s_waitcnt lgkmcnt(0)
	s_barrier
.LBB30_99:                              ;   in Loop: Header=BB30_57 Depth=2
	s_or_b64 exec, exec, s[90:91]
.LBB30_100:                             ;   in Loop: Header=BB30_57 Depth=2
	s_or_b64 exec, exec, s[22:23]
	s_trap 2
	ds_read_b32 v1, v0
	s_waitcnt vmcnt(0)
	v_and_b32_e32 v2, 0x4000, v110
	v_cmp_ne_u32_e32 vcc, 0, v2
	s_xor_b64 s[8:9], s[2:3], -1
	s_and_b64 s[8:9], s[8:9], vcc
	s_and_saveexec_b64 s[22:23], s[8:9]
	s_cbranch_execz .LBB30_119
; %bb.101:                              ;   in Loop: Header=BB30_57 Depth=2
	s_and_saveexec_b64 s[8:9], s[44:45]
	s_xor_b64 s[90:91], exec, s[8:9]
	s_cbranch_execz .LBB30_116
; %bb.102:                              ;   in Loop: Header=BB30_57 Depth=2
	s_and_saveexec_b64 s[92:93], s[12:13]
	s_cbranch_execz .LBB30_115
; %bb.103:                              ;   in Loop: Header=BB30_57 Depth=2
	s_mov_b64 s[30:31], exec
	v_mbcnt_lo_u32_b32 v2, s30, 0
	v_mbcnt_hi_u32_b32 v2, s31, v2
	v_cmp_eq_u32_e32 vcc, 0, v2
	s_waitcnt lgkmcnt(0)
	s_and_saveexec_b64 s[94:95], vcc
	s_cbranch_execz .LBB30_105
; %bb.104:                              ;   in Loop: Header=BB30_57 Depth=2
	s_bcnt1_i32_b64 s8, s[30:31]
	v_mov_b32_e32 v2, s8
	ds_add_u64 v0, v[2:3]
	s_trap 2
.LBB30_105:                             ;   in Loop: Header=BB30_57 Depth=2
	s_or_b64 exec, exec, s[94:95]
	s_trap 2
	ds_read_b64 v[6:7], v0
	s_waitcnt lgkmcnt(0)
	v_lshl_add_u64 v[46:47], v[46:47], 0, v[60:61]
	v_cmp_lt_u64_e32 vcc, v[6:7], v[46:47]
	s_and_saveexec_b64 s[94:95], vcc
	s_cbranch_execz .LBB30_114
; %bb.106:                              ;   in Loop: Header=BB30_57 Depth=2
	s_mov_b32 s8, 0
	s_mov_b64 s[30:31], 0
                                        ; implicit-def: $sgpr34_sgpr35
                                        ; implicit-def: $sgpr36_sgpr37
	s_branch .LBB30_108
.LBB30_107:                             ;   in Loop: Header=BB30_108 Depth=3
	s_or_b64 exec, exec, s[48:49]
	s_and_b64 vcc, exec, vcc
	s_or_b64 s[30:31], vcc, s[30:31]
	s_andn2_b64 vcc, s[34:35], exec
	s_and_b64 s[34:35], s[36:37], exec
	s_or_b64 s[34:35], vcc, s[34:35]
	s_andn2_b64 exec, exec, s[30:31]
	s_cbranch_execz .LBB30_112
.LBB30_108:                             ;   Parent Loop BB30_47 Depth=1
                                        ;     Parent Loop BB30_57 Depth=2
                                        ; =>    This Inner Loop Header: Depth=3
	s_add_i32 s8, s8, 1
	s_cmpk_lg_i32 s8, 0x2710
	s_cselect_b64 s[38:39], -1, 0
	s_and_b64 vcc, exec, s[38:39]
	s_cbranch_vccz .LBB30_110
; %bb.109:                              ;   in Loop: Header=BB30_108 Depth=3
	s_mov_b64 vcc, -1
	s_or_b64 s[36:37], s[36:37], exec
	s_and_saveexec_b64 s[48:49], s[38:39]
	s_cbranch_execz .LBB30_107
	s_branch .LBB30_111
.LBB30_110:                             ;   in Loop: Header=BB30_108 Depth=3
	s_trap 2
	ds_read_b64 v[6:7], v0
	s_andn2_b64 s[38:39], s[38:39], exec
	s_mov_b32 s8, 0
	s_waitcnt lgkmcnt(0)
	flat_load_dword v2, v[6:7] sc0 sc1
	s_waitcnt vmcnt(0) lgkmcnt(0)
	buffer_inv sc0 sc1
	v_cmp_eq_u32_e32 vcc, 0, v2
	s_and_b64 vcc, vcc, exec
	s_or_b64 s[38:39], s[38:39], vcc
	s_mov_b64 vcc, -1
	s_or_b64 s[36:37], s[36:37], exec
	s_and_saveexec_b64 s[48:49], s[38:39]
	s_cbranch_execz .LBB30_107
.LBB30_111:                             ;   in Loop: Header=BB30_108 Depth=3
	s_sleep 1
	s_trap 2
	ds_read_b64 v[6:7], v0
	s_waitcnt lgkmcnt(0)
	s_andn2_b64 s[36:37], s[36:37], exec
	v_cmp_ge_u64_e32 vcc, v[6:7], v[46:47]
	s_orn2_b64 vcc, vcc, exec
	s_branch .LBB30_107
.LBB30_112:                             ;   in Loop: Header=BB30_57 Depth=2
	s_or_b64 exec, exec, s[30:31]
	s_and_saveexec_b64 s[8:9], s[34:35]
	s_xor_b64 s[8:9], exec, s[8:9]
	s_cbranch_execz .LBB30_114
; %bb.113:                              ;   in Loop: Header=BB30_57 Depth=2
	v_mov_b32_e32 v2, 1
	ds_write_b32 v0, v2
	s_trap 2
.LBB30_114:                             ;   in Loop: Header=BB30_57 Depth=2
	s_or_b64 exec, exec, s[94:95]
	;;#ASMSTART
	s_wakeup
	;;#ASMEND
.LBB30_115:                             ;   in Loop: Header=BB30_57 Depth=2
	s_or_b64 exec, exec, s[92:93]
.LBB30_116:                             ;   in Loop: Header=BB30_57 Depth=2
	s_andn2_saveexec_b64 s[90:91], s[90:91]
	s_cbranch_execz .LBB30_118
; %bb.117:                              ;   in Loop: Header=BB30_57 Depth=2
	s_waitcnt lgkmcnt(0)
	s_barrier
.LBB30_118:                             ;   in Loop: Header=BB30_57 Depth=2
	s_or_b64 exec, exec, s[90:91]
.LBB30_119:                             ;   in Loop: Header=BB30_57 Depth=2
	s_or_b64 exec, exec, s[22:23]
	s_trap 2
	ds_read_b64 v[118:119], v0
	s_waitcnt lgkmcnt(0)
	v_cmp_eq_u64_e32 vcc, 0, v[118:119]
	s_cbranch_vccnz .LBB30_127
; %bb.120:                              ;   in Loop: Header=BB30_57 Depth=2
	s_trap 2
	ds_read_b64 v[58:59], v0
	s_waitcnt lgkmcnt(0)
	v_cmp_eq_u64_e32 vcc, 0, v[58:59]
	s_cbranch_vccnz .LBB30_127
; %bb.121:                              ;   in Loop: Header=BB30_57 Depth=2
	s_mov_b64 s[90:91], -1
	s_and_saveexec_b64 s[22:23], s[14:15]
	s_cbranch_execz .LBB30_123
; %bb.122:                              ;   in Loop: Header=BB30_57 Depth=2
	ds_read_b32 v2, v0 offset:720
	s_waitcnt lgkmcnt(0)
	v_and_b32_e32 v2, 15, v2
	v_cmp_eq_u32_e32 vcc, 0, v2
	s_orn2_b64 s[90:91], vcc, exec
.LBB30_123:                             ;   in Loop: Header=BB30_57 Depth=2
	s_or_b64 exec, exec, s[22:23]
	s_and_saveexec_b64 s[22:23], s[16:17]
	s_cbranch_execz .LBB30_125
; %bb.124:                              ;   in Loop: Header=BB30_57 Depth=2
	ds_read_b32 v2, v0 offset:784
	s_waitcnt lgkmcnt(0)
	v_and_b32_e32 v2, 15, v2
	v_cmp_eq_u32_e32 vcc, 0, v2
	s_and_b64 s[8:9], s[90:91], vcc
	s_andn2_b64 s[90:91], s[90:91], exec
	s_and_b64 s[8:9], s[8:9], exec
	s_or_b64 s[90:91], s[90:91], s[8:9]
.LBB30_125:                             ;   in Loop: Header=BB30_57 Depth=2
	s_or_b64 exec, exec, s[22:23]
	s_xor_b64 s[8:9], s[90:91], -1
	v_cmp_eq_u32_e64 s[22:23], 0, v1
	v_cndmask_b32_e64 v1, 0, 1, s[8:9]
	s_mov_b64 s[92:93], -1
	v_cmp_ne_u32_e32 vcc, 0, v1
	s_cbranch_vccz .LBB30_128
; %bb.126:                              ;   in Loop: Header=BB30_57 Depth=2
	s_mov_b64 s[92:93], 0
	s_mov_b64 s[90:91], -1
	s_branch .LBB30_129
.LBB30_127:                             ;   in Loop: Header=BB30_57 Depth=2
	s_mov_b64 s[22:23], 0
	s_and_saveexec_b64 s[90:91], s[4:5]
	s_cbranch_execnz .LBB30_179
	s_branch .LBB30_197
.LBB30_128:                             ;   in Loop: Header=BB30_57 Depth=2
	s_mov_b64 s[90:91], 0
.LBB30_129:                             ;   in Loop: Header=BB30_57 Depth=2
	v_cndmask_b32_e64 v1, 0, v4, s[22:23]
	v_lshlrev_b32_e32 v2, 1, v1
	s_andn2_b64 vcc, exec, s[92:93]
	v_mov_b32_e32 v5, 0
	s_cbranch_vccnz .LBB30_137
; %bb.130:                              ;   in Loop: Header=BB30_57 Depth=2
	scratch_load_dword v6, off, s33 offset:312 ; 4-byte Folded Reload
	scratch_load_dwordx2 v[8:9], off, s33 offset:372 ; 8-byte Folded Reload
	v_ashrrev_i32_e32 v5, 31, v2
	v_lshrrev_b32_e32 v5, 19, v5
	v_add_u32_e32 v5, v2, v5
	v_ashrrev_i32_e32 v5, 13, v5
	s_mov_b64 s[92:93], 0
                                        ; implicit-def: $vgpr12_vgpr13
                                        ; implicit-def: $vgpr16_vgpr17
                                        ; implicit-def: $vgpr20_vgpr21
                                        ; implicit-def: $vgpr24_vgpr25
                                        ; implicit-def: $vgpr32_vgpr33
                                        ; implicit-def: $vgpr36_vgpr37
                                        ; implicit-def: $vgpr48_vgpr49
	s_waitcnt vmcnt(1)
	v_lshrrev_b32_e32 v6, 6, v6
	v_sub_u32_e32 v7, v5, v6
	s_waitcnt vmcnt(0)
	v_lshl_add_u64 v[62:63], v[58:59], 0, v[8:9]
	v_cmp_lt_i32_e32 vcc, 0, v7
                                        ; implicit-def: $vgpr8_vgpr9
	s_and_saveexec_b64 s[22:23], vcc
	s_cbranch_execz .LBB30_139
; %bb.131:                              ;   in Loop: Header=BB30_57 Depth=2
	scratch_load_dwordx2 v[8:9], off, s33 offset:372 ; 8-byte Folded Reload
	s_mov_b64 s[30:31], 0
                                        ; implicit-def: $sgpr94_sgpr95
                                        ; implicit-def: $vgpr12_vgpr13
                                        ; implicit-def: $vgpr16_vgpr17
                                        ; implicit-def: $vgpr20_vgpr21
                                        ; implicit-def: $vgpr24_vgpr25
                                        ; implicit-def: $vgpr32_vgpr33
                                        ; implicit-def: $vgpr36_vgpr37
                                        ; implicit-def: $vgpr48_vgpr49
	s_waitcnt vmcnt(0)
	v_lshl_add_u64 v[72:73], v[118:119], 0, v[8:9]
                                        ; implicit-def: $vgpr8_vgpr9
	s_branch .LBB30_133
.LBB30_132:                             ;   in Loop: Header=BB30_133 Depth=3
	s_or_b64 exec, exec, s[34:35]
	global_store_dwordx4 v[62:63], v[52:55], off
	global_store_dwordx4 v[62:63], v[64:67], off offset:1024
	global_store_dwordx4 v[62:63], v[68:71], off offset:2048
	;; [unrolled: 1-line block ×3, first 2 shown]
	v_add_co_u32_e32 v52, vcc, s97, v62
	v_sub_u32_e32 v7, v6, v7
	s_nop 0
	v_addc_co_u32_e32 v53, vcc, 0, v63, vcc
	v_cmp_gt_i32_e32 vcc, 1, v7
	s_or_b64 s[92:93], vcc, s[92:93]
	global_store_dwordx4 v[52:53], v[84:87], off
	global_store_dwordx4 v[52:53], v[96:99], off offset:1024
	global_store_dwordx4 v[52:53], v[100:103], off offset:2048
	;; [unrolled: 1-line block ×3, first 2 shown]
	s_waitcnt vmcnt(8)
	v_lshl_add_u64 v[52:53], v[62:63], 0, v[120:121]
	s_andn2_b64 s[8:9], s[94:95], exec
	s_and_b64 s[94:95], s[30:31], exec
	v_lshl_add_u64 v[62:63], v[52:53], 0, s[46:47]
	v_lshl_add_u64 v[72:73], v[72:73], 0, v[120:121]
	s_or_b64 s[94:95], s[8:9], s[94:95]
	s_andn2_b64 exec, exec, s[92:93]
	s_cbranch_execz .LBB30_138
.LBB30_133:                             ;   Parent Loop BB30_47 Depth=1
                                        ;     Parent Loop BB30_57 Depth=2
                                        ; =>    This Inner Loop Header: Depth=3
	v_add_co_u32_e32 v112, vcc, 0x1000, v72
	global_load_dwordx4 v[52:55], v[72:73], off nt
	global_load_dwordx4 v[64:67], v[72:73], off offset:1024 nt
	global_load_dwordx4 v[68:71], v[72:73], off offset:2048 nt
	;; [unrolled: 1-line block ×3, first 2 shown]
	v_addc_co_u32_e32 v113, vcc, 0, v73, vcc
	global_load_dwordx4 v[84:87], v[112:113], off nt
	global_load_dwordx4 v[96:99], v[112:113], off offset:1024 nt
	global_load_dwordx4 v[100:103], v[112:113], off offset:2048 nt
	s_nop 0
	global_load_dwordx4 v[112:115], v[112:113], off offset:3072 nt
	s_and_saveexec_b64 s[34:35], s[30:31]
	s_cbranch_execz .LBB30_135
; %bb.134:                              ;   in Loop: Header=BB30_133 Depth=3
	v_add_co_u32_e32 v42, vcc, 0x1000, v62
	global_store_dwordx4 v[62:63], v[8:11], off
	global_store_dwordx4 v[62:63], v[12:15], off offset:1024
	global_store_dwordx4 v[62:63], v[16:19], off offset:2048
	;; [unrolled: 1-line block ×3, first 2 shown]
	v_addc_co_u32_e32 v43, vcc, 0, v63, vcc
	global_store_dwordx4 v[42:43], v[24:27], off
	global_store_dwordx4 v[42:43], v[32:35], off offset:1024
	global_store_dwordx4 v[42:43], v[36:39], off offset:2048
	;; [unrolled: 1-line block ×3, first 2 shown]
	scratch_load_dwordx2 v[42:43], off, s33 offset:272 ; 8-byte Folded Reload
	s_waitcnt vmcnt(0)
	v_lshl_add_u64 v[62:63], v[62:63], 0, v[42:43]
.LBB30_135:                             ;   in Loop: Header=BB30_133 Depth=3
	s_or_b64 exec, exec, s[34:35]
	scratch_load_dwordx2 v[42:43], off, s33 offset:272 ; 8-byte Folded Reload
	v_sub_u32_e32 v6, v7, v60
	v_mov_b32_e32 v7, 0
	v_cmp_lt_i32_e64 s[30:31], 0, v6
	v_mov_b64_e32 v[120:121], 0
	s_waitcnt vmcnt(0)
	v_lshl_add_u64 v[72:73], v[72:73], 0, v[42:43]
	s_and_saveexec_b64 s[34:35], s[30:31]
	s_cbranch_execz .LBB30_132
; %bb.136:                              ;   in Loop: Header=BB30_133 Depth=3
	v_add_co_u32_e32 v48, vcc, s97, v72
	global_load_dwordx4 v[8:11], v[72:73], off nt
	global_load_dwordx4 v[12:15], v[72:73], off offset:1024 nt
	global_load_dwordx4 v[16:19], v[72:73], off offset:2048 nt
	;; [unrolled: 1-line block ×3, first 2 shown]
	v_addc_co_u32_e32 v49, vcc, 0, v73, vcc
	global_load_dwordx4 v[24:27], v[48:49], off nt
	global_load_dwordx4 v[32:35], v[48:49], off offset:1024 nt
	global_load_dwordx4 v[36:39], v[48:49], off offset:2048 nt
	s_nop 0
	global_load_dwordx4 v[48:51], v[48:49], off offset:3072 nt
	v_lshl_add_u64 v[72:73], v[72:73], 0, s[46:47]
	scratch_load_dwordx2 v[120:121], off, s33 offset:332 ; 8-byte Folded Reload
	v_mov_b32_e32 v7, v60
	s_branch .LBB30_132
.LBB30_137:                             ;   in Loop: Header=BB30_57 Depth=2
	scratch_load_dword v6, off, s33 offset:312 ; 4-byte Folded Reload
	s_waitcnt vmcnt(0)
	v_mov_b32_e32 v8, v6
	v_and_b32_e32 v6, 63, v6
	s_and_saveexec_b64 s[22:23], s[90:91]
	s_cbranch_execnz .LBB30_158
	s_branch .LBB30_178
.LBB30_138:                             ;   in Loop: Header=BB30_57 Depth=2
	s_or_b64 exec, exec, s[92:93]
	s_and_b64 s[92:93], s[94:95], exec
.LBB30_139:                             ;   in Loop: Header=BB30_57 Depth=2
	s_or_b64 exec, exec, s[22:23]
	s_and_saveexec_b64 s[22:23], s[92:93]
	s_cbranch_execz .LBB30_141
; %bb.140:                              ;   in Loop: Header=BB30_57 Depth=2
	global_store_dwordx4 v[62:63], v[8:11], off
	global_store_dwordx4 v[62:63], v[12:15], off offset:1024
	global_store_dwordx4 v[62:63], v[16:19], off offset:2048
	;; [unrolled: 1-line block ×3, first 2 shown]
	v_add_co_u32_e32 v8, vcc, 0x1000, v62
	s_nop 1
	v_addc_co_u32_e32 v9, vcc, 0, v63, vcc
	global_store_dwordx4 v[8:9], v[24:27], off
	global_store_dwordx4 v[8:9], v[32:35], off offset:1024
	global_store_dwordx4 v[8:9], v[36:39], off offset:2048
	;; [unrolled: 1-line block ×3, first 2 shown]
.LBB30_141:                             ;   in Loop: Header=BB30_57 Depth=2
	s_or_b64 exec, exec, s[22:23]
	v_lshlrev_b32_e32 v20, 13, v5
	v_cmp_ne_u32_e32 vcc, v2, v20
                                        ; implicit-def: $vgpr5
                                        ; implicit-def: $vgpr8
                                        ; implicit-def: $vgpr6
	s_and_saveexec_b64 s[92:93], vcc
	s_cbranch_execz .LBB30_157
; %bb.142:                              ;   in Loop: Header=BB30_57 Depth=2
	v_lshlrev_b32_e32 v5, 6, v7
	scratch_load_dword v7, off, s33 offset:312 ; 4-byte Folded Reload
	v_sub_u32_e32 v6, v2, v20
	v_ashrrev_i32_e32 v9, 31, v6
	v_lshrrev_b32_e32 v9, 22, v9
	v_add_u32_e32 v9, v6, v9
	v_and_b32_e32 v21, 0xfffffc00, v9
	v_sub_u32_e32 v23, v6, v21
	v_ashrrev_i32_e32 v11, 10, v9
	v_cmp_lt_i32_e32 vcc, 15, v23
	s_mov_b64 s[30:31], 0
	s_waitcnt vmcnt(0)
	v_and_b32_e32 v7, 63, v7
	v_sub_u32_e32 v5, v7, v5
	v_ashrrev_i32_e32 v7, 31, v5
	v_lshrrev_b32_e32 v7, 26, v7
	v_add_u32_e32 v7, v5, v7
	v_ashrrev_i32_e32 v8, 6, v7
	v_and_b32_e32 v7, 0xffffffc0, v7
	v_sub_u32_e32 v7, v5, v7
	v_lshlrev_b32_e32 v5, 4, v7
	v_lshl_add_u32 v5, v8, 10, v5
	v_add_u32_e32 v10, v5, v20
	v_sub_u32_e32 v5, v6, v5
	v_addc_co_u32_e64 v6, s[22:23], 0, v11, vcc
	v_ashrrev_i32_e32 v11, 31, v10
	v_sub_u32_e32 v22, v6, v8
	v_lshl_add_u64 v[16:17], v[10:11], 0, v[58:59]
	v_cmp_lt_i32_e64 s[22:23], 15, v5
                                        ; implicit-def: $vgpr8_vgpr9
	s_and_saveexec_b64 s[94:95], s[22:23]
	s_cbranch_execz .LBB30_152
; %bb.143:                              ;   in Loop: Header=BB30_57 Depth=2
	v_lshl_add_u64 v[18:19], v[10:11], 0, v[118:119]
	s_mov_b64 s[36:37], 0
                                        ; implicit-def: $sgpr34_sgpr35
                                        ; implicit-def: $vgpr8_vgpr9
	s_branch .LBB30_145
.LBB30_144:                             ;   in Loop: Header=BB30_145 Depth=3
	s_or_b64 exec, exec, s[22:23]
	v_cmp_gt_i32_e64 s[22:23], 16, v5
	s_or_b64 s[30:31], s[22:23], s[30:31]
	s_andn2_b64 s[8:9], s[34:35], exec
	s_and_b64 s[22:23], s[36:37], exec
	s_or_b64 s[34:35], s[8:9], s[22:23]
	s_andn2_b64 exec, exec, s[30:31]
	s_cbranch_execz .LBB30_151
.LBB30_145:                             ;   Parent Loop BB30_47 Depth=1
                                        ;     Parent Loop BB30_57 Depth=2
                                        ; =>    This Inner Loop Header: Depth=3
	global_load_dwordx4 v[12:15], v[18:19], off nt
	s_and_saveexec_b64 s[22:23], s[36:37]
	s_cbranch_execz .LBB30_147
; %bb.146:                              ;   in Loop: Header=BB30_145 Depth=3
	scratch_load_dwordx2 v[24:25], off, s33 offset:264 ; 8-byte Folded Reload
	s_waitcnt vmcnt(0)
	v_lshl_add_u64 v[24:25], v[16:17], 0, v[24:25]
	global_store_dwordx4 v[16:17], v[8:11], off
	v_mov_b64_e32 v[16:17], v[24:25]
.LBB30_147:                             ;   in Loop: Header=BB30_145 Depth=3
	s_or_b64 exec, exec, s[22:23]
	scratch_load_dwordx2 v[24:25], off, s33 offset:264 ; 8-byte Folded Reload
	v_sub_u32_e32 v5, v5, v111
	v_cmp_lt_i32_e64 s[36:37], 15, v5
	s_waitcnt vmcnt(0)
	v_lshl_add_u64 v[18:19], v[18:19], 0, v[24:25]
	s_and_saveexec_b64 s[22:23], s[36:37]
	s_cbranch_execz .LBB30_149
; %bb.148:                              ;   in Loop: Header=BB30_145 Depth=3
	global_load_dwordx4 v[8:11], v[18:19], off nt
	v_lshl_add_u64 v[18:19], v[18:19], 0, s[56:57]
.LBB30_149:                             ;   in Loop: Header=BB30_145 Depth=3
	s_or_b64 exec, exec, s[22:23]
	v_sub_u32_e32 v22, v22, v60
	global_store_dwordx4 v[16:17], v[12:15], off
	v_lshl_add_u64 v[16:17], v[16:17], 0, s[56:57]
	s_and_saveexec_b64 s[22:23], s[36:37]
	s_cbranch_execz .LBB30_144
; %bb.150:                              ;   in Loop: Header=BB30_145 Depth=3
	v_sub_u32_e32 v22, v22, v60
	v_sub_u32_e32 v5, v5, v111
	v_lshl_add_u64 v[18:19], v[18:19], 0, v[90:91]
	v_lshl_add_u64 v[16:17], v[16:17], 0, v[90:91]
	s_branch .LBB30_144
.LBB30_151:                             ;   in Loop: Header=BB30_57 Depth=2
	s_or_b64 exec, exec, s[30:31]
	s_and_b64 s[30:31], s[34:35], exec
.LBB30_152:                             ;   in Loop: Header=BB30_57 Depth=2
	s_or_b64 exec, exec, s[94:95]
	s_and_saveexec_b64 s[22:23], s[30:31]
	s_cbranch_execz .LBB30_154
; %bb.153:                              ;   in Loop: Header=BB30_57 Depth=2
	s_waitcnt vmcnt(1)
	global_store_dwordx4 v[16:17], v[8:11], off
.LBB30_154:                             ;   in Loop: Header=BB30_57 Depth=2
	s_or_b64 exec, exec, s[22:23]
	s_waitcnt vmcnt(1)
	v_and_b32_e32 v9, 14, v2
	v_cndmask_b32_e32 v2, v23, v9, vcc
	v_cmp_ne_u32_e64 s[22:23], 0, v2
	s_mov_b64 s[30:31], s[90:91]
                                        ; implicit-def: $vgpr5
                                        ; implicit-def: $vgpr8
                                        ; implicit-def: $vgpr6
	s_and_saveexec_b64 s[94:95], s[22:23]
	s_cbranch_execz .LBB30_156
; %bb.155:                              ;   in Loop: Header=BB30_57 Depth=2
	v_sub_u32_e32 v5, v23, v9
	v_cndmask_b32_e32 v5, 0, v5, vcc
	v_cmp_lt_i32_e32 vcc, 0, v22
	v_add3_u32 v5, v21, v20, v5
	s_or_b64 s[30:31], s[90:91], exec
	v_cndmask_b32_e32 v6, 0, v60, vcc
	v_sub_u32_e32 v6, v6, v22
	v_lshl_add_u32 v8, v6, 6, v7
	v_ashrrev_i32_e32 v6, 31, v8
	v_lshrrev_b32_e32 v6, 26, v6
	v_add_u32_e32 v6, v8, v6
	v_and_b32_e32 v6, 0xffffffc0, v6
	v_sub_u32_e32 v6, v8, v6
.LBB30_156:                             ;   in Loop: Header=BB30_57 Depth=2
	s_or_b64 exec, exec, s[94:95]
	s_andn2_b64 s[8:9], s[90:91], exec
	s_and_b64 s[22:23], s[30:31], exec
	s_or_b64 s[90:91], s[8:9], s[22:23]
.LBB30_157:                             ;   in Loop: Header=BB30_57 Depth=2
	s_or_b64 exec, exec, s[92:93]
	s_and_saveexec_b64 s[22:23], s[90:91]
	s_cbranch_execz .LBB30_178
.LBB30_158:                             ;   in Loop: Header=BB30_57 Depth=2
	v_ashrrev_i32_e32 v7, 31, v8
	v_lshrrev_b32_e32 v7, 26, v7
	v_add_u32_e32 v7, v8, v7
	v_ashrrev_i32_e32 v8, 6, v7
	v_lshlrev_b32_e32 v7, 11, v8
	v_lshlrev_b32_e32 v9, 1, v6
	v_add3_u32 v10, v5, v9, v7
	v_ashrrev_i32_e32 v7, 31, v2
	v_lshrrev_b32_e32 v7, 21, v7
	v_add_u32_e32 v7, v2, v7
	v_ashrrev_i32_e32 v7, 11, v7
	v_sub_u32_e32 v12, v7, v8
	v_ashrrev_i32_e32 v11, 31, v10
	v_lshl_add_u64 v[8:9], v[58:59], 0, v[10:11]
	v_cmp_lt_i32_e32 vcc, 0, v12
	s_mov_b64 s[92:93], 0
                                        ; implicit-def: $vgpr14
                                        ; implicit-def: $vgpr15
                                        ; implicit-def: $vgpr16
                                        ; implicit-def: $vgpr17
                                        ; implicit-def: $vgpr18
                                        ; implicit-def: $vgpr19
                                        ; implicit-def: $vgpr20
                                        ; implicit-def: $vgpr21
                                        ; implicit-def: $vgpr22
                                        ; implicit-def: $vgpr23
                                        ; implicit-def: $vgpr24
                                        ; implicit-def: $vgpr25
                                        ; implicit-def: $vgpr26
                                        ; implicit-def: $vgpr27
                                        ; implicit-def: $vgpr29
                                        ; implicit-def: $vgpr30
	s_and_saveexec_b64 s[90:91], vcc
	s_cbranch_execz .LBB30_166
; %bb.159:                              ;   in Loop: Header=BB30_57 Depth=2
	v_lshl_add_u64 v[10:11], v[10:11], 0, v[118:119]
	s_mov_b64 s[30:31], 0
                                        ; implicit-def: $sgpr94_sgpr95
                                        ; implicit-def: $vgpr14
                                        ; implicit-def: $vgpr15
                                        ; implicit-def: $vgpr16
                                        ; implicit-def: $vgpr17
                                        ; implicit-def: $vgpr18
                                        ; implicit-def: $vgpr19
                                        ; implicit-def: $vgpr20
                                        ; implicit-def: $vgpr21
                                        ; implicit-def: $vgpr22
                                        ; implicit-def: $vgpr23
                                        ; implicit-def: $vgpr24
                                        ; implicit-def: $vgpr25
                                        ; implicit-def: $vgpr26
                                        ; implicit-def: $vgpr27
                                        ; implicit-def: $vgpr29
                                        ; implicit-def: $vgpr30
	s_branch .LBB30_161
.LBB30_160:                             ;   in Loop: Header=BB30_161 Depth=3
	s_or_b64 exec, exec, vcc
	s_waitcnt vmcnt(0) lgkmcnt(0)
	flat_store_short v[8:9], v32 nt
	flat_store_short v[8:9], v33 offset:128 nt
	flat_store_short v[8:9], v34 offset:256 nt
	;; [unrolled: 1-line block ×15, first 2 shown]
	v_lshl_add_u64 v[8:9], v[8:9], 0, v[12:13]
	v_lshl_add_u64 v[10:11], v[10:11], 0, v[12:13]
	v_sub_u32_e32 v12, v64, v65
	v_cmp_gt_i32_e32 vcc, 1, v12
	s_or_b64 s[92:93], vcc, s[92:93]
	s_andn2_b64 s[8:9], s[94:95], exec
	s_and_b64 s[94:95], s[30:31], exec
	v_lshl_add_u64 v[8:9], v[8:9], 0, s[58:59]
	s_or_b64 s[94:95], s[8:9], s[94:95]
	s_andn2_b64 exec, exec, s[92:93]
	s_cbranch_execz .LBB30_165
.LBB30_161:                             ;   Parent Loop BB30_47 Depth=1
                                        ;     Parent Loop BB30_57 Depth=2
                                        ; =>    This Inner Loop Header: Depth=3
	flat_load_ushort v32, v[10:11] nt
	flat_load_ushort v33, v[10:11] offset:128 nt
	flat_load_ushort v34, v[10:11] offset:256 nt
	;; [unrolled: 1-line block ×15, first 2 shown]
	s_and_saveexec_b64 vcc, s[30:31]
	s_cbranch_execz .LBB30_163
; %bb.162:                              ;   in Loop: Header=BB30_161 Depth=3
	flat_store_short v[8:9], v14 nt
	flat_store_short v[8:9], v15 offset:128 nt
	flat_store_short v[8:9], v16 offset:256 nt
	;; [unrolled: 1-line block ×15, first 2 shown]
	v_lshl_add_u64 v[8:9], v[8:9], 0, v[104:105]
.LBB30_163:                             ;   in Loop: Header=BB30_161 Depth=3
	s_or_b64 exec, exec, vcc
	v_sub_u32_e32 v64, v12, v60
	v_lshl_add_u64 v[10:11], v[10:11], 0, v[104:105]
	v_mov_b32_e32 v65, 0
	v_cmp_lt_i32_e64 s[30:31], 0, v64
	v_mov_b64_e32 v[12:13], 0
	s_and_saveexec_b64 vcc, s[30:31]
	s_cbranch_execz .LBB30_160
; %bb.164:                              ;   in Loop: Header=BB30_161 Depth=3
	flat_load_ushort v14, v[10:11] nt
	flat_load_ushort v15, v[10:11] offset:128 nt
	flat_load_ushort v16, v[10:11] offset:256 nt
	;; [unrolled: 1-line block ×15, first 2 shown]
	v_lshl_add_u64 v[10:11], v[10:11], 0, s[58:59]
	v_mov_b32_e32 v65, v60
	v_mov_b64_e32 v[12:13], v[76:77]
	s_branch .LBB30_160
.LBB30_165:                             ;   in Loop: Header=BB30_57 Depth=2
	s_or_b64 exec, exec, s[92:93]
	s_and_b64 s[92:93], s[94:95], exec
.LBB30_166:                             ;   in Loop: Header=BB30_57 Depth=2
	s_or_b64 exec, exec, s[90:91]
	s_and_saveexec_b64 s[90:91], s[92:93]
	s_cbranch_execz .LBB30_168
; %bb.167:                              ;   in Loop: Header=BB30_57 Depth=2
	flat_store_short v[8:9], v14 nt
	flat_store_short v[8:9], v15 offset:128 nt
	flat_store_short v[8:9], v16 offset:256 nt
	;; [unrolled: 1-line block ×15, first 2 shown]
.LBB30_168:                             ;   in Loop: Header=BB30_57 Depth=2
	s_or_b64 exec, exec, s[90:91]
	v_lshlrev_b32_e32 v7, 11, v7
	v_cmp_ne_u32_e32 vcc, v2, v7
	s_and_b64 exec, exec, vcc
	s_cbranch_execz .LBB30_178
; %bb.169:                              ;   in Loop: Header=BB30_57 Depth=2
	v_lshlrev_b32_e32 v8, 6, v12
	v_sub_u32_e32 v6, v6, v8
	v_ashrrev_i32_e32 v8, 31, v6
	v_lshrrev_b32_e32 v8, 26, v8
	v_add_u32_e32 v8, v6, v8
	v_and_b32_e32 v9, 0x7fffffc0, v8
	v_sub_u32_e32 v6, v6, v9
	v_lshlrev_b32_e32 v8, 1, v8
	v_and_b32_e32 v8, 0xffffff80, v8
	v_lshlrev_b32_e32 v6, 1, v6
	v_add3_u32 v7, v8, v6, v7
	v_sub_u32_e32 v6, v2, v7
	v_cmp_lt_i32_e32 vcc, 1, v6
	s_and_b64 exec, exec, vcc
	s_cbranch_execz .LBB30_178
; %bb.170:                              ;   in Loop: Header=BB30_57 Depth=2
	v_add_u32_e32 v10, v7, v5
	v_ashrrev_i32_e32 v11, 31, v10
	v_lshl_add_u64 v[8:9], v[58:59], 0, v[10:11]
	v_lshl_add_u64 v[10:11], v[10:11], 0, v[118:119]
	s_mov_b64 s[94:95], 0
	s_mov_b64 s[90:91], 0
                                        ; implicit-def: $sgpr92_sgpr93
                                        ; implicit-def: $vgpr2
	s_branch .LBB30_172
.LBB30_171:                             ;   in Loop: Header=BB30_172 Depth=3
	s_or_b64 exec, exec, vcc
	v_sub_u32_e32 v6, v6, v7
	v_cmp_gt_i32_e32 vcc, 2, v6
	s_or_b64 s[90:91], vcc, s[90:91]
	s_waitcnt lgkmcnt(0)
	flat_store_short v[8:9], v5 nt
	v_lshl_add_u64 v[8:9], v[8:9], 0, v[12:13]
	s_andn2_b64 s[8:9], s[92:93], exec
	s_and_b64 s[92:93], s[94:95], exec
	v_lshl_add_u64 v[10:11], v[10:11], 0, v[12:13]
	v_lshl_add_u64 v[8:9], v[8:9], 0, s[60:61]
	s_or_b64 s[92:93], s[8:9], s[92:93]
	s_andn2_b64 exec, exec, s[90:91]
	s_cbranch_execz .LBB30_176
.LBB30_172:                             ;   Parent Loop BB30_47 Depth=1
                                        ;     Parent Loop BB30_57 Depth=2
                                        ; =>    This Inner Loop Header: Depth=3
	flat_load_ushort v5, v[10:11] nt
	s_and_saveexec_b64 vcc, s[94:95]
	s_cbranch_execz .LBB30_174
; %bb.173:                              ;   in Loop: Header=BB30_172 Depth=3
	scratch_load_dwordx2 v[12:13], off, s33 offset:256 ; 8-byte Folded Reload
	s_waitcnt vmcnt(0)
	v_lshl_add_u64 v[12:13], v[8:9], 0, v[12:13]
	flat_store_short v[8:9], v2 nt
	v_mov_b64_e32 v[8:9], v[12:13]
.LBB30_174:                             ;   in Loop: Header=BB30_172 Depth=3
	s_or_b64 exec, exec, vcc
	scratch_load_dwordx2 v[12:13], off, s33 offset:256 ; 8-byte Folded Reload
	v_sub_u32_e32 v6, v6, v31
	v_cmp_lt_i32_e64 s[94:95], 1, v6
	v_mov_b32_e32 v7, 0
	s_waitcnt vmcnt(0)
	v_lshl_add_u64 v[10:11], v[10:11], 0, v[12:13]
	v_mov_b64_e32 v[12:13], 0
	s_and_saveexec_b64 vcc, s[94:95]
	s_cbranch_execz .LBB30_171
; %bb.175:                              ;   in Loop: Header=BB30_172 Depth=3
	flat_load_ushort v2, v[10:11] nt
	v_lshl_add_u64 v[10:11], v[10:11], 0, s[60:61]
	v_mov_b32_e32 v7, v31
	v_mov_b64_e32 v[12:13], v[92:93]
	s_branch .LBB30_171
.LBB30_176:                             ;   in Loop: Header=BB30_57 Depth=2
	s_or_b64 exec, exec, s[90:91]
	s_and_b64 exec, exec, s[92:93]
	s_cbranch_execz .LBB30_178
; %bb.177:                              ;   in Loop: Header=BB30_57 Depth=2
	s_waitcnt vmcnt(0)
	flat_store_short v[8:9], v2 nt
.LBB30_178:                             ;   in Loop: Header=BB30_57 Depth=2
	s_or_b64 exec, exec, s[22:23]
	v_cmp_lt_i32_e64 s[22:23], 0, v1
	s_and_saveexec_b64 s[90:91], s[4:5]
	s_cbranch_execz .LBB30_197
.LBB30_179:                             ;   in Loop: Header=BB30_57 Depth=2
	s_and_saveexec_b64 s[8:9], s[44:45]
	s_xor_b64 s[92:93], exec, s[8:9]
	s_cbranch_execz .LBB30_194
; %bb.180:                              ;   in Loop: Header=BB30_57 Depth=2
	s_and_saveexec_b64 s[94:95], s[12:13]
	s_cbranch_execz .LBB30_193
; %bb.181:                              ;   in Loop: Header=BB30_57 Depth=2
	s_mov_b64 s[34:35], exec
	v_mbcnt_lo_u32_b32 v1, s34, 0
	v_mbcnt_hi_u32_b32 v1, s35, v1
	v_cmp_eq_u32_e32 vcc, 0, v1
	s_waitcnt lgkmcnt(0)
	s_and_saveexec_b64 s[30:31], vcc
	s_cbranch_execz .LBB30_183
; %bb.182:                              ;   in Loop: Header=BB30_57 Depth=2
	s_bcnt1_i32_b64 s8, s[34:35]
	s_waitcnt vmcnt(0)
	v_mov_b32_e32 v2, s8
	ds_add_u64 v0, v[2:3]
	s_trap 2
.LBB30_183:                             ;   in Loop: Header=BB30_57 Depth=2
	s_or_b64 exec, exec, s[30:31]
	s_trap 2
	ds_read_b64 v[6:7], v0
	s_waitcnt lgkmcnt(0)
	v_lshl_add_u64 v[46:47], v[46:47], 0, v[60:61]
	v_cmp_lt_u64_e32 vcc, v[6:7], v[46:47]
	s_and_saveexec_b64 s[30:31], vcc
	s_cbranch_execz .LBB30_192
; %bb.184:                              ;   in Loop: Header=BB30_57 Depth=2
	s_mov_b32 s8, 0
	s_mov_b64 s[34:35], 0
                                        ; implicit-def: $sgpr36_sgpr37
                                        ; implicit-def: $sgpr38_sgpr39
	s_branch .LBB30_186
.LBB30_185:                             ;   in Loop: Header=BB30_186 Depth=3
	s_or_b64 exec, exec, s[50:51]
	s_and_b64 vcc, exec, vcc
	s_or_b64 s[34:35], vcc, s[34:35]
	s_andn2_b64 vcc, s[36:37], exec
	s_and_b64 s[36:37], s[38:39], exec
	s_or_b64 s[36:37], vcc, s[36:37]
	s_andn2_b64 exec, exec, s[34:35]
	s_cbranch_execz .LBB30_190
.LBB30_186:                             ;   Parent Loop BB30_47 Depth=1
                                        ;     Parent Loop BB30_57 Depth=2
                                        ; =>    This Inner Loop Header: Depth=3
	s_add_i32 s8, s8, 1
	s_cmpk_lg_i32 s8, 0x2710
	s_cselect_b64 s[48:49], -1, 0
	s_and_b64 vcc, exec, s[48:49]
	s_cbranch_vccz .LBB30_188
; %bb.187:                              ;   in Loop: Header=BB30_186 Depth=3
	s_mov_b64 vcc, -1
	s_or_b64 s[38:39], s[38:39], exec
	s_and_saveexec_b64 s[50:51], s[48:49]
	s_cbranch_execz .LBB30_185
	s_branch .LBB30_189
.LBB30_188:                             ;   in Loop: Header=BB30_186 Depth=3
	s_trap 2
	ds_read_b64 v[6:7], v0
	s_andn2_b64 s[48:49], s[48:49], exec
	s_mov_b32 s8, 0
	s_waitcnt vmcnt(0) lgkmcnt(0)
	flat_load_dword v1, v[6:7] sc0 sc1
	s_waitcnt vmcnt(0) lgkmcnt(0)
	buffer_inv sc0 sc1
	v_cmp_eq_u32_e32 vcc, 0, v1
	s_and_b64 vcc, vcc, exec
	s_or_b64 s[48:49], s[48:49], vcc
	s_mov_b64 vcc, -1
	s_or_b64 s[38:39], s[38:39], exec
	s_and_saveexec_b64 s[50:51], s[48:49]
	s_cbranch_execz .LBB30_185
.LBB30_189:                             ;   in Loop: Header=BB30_186 Depth=3
	s_sleep 1
	s_trap 2
	ds_read_b64 v[6:7], v0
	s_waitcnt lgkmcnt(0)
	s_andn2_b64 s[38:39], s[38:39], exec
	v_cmp_ge_u64_e32 vcc, v[6:7], v[46:47]
	s_orn2_b64 vcc, vcc, exec
	s_branch .LBB30_185
.LBB30_190:                             ;   in Loop: Header=BB30_57 Depth=2
	s_or_b64 exec, exec, s[34:35]
	s_and_saveexec_b64 s[8:9], s[36:37]
	s_xor_b64 s[8:9], exec, s[8:9]
	s_cbranch_execz .LBB30_192
; %bb.191:                              ;   in Loop: Header=BB30_57 Depth=2
	v_mov_b32_e32 v1, 1
	ds_write_b32 v0, v1
	s_trap 2
.LBB30_192:                             ;   in Loop: Header=BB30_57 Depth=2
	s_or_b64 exec, exec, s[30:31]
	;;#ASMSTART
	s_wakeup
	;;#ASMEND
.LBB30_193:                             ;   in Loop: Header=BB30_57 Depth=2
	s_or_b64 exec, exec, s[94:95]
.LBB30_194:                             ;   in Loop: Header=BB30_57 Depth=2
	s_andn2_saveexec_b64 s[92:93], s[92:93]
	s_cbranch_execz .LBB30_196
; %bb.195:                              ;   in Loop: Header=BB30_57 Depth=2
	s_waitcnt lgkmcnt(0)
	s_barrier
.LBB30_196:                             ;   in Loop: Header=BB30_57 Depth=2
	s_or_b64 exec, exec, s[92:93]
.LBB30_197:                             ;   in Loop: Header=BB30_57 Depth=2
	s_or_b64 exec, exec, s[90:91]
	v_and_b32_e32 v1, 16, v110
	s_and_saveexec_b64 s[8:9], s[20:21]
	s_xor_b64 s[90:91], exec, s[8:9]
	s_cbranch_execz .LBB30_202
; %bb.198:                              ;   in Loop: Header=BB30_57 Depth=2
	s_waitcnt vmcnt(0)
	v_and_b32_e32 v2, 16, v110
	v_cmp_ne_u32_e32 vcc, 0, v2
	v_and_b32_e32 v1, 16, v110
	s_and_b64 s[8:9], vcc, s[22:23]
	s_and_saveexec_b64 s[22:23], s[8:9]
	s_cbranch_execz .LBB30_200
; %bb.199:                              ;   in Loop: Header=BB30_57 Depth=2
	v_mov_b32_e32 v1, 1
	buffer_wbl2 sc1
	s_waitcnt lgkmcnt(0)
	buffer_inv sc1
.LBB30_200:                             ;   in Loop: Header=BB30_57 Depth=2
	s_or_b64 exec, exec, s[22:23]
	s_andn2_saveexec_b64 s[22:23], s[90:91]
	s_cbranch_execnz .LBB30_203
.LBB30_201:                             ;   in Loop: Header=BB30_57 Depth=2
	s_or_b64 exec, exec, s[22:23]
	v_cmp_ne_u32_e32 vcc, 0, v1
	s_and_saveexec_b64 s[22:23], vcc
	s_cbranch_execz .LBB30_56
	s_branch .LBB30_221
.LBB30_202:                             ;   in Loop: Header=BB30_57 Depth=2
	s_andn2_saveexec_b64 s[22:23], s[90:91]
	s_cbranch_execz .LBB30_201
.LBB30_203:                             ;   in Loop: Header=BB30_57 Depth=2
	s_and_saveexec_b64 s[8:9], s[44:45]
	s_xor_b64 s[90:91], exec, s[8:9]
	s_cbranch_execz .LBB30_218
; %bb.204:                              ;   in Loop: Header=BB30_57 Depth=2
	s_and_saveexec_b64 s[92:93], s[12:13]
	s_cbranch_execz .LBB30_217
; %bb.205:                              ;   in Loop: Header=BB30_57 Depth=2
	s_mov_b64 s[30:31], exec
	s_waitcnt vmcnt(0)
	v_mbcnt_lo_u32_b32 v2, s30, 0
	v_mbcnt_hi_u32_b32 v2, s31, v2
	v_cmp_eq_u32_e32 vcc, 0, v2
	;;#ASMSTART
	s_waitcnt lgkmcnt(0) vmcnt(0)
	;;#ASMEND
	s_and_saveexec_b64 s[94:95], vcc
	s_cbranch_execz .LBB30_207
; %bb.206:                              ;   in Loop: Header=BB30_57 Depth=2
	s_bcnt1_i32_b64 s8, s[30:31]
	v_mov_b32_e32 v2, s8
	s_waitcnt lgkmcnt(0)
	ds_add_u64 v0, v[2:3]
	s_trap 2
.LBB30_207:                             ;   in Loop: Header=BB30_57 Depth=2
	s_or_b64 exec, exec, s[94:95]
	s_trap 2
	ds_read_b64 v[6:7], v0
	s_waitcnt lgkmcnt(0)
	v_lshl_add_u64 v[46:47], v[46:47], 0, v[60:61]
	v_cmp_lt_u64_e32 vcc, v[6:7], v[46:47]
	s_and_saveexec_b64 s[94:95], vcc
	s_cbranch_execz .LBB30_216
; %bb.208:                              ;   in Loop: Header=BB30_57 Depth=2
	s_mov_b32 s8, 0
	s_mov_b64 s[30:31], 0
                                        ; implicit-def: $sgpr34_sgpr35
                                        ; implicit-def: $sgpr36_sgpr37
	s_branch .LBB30_210
.LBB30_209:                             ;   in Loop: Header=BB30_210 Depth=3
	s_or_b64 exec, exec, s[48:49]
	s_and_b64 vcc, exec, vcc
	s_or_b64 s[30:31], vcc, s[30:31]
	s_andn2_b64 vcc, s[34:35], exec
	s_and_b64 s[34:35], s[36:37], exec
	s_or_b64 s[34:35], vcc, s[34:35]
	s_andn2_b64 exec, exec, s[30:31]
	s_cbranch_execz .LBB30_214
.LBB30_210:                             ;   Parent Loop BB30_47 Depth=1
                                        ;     Parent Loop BB30_57 Depth=2
                                        ; =>    This Inner Loop Header: Depth=3
	s_add_i32 s8, s8, 1
	s_cmpk_lg_i32 s8, 0x2710
	s_cselect_b64 s[38:39], -1, 0
	s_and_b64 vcc, exec, s[38:39]
	s_cbranch_vccz .LBB30_212
; %bb.211:                              ;   in Loop: Header=BB30_210 Depth=3
	s_mov_b64 vcc, -1
	s_or_b64 s[36:37], s[36:37], exec
	s_and_saveexec_b64 s[48:49], s[38:39]
	s_cbranch_execz .LBB30_209
	s_branch .LBB30_213
.LBB30_212:                             ;   in Loop: Header=BB30_210 Depth=3
	s_trap 2
	ds_read_b64 v[6:7], v0
	s_andn2_b64 s[38:39], s[38:39], exec
	s_mov_b32 s8, 0
	s_waitcnt lgkmcnt(0)
	flat_load_dword v2, v[6:7] sc0 sc1
	s_waitcnt vmcnt(0) lgkmcnt(0)
	buffer_inv sc0 sc1
	v_cmp_eq_u32_e32 vcc, 0, v2
	s_and_b64 vcc, vcc, exec
	s_or_b64 s[38:39], s[38:39], vcc
	s_mov_b64 vcc, -1
	s_or_b64 s[36:37], s[36:37], exec
	s_and_saveexec_b64 s[48:49], s[38:39]
	s_cbranch_execz .LBB30_209
.LBB30_213:                             ;   in Loop: Header=BB30_210 Depth=3
	s_sleep 1
	s_trap 2
	ds_read_b64 v[6:7], v0
	s_waitcnt lgkmcnt(0)
	s_andn2_b64 s[36:37], s[36:37], exec
	v_cmp_ge_u64_e32 vcc, v[6:7], v[46:47]
	s_orn2_b64 vcc, vcc, exec
	s_branch .LBB30_209
.LBB30_214:                             ;   in Loop: Header=BB30_57 Depth=2
	s_or_b64 exec, exec, s[30:31]
	s_and_saveexec_b64 s[8:9], s[34:35]
	s_xor_b64 s[8:9], exec, s[8:9]
	s_cbranch_execz .LBB30_216
; %bb.215:                              ;   in Loop: Header=BB30_57 Depth=2
	v_mov_b32_e32 v2, 1
	ds_write_b32 v0, v2
	s_trap 2
.LBB30_216:                             ;   in Loop: Header=BB30_57 Depth=2
	s_or_b64 exec, exec, s[94:95]
	;;#ASMSTART
	s_wakeup
	;;#ASMEND
.LBB30_217:                             ;   in Loop: Header=BB30_57 Depth=2
	s_or_b64 exec, exec, s[92:93]
.LBB30_218:                             ;   in Loop: Header=BB30_57 Depth=2
	s_andn2_saveexec_b64 s[90:91], s[90:91]
	s_cbranch_execz .LBB30_220
; %bb.219:                              ;   in Loop: Header=BB30_57 Depth=2
	;;#ASMSTART
	s_waitcnt lgkmcnt(0) vmcnt(0)
	;;#ASMEND
	s_barrier
.LBB30_220:                             ;   in Loop: Header=BB30_57 Depth=2
	s_or_b64 exec, exec, s[90:91]
	s_or_b64 exec, exec, s[22:23]
	v_cmp_ne_u32_e32 vcc, 0, v1
	s_and_saveexec_b64 s[22:23], vcc
	s_cbranch_execz .LBB30_56
.LBB30_221:                             ;   in Loop: Header=BB30_57 Depth=2
	s_and_saveexec_b64 s[90:91], s[10:11]
	s_cbranch_execz .LBB30_55
; %bb.222:                              ;   in Loop: Header=BB30_57 Depth=2
	scratch_load_dwordx2 v[6:7], off, s33 offset:304 ; 8-byte Folded Reload
	v_mov_b32_e32 v1, 1
	s_waitcnt vmcnt(0)
	flat_store_dword v[6:7], v1 sc0 sc1
	s_branch .LBB30_55
.LBB30_223:                             ;   in Loop: Header=BB30_47 Depth=1
	s_or_b64 exec, exec, s[26:27]
.LBB30_224:                             ;   in Loop: Header=BB30_47 Depth=1
	s_or_b64 exec, exec, s[24:25]
	v_cmp_gt_i32_e32 vcc, 2, v1
	s_and_saveexec_b64 s[24:25], vcc
	s_cbranch_execz .LBB30_296
; %bb.225:                              ;   in Loop: Header=BB30_47 Depth=1
	v_cmp_eq_u32_e64 s[28:29], 0, v1
	s_mov_b64 s[26:27], 0
	s_branch .LBB30_228
.LBB30_226:                             ;   in Loop: Header=BB30_228 Depth=2
	s_or_b64 exec, exec, s[28:29]
	v_lshl_add_u64 v[124:125], v[124:125], 0, 2
	flat_store_dwordx2 v[40:41], v[124:125] sc0 sc1
.LBB30_227:                             ;   in Loop: Header=BB30_228 Depth=2
	s_or_b64 exec, exec, s[22:23]
	v_add_u32_e32 v28, v4, v28
	s_mov_b64 s[28:29], 0
	s_andn2_b64 exec, exec, s[26:27]
	s_cbranch_execz .LBB30_295
.LBB30_228:                             ;   Parent Loop BB30_47 Depth=1
                                        ; =>  This Loop Header: Depth=2
                                        ;       Child Loop BB30_234 Depth 3
                                        ;       Child Loop BB30_258 Depth 3
	;; [unrolled: 1-line block ×3, first 2 shown]
	v_sub_u32_e32 v1, v0, v28
	v_min_i32_e32 v4, v4, v1
	v_and_b32_e32 v1, 8, v110
	v_cmp_ne_u32_e32 vcc, 0, v1
	s_and_saveexec_b64 s[90:91], vcc
	s_cbranch_execz .LBB30_250
; %bb.229:                              ;   in Loop: Header=BB30_228 Depth=2
	s_waitcnt lgkmcnt(0)
	v_lshl_add_u64 v[6:7], v[56:57], 0, 8
	v_lshl_add_u64 v[8:9], v[124:125], 0, 2
	v_cmp_lt_u64_e32 vcc, v[6:7], v[8:9]
	s_and_saveexec_b64 s[92:93], vcc
	s_cbranch_execz .LBB30_241
; %bb.230:                              ;   in Loop: Header=BB30_228 Depth=2
	v_and_b32_e32 v1, 64, v110
	s_mov_b32 s74, 0
	v_cmp_eq_u32_e32 vcc, 0, v1
	s_mov_b64 s[94:95], 0
                                        ; implicit-def: $sgpr30_sgpr31
                                        ; implicit-def: $sgpr34_sgpr35
                                        ; implicit-def: $sgpr36_sgpr37
	s_branch .LBB30_234
.LBB30_231:                             ;   in Loop: Header=BB30_234 Depth=3
	s_waitcnt vmcnt(0) lgkmcnt(0)
	v_lshl_add_u64 v[6:7], v[56:57], 0, 8
	v_cmp_ge_u64_e64 s[22:23], v[6:7], v[8:9]
	s_or_b64 s[50:51], s[50:51], exec
	s_orn2_b64 s[48:49], s[22:23], exec
.LBB30_232:                             ;   in Loop: Header=BB30_234 Depth=3
	s_or_b64 exec, exec, s[54:55]
	s_andn2_b64 s[8:9], s[36:37], exec
	s_and_b64 s[22:23], s[50:51], exec
	s_or_b64 s[36:37], s[8:9], s[22:23]
	s_andn2_b64 s[8:9], s[34:35], exec
	s_and_b64 s[22:23], s[48:49], exec
	s_or_b64 s[34:35], s[8:9], s[22:23]
.LBB30_233:                             ;   in Loop: Header=BB30_234 Depth=3
	s_or_b64 exec, exec, s[38:39]
	s_and_b64 s[8:9], exec, s[34:35]
	s_or_b64 s[94:95], s[8:9], s[94:95]
	s_andn2_b64 s[8:9], s[30:31], exec
	s_and_b64 s[22:23], s[36:37], exec
	s_or_b64 s[30:31], s[8:9], s[22:23]
	s_andn2_b64 exec, exec, s[94:95]
	s_cbranch_execz .LBB30_238
.LBB30_234:                             ;   Parent Loop BB30_47 Depth=1
                                        ;     Parent Loop BB30_228 Depth=2
                                        ; =>    This Inner Loop Header: Depth=3
	s_sleep 1
	s_waitcnt vmcnt(0) lgkmcnt(0)
	flat_load_dwordx2 v[56:57], v[40:41] sc0 sc1
	s_or_b64 s[36:37], s[36:37], exec
	s_or_b64 s[34:35], s[34:35], exec
                                        ; implicit-def: $vgpr1
	s_and_saveexec_b64 s[38:39], vcc
	s_cbranch_execz .LBB30_233
; %bb.235:                              ;   in Loop: Header=BB30_234 Depth=3
	s_cmpk_lt_i32 s74, 0x270f
	s_cselect_b64 s[52:53], -1, 0
	s_cmpk_gt_i32 s74, 0x270e
	s_mov_b64 s[48:49], -1
	s_cbranch_scc0 .LBB30_237
; %bb.236:                              ;   in Loop: Header=BB30_234 Depth=3
	s_trap 2
	ds_read_b64 v[6:7], v0
	s_andn2_b64 s[8:9], s[52:53], exec
	s_mov_b32 s74, 0
	s_mov_b64 s[50:51], 0
	s_waitcnt vmcnt(0) lgkmcnt(0)
	flat_load_dword v1, v[6:7] sc0 sc1
	s_waitcnt vmcnt(0) lgkmcnt(0)
	buffer_inv sc0 sc1
	v_cmp_eq_u32_e64 s[22:23], 0, v1
	s_and_b64 s[22:23], s[22:23], exec
	s_or_b64 s[52:53], s[8:9], s[22:23]
	s_and_saveexec_b64 s[54:55], s[52:53]
	s_cbranch_execz .LBB30_232
	s_branch .LBB30_231
.LBB30_237:                             ;   in Loop: Header=BB30_234 Depth=3
	s_add_i32 s74, s74, 1
	s_mov_b64 s[50:51], -1
                                        ; implicit-def: $vgpr1
	s_and_saveexec_b64 s[54:55], s[52:53]
	s_cbranch_execz .LBB30_232
	s_branch .LBB30_231
.LBB30_238:                             ;   in Loop: Header=BB30_228 Depth=2
	s_or_b64 exec, exec, s[94:95]
	s_xor_b64 s[8:9], s[30:31], -1
	s_and_saveexec_b64 s[22:23], s[8:9]
	s_xor_b64 s[22:23], exec, s[22:23]
	s_cbranch_execz .LBB30_240
; %bb.239:                              ;   in Loop: Header=BB30_228 Depth=2
	v_or_b32_e32 v110, 64, v110
	s_waitcnt lgkmcnt(0)
	ds_write_b32 v0, v1
	s_trap 2
.LBB30_240:                             ;   in Loop: Header=BB30_228 Depth=2
	s_or_b64 exec, exec, s[22:23]
.LBB30_241:                             ;   in Loop: Header=BB30_228 Depth=2
	s_or_b64 exec, exec, s[92:93]
	v_and_b32_e32 v1, 0x100, v110
	v_cmp_ne_u32_e32 vcc, 0, v1
	v_and_b32_e32 v1, 7, v124
	s_mov_b64 s[22:23], -1
	;;#ASMSTART
	s_wakeup
	;;#ASMEND
                                        ; implicit-def: $vgpr10_vgpr11
	s_and_saveexec_b64 s[92:93], vcc
	s_cbranch_execz .LBB30_245
; %bb.242:                              ;   in Loop: Header=BB30_228 Depth=2
	scratch_load_dwordx4 v[10:13], off, s33 offset:288 ; 16-byte Folded Reload
	v_ashrrev_i32_e32 v5, 31, v4
	v_lshlrev_b64 v[6:7], 1, v[4:5]
	s_waitcnt vmcnt(0)
	v_mad_u64_u32 v[12:13], s[8:9], v1, 24, v[10:11]
	flat_load_dword v2, v[12:13]
                                        ; implicit-def: $vgpr10_vgpr11
	s_waitcnt vmcnt(0) lgkmcnt(0)
	v_cmp_ne_u32_e32 vcc, 1, v2
	v_cmp_eq_u32_e64 s[22:23], 1, v2
	flat_store_dwordx2 v[12:13], v[6:7] offset:8
	s_and_saveexec_b64 s[94:95], s[22:23]
	s_cbranch_execz .LBB30_244
; %bb.243:                              ;   in Loop: Header=BB30_228 Depth=2
	flat_load_dword v6, v[12:13] offset:4 sc0 sc1
	s_waitcnt vmcnt(0) lgkmcnt(0)
	v_ashrrev_i32_e32 v7, 31, v6
	v_lshrrev_b64 v[10:11], 1, v[6:7]
.LBB30_244:                             ;   in Loop: Header=BB30_228 Depth=2
	s_or_b64 exec, exec, s[94:95]
	s_orn2_b64 s[22:23], vcc, exec
.LBB30_245:                             ;   in Loop: Header=BB30_228 Depth=2
	s_or_b64 exec, exec, s[92:93]
	s_and_saveexec_b64 s[92:93], s[22:23]
	s_cbranch_execz .LBB30_247
; %bb.246:                              ;   in Loop: Header=BB30_228 Depth=2
	scratch_load_dwordx2 v[6:7], off, s33 offset:316 ; 8-byte Folded Reload
	s_waitcnt vmcnt(0)
	v_mad_i64_i32 v[10:11], s[8:9], v1, v6, 0
.LBB30_247:                             ;   in Loop: Header=BB30_228 Depth=2
	s_or_b64 exec, exec, s[92:93]
	scratch_load_dwordx2 v[6:7], off, s33 offset:280 ; 8-byte Folded Reload
	v_and_b32_e32 v1, 0x2000, v110
	v_cmp_ne_u32_e32 vcc, 0, v1
	s_waitcnt vmcnt(0)
	v_lshl_add_u64 v[6:7], v[10:11], 1, v[6:7]
	ds_write_b64 v0, v[6:7] offset:784
	s_and_saveexec_b64 s[22:23], vcc
	s_cbranch_execz .LBB30_249
; %bb.248:                              ;   in Loop: Header=BB30_228 Depth=2
	ds_read_b64 v[6:7], v0 offset:872
	s_waitcnt lgkmcnt(0)
	v_lshl_add_u64 v[6:7], v[6:7], 0, 1
	ds_write_b64 v0, v[6:7] offset:872
.LBB30_249:                             ;   in Loop: Header=BB30_228 Depth=2
	s_or_b64 exec, exec, s[22:23]
	v_mov_b64_e32 v[124:125], v[8:9]
.LBB30_250:                             ;   in Loop: Header=BB30_228 Depth=2
	s_or_b64 exec, exec, s[90:91]
	s_xor_b64 s[8:9], s[28:29], -1
	s_and_b64 s[8:9], exec, s[8:9]
	s_or_b64 s[26:27], s[8:9], s[26:27]
	s_and_saveexec_b64 s[22:23], s[4:5]
	s_cbranch_execz .LBB30_269
; %bb.251:                              ;   in Loop: Header=BB30_228 Depth=2
	s_and_saveexec_b64 s[8:9], s[44:45]
	s_xor_b64 s[28:29], exec, s[8:9]
	s_cbranch_execz .LBB30_266
; %bb.252:                              ;   in Loop: Header=BB30_228 Depth=2
	s_and_saveexec_b64 s[90:91], s[12:13]
	s_cbranch_execz .LBB30_265
; %bb.253:                              ;   in Loop: Header=BB30_228 Depth=2
	s_mov_b64 s[94:95], exec
	v_mbcnt_lo_u32_b32 v1, s94, 0
	v_mbcnt_hi_u32_b32 v1, s95, v1
	v_cmp_eq_u32_e32 vcc, 0, v1
	s_waitcnt lgkmcnt(0)
	s_and_saveexec_b64 s[92:93], vcc
	s_cbranch_execz .LBB30_255
; %bb.254:                              ;   in Loop: Header=BB30_228 Depth=2
	s_bcnt1_i32_b64 s8, s[94:95]
	s_waitcnt vmcnt(0)
	v_mov_b32_e32 v2, s8
	ds_add_u64 v0, v[2:3]
	s_trap 2
.LBB30_255:                             ;   in Loop: Header=BB30_228 Depth=2
	s_or_b64 exec, exec, s[92:93]
	s_trap 2
	ds_read_b64 v[6:7], v0
	s_waitcnt lgkmcnt(0)
	v_lshl_add_u64 v[46:47], v[46:47], 0, v[60:61]
	v_cmp_lt_u64_e32 vcc, v[6:7], v[46:47]
	s_and_saveexec_b64 s[92:93], vcc
	s_cbranch_execz .LBB30_264
; %bb.256:                              ;   in Loop: Header=BB30_228 Depth=2
	s_mov_b32 s8, 0
	s_mov_b64 s[94:95], 0
                                        ; implicit-def: $sgpr30_sgpr31
                                        ; implicit-def: $sgpr34_sgpr35
	s_branch .LBB30_258
.LBB30_257:                             ;   in Loop: Header=BB30_258 Depth=3
	s_or_b64 exec, exec, s[38:39]
	s_and_b64 s[74:75], exec, vcc
	s_or_b64 s[94:95], s[74:75], s[94:95]
	s_andn2_b64 s[74:75], s[30:31], exec
	s_and_b64 vcc, s[34:35], exec
	s_or_b64 s[30:31], s[74:75], vcc
	s_andn2_b64 exec, exec, s[94:95]
	s_cbranch_execz .LBB30_262
.LBB30_258:                             ;   Parent Loop BB30_47 Depth=1
                                        ;     Parent Loop BB30_228 Depth=2
                                        ; =>    This Inner Loop Header: Depth=3
	s_add_i32 s8, s8, 1
	s_cmpk_lg_i32 s8, 0x2710
	s_cselect_b64 s[36:37], -1, 0
	s_and_b64 vcc, exec, s[36:37]
	s_cbranch_vccz .LBB30_260
; %bb.259:                              ;   in Loop: Header=BB30_258 Depth=3
	s_mov_b64 vcc, -1
	s_or_b64 s[34:35], s[34:35], exec
	s_and_saveexec_b64 s[38:39], s[36:37]
	s_cbranch_execz .LBB30_257
	s_branch .LBB30_261
.LBB30_260:                             ;   in Loop: Header=BB30_258 Depth=3
	s_trap 2
	ds_read_b64 v[6:7], v0
	s_andn2_b64 s[74:75], s[36:37], exec
	s_mov_b32 s8, 0
	s_waitcnt vmcnt(0) lgkmcnt(0)
	flat_load_dword v1, v[6:7] sc0 sc1
	s_waitcnt vmcnt(0) lgkmcnt(0)
	buffer_inv sc0 sc1
	v_cmp_eq_u32_e32 vcc, 0, v1
	s_and_b64 vcc, vcc, exec
	s_or_b64 s[36:37], s[74:75], vcc
	s_mov_b64 vcc, -1
	s_or_b64 s[34:35], s[34:35], exec
	s_and_saveexec_b64 s[38:39], s[36:37]
	s_cbranch_execz .LBB30_257
.LBB30_261:                             ;   in Loop: Header=BB30_258 Depth=3
	s_sleep 1
	s_trap 2
	ds_read_b64 v[6:7], v0
	s_waitcnt lgkmcnt(0)
	s_andn2_b64 s[34:35], s[34:35], exec
	v_cmp_ge_u64_e32 vcc, v[6:7], v[46:47]
	s_orn2_b64 vcc, vcc, exec
	s_branch .LBB30_257
.LBB30_262:                             ;   in Loop: Header=BB30_228 Depth=2
	s_or_b64 exec, exec, s[94:95]
	s_and_saveexec_b64 s[8:9], s[30:31]
	s_xor_b64 s[8:9], exec, s[8:9]
	s_cbranch_execz .LBB30_264
; %bb.263:                              ;   in Loop: Header=BB30_228 Depth=2
	v_mov_b32_e32 v1, 1
	ds_write_b32 v0, v1
	s_trap 2
.LBB30_264:                             ;   in Loop: Header=BB30_228 Depth=2
	s_or_b64 exec, exec, s[92:93]
	;;#ASMSTART
	s_wakeup
	;;#ASMEND
.LBB30_265:                             ;   in Loop: Header=BB30_228 Depth=2
	s_or_b64 exec, exec, s[90:91]
.LBB30_266:                             ;   in Loop: Header=BB30_228 Depth=2
	s_andn2_saveexec_b64 s[28:29], s[28:29]
	s_cbranch_execz .LBB30_268
; %bb.267:                              ;   in Loop: Header=BB30_228 Depth=2
	s_waitcnt lgkmcnt(0)
	s_barrier
.LBB30_268:                             ;   in Loop: Header=BB30_228 Depth=2
	s_or_b64 exec, exec, s[28:29]
.LBB30_269:                             ;   in Loop: Header=BB30_228 Depth=2
	s_or_b64 exec, exec, s[22:23]
	v_and_b32_e32 v1, 16, v110
	s_and_saveexec_b64 s[8:9], s[20:21]
	s_xor_b64 s[22:23], exec, s[8:9]
	s_cbranch_execz .LBB30_274
; %bb.270:                              ;   in Loop: Header=BB30_228 Depth=2
	s_trap 2
	s_waitcnt vmcnt(0)
	ds_read_b32 v2, v0
	v_cmp_lt_i32_e32 vcc, 0, v4
	v_and_b32_e32 v5, 16, v110
	v_and_b32_e32 v1, 16, v110
	s_waitcnt lgkmcnt(0)
	v_readfirstlane_b32 s8, v2
	s_cmp_eq_u32 s8, 0
	s_cselect_b64 s[8:9], -1, 0
	s_and_b64 s[8:9], vcc, s[8:9]
	v_cmp_ne_u32_e32 vcc, 0, v5
	s_and_b64 s[8:9], vcc, s[8:9]
	s_and_saveexec_b64 s[28:29], s[8:9]
	s_cbranch_execz .LBB30_272
; %bb.271:                              ;   in Loop: Header=BB30_228 Depth=2
	v_mov_b32_e32 v1, 1
	buffer_wbl2 sc1
	buffer_inv sc1
.LBB30_272:                             ;   in Loop: Header=BB30_228 Depth=2
	s_or_b64 exec, exec, s[28:29]
	s_andn2_saveexec_b64 s[22:23], s[22:23]
	s_cbranch_execnz .LBB30_275
.LBB30_273:                             ;   in Loop: Header=BB30_228 Depth=2
	s_or_b64 exec, exec, s[22:23]
	v_cmp_ne_u32_e32 vcc, 0, v1
	s_and_saveexec_b64 s[22:23], vcc
	s_cbranch_execz .LBB30_227
	s_branch .LBB30_293
.LBB30_274:                             ;   in Loop: Header=BB30_228 Depth=2
	s_andn2_saveexec_b64 s[22:23], s[22:23]
	s_cbranch_execz .LBB30_273
.LBB30_275:                             ;   in Loop: Header=BB30_228 Depth=2
	s_and_saveexec_b64 s[8:9], s[44:45]
	s_xor_b64 s[28:29], exec, s[8:9]
	s_cbranch_execz .LBB30_290
; %bb.276:                              ;   in Loop: Header=BB30_228 Depth=2
	s_and_saveexec_b64 s[90:91], s[12:13]
	s_cbranch_execz .LBB30_289
; %bb.277:                              ;   in Loop: Header=BB30_228 Depth=2
	s_mov_b64 s[94:95], exec
	s_waitcnt vmcnt(0)
	v_mbcnt_lo_u32_b32 v2, s94, 0
	v_mbcnt_hi_u32_b32 v2, s95, v2
	v_cmp_eq_u32_e32 vcc, 0, v2
	;;#ASMSTART
	s_waitcnt lgkmcnt(0) vmcnt(0)
	;;#ASMEND
	s_and_saveexec_b64 s[92:93], vcc
	s_cbranch_execz .LBB30_279
; %bb.278:                              ;   in Loop: Header=BB30_228 Depth=2
	s_bcnt1_i32_b64 s8, s[94:95]
	v_mov_b32_e32 v2, s8
	s_waitcnt lgkmcnt(0)
	ds_add_u64 v0, v[2:3]
	s_trap 2
.LBB30_279:                             ;   in Loop: Header=BB30_228 Depth=2
	s_or_b64 exec, exec, s[92:93]
	s_trap 2
	ds_read_b64 v[6:7], v0
	s_waitcnt lgkmcnt(0)
	v_lshl_add_u64 v[46:47], v[46:47], 0, v[60:61]
	v_cmp_lt_u64_e32 vcc, v[6:7], v[46:47]
	s_and_saveexec_b64 s[92:93], vcc
	s_cbranch_execz .LBB30_288
; %bb.280:                              ;   in Loop: Header=BB30_228 Depth=2
	s_mov_b32 s8, 0
	s_mov_b64 s[94:95], 0
                                        ; implicit-def: $sgpr30_sgpr31
                                        ; implicit-def: $sgpr34_sgpr35
	s_branch .LBB30_282
.LBB30_281:                             ;   in Loop: Header=BB30_282 Depth=3
	s_or_b64 exec, exec, s[38:39]
	s_and_b64 s[74:75], exec, vcc
	s_or_b64 s[94:95], s[74:75], s[94:95]
	s_andn2_b64 s[74:75], s[30:31], exec
	s_and_b64 vcc, s[34:35], exec
	s_or_b64 s[30:31], s[74:75], vcc
	s_andn2_b64 exec, exec, s[94:95]
	s_cbranch_execz .LBB30_286
.LBB30_282:                             ;   Parent Loop BB30_47 Depth=1
                                        ;     Parent Loop BB30_228 Depth=2
                                        ; =>    This Inner Loop Header: Depth=3
	s_add_i32 s8, s8, 1
	s_cmpk_lg_i32 s8, 0x2710
	s_cselect_b64 s[36:37], -1, 0
	s_and_b64 vcc, exec, s[36:37]
	s_cbranch_vccz .LBB30_284
; %bb.283:                              ;   in Loop: Header=BB30_282 Depth=3
	s_mov_b64 vcc, -1
	s_or_b64 s[34:35], s[34:35], exec
	s_and_saveexec_b64 s[38:39], s[36:37]
	s_cbranch_execz .LBB30_281
	s_branch .LBB30_285
.LBB30_284:                             ;   in Loop: Header=BB30_282 Depth=3
	s_trap 2
	ds_read_b64 v[6:7], v0
	s_andn2_b64 s[74:75], s[36:37], exec
	s_mov_b32 s8, 0
	s_waitcnt lgkmcnt(0)
	flat_load_dword v2, v[6:7] sc0 sc1
	s_waitcnt vmcnt(0) lgkmcnt(0)
	buffer_inv sc0 sc1
	v_cmp_eq_u32_e32 vcc, 0, v2
	s_and_b64 vcc, vcc, exec
	s_or_b64 s[36:37], s[74:75], vcc
	s_mov_b64 vcc, -1
	s_or_b64 s[34:35], s[34:35], exec
	s_and_saveexec_b64 s[38:39], s[36:37]
	s_cbranch_execz .LBB30_281
.LBB30_285:                             ;   in Loop: Header=BB30_282 Depth=3
	s_sleep 1
	s_trap 2
	ds_read_b64 v[6:7], v0
	s_waitcnt lgkmcnt(0)
	s_andn2_b64 s[34:35], s[34:35], exec
	v_cmp_ge_u64_e32 vcc, v[6:7], v[46:47]
	s_orn2_b64 vcc, vcc, exec
	s_branch .LBB30_281
.LBB30_286:                             ;   in Loop: Header=BB30_228 Depth=2
	s_or_b64 exec, exec, s[94:95]
	s_and_saveexec_b64 s[8:9], s[30:31]
	s_xor_b64 s[8:9], exec, s[8:9]
	s_cbranch_execz .LBB30_288
; %bb.287:                              ;   in Loop: Header=BB30_228 Depth=2
	v_mov_b32_e32 v2, 1
	ds_write_b32 v0, v2
	s_trap 2
.LBB30_288:                             ;   in Loop: Header=BB30_228 Depth=2
	s_or_b64 exec, exec, s[92:93]
	;;#ASMSTART
	s_wakeup
	;;#ASMEND
.LBB30_289:                             ;   in Loop: Header=BB30_228 Depth=2
	s_or_b64 exec, exec, s[90:91]
.LBB30_290:                             ;   in Loop: Header=BB30_228 Depth=2
	s_andn2_saveexec_b64 s[28:29], s[28:29]
	s_cbranch_execz .LBB30_292
; %bb.291:                              ;   in Loop: Header=BB30_228 Depth=2
	;;#ASMSTART
	s_waitcnt lgkmcnt(0) vmcnt(0)
	;;#ASMEND
	s_barrier
.LBB30_292:                             ;   in Loop: Header=BB30_228 Depth=2
	s_or_b64 exec, exec, s[28:29]
	s_or_b64 exec, exec, s[22:23]
	v_cmp_ne_u32_e32 vcc, 0, v1
	s_and_saveexec_b64 s[22:23], vcc
	s_cbranch_execz .LBB30_227
.LBB30_293:                             ;   in Loop: Header=BB30_228 Depth=2
	s_and_saveexec_b64 s[28:29], s[10:11]
	s_cbranch_execz .LBB30_226
; %bb.294:                              ;   in Loop: Header=BB30_228 Depth=2
	scratch_load_dwordx2 v[6:7], off, s33 offset:304 ; 8-byte Folded Reload
	v_mov_b32_e32 v1, 1
	s_waitcnt vmcnt(0)
	flat_store_dword v[6:7], v1 sc0 sc1
	s_branch .LBB30_226
.LBB30_295:                             ;   in Loop: Header=BB30_47 Depth=1
	s_or_b64 exec, exec, s[26:27]
.LBB30_296:                             ;   in Loop: Header=BB30_47 Depth=1
	s_or_b64 exec, exec, s[24:25]
	v_cndmask_b32_e64 v0, 0, 1, s[76:77]
	v_cmp_ne_u32_e64 s[22:23], 1, v0
	s_andn2_b64 vcc, exec, s[76:77]
	s_cbranch_vccnz .LBB30_1240
; %bb.297:                              ;   in Loop: Header=BB30_47 Depth=1
	s_mov_b32 s74, 2
	s_branch .LBB30_300
.LBB30_298:                             ;   in Loop: Header=BB30_300 Depth=2
	s_or_b64 exec, exec, s[28:29]
.LBB30_299:                             ;   in Loop: Header=BB30_300 Depth=2
	s_or_b64 exec, exec, s[26:27]
	s_add_i32 s74, s74, 1
	s_cmp_eq_u32 s74, s66
	s_cbranch_scc1 .LBB30_1240
.LBB30_300:                             ;   Parent Loop BB30_47 Depth=1
                                        ; =>  This Loop Header: Depth=2
                                        ;       Child Loop BB30_303 Depth 3
                                        ;         Child Loop BB30_311 Depth 4
                                        ;         Child Loop BB30_339 Depth 4
	;; [unrolled: 1-line block ×5, first 2 shown]
                                        ;           Child Loop BB30_784 Depth 5
                                        ;           Child Loop BB30_821 Depth 5
                                        ;         Child Loop BB30_898 Depth 4
                                        ;         Child Loop BB30_1101 Depth 4
                                        ;           Child Loop BB30_1102 Depth 5
                                        ;           Child Loop BB30_1111 Depth 5
                                        ;         Child Loop BB30_1130 Depth 4
                                        ;         Child Loop BB30_1149 Depth 4
                                        ;       Child Loop BB30_1168 Depth 3
                                        ;         Child Loop BB30_1174 Depth 4
                                        ;         Child Loop BB30_1202 Depth 4
	;; [unrolled: 1-line block ×3, first 2 shown]
	scratch_load_dwordx2 v[4:5], off, s33 offset:388 ; 8-byte Folded Reload
	s_sub_i32 s8, s68, s74
	s_cmp_ge_i32 s8, s66
	s_cselect_b32 s9, s66, 0
	s_sub_i32 s8, s8, s9
	s_ashr_i32 s9, s8, 31
	v_mov_b32_e32 v28, 0
	s_waitcnt vmcnt(0)
	v_mul_lo_u32 v0, v4, s9
	v_mul_lo_u32 v1, v5, s8
	v_mad_u64_u32 v[100:101], s[8:9], v4, s8, 0
	v_add3_u32 v101, v101, v0, v1
	scratch_load_dwordx2 v[0:1], off, s33 offset:380 ; 8-byte Folded Reload
	s_waitcnt vmcnt(0)
	v_sub_co_u32_e32 v0, vcc, v0, v100
	s_nop 1
	v_subb_co_u32_e32 v1, vcc, v1, v101, vcc
	v_cmp_lt_i64_e32 vcc, v[4:5], v[0:1]
	s_nop 1
	v_cndmask_b32_e32 v1, v0, v4, vcc
	v_max_i32_e32 v0, 0, v1
	v_add_u32_e32 v2, 31, v0
	v_ashrrev_i32_e32 v4, 31, v2
	v_lshrrev_b32_e32 v4, 27, v4
	v_add_u32_e32 v2, v2, v4
	v_ashrrev_i32_e32 v2, 5, v2
	v_lshlrev_b32_e32 v2, 4, v2
	v_cmp_lt_i32_e32 vcc, 0, v1
	v_max_i32_e32 v4, s71, v2
	s_and_b64 s[8:9], s[88:89], vcc
	v_mov_b32_e32 v1, 0
	s_and_saveexec_b64 s[90:91], s[8:9]
	s_cbranch_execz .LBB30_1165
; %bb.301:                              ;   in Loop: Header=BB30_300 Depth=2
	s_mov_b32 s75, 1
	s_mov_b64 s[94:95], -1
	v_mov_b32_e32 v28, 0
	s_mov_b64 s[92:93], 0
	scratch_store_dwordx2 off, v[100:101], s33 offset:364 ; 8-byte Folded Spill
	s_branch .LBB30_303
.LBB30_302:                             ;   in Loop: Header=BB30_303 Depth=3
	s_or_b64 exec, exec, s[24:25]
	v_add_u32_e32 v28, v4, v28
	v_cmp_ge_i32_e32 vcc, v28, v0
	s_xor_b64 s[8:9], s[94:95], -1
	s_or_b64 s[8:9], s[8:9], vcc
	s_and_b64 s[8:9], exec, s[8:9]
	s_or_b64 s[92:93], s[8:9], s[92:93]
	s_mov_b64 s[94:95], 0
	v_mov_b32_e32 v1, s75
	s_mov_b32 s75, 2
	s_andn2_b64 exec, exec, s[92:93]
	s_cbranch_execz .LBB30_1164
.LBB30_303:                             ;   Parent Loop BB30_47 Depth=1
                                        ;     Parent Loop BB30_300 Depth=2
                                        ; =>    This Loop Header: Depth=3
                                        ;         Child Loop BB30_311 Depth 4
                                        ;         Child Loop BB30_339 Depth 4
	;; [unrolled: 1-line block ×5, first 2 shown]
                                        ;           Child Loop BB30_784 Depth 5
                                        ;           Child Loop BB30_821 Depth 5
                                        ;         Child Loop BB30_898 Depth 4
                                        ;         Child Loop BB30_1101 Depth 4
                                        ;           Child Loop BB30_1102 Depth 5
                                        ;           Child Loop BB30_1111 Depth 5
                                        ;         Child Loop BB30_1130 Depth 4
                                        ;         Child Loop BB30_1149 Depth 4
	s_and_saveexec_b64 s[24:25], s[0:1]
	s_cbranch_execz .LBB30_305
; %bb.304:                              ;   in Loop: Header=BB30_303 Depth=3
	s_trap 2
	scratch_load_dwordx2 v[8:9], off, s33 offset:340 ; 8-byte Folded Reload
	ds_read_b64 v[6:7], v0
	v_ashrrev_i32_e32 v29, 31, v28
	s_waitcnt vmcnt(0) lgkmcnt(0)
	v_lshl_add_u64 v[6:7], v[8:9], 1, v[6:7]
	v_lshl_add_u64 v[6:7], v[100:101], 1, v[6:7]
	;; [unrolled: 1-line block ×3, first 2 shown]
	ds_write_b64 v0, v[6:7]
	scratch_load_dwordx2 v[6:7], off, s33 offset:348 ; 8-byte Folded Reload
	s_waitcnt vmcnt(0)
	ds_write_b64 v0, v[6:7]
.LBB30_305:                             ;   in Loop: Header=BB30_303 Depth=3
	s_or_b64 exec, exec, s[24:25]
	v_sub_u32_e32 v1, v0, v28
	v_min_i32_e32 v4, v4, v1
	v_and_b32_e32 v1, 12, v110
	v_cmp_ne_u32_e32 vcc, 0, v1
	s_and_saveexec_b64 s[26:27], vcc
	s_cbranch_execz .LBB30_331
; %bb.306:                              ;   in Loop: Header=BB30_303 Depth=3
	v_and_b32_e32 v2, 8, v110
	s_waitcnt lgkmcnt(0)
	v_lshl_add_u64 v[6:7], v[56:57], 0, v[2:3]
	v_lshl_add_u64 v[8:9], v[124:125], 0, 2
	v_cmp_lt_u64_e32 vcc, v[6:7], v[8:9]
	s_and_saveexec_b64 s[28:29], vcc
	s_cbranch_execz .LBB30_318
; %bb.307:                              ;   in Loop: Header=BB30_303 Depth=3
	v_and_b32_e32 v1, 64, v110
	s_mov_b32 s8, 0
	v_cmp_eq_u32_e32 vcc, 0, v1
	s_mov_b64 s[30:31], 0
                                        ; implicit-def: $sgpr34_sgpr35
                                        ; implicit-def: $sgpr36_sgpr37
                                        ; implicit-def: $sgpr38_sgpr39
	s_branch .LBB30_311
.LBB30_308:                             ;   in Loop: Header=BB30_311 Depth=4
	s_waitcnt vmcnt(0) lgkmcnt(0)
	v_lshl_add_u64 v[6:7], v[56:57], 0, v[2:3]
	v_cmp_ge_u64_e64 s[24:25], v[6:7], v[8:9]
	s_or_b64 s[52:53], s[52:53], exec
	s_orn2_b64 s[50:51], s[24:25], exec
.LBB30_309:                             ;   in Loop: Header=BB30_311 Depth=4
	s_or_b64 exec, exec, s[64:65]
	s_andn2_b64 s[24:25], s[38:39], exec
	s_and_b64 s[38:39], s[52:53], exec
	s_or_b64 s[38:39], s[24:25], s[38:39]
	s_andn2_b64 s[24:25], s[36:37], exec
	s_and_b64 s[36:37], s[50:51], exec
	s_or_b64 s[36:37], s[24:25], s[36:37]
.LBB30_310:                             ;   in Loop: Header=BB30_311 Depth=4
	s_or_b64 exec, exec, s[48:49]
	s_and_b64 s[24:25], exec, s[36:37]
	s_or_b64 s[30:31], s[24:25], s[30:31]
	s_andn2_b64 s[24:25], s[34:35], exec
	s_and_b64 s[34:35], s[38:39], exec
	s_or_b64 s[34:35], s[24:25], s[34:35]
	s_andn2_b64 exec, exec, s[30:31]
	s_cbranch_execz .LBB30_315
.LBB30_311:                             ;   Parent Loop BB30_47 Depth=1
                                        ;     Parent Loop BB30_300 Depth=2
                                        ;       Parent Loop BB30_303 Depth=3
                                        ; =>      This Inner Loop Header: Depth=4
	s_sleep 1
	s_waitcnt vmcnt(0) lgkmcnt(0)
	flat_load_dwordx2 v[56:57], v[40:41] sc0 sc1
	s_or_b64 s[38:39], s[38:39], exec
	s_or_b64 s[36:37], s[36:37], exec
                                        ; implicit-def: $vgpr1
	s_and_saveexec_b64 s[48:49], vcc
	s_cbranch_execz .LBB30_310
; %bb.312:                              ;   in Loop: Header=BB30_311 Depth=4
	s_cmpk_lt_i32 s8, 0x270f
	s_cselect_b64 s[54:55], -1, 0
	s_cmpk_gt_i32 s8, 0x270e
	s_mov_b64 s[50:51], -1
	s_cbranch_scc0 .LBB30_314
; %bb.313:                              ;   in Loop: Header=BB30_311 Depth=4
	s_trap 2
	ds_read_b64 v[6:7], v0
	s_andn2_b64 s[54:55], s[54:55], exec
	s_mov_b32 s8, 0
	s_mov_b64 s[52:53], 0
	s_waitcnt vmcnt(0) lgkmcnt(0)
	flat_load_dword v1, v[6:7] sc0 sc1
	s_waitcnt vmcnt(0) lgkmcnt(0)
	buffer_inv sc0 sc1
	v_cmp_eq_u32_e64 s[24:25], 0, v1
	s_and_b64 s[24:25], s[24:25], exec
	s_or_b64 s[54:55], s[54:55], s[24:25]
	s_and_saveexec_b64 s[64:65], s[54:55]
	s_cbranch_execz .LBB30_309
	s_branch .LBB30_308
.LBB30_314:                             ;   in Loop: Header=BB30_311 Depth=4
	s_add_i32 s8, s8, 1
	s_mov_b64 s[52:53], -1
                                        ; implicit-def: $vgpr1
	s_and_saveexec_b64 s[64:65], s[54:55]
	s_cbranch_execz .LBB30_309
	s_branch .LBB30_308
.LBB30_315:                             ;   in Loop: Header=BB30_303 Depth=3
	s_or_b64 exec, exec, s[30:31]
	s_xor_b64 s[8:9], s[34:35], -1
	s_and_saveexec_b64 s[24:25], s[8:9]
	s_xor_b64 s[24:25], exec, s[24:25]
	s_cbranch_execz .LBB30_317
; %bb.316:                              ;   in Loop: Header=BB30_303 Depth=3
	v_or_b32_e32 v110, 64, v110
	s_waitcnt lgkmcnt(0)
	ds_write_b32 v0, v1
	s_trap 2
.LBB30_317:                             ;   in Loop: Header=BB30_303 Depth=3
	s_or_b64 exec, exec, s[24:25]
.LBB30_318:                             ;   in Loop: Header=BB30_303 Depth=3
	s_or_b64 exec, exec, s[28:29]
	v_and_b32_e32 v1, 0x108, v110
	v_cmp_ne_u32_e32 vcc, s42, v1
	;;#ASMSTART
	s_wakeup
	;;#ASMEND
                                        ; implicit-def: $vgpr10_vgpr11
	s_and_saveexec_b64 s[8:9], vcc
	s_xor_b64 s[24:25], exec, s[8:9]
; %bb.319:                              ;   in Loop: Header=BB30_303 Depth=3
	v_and_b32_e32 v10, 7, v124
	v_mov_b32_e32 v11, v3
                                        ; implicit-def: $vgpr124_vgpr125
; %bb.320:                              ;   in Loop: Header=BB30_303 Depth=3
	s_andn2_saveexec_b64 s[24:25], s[24:25]
	s_cbranch_execz .LBB30_322
; %bb.321:                              ;   in Loop: Header=BB30_303 Depth=3
	scratch_load_dwordx4 v[12:15], off, s33 offset:288 ; 16-byte Folded Reload
	v_and_b32_e32 v10, 7, v124
	v_ashrrev_i32_e32 v5, 31, v4
	v_mov_b32_e32 v11, v3
	s_waitcnt vmcnt(0)
	v_mad_u64_u32 v[6:7], s[8:9], v10, 24, v[12:13]
	v_lshlrev_b64 v[12:13], 1, v[4:5]
	flat_store_dwordx2 v[6:7], v[12:13] offset:8
.LBB30_322:                             ;   in Loop: Header=BB30_303 Depth=3
	s_or_b64 exec, exec, s[24:25]
	v_and_b32_e32 v1, 0x100, v110
	v_cmp_ne_u32_e32 vcc, 0, v1
	s_mov_b64 s[24:25], -1
                                        ; implicit-def: $vgpr12_vgpr13
	s_and_saveexec_b64 s[28:29], vcc
	s_cbranch_execz .LBB30_326
; %bb.323:                              ;   in Loop: Header=BB30_303 Depth=3
	scratch_load_dwordx4 v[12:15], off, s33 offset:288 ; 16-byte Folded Reload
	s_waitcnt vmcnt(0)
	v_mad_u64_u32 v[14:15], s[8:9], v10, 24, v[12:13]
	v_mov_b32_e32 v6, v15
	v_mad_u64_u32 v[6:7], s[8:9], v11, 24, v[6:7]
	v_mov_b32_e32 v15, v6
	flat_load_dword v1, v[14:15]
                                        ; implicit-def: $vgpr12_vgpr13
	s_waitcnt vmcnt(0) lgkmcnt(0)
	v_cmp_ne_u32_e32 vcc, 1, v1
	v_cmp_eq_u32_e64 s[24:25], 1, v1
	s_and_saveexec_b64 s[30:31], s[24:25]
	s_cbranch_execz .LBB30_325
; %bb.324:                              ;   in Loop: Header=BB30_303 Depth=3
	flat_load_dword v6, v[14:15] offset:4 sc0 sc1
	s_waitcnt vmcnt(0) lgkmcnt(0)
	v_ashrrev_i32_e32 v7, 31, v6
	v_lshrrev_b64 v[12:13], 1, v[6:7]
.LBB30_325:                             ;   in Loop: Header=BB30_303 Depth=3
	s_or_b64 exec, exec, s[30:31]
	s_orn2_b64 s[24:25], vcc, exec
.LBB30_326:                             ;   in Loop: Header=BB30_303 Depth=3
	s_or_b64 exec, exec, s[28:29]
	s_and_saveexec_b64 s[28:29], s[24:25]
	s_cbranch_execz .LBB30_328
; %bb.327:                              ;   in Loop: Header=BB30_303 Depth=3
	scratch_load_dwordx2 v[6:7], off, s33 offset:316 ; 8-byte Folded Reload
	scratch_load_dwordx2 v[12:13], off, s33 offset:324 ; 8-byte Folded Reload
	s_waitcnt vmcnt(0)
	v_mul_lo_u32 v1, v11, v6
	v_mul_lo_u32 v5, v10, v13
	v_mad_u64_u32 v[12:13], s[8:9], v10, v6, 0
	v_add3_u32 v13, v13, v5, v1
.LBB30_328:                             ;   in Loop: Header=BB30_303 Depth=3
	s_or_b64 exec, exec, s[28:29]
	scratch_load_dwordx2 v[6:7], off, s33 offset:280 ; 8-byte Folded Reload
	v_cmp_eq_u32_e32 vcc, 0, v2
	v_mov_b32_e32 v1, 0xc8
	v_mov_b32_e32 v2, 0x90
	v_cndmask_b32_e32 v1, v1, v2, vcc
	v_add_u32_e32 v1, v0, v1
	s_waitcnt vmcnt(0)
	v_lshl_add_u64 v[6:7], v[12:13], 1, v[6:7]
	ds_write_b64 v1, v[6:7] offset:584
	v_and_b32_e32 v1, 0x2000, v110
	v_cmp_ne_u32_e32 vcc, 0, v1
	s_and_saveexec_b64 s[24:25], vcc
	s_cbranch_execz .LBB30_330
; %bb.329:                              ;   in Loop: Header=BB30_303 Depth=3
	ds_read_b64 v[6:7], v0 offset:872
	s_waitcnt lgkmcnt(0)
	v_lshl_add_u64 v[6:7], v[6:7], 0, 1
	ds_write_b64 v0, v[6:7] offset:872
.LBB30_330:                             ;   in Loop: Header=BB30_303 Depth=3
	s_or_b64 exec, exec, s[24:25]
	v_mov_b64_e32 v[124:125], v[8:9]
.LBB30_331:                             ;   in Loop: Header=BB30_303 Depth=3
	s_or_b64 exec, exec, s[26:27]
	s_and_saveexec_b64 s[24:25], s[4:5]
	s_cbranch_execz .LBB30_350
; %bb.332:                              ;   in Loop: Header=BB30_303 Depth=3
	s_and_saveexec_b64 s[8:9], s[44:45]
	s_xor_b64 s[26:27], exec, s[8:9]
	s_cbranch_execz .LBB30_347
; %bb.333:                              ;   in Loop: Header=BB30_303 Depth=3
	s_and_saveexec_b64 s[28:29], s[12:13]
	s_cbranch_execz .LBB30_346
; %bb.334:                              ;   in Loop: Header=BB30_303 Depth=3
	s_mov_b64 s[34:35], exec
	v_mbcnt_lo_u32_b32 v1, s34, 0
	v_mbcnt_hi_u32_b32 v1, s35, v1
	v_cmp_eq_u32_e32 vcc, 0, v1
	s_waitcnt lgkmcnt(0)
	s_and_saveexec_b64 s[30:31], vcc
	s_cbranch_execz .LBB30_336
; %bb.335:                              ;   in Loop: Header=BB30_303 Depth=3
	s_bcnt1_i32_b64 s8, s[34:35]
	v_mov_b32_e32 v2, s8
	ds_add_u64 v0, v[2:3]
	s_trap 2
.LBB30_336:                             ;   in Loop: Header=BB30_303 Depth=3
	s_or_b64 exec, exec, s[30:31]
	s_trap 2
	ds_read_b64 v[6:7], v0
	s_waitcnt lgkmcnt(0)
	v_lshl_add_u64 v[46:47], v[46:47], 0, v[60:61]
	v_cmp_lt_u64_e32 vcc, v[6:7], v[46:47]
	s_and_saveexec_b64 s[30:31], vcc
	s_cbranch_execz .LBB30_345
; %bb.337:                              ;   in Loop: Header=BB30_303 Depth=3
	s_mov_b32 s8, 0
	s_mov_b64 s[34:35], 0
                                        ; implicit-def: $sgpr36_sgpr37
                                        ; implicit-def: $sgpr38_sgpr39
	s_branch .LBB30_339
.LBB30_338:                             ;   in Loop: Header=BB30_339 Depth=4
	s_or_b64 exec, exec, s[50:51]
	s_and_b64 vcc, exec, vcc
	s_or_b64 s[34:35], vcc, s[34:35]
	s_andn2_b64 vcc, s[36:37], exec
	s_and_b64 s[36:37], s[38:39], exec
	s_or_b64 s[36:37], vcc, s[36:37]
	s_andn2_b64 exec, exec, s[34:35]
	s_cbranch_execz .LBB30_343
.LBB30_339:                             ;   Parent Loop BB30_47 Depth=1
                                        ;     Parent Loop BB30_300 Depth=2
                                        ;       Parent Loop BB30_303 Depth=3
                                        ; =>      This Inner Loop Header: Depth=4
	s_add_i32 s8, s8, 1
	s_cmpk_lg_i32 s8, 0x2710
	s_cselect_b64 s[48:49], -1, 0
	s_and_b64 vcc, exec, s[48:49]
	s_cbranch_vccz .LBB30_341
; %bb.340:                              ;   in Loop: Header=BB30_339 Depth=4
	s_mov_b64 vcc, -1
	s_or_b64 s[38:39], s[38:39], exec
	s_and_saveexec_b64 s[50:51], s[48:49]
	s_cbranch_execz .LBB30_338
	s_branch .LBB30_342
.LBB30_341:                             ;   in Loop: Header=BB30_339 Depth=4
	s_trap 2
	ds_read_b64 v[6:7], v0
	s_andn2_b64 s[48:49], s[48:49], exec
	s_mov_b32 s8, 0
	s_waitcnt vmcnt(0) lgkmcnt(0)
	flat_load_dword v1, v[6:7] sc0 sc1
	s_waitcnt vmcnt(0) lgkmcnt(0)
	buffer_inv sc0 sc1
	v_cmp_eq_u32_e32 vcc, 0, v1
	s_and_b64 vcc, vcc, exec
	s_or_b64 s[48:49], s[48:49], vcc
	s_mov_b64 vcc, -1
	s_or_b64 s[38:39], s[38:39], exec
	s_and_saveexec_b64 s[50:51], s[48:49]
	s_cbranch_execz .LBB30_338
.LBB30_342:                             ;   in Loop: Header=BB30_339 Depth=4
	s_sleep 1
	s_trap 2
	ds_read_b64 v[6:7], v0
	s_waitcnt lgkmcnt(0)
	s_andn2_b64 s[38:39], s[38:39], exec
	v_cmp_ge_u64_e32 vcc, v[6:7], v[46:47]
	s_orn2_b64 vcc, vcc, exec
	s_branch .LBB30_338
.LBB30_343:                             ;   in Loop: Header=BB30_303 Depth=3
	s_or_b64 exec, exec, s[34:35]
	s_and_saveexec_b64 s[8:9], s[36:37]
	s_xor_b64 s[8:9], exec, s[8:9]
	s_cbranch_execz .LBB30_345
; %bb.344:                              ;   in Loop: Header=BB30_303 Depth=3
	v_mov_b32_e32 v1, 1
	ds_write_b32 v0, v1
	s_trap 2
.LBB30_345:                             ;   in Loop: Header=BB30_303 Depth=3
	s_or_b64 exec, exec, s[30:31]
	;;#ASMSTART
	s_wakeup
	;;#ASMEND
.LBB30_346:                             ;   in Loop: Header=BB30_303 Depth=3
	s_or_b64 exec, exec, s[28:29]
.LBB30_347:                             ;   in Loop: Header=BB30_303 Depth=3
	s_andn2_saveexec_b64 s[26:27], s[26:27]
	s_cbranch_execz .LBB30_349
; %bb.348:                              ;   in Loop: Header=BB30_303 Depth=3
	s_waitcnt lgkmcnt(0)
	s_barrier
.LBB30_349:                             ;   in Loop: Header=BB30_303 Depth=3
	s_or_b64 exec, exec, s[26:27]
.LBB30_350:                             ;   in Loop: Header=BB30_303 Depth=3
	s_or_b64 exec, exec, s[24:25]
	s_trap 2
	ds_read_b32 v1, v0
	v_and_b32_e32 v2, 0x4000, v110
	v_cmp_ne_u32_e32 vcc, 0, v2
	s_xor_b64 s[8:9], s[2:3], -1
	s_and_b64 s[8:9], s[8:9], vcc
	s_and_saveexec_b64 s[24:25], s[8:9]
	s_cbranch_execz .LBB30_369
; %bb.351:                              ;   in Loop: Header=BB30_303 Depth=3
	s_and_saveexec_b64 s[8:9], s[44:45]
	s_xor_b64 s[26:27], exec, s[8:9]
	s_cbranch_execz .LBB30_366
; %bb.352:                              ;   in Loop: Header=BB30_303 Depth=3
	s_and_saveexec_b64 s[28:29], s[12:13]
	s_cbranch_execz .LBB30_365
; %bb.353:                              ;   in Loop: Header=BB30_303 Depth=3
	s_mov_b64 s[34:35], exec
	v_mbcnt_lo_u32_b32 v2, s34, 0
	v_mbcnt_hi_u32_b32 v2, s35, v2
	v_cmp_eq_u32_e32 vcc, 0, v2
	s_waitcnt lgkmcnt(0)
	s_and_saveexec_b64 s[30:31], vcc
	s_cbranch_execz .LBB30_355
; %bb.354:                              ;   in Loop: Header=BB30_303 Depth=3
	s_bcnt1_i32_b64 s8, s[34:35]
	v_mov_b32_e32 v2, s8
	ds_add_u64 v0, v[2:3]
	s_trap 2
.LBB30_355:                             ;   in Loop: Header=BB30_303 Depth=3
	s_or_b64 exec, exec, s[30:31]
	s_trap 2
	ds_read_b64 v[6:7], v0
	s_waitcnt lgkmcnt(0)
	v_lshl_add_u64 v[46:47], v[46:47], 0, v[60:61]
	v_cmp_lt_u64_e32 vcc, v[6:7], v[46:47]
	s_and_saveexec_b64 s[30:31], vcc
	s_cbranch_execz .LBB30_364
; %bb.356:                              ;   in Loop: Header=BB30_303 Depth=3
	s_mov_b32 s8, 0
	s_mov_b64 s[34:35], 0
                                        ; implicit-def: $sgpr36_sgpr37
                                        ; implicit-def: $sgpr38_sgpr39
	s_branch .LBB30_358
.LBB30_357:                             ;   in Loop: Header=BB30_358 Depth=4
	s_or_b64 exec, exec, s[50:51]
	s_and_b64 vcc, exec, vcc
	s_or_b64 s[34:35], vcc, s[34:35]
	s_andn2_b64 vcc, s[36:37], exec
	s_and_b64 s[36:37], s[38:39], exec
	s_or_b64 s[36:37], vcc, s[36:37]
	s_andn2_b64 exec, exec, s[34:35]
	s_cbranch_execz .LBB30_362
.LBB30_358:                             ;   Parent Loop BB30_47 Depth=1
                                        ;     Parent Loop BB30_300 Depth=2
                                        ;       Parent Loop BB30_303 Depth=3
                                        ; =>      This Inner Loop Header: Depth=4
	s_add_i32 s8, s8, 1
	s_cmpk_lg_i32 s8, 0x2710
	s_cselect_b64 s[48:49], -1, 0
	s_and_b64 vcc, exec, s[48:49]
	s_cbranch_vccz .LBB30_360
; %bb.359:                              ;   in Loop: Header=BB30_358 Depth=4
	s_mov_b64 vcc, -1
	s_or_b64 s[38:39], s[38:39], exec
	s_and_saveexec_b64 s[50:51], s[48:49]
	s_cbranch_execz .LBB30_357
	s_branch .LBB30_361
.LBB30_360:                             ;   in Loop: Header=BB30_358 Depth=4
	s_trap 2
	ds_read_b64 v[6:7], v0
	s_andn2_b64 s[48:49], s[48:49], exec
	s_mov_b32 s8, 0
	s_waitcnt vmcnt(0) lgkmcnt(0)
	flat_load_dword v2, v[6:7] sc0 sc1
	s_waitcnt vmcnt(0) lgkmcnt(0)
	buffer_inv sc0 sc1
	v_cmp_eq_u32_e32 vcc, 0, v2
	s_and_b64 vcc, vcc, exec
	s_or_b64 s[48:49], s[48:49], vcc
	s_mov_b64 vcc, -1
	s_or_b64 s[38:39], s[38:39], exec
	s_and_saveexec_b64 s[50:51], s[48:49]
	s_cbranch_execz .LBB30_357
.LBB30_361:                             ;   in Loop: Header=BB30_358 Depth=4
	s_sleep 1
	s_trap 2
	ds_read_b64 v[6:7], v0
	s_waitcnt lgkmcnt(0)
	s_andn2_b64 s[38:39], s[38:39], exec
	v_cmp_ge_u64_e32 vcc, v[6:7], v[46:47]
	s_orn2_b64 vcc, vcc, exec
	s_branch .LBB30_357
.LBB30_362:                             ;   in Loop: Header=BB30_303 Depth=3
	s_or_b64 exec, exec, s[34:35]
	s_and_saveexec_b64 s[8:9], s[36:37]
	s_xor_b64 s[8:9], exec, s[8:9]
	s_cbranch_execz .LBB30_364
; %bb.363:                              ;   in Loop: Header=BB30_303 Depth=3
	v_mov_b32_e32 v2, 1
	ds_write_b32 v0, v2
	s_trap 2
.LBB30_364:                             ;   in Loop: Header=BB30_303 Depth=3
	s_or_b64 exec, exec, s[30:31]
	;;#ASMSTART
	s_wakeup
	;;#ASMEND
.LBB30_365:                             ;   in Loop: Header=BB30_303 Depth=3
	s_or_b64 exec, exec, s[28:29]
.LBB30_366:                             ;   in Loop: Header=BB30_303 Depth=3
	s_andn2_saveexec_b64 s[26:27], s[26:27]
	s_cbranch_execz .LBB30_368
; %bb.367:                              ;   in Loop: Header=BB30_303 Depth=3
	s_waitcnt lgkmcnt(0)
	s_barrier
.LBB30_368:                             ;   in Loop: Header=BB30_303 Depth=3
	s_or_b64 exec, exec, s[26:27]
.LBB30_369:                             ;   in Loop: Header=BB30_303 Depth=3
	s_or_b64 exec, exec, s[24:25]
	s_trap 2
	ds_read_b64 v[72:73], v0
	s_waitcnt lgkmcnt(0)
	v_cmp_eq_u64_e32 vcc, 0, v[72:73]
	s_cbranch_vccnz .LBB30_377
; %bb.370:                              ;   in Loop: Header=BB30_303 Depth=3
	s_trap 2
	ds_read_b64 v[120:121], v0
	s_waitcnt lgkmcnt(0)
	v_cmp_eq_u64_e32 vcc, 0, v[120:121]
	s_cbranch_vccnz .LBB30_377
; %bb.371:                              ;   in Loop: Header=BB30_303 Depth=3
	s_trap 2
	ds_read_b64 v[6:7], v0
	s_mov_b64 s[26:27], -1
	s_waitcnt lgkmcnt(0)
	v_readfirstlane_b32 s8, v6
	s_and_saveexec_b64 s[24:25], s[18:19]
	s_cbranch_execz .LBB30_373
; %bb.372:                              ;   in Loop: Header=BB30_303 Depth=3
	ds_read_b32 v2, v0 offset:720
	s_waitcnt lgkmcnt(0)
	v_and_b32_e32 v2, 15, v2
	v_cmp_eq_u32_e32 vcc, 0, v2
	s_orn2_b64 s[26:27], vcc, exec
.LBB30_373:                             ;   in Loop: Header=BB30_303 Depth=3
	s_or_b64 exec, exec, s[24:25]
	s_and_saveexec_b64 s[24:25], s[16:17]
	s_cbranch_execz .LBB30_375
; %bb.374:                              ;   in Loop: Header=BB30_303 Depth=3
	ds_read_b32 v2, v0 offset:784
	s_waitcnt lgkmcnt(0)
	v_and_b32_e32 v2, 15, v2
	v_cmp_eq_u32_e32 vcc, 0, v2
	s_and_b64 s[28:29], s[26:27], vcc
	s_andn2_b64 s[26:27], s[26:27], exec
	s_and_b64 s[28:29], s[28:29], exec
	s_or_b64 s[26:27], s[26:27], s[28:29]
.LBB30_375:                             ;   in Loop: Header=BB30_303 Depth=3
	s_or_b64 exec, exec, s[24:25]
	s_xor_b64 s[26:27], s[26:27], -1
	v_cmp_eq_u32_e64 s[24:25], 0, v1
	v_cndmask_b32_e64 v1, 0, 1, s[26:27]
	s_mov_b64 s[28:29], -1
	v_cmp_ne_u32_e32 vcc, 0, v1
	s_cbranch_vccz .LBB30_382
; %bb.376:                              ;   in Loop: Header=BB30_303 Depth=3
	s_and_b32 s64, s8, 1
	s_mov_b64 s[28:29], 0
	s_mov_b64 s[30:31], -1
	s_branch .LBB30_383
.LBB30_377:                             ;   in Loop: Header=BB30_303 Depth=3
	s_mov_b64 s[24:25], 0
	s_and_saveexec_b64 s[26:27], s[4:5]
	s_cbranch_execnz .LBB30_1123
.LBB30_378:                             ;   in Loop: Header=BB30_303 Depth=3
	s_or_b64 exec, exec, s[26:27]
                                        ; implicit-def: $vgpr1
	s_and_saveexec_b64 s[8:9], s[20:21]
	s_xor_b64 s[26:27], exec, s[8:9]
	s_cbranch_execz .LBB30_1141
.LBB30_379:                             ;   in Loop: Header=BB30_303 Depth=3
	v_and_b32_e32 v2, 16, v110
	v_cmp_ne_u32_e32 vcc, 0, v2
	v_and_b32_e32 v1, 16, v110
	s_and_b64 s[8:9], vcc, s[24:25]
	s_and_saveexec_b64 s[24:25], s[8:9]
	s_cbranch_execz .LBB30_381
; %bb.380:                              ;   in Loop: Header=BB30_303 Depth=3
	v_mov_b32_e32 v1, 1
	buffer_wbl2 sc1
	s_waitcnt vmcnt(0) lgkmcnt(0)
	buffer_inv sc1
.LBB30_381:                             ;   in Loop: Header=BB30_303 Depth=3
	s_or_b64 exec, exec, s[24:25]
	s_andn2_saveexec_b64 s[24:25], s[26:27]
	s_cbranch_execz .LBB30_1160
	s_branch .LBB30_1142
.LBB30_382:                             ;   in Loop: Header=BB30_303 Depth=3
	s_mov_b64 s[30:31], 0
                                        ; implicit-def: $sgpr64
.LBB30_383:                             ;   in Loop: Header=BB30_303 Depth=3
	v_cndmask_b32_e64 v1, 0, v4, s[24:25]
	v_lshlrev_b32_e32 v2, 1, v1
	s_andn2_b64 vcc, exec, s[28:29]
	v_mov_b32_e32 v5, 0
	s_cbranch_vccnz .LBB30_647
; %bb.384:                              ;   in Loop: Header=BB30_303 Depth=3
	scratch_load_dword v6, off, s33 offset:312 ; 4-byte Folded Reload
	v_ashrrev_i32_e32 v5, 31, v2
	v_lshrrev_b32_e32 v5, 20, v5
	v_add_u32_e32 v5, v2, v5
	v_ashrrev_i32_e32 v5, 12, v5
	s_and_b32 s64, s8, 1
	s_mov_b64 s[24:25], 0
                                        ; implicit-def: $vgpr80_vgpr81
                                        ; implicit-def: $vgpr36_vgpr37
                                        ; implicit-def: $vgpr24_vgpr25
                                        ; implicit-def: $vgpr12_vgpr13
                                        ; implicit-def: $vgpr32_vgpr33
                                        ; implicit-def: $vgpr20_vgpr21
                                        ; implicit-def: $vgpr16_vgpr17
                                        ; implicit-def: $vgpr8_vgpr9
	s_waitcnt vmcnt(0)
	v_lshrrev_b32_e32 v6, 6, v6
	v_sub_u32_e32 v29, v5, v6
	scratch_load_dwordx2 v[6:7], off, s33 offset:356 ; 8-byte Folded Reload
	v_cmp_lt_i32_e32 vcc, 0, v29
	s_waitcnt vmcnt(0)
	v_lshl_add_u64 v[116:117], v[120:121], 0, v[6:7]
	s_and_saveexec_b64 s[26:27], vcc
	s_cbranch_execz .LBB30_649
; %bb.385:                              ;   in Loop: Header=BB30_303 Depth=3
	s_trap 2
	scratch_load_dwordx2 v[8:9], off, s33 offset:356 ; 8-byte Folded Reload
	ds_read_b64 v[6:7], v0
	s_and_b32 s8, 0xffff, s64
	s_cmp_eq_u32 s8, 0
	s_mov_b64 s[36:37], 0
	s_mov_b64 s[28:29], 0
	s_cselect_b64 vcc, -1, 0
                                        ; implicit-def: $sgpr34_sgpr35
                                        ; implicit-def: $vgpr80_vgpr81
                                        ; implicit-def: $vgpr36_vgpr37
                                        ; implicit-def: $vgpr24_vgpr25
                                        ; implicit-def: $vgpr12_vgpr13
                                        ; implicit-def: $vgpr32_vgpr33
                                        ; implicit-def: $vgpr20_vgpr21
                                        ; implicit-def: $vgpr16_vgpr17
	s_waitcnt vmcnt(0)
	v_lshl_add_u64 v[58:59], v[72:73], 0, v[8:9]
	s_waitcnt lgkmcnt(0)
	v_lshl_add_u64 v[118:119], v[6:7], 0, v[8:9]
                                        ; implicit-def: $vgpr8_vgpr9
	s_branch .LBB30_387
.LBB30_386:                             ;   in Loop: Header=BB30_387 Depth=4
	s_or_b64 exec, exec, s[38:39]
	v_lshrrev_b32_e32 v55, 16, v68
	v_and_or_b32 v65, v65, s41, v55
	v_lshrrev_b32_e32 v55, 16, v87
	v_and_or_b32 v64, v64, s41, v55
	v_lshrrev_b32_e32 v55, 16, v69
	v_lshrrev_b32_e32 v6, 16, v6
	v_and_or_b32 v66, v66, s41, v55
	v_lshrrev_b32_e32 v55, 16, v70
	v_and_or_b32 v98, v7, s41, v6
	;; [unrolled: 2-line block ×7, first 2 shown]
	v_and_or_b32 v84, v100, s41, v6
	v_lshrrev_b32_e32 v6, 16, v113
	v_and_or_b32 v86, v102, s41, v6
	v_lshrrev_b32_e32 v6, 16, v114
	;; [unrolled: 2-line block ×6, first 2 shown]
	v_and_or_b32 v51, v51, s41, v6
	v_lshl_add_u64 v[6:7], v[58:59], 0, v[88:89]
	v_cndmask_b32_e64 v58, v58, v6, s[36:37]
	v_cndmask_b32_e64 v6, 0, v60, s[36:37]
	v_sub_u32_e32 v29, v29, v6
	v_cmp_gt_i32_e64 s[24:25], 1, v29
	v_mov_b32_e32 v30, 0x1000
	s_or_b64 s[28:29], s[24:25], s[28:29]
	global_store_dwordx4 v[116:117], v[84:87], off
	global_store_dwordx4 v[116:117], v[96:99], off offset:1024
	global_store_dwordx4 v[116:117], v[64:67], off offset:2048
	;; [unrolled: 1-line block ×3, first 2 shown]
	s_andn2_b64 s[8:9], s[34:35], exec
	s_and_b64 s[24:25], s[36:37], exec
	v_lshl_add_u64 v[48:49], v[118:119], 0, v[88:89]
	v_cndmask_b32_e64 v51, 0, v107, s[36:37]
	v_cndmask_b32_e64 v50, v30, v106, s[36:37]
	v_lshl_add_u64 v[116:117], v[116:117], 0, v[50:51]
	v_cndmask_b32_e64 v59, v59, v7, s[36:37]
	v_cndmask_b32_e64 v119, v119, v49, s[36:37]
	v_cndmask_b32_e64 v118, v118, v48, s[36:37]
	s_or_b64 s[34:35], s[8:9], s[24:25]
	s_andn2_b64 exec, exec, s[28:29]
	s_cbranch_execz .LBB30_648
.LBB30_387:                             ;   Parent Loop BB30_47 Depth=1
                                        ;     Parent Loop BB30_300 Depth=2
                                        ;       Parent Loop BB30_303 Depth=3
                                        ; =>      This Inner Loop Header: Depth=4
	global_load_dwordx4 v[100:103], v[58:59], off nt
	global_load_dwordx4 v[84:87], v[58:59], off offset:1024 nt
	global_load_dwordx4 v[64:67], v[58:59], off offset:2048 nt
	;; [unrolled: 1-line block ×3, first 2 shown]
	global_load_dwordx4 v[112:115], v[118:119], off nt
	global_load_dwordx4 v[96:99], v[118:119], off offset:1024 nt
	global_load_dwordx4 v[68:71], v[118:119], off offset:2048 nt
	;; [unrolled: 1-line block ×3, first 2 shown]
	s_and_saveexec_b64 s[38:39], s[36:37]
	s_cbranch_execz .LBB30_517
; %bb.388:                              ;   in Loop: Header=BB30_387 Depth=4
	v_lshlrev_b32_e32 v6, 16, v80
	v_lshlrev_b32_e32 v7, 16, v32
	v_max_f32_e32 v7, v7, v7
	v_max_f32_e32 v6, v6, v6
	v_min_f32_e32 v30, v6, v7
	v_max_f32_e32 v6, v6, v7
	v_cndmask_b32_e32 v6, v6, v30, vcc
	v_and_b32_e32 v7, 0x7f800000, v6
	v_cmp_ne_u32_e64 s[24:25], s43, v7
                                        ; implicit-def: $vgpr75
	s_and_saveexec_b64 s[8:9], s[24:25]
	s_xor_b64 s[24:25], exec, s[8:9]
; %bb.389:                              ;   in Loop: Header=BB30_387 Depth=4
	v_bfe_u32 v7, v6, 16, 1
	v_add3_u32 v75, v6, v7, s40
                                        ; implicit-def: $vgpr6
; %bb.390:                              ;   in Loop: Header=BB30_387 Depth=4
	s_andn2_saveexec_b64 s[36:37], s[24:25]
; %bb.391:                              ;   in Loop: Header=BB30_387 Depth=4
	v_or_b32_e32 v7, 0x10000, v6
	v_cmp_eq_u32_sdwa s[24:25], v6, v3 src0_sel:WORD_0 src1_sel:DWORD
	s_nop 1
	v_cndmask_b32_e64 v75, v7, v6, s[24:25]
; %bb.392:                              ;   in Loop: Header=BB30_387 Depth=4
	s_or_b64 exec, exec, s[36:37]
	v_and_b32_e32 v6, 0xffff0000, v80
	v_and_b32_e32 v7, 0xffff0000, v32
	v_max_f32_e32 v7, v7, v7
	v_max_f32_e32 v6, v6, v6
	v_min_f32_e32 v30, v6, v7
	v_max_f32_e32 v6, v6, v7
	v_cndmask_b32_e32 v6, v6, v30, vcc
	v_and_b32_e32 v7, 0x7f800000, v6
	v_cmp_ne_u32_e64 s[24:25], s43, v7
                                        ; implicit-def: $vgpr80
	s_and_saveexec_b64 s[8:9], s[24:25]
	s_xor_b64 s[24:25], exec, s[8:9]
; %bb.393:                              ;   in Loop: Header=BB30_387 Depth=4
	v_bfe_u32 v7, v6, 16, 1
	v_add3_u32 v80, v6, v7, s40
                                        ; implicit-def: $vgpr6
; %bb.394:                              ;   in Loop: Header=BB30_387 Depth=4
	s_andn2_saveexec_b64 s[36:37], s[24:25]
; %bb.395:                              ;   in Loop: Header=BB30_387 Depth=4
	v_or_b32_e32 v7, 0x10000, v6
	v_cmp_eq_u32_sdwa s[24:25], v6, v3 src0_sel:WORD_0 src1_sel:DWORD
	s_nop 1
	v_cndmask_b32_e64 v80, v7, v6, s[24:25]
; %bb.396:                              ;   in Loop: Header=BB30_387 Depth=4
	s_or_b64 exec, exec, s[36:37]
	v_lshlrev_b32_e32 v6, 16, v81
	v_lshlrev_b32_e32 v7, 16, v33
	v_max_f32_e32 v7, v7, v7
	v_max_f32_e32 v6, v6, v6
	v_min_f32_e32 v30, v6, v7
	v_max_f32_e32 v6, v6, v7
	v_cndmask_b32_e32 v6, v6, v30, vcc
	v_and_b32_e32 v7, 0x7f800000, v6
	v_cmp_ne_u32_e64 s[24:25], s43, v7
                                        ; implicit-def: $vgpr78
	s_and_saveexec_b64 s[8:9], s[24:25]
	s_xor_b64 s[24:25], exec, s[8:9]
; %bb.397:                              ;   in Loop: Header=BB30_387 Depth=4
	v_bfe_u32 v7, v6, 16, 1
	v_add3_u32 v78, v6, v7, s40
                                        ; implicit-def: $vgpr6
; %bb.398:                              ;   in Loop: Header=BB30_387 Depth=4
	s_andn2_saveexec_b64 s[36:37], s[24:25]
; %bb.399:                              ;   in Loop: Header=BB30_387 Depth=4
	v_or_b32_e32 v7, 0x10000, v6
	v_cmp_eq_u32_sdwa s[24:25], v6, v3 src0_sel:WORD_0 src1_sel:DWORD
	s_nop 1
	v_cndmask_b32_e64 v78, v7, v6, s[24:25]
; %bb.400:                              ;   in Loop: Header=BB30_387 Depth=4
	s_or_b64 exec, exec, s[36:37]
	v_and_b32_e32 v6, 0xffff0000, v81
	v_and_b32_e32 v7, 0xffff0000, v33
	v_max_f32_e32 v7, v7, v7
	v_max_f32_e32 v6, v6, v6
	v_min_f32_e32 v30, v6, v7
	v_max_f32_e32 v6, v6, v7
	v_cndmask_b32_e32 v6, v6, v30, vcc
	v_and_b32_e32 v7, 0x7f800000, v6
	v_cmp_ne_u32_e64 s[24:25], s43, v7
                                        ; implicit-def: $vgpr81
	s_and_saveexec_b64 s[8:9], s[24:25]
	s_xor_b64 s[24:25], exec, s[8:9]
; %bb.401:                              ;   in Loop: Header=BB30_387 Depth=4
	v_bfe_u32 v7, v6, 16, 1
	v_add3_u32 v81, v6, v7, s40
                                        ; implicit-def: $vgpr6
; %bb.402:                              ;   in Loop: Header=BB30_387 Depth=4
	s_andn2_saveexec_b64 s[36:37], s[24:25]
; %bb.403:                              ;   in Loop: Header=BB30_387 Depth=4
	v_or_b32_e32 v7, 0x10000, v6
	v_cmp_eq_u32_sdwa s[24:25], v6, v3 src0_sel:WORD_0 src1_sel:DWORD
	s_nop 1
	v_cndmask_b32_e64 v81, v7, v6, s[24:25]
; %bb.404:                              ;   in Loop: Header=BB30_387 Depth=4
	s_or_b64 exec, exec, s[36:37]
	v_lshlrev_b32_e32 v6, 16, v82
	v_lshlrev_b32_e32 v7, 16, v34
	v_max_f32_e32 v7, v7, v7
	v_max_f32_e32 v6, v6, v6
	v_min_f32_e32 v30, v6, v7
	v_max_f32_e32 v6, v6, v7
	v_cndmask_b32_e32 v6, v6, v30, vcc
	v_and_b32_e32 v7, 0x7f800000, v6
	v_cmp_ne_u32_e64 s[24:25], s43, v7
                                        ; implicit-def: $vgpr79
	s_and_saveexec_b64 s[8:9], s[24:25]
	s_xor_b64 s[24:25], exec, s[8:9]
; %bb.405:                              ;   in Loop: Header=BB30_387 Depth=4
	v_bfe_u32 v7, v6, 16, 1
	v_add3_u32 v79, v6, v7, s40
                                        ; implicit-def: $vgpr6
; %bb.406:                              ;   in Loop: Header=BB30_387 Depth=4
	s_andn2_saveexec_b64 s[36:37], s[24:25]
; %bb.407:                              ;   in Loop: Header=BB30_387 Depth=4
	v_or_b32_e32 v7, 0x10000, v6
	v_cmp_eq_u32_sdwa s[24:25], v6, v3 src0_sel:WORD_0 src1_sel:DWORD
	s_nop 1
	v_cndmask_b32_e64 v79, v7, v6, s[24:25]
; %bb.408:                              ;   in Loop: Header=BB30_387 Depth=4
	s_or_b64 exec, exec, s[36:37]
	v_and_b32_e32 v6, 0xffff0000, v82
	v_and_b32_e32 v7, 0xffff0000, v34
	v_max_f32_e32 v7, v7, v7
	v_max_f32_e32 v6, v6, v6
	v_min_f32_e32 v30, v6, v7
	v_max_f32_e32 v6, v6, v7
	v_cndmask_b32_e32 v6, v6, v30, vcc
	v_and_b32_e32 v7, 0x7f800000, v6
	v_cmp_ne_u32_e64 s[24:25], s43, v7
                                        ; implicit-def: $vgpr82
	s_and_saveexec_b64 s[8:9], s[24:25]
	s_xor_b64 s[24:25], exec, s[8:9]
; %bb.409:                              ;   in Loop: Header=BB30_387 Depth=4
	v_bfe_u32 v7, v6, 16, 1
	v_add3_u32 v82, v6, v7, s40
                                        ; implicit-def: $vgpr6
; %bb.410:                              ;   in Loop: Header=BB30_387 Depth=4
	s_andn2_saveexec_b64 s[36:37], s[24:25]
; %bb.411:                              ;   in Loop: Header=BB30_387 Depth=4
	v_or_b32_e32 v7, 0x10000, v6
	v_cmp_eq_u32_sdwa s[24:25], v6, v3 src0_sel:WORD_0 src1_sel:DWORD
	s_nop 1
	v_cndmask_b32_e64 v82, v7, v6, s[24:25]
; %bb.412:                              ;   in Loop: Header=BB30_387 Depth=4
	s_or_b64 exec, exec, s[36:37]
	v_lshlrev_b32_e32 v6, 16, v83
	v_lshlrev_b32_e32 v7, 16, v35
	v_max_f32_e32 v7, v7, v7
	v_max_f32_e32 v6, v6, v6
	v_min_f32_e32 v30, v6, v7
	v_max_f32_e32 v6, v6, v7
	v_cndmask_b32_e32 v6, v6, v30, vcc
	v_and_b32_e32 v7, 0x7f800000, v6
	v_cmp_ne_u32_e64 s[24:25], s43, v7
                                        ; implicit-def: $vgpr74
	s_and_saveexec_b64 s[8:9], s[24:25]
	s_xor_b64 s[24:25], exec, s[8:9]
; %bb.413:                              ;   in Loop: Header=BB30_387 Depth=4
	v_bfe_u32 v7, v6, 16, 1
	v_add3_u32 v74, v6, v7, s40
                                        ; implicit-def: $vgpr6
; %bb.414:                              ;   in Loop: Header=BB30_387 Depth=4
	s_andn2_saveexec_b64 s[36:37], s[24:25]
; %bb.415:                              ;   in Loop: Header=BB30_387 Depth=4
	v_or_b32_e32 v7, 0x10000, v6
	v_cmp_eq_u32_sdwa s[24:25], v6, v3 src0_sel:WORD_0 src1_sel:DWORD
	s_nop 1
	v_cndmask_b32_e64 v74, v7, v6, s[24:25]
; %bb.416:                              ;   in Loop: Header=BB30_387 Depth=4
	s_or_b64 exec, exec, s[36:37]
	v_and_b32_e32 v6, 0xffff0000, v83
	v_and_b32_e32 v7, 0xffff0000, v35
	v_max_f32_e32 v7, v7, v7
	v_max_f32_e32 v6, v6, v6
	v_min_f32_e32 v30, v6, v7
	v_max_f32_e32 v6, v6, v7
	v_cndmask_b32_e32 v6, v6, v30, vcc
	v_and_b32_e32 v7, 0x7f800000, v6
	v_cmp_ne_u32_e64 s[24:25], s43, v7
                                        ; implicit-def: $vgpr83
	s_and_saveexec_b64 s[8:9], s[24:25]
	s_xor_b64 s[24:25], exec, s[8:9]
; %bb.417:                              ;   in Loop: Header=BB30_387 Depth=4
	v_bfe_u32 v7, v6, 16, 1
	v_add3_u32 v83, v6, v7, s40
                                        ; implicit-def: $vgpr6
; %bb.418:                              ;   in Loop: Header=BB30_387 Depth=4
	s_andn2_saveexec_b64 s[36:37], s[24:25]
; %bb.419:                              ;   in Loop: Header=BB30_387 Depth=4
	v_or_b32_e32 v7, 0x10000, v6
	v_cmp_eq_u32_sdwa s[24:25], v6, v3 src0_sel:WORD_0 src1_sel:DWORD
	s_nop 1
	v_cndmask_b32_e64 v83, v7, v6, s[24:25]
; %bb.420:                              ;   in Loop: Header=BB30_387 Depth=4
	s_or_b64 exec, exec, s[36:37]
	v_lshlrev_b32_e32 v6, 16, v36
	v_lshlrev_b32_e32 v7, 16, v20
	v_max_f32_e32 v7, v7, v7
	v_max_f32_e32 v6, v6, v6
	v_min_f32_e32 v30, v6, v7
	v_max_f32_e32 v6, v6, v7
	v_cndmask_b32_e32 v6, v6, v30, vcc
	v_and_b32_e32 v7, 0x7f800000, v6
	v_cmp_ne_u32_e64 s[24:25], s43, v7
                                        ; implicit-def: $vgpr44
	s_and_saveexec_b64 s[8:9], s[24:25]
	s_xor_b64 s[24:25], exec, s[8:9]
; %bb.421:                              ;   in Loop: Header=BB30_387 Depth=4
	v_bfe_u32 v7, v6, 16, 1
	v_add3_u32 v44, v6, v7, s40
                                        ; implicit-def: $vgpr6
; %bb.422:                              ;   in Loop: Header=BB30_387 Depth=4
	s_andn2_saveexec_b64 s[36:37], s[24:25]
; %bb.423:                              ;   in Loop: Header=BB30_387 Depth=4
	v_or_b32_e32 v7, 0x10000, v6
	v_cmp_eq_u32_sdwa s[24:25], v6, v3 src0_sel:WORD_0 src1_sel:DWORD
	s_nop 1
	v_cndmask_b32_e64 v44, v7, v6, s[24:25]
; %bb.424:                              ;   in Loop: Header=BB30_387 Depth=4
	s_or_b64 exec, exec, s[36:37]
	v_and_b32_e32 v6, 0xffff0000, v36
	v_and_b32_e32 v7, 0xffff0000, v20
	v_max_f32_e32 v7, v7, v7
	v_max_f32_e32 v6, v6, v6
	v_min_f32_e32 v30, v6, v7
	v_max_f32_e32 v6, v6, v7
	v_cndmask_b32_e32 v6, v6, v30, vcc
	v_and_b32_e32 v7, 0x7f800000, v6
	v_cmp_ne_u32_e64 s[24:25], s43, v7
                                        ; implicit-def: $vgpr36
	s_and_saveexec_b64 s[8:9], s[24:25]
	s_xor_b64 s[24:25], exec, s[8:9]
; %bb.425:                              ;   in Loop: Header=BB30_387 Depth=4
	v_bfe_u32 v7, v6, 16, 1
	v_add3_u32 v36, v6, v7, s40
                                        ; implicit-def: $vgpr6
; %bb.426:                              ;   in Loop: Header=BB30_387 Depth=4
	s_andn2_saveexec_b64 s[36:37], s[24:25]
; %bb.427:                              ;   in Loop: Header=BB30_387 Depth=4
	v_or_b32_e32 v7, 0x10000, v6
	v_cmp_eq_u32_sdwa s[24:25], v6, v3 src0_sel:WORD_0 src1_sel:DWORD
	s_nop 1
	v_cndmask_b32_e64 v36, v7, v6, s[24:25]
; %bb.428:                              ;   in Loop: Header=BB30_387 Depth=4
	s_or_b64 exec, exec, s[36:37]
	v_lshlrev_b32_e32 v6, 16, v37
	v_lshlrev_b32_e32 v7, 16, v21
	v_max_f32_e32 v7, v7, v7
	v_max_f32_e32 v6, v6, v6
	v_min_f32_e32 v30, v6, v7
	v_max_f32_e32 v6, v6, v7
	v_cndmask_b32_e32 v6, v6, v30, vcc
	v_and_b32_e32 v7, 0x7f800000, v6
	v_cmp_ne_u32_e64 s[24:25], s43, v7
                                        ; implicit-def: $vgpr45
	s_and_saveexec_b64 s[8:9], s[24:25]
	s_xor_b64 s[24:25], exec, s[8:9]
; %bb.429:                              ;   in Loop: Header=BB30_387 Depth=4
	v_bfe_u32 v7, v6, 16, 1
	v_add3_u32 v45, v6, v7, s40
                                        ; implicit-def: $vgpr6
; %bb.430:                              ;   in Loop: Header=BB30_387 Depth=4
	s_andn2_saveexec_b64 s[36:37], s[24:25]
; %bb.431:                              ;   in Loop: Header=BB30_387 Depth=4
	v_or_b32_e32 v7, 0x10000, v6
	v_cmp_eq_u32_sdwa s[24:25], v6, v3 src0_sel:WORD_0 src1_sel:DWORD
	s_nop 1
	v_cndmask_b32_e64 v45, v7, v6, s[24:25]
; %bb.432:                              ;   in Loop: Header=BB30_387 Depth=4
	s_or_b64 exec, exec, s[36:37]
	v_and_b32_e32 v6, 0xffff0000, v37
	v_and_b32_e32 v7, 0xffff0000, v21
	v_max_f32_e32 v7, v7, v7
	v_max_f32_e32 v6, v6, v6
	v_min_f32_e32 v30, v6, v7
	v_max_f32_e32 v6, v6, v7
	v_cndmask_b32_e32 v6, v6, v30, vcc
	v_and_b32_e32 v7, 0x7f800000, v6
	v_cmp_ne_u32_e64 s[24:25], s43, v7
                                        ; implicit-def: $vgpr37
	s_and_saveexec_b64 s[8:9], s[24:25]
	s_xor_b64 s[24:25], exec, s[8:9]
; %bb.433:                              ;   in Loop: Header=BB30_387 Depth=4
	v_bfe_u32 v7, v6, 16, 1
	v_add3_u32 v37, v6, v7, s40
                                        ; implicit-def: $vgpr6
; %bb.434:                              ;   in Loop: Header=BB30_387 Depth=4
	s_andn2_saveexec_b64 s[36:37], s[24:25]
; %bb.435:                              ;   in Loop: Header=BB30_387 Depth=4
	v_or_b32_e32 v7, 0x10000, v6
	v_cmp_eq_u32_sdwa s[24:25], v6, v3 src0_sel:WORD_0 src1_sel:DWORD
	s_nop 1
	v_cndmask_b32_e64 v37, v7, v6, s[24:25]
; %bb.436:                              ;   in Loop: Header=BB30_387 Depth=4
	s_or_b64 exec, exec, s[36:37]
	v_lshlrev_b32_e32 v6, 16, v38
	v_lshlrev_b32_e32 v7, 16, v22
	v_max_f32_e32 v7, v7, v7
	v_max_f32_e32 v6, v6, v6
	v_min_f32_e32 v30, v6, v7
	v_max_f32_e32 v6, v6, v7
	v_cndmask_b32_e32 v7, v6, v30, vcc
	v_and_b32_e32 v6, 0x7f800000, v7
	v_cmp_ne_u32_e64 s[24:25], s43, v6
                                        ; implicit-def: $vgpr6
	s_and_saveexec_b64 s[8:9], s[24:25]
	s_xor_b64 s[24:25], exec, s[8:9]
; %bb.437:                              ;   in Loop: Header=BB30_387 Depth=4
	v_bfe_u32 v6, v7, 16, 1
	v_add3_u32 v6, v7, v6, s40
                                        ; implicit-def: $vgpr7
; %bb.438:                              ;   in Loop: Header=BB30_387 Depth=4
	s_andn2_saveexec_b64 s[36:37], s[24:25]
; %bb.439:                              ;   in Loop: Header=BB30_387 Depth=4
	v_or_b32_e32 v6, 0x10000, v7
	v_cmp_eq_u32_sdwa s[24:25], v7, v3 src0_sel:WORD_0 src1_sel:DWORD
	s_nop 1
	v_cndmask_b32_e64 v6, v6, v7, s[24:25]
; %bb.440:                              ;   in Loop: Header=BB30_387 Depth=4
	s_or_b64 exec, exec, s[36:37]
	v_and_b32_e32 v7, 0xffff0000, v38
	v_and_b32_e32 v30, 0xffff0000, v22
	v_max_f32_e32 v30, v30, v30
	v_max_f32_e32 v7, v7, v7
	v_min_f32_e32 v38, v7, v30
	v_max_f32_e32 v7, v7, v30
	v_cndmask_b32_e32 v30, v7, v38, vcc
	v_and_b32_e32 v7, 0x7f800000, v30
	v_cmp_ne_u32_e64 s[24:25], s43, v7
                                        ; implicit-def: $vgpr7
	s_and_saveexec_b64 s[8:9], s[24:25]
	s_xor_b64 s[24:25], exec, s[8:9]
; %bb.441:                              ;   in Loop: Header=BB30_387 Depth=4
	v_bfe_u32 v7, v30, 16, 1
	v_add3_u32 v7, v30, v7, s40
                                        ; implicit-def: $vgpr30
; %bb.442:                              ;   in Loop: Header=BB30_387 Depth=4
	s_andn2_saveexec_b64 s[36:37], s[24:25]
; %bb.443:                              ;   in Loop: Header=BB30_387 Depth=4
	v_or_b32_e32 v7, 0x10000, v30
	v_cmp_eq_u32_sdwa s[24:25], v30, v3 src0_sel:WORD_0 src1_sel:DWORD
	s_nop 1
	v_cndmask_b32_e64 v7, v7, v30, s[24:25]
; %bb.444:                              ;   in Loop: Header=BB30_387 Depth=4
	s_or_b64 exec, exec, s[36:37]
	v_lshlrev_b32_e32 v30, 16, v39
	v_lshlrev_b32_e32 v38, 16, v23
	v_max_f32_e32 v38, v38, v38
	v_max_f32_e32 v30, v30, v30
	v_min_f32_e32 v42, v30, v38
	v_max_f32_e32 v30, v30, v38
	v_cndmask_b32_e32 v38, v30, v42, vcc
	v_and_b32_e32 v30, 0x7f800000, v38
	v_cmp_ne_u32_e64 s[24:25], s43, v30
                                        ; implicit-def: $vgpr30
	s_and_saveexec_b64 s[8:9], s[24:25]
	s_xor_b64 s[24:25], exec, s[8:9]
; %bb.445:                              ;   in Loop: Header=BB30_387 Depth=4
	v_bfe_u32 v30, v38, 16, 1
	v_add3_u32 v30, v38, v30, s40
                                        ; implicit-def: $vgpr38
; %bb.446:                              ;   in Loop: Header=BB30_387 Depth=4
	s_andn2_saveexec_b64 s[36:37], s[24:25]
; %bb.447:                              ;   in Loop: Header=BB30_387 Depth=4
	v_or_b32_e32 v30, 0x10000, v38
	v_cmp_eq_u32_sdwa s[24:25], v38, v3 src0_sel:WORD_0 src1_sel:DWORD
	s_nop 1
	v_cndmask_b32_e64 v30, v30, v38, s[24:25]
; %bb.448:                              ;   in Loop: Header=BB30_387 Depth=4
	s_or_b64 exec, exec, s[36:37]
	v_and_b32_e32 v38, 0xffff0000, v39
	v_and_b32_e32 v39, 0xffff0000, v23
	v_max_f32_e32 v39, v39, v39
	v_max_f32_e32 v38, v38, v38
	v_min_f32_e32 v42, v38, v39
	v_max_f32_e32 v38, v38, v39
	v_cndmask_b32_e32 v38, v38, v42, vcc
	v_and_b32_e32 v39, 0x7f800000, v38
	v_cmp_ne_u32_e64 s[24:25], s43, v39
                                        ; implicit-def: $vgpr39
	s_and_saveexec_b64 s[8:9], s[24:25]
	s_xor_b64 s[24:25], exec, s[8:9]
; %bb.449:                              ;   in Loop: Header=BB30_387 Depth=4
	v_bfe_u32 v39, v38, 16, 1
	v_add3_u32 v39, v38, v39, s40
                                        ; implicit-def: $vgpr38
; %bb.450:                              ;   in Loop: Header=BB30_387 Depth=4
	s_andn2_saveexec_b64 s[36:37], s[24:25]
; %bb.451:                              ;   in Loop: Header=BB30_387 Depth=4
	v_or_b32_e32 v39, 0x10000, v38
	v_cmp_eq_u32_sdwa s[24:25], v38, v3 src0_sel:WORD_0 src1_sel:DWORD
	s_nop 1
	v_cndmask_b32_e64 v39, v39, v38, s[24:25]
; %bb.452:                              ;   in Loop: Header=BB30_387 Depth=4
	s_or_b64 exec, exec, s[36:37]
	v_lshlrev_b32_e32 v38, 16, v24
	v_lshlrev_b32_e32 v42, 16, v16
	v_max_f32_e32 v42, v42, v42
	v_max_f32_e32 v38, v38, v38
	v_min_f32_e32 v43, v38, v42
	v_max_f32_e32 v38, v38, v42
	v_cndmask_b32_e32 v42, v38, v43, vcc
	v_and_b32_e32 v38, 0x7f800000, v42
	v_cmp_ne_u32_e64 s[24:25], s43, v38
                                        ; implicit-def: $vgpr38
	s_and_saveexec_b64 s[8:9], s[24:25]
	s_xor_b64 s[24:25], exec, s[8:9]
; %bb.453:                              ;   in Loop: Header=BB30_387 Depth=4
	v_bfe_u32 v38, v42, 16, 1
	v_add3_u32 v38, v42, v38, s40
                                        ; implicit-def: $vgpr42
; %bb.454:                              ;   in Loop: Header=BB30_387 Depth=4
	s_andn2_saveexec_b64 s[36:37], s[24:25]
; %bb.455:                              ;   in Loop: Header=BB30_387 Depth=4
	v_or_b32_e32 v38, 0x10000, v42
	v_cmp_eq_u32_sdwa s[24:25], v42, v3 src0_sel:WORD_0 src1_sel:DWORD
	s_nop 1
	v_cndmask_b32_e64 v38, v38, v42, s[24:25]
; %bb.456:                              ;   in Loop: Header=BB30_387 Depth=4
	s_or_b64 exec, exec, s[36:37]
	v_and_b32_e32 v24, 0xffff0000, v24
	v_and_b32_e32 v42, 0xffff0000, v16
	v_max_f32_e32 v42, v42, v42
	v_max_f32_e32 v24, v24, v24
	v_min_f32_e32 v43, v24, v42
	v_max_f32_e32 v24, v24, v42
	v_cndmask_b32_e32 v42, v24, v43, vcc
	v_and_b32_e32 v24, 0x7f800000, v42
	v_cmp_ne_u32_e64 s[24:25], s43, v24
                                        ; implicit-def: $vgpr24
	s_and_saveexec_b64 s[8:9], s[24:25]
	s_xor_b64 s[24:25], exec, s[8:9]
; %bb.457:                              ;   in Loop: Header=BB30_387 Depth=4
	v_bfe_u32 v24, v42, 16, 1
	v_add3_u32 v24, v42, v24, s40
                                        ; implicit-def: $vgpr42
; %bb.458:                              ;   in Loop: Header=BB30_387 Depth=4
	s_andn2_saveexec_b64 s[36:37], s[24:25]
; %bb.459:                              ;   in Loop: Header=BB30_387 Depth=4
	v_or_b32_e32 v24, 0x10000, v42
	v_cmp_eq_u32_sdwa s[24:25], v42, v3 src0_sel:WORD_0 src1_sel:DWORD
	s_nop 1
	v_cndmask_b32_e64 v24, v24, v42, s[24:25]
; %bb.460:                              ;   in Loop: Header=BB30_387 Depth=4
	s_or_b64 exec, exec, s[36:37]
	v_lshlrev_b32_e32 v42, 16, v25
	v_lshlrev_b32_e32 v43, 16, v17
	v_max_f32_e32 v43, v43, v43
	v_max_f32_e32 v42, v42, v42
	v_min_f32_e32 v94, v42, v43
	v_max_f32_e32 v42, v42, v43
	v_cndmask_b32_e32 v43, v42, v94, vcc
	v_and_b32_e32 v42, 0x7f800000, v43
	v_cmp_ne_u32_e64 s[24:25], s43, v42
                                        ; implicit-def: $vgpr42
	s_and_saveexec_b64 s[8:9], s[24:25]
	s_xor_b64 s[24:25], exec, s[8:9]
; %bb.461:                              ;   in Loop: Header=BB30_387 Depth=4
	v_bfe_u32 v42, v43, 16, 1
	v_add3_u32 v42, v43, v42, s40
                                        ; implicit-def: $vgpr43
; %bb.462:                              ;   in Loop: Header=BB30_387 Depth=4
	s_andn2_saveexec_b64 s[36:37], s[24:25]
; %bb.463:                              ;   in Loop: Header=BB30_387 Depth=4
	v_or_b32_e32 v42, 0x10000, v43
	v_cmp_eq_u32_sdwa s[24:25], v43, v3 src0_sel:WORD_0 src1_sel:DWORD
	s_nop 1
	v_cndmask_b32_e64 v42, v42, v43, s[24:25]
; %bb.464:                              ;   in Loop: Header=BB30_387 Depth=4
	s_or_b64 exec, exec, s[36:37]
	v_and_b32_e32 v25, 0xffff0000, v25
	v_and_b32_e32 v43, 0xffff0000, v17
	v_max_f32_e32 v43, v43, v43
	v_max_f32_e32 v25, v25, v25
	v_min_f32_e32 v94, v25, v43
	v_max_f32_e32 v25, v25, v43
	v_cndmask_b32_e32 v43, v25, v94, vcc
	v_and_b32_e32 v25, 0x7f800000, v43
	v_cmp_ne_u32_e64 s[24:25], s43, v25
                                        ; implicit-def: $vgpr25
	s_and_saveexec_b64 s[8:9], s[24:25]
	s_xor_b64 s[24:25], exec, s[8:9]
; %bb.465:                              ;   in Loop: Header=BB30_387 Depth=4
	v_bfe_u32 v25, v43, 16, 1
	v_add3_u32 v25, v43, v25, s40
                                        ; implicit-def: $vgpr43
; %bb.466:                              ;   in Loop: Header=BB30_387 Depth=4
	s_andn2_saveexec_b64 s[36:37], s[24:25]
; %bb.467:                              ;   in Loop: Header=BB30_387 Depth=4
	v_or_b32_e32 v25, 0x10000, v43
	v_cmp_eq_u32_sdwa s[24:25], v43, v3 src0_sel:WORD_0 src1_sel:DWORD
	s_nop 1
	v_cndmask_b32_e64 v25, v25, v43, s[24:25]
; %bb.468:                              ;   in Loop: Header=BB30_387 Depth=4
	s_or_b64 exec, exec, s[36:37]
	v_lshlrev_b32_e32 v43, 16, v26
	v_lshlrev_b32_e32 v94, 16, v18
	v_max_f32_e32 v94, v94, v94
	v_max_f32_e32 v43, v43, v43
	v_min_f32_e32 v95, v43, v94
	v_max_f32_e32 v43, v43, v94
	v_cndmask_b32_e32 v94, v43, v95, vcc
	v_and_b32_e32 v43, 0x7f800000, v94
	v_cmp_ne_u32_e64 s[24:25], s43, v43
                                        ; implicit-def: $vgpr43
	s_and_saveexec_b64 s[8:9], s[24:25]
	s_xor_b64 s[24:25], exec, s[8:9]
; %bb.469:                              ;   in Loop: Header=BB30_387 Depth=4
	v_bfe_u32 v43, v94, 16, 1
	v_add3_u32 v43, v94, v43, s40
                                        ; implicit-def: $vgpr94
; %bb.470:                              ;   in Loop: Header=BB30_387 Depth=4
	s_andn2_saveexec_b64 s[36:37], s[24:25]
; %bb.471:                              ;   in Loop: Header=BB30_387 Depth=4
	v_or_b32_e32 v43, 0x10000, v94
	v_cmp_eq_u32_sdwa s[24:25], v94, v3 src0_sel:WORD_0 src1_sel:DWORD
	s_nop 1
	v_cndmask_b32_e64 v43, v43, v94, s[24:25]
; %bb.472:                              ;   in Loop: Header=BB30_387 Depth=4
	s_or_b64 exec, exec, s[36:37]
	v_and_b32_e32 v26, 0xffff0000, v26
	v_and_b32_e32 v94, 0xffff0000, v18
	v_max_f32_e32 v94, v94, v94
	v_max_f32_e32 v26, v26, v26
	v_min_f32_e32 v95, v26, v94
	v_max_f32_e32 v26, v26, v94
	v_cndmask_b32_e32 v94, v26, v95, vcc
	v_and_b32_e32 v26, 0x7f800000, v94
	v_cmp_ne_u32_e64 s[24:25], s43, v26
                                        ; implicit-def: $vgpr26
	s_and_saveexec_b64 s[8:9], s[24:25]
	s_xor_b64 s[24:25], exec, s[8:9]
; %bb.473:                              ;   in Loop: Header=BB30_387 Depth=4
	v_bfe_u32 v26, v94, 16, 1
	v_add3_u32 v26, v94, v26, s40
                                        ; implicit-def: $vgpr94
; %bb.474:                              ;   in Loop: Header=BB30_387 Depth=4
	s_andn2_saveexec_b64 s[36:37], s[24:25]
; %bb.475:                              ;   in Loop: Header=BB30_387 Depth=4
	v_or_b32_e32 v26, 0x10000, v94
	v_cmp_eq_u32_sdwa s[24:25], v94, v3 src0_sel:WORD_0 src1_sel:DWORD
	s_nop 1
	v_cndmask_b32_e64 v26, v26, v94, s[24:25]
; %bb.476:                              ;   in Loop: Header=BB30_387 Depth=4
	s_or_b64 exec, exec, s[36:37]
	v_lshlrev_b32_e32 v94, 16, v27
	v_lshlrev_b32_e32 v95, 16, v19
	v_max_f32_e32 v95, v95, v95
	v_max_f32_e32 v94, v94, v94
	v_min_f32_e32 v108, v94, v95
	v_max_f32_e32 v94, v94, v95
	v_cndmask_b32_e32 v94, v94, v108, vcc
	v_and_b32_e32 v95, 0x7f800000, v94
	v_cmp_ne_u32_e64 s[24:25], s43, v95
                                        ; implicit-def: $vgpr122
	s_and_saveexec_b64 s[8:9], s[24:25]
	s_xor_b64 s[24:25], exec, s[8:9]
; %bb.477:                              ;   in Loop: Header=BB30_387 Depth=4
	v_bfe_u32 v95, v94, 16, 1
	v_add3_u32 v122, v94, v95, s40
                                        ; implicit-def: $vgpr94
; %bb.478:                              ;   in Loop: Header=BB30_387 Depth=4
	s_andn2_saveexec_b64 s[36:37], s[24:25]
; %bb.479:                              ;   in Loop: Header=BB30_387 Depth=4
	v_or_b32_e32 v95, 0x10000, v94
	v_cmp_eq_u32_sdwa s[24:25], v94, v3 src0_sel:WORD_0 src1_sel:DWORD
	s_nop 1
	v_cndmask_b32_e64 v122, v95, v94, s[24:25]
; %bb.480:                              ;   in Loop: Header=BB30_387 Depth=4
	s_or_b64 exec, exec, s[36:37]
	v_and_b32_e32 v27, 0xffff0000, v27
	v_and_b32_e32 v94, 0xffff0000, v19
	v_max_f32_e32 v94, v94, v94
	v_max_f32_e32 v27, v27, v27
	v_min_f32_e32 v95, v27, v94
	v_max_f32_e32 v27, v27, v94
	v_cndmask_b32_e32 v94, v27, v95, vcc
	v_and_b32_e32 v27, 0x7f800000, v94
	v_cmp_ne_u32_e64 s[24:25], s43, v27
                                        ; implicit-def: $vgpr27
	s_and_saveexec_b64 s[8:9], s[24:25]
	s_xor_b64 s[24:25], exec, s[8:9]
; %bb.481:                              ;   in Loop: Header=BB30_387 Depth=4
	v_bfe_u32 v27, v94, 16, 1
	v_add3_u32 v27, v94, v27, s40
                                        ; implicit-def: $vgpr94
; %bb.482:                              ;   in Loop: Header=BB30_387 Depth=4
	s_andn2_saveexec_b64 s[36:37], s[24:25]
; %bb.483:                              ;   in Loop: Header=BB30_387 Depth=4
	v_or_b32_e32 v27, 0x10000, v94
	v_cmp_eq_u32_sdwa s[24:25], v94, v3 src0_sel:WORD_0 src1_sel:DWORD
	s_nop 1
	v_cndmask_b32_e64 v27, v27, v94, s[24:25]
; %bb.484:                              ;   in Loop: Header=BB30_387 Depth=4
	s_or_b64 exec, exec, s[36:37]
	v_lshlrev_b32_e32 v94, 16, v12
	v_lshlrev_b32_e32 v95, 16, v8
	v_max_f32_e32 v95, v95, v95
	v_max_f32_e32 v94, v94, v94
	v_min_f32_e32 v108, v94, v95
	v_max_f32_e32 v94, v94, v95
	v_cndmask_b32_e32 v95, v94, v108, vcc
	v_and_b32_e32 v94, 0x7f800000, v95
	v_cmp_ne_u32_e64 s[24:25], s43, v94
                                        ; implicit-def: $vgpr94
	s_and_saveexec_b64 s[8:9], s[24:25]
	s_xor_b64 s[24:25], exec, s[8:9]
; %bb.485:                              ;   in Loop: Header=BB30_387 Depth=4
	v_bfe_u32 v94, v95, 16, 1
	v_add3_u32 v94, v95, v94, s40
                                        ; implicit-def: $vgpr95
; %bb.486:                              ;   in Loop: Header=BB30_387 Depth=4
	s_andn2_saveexec_b64 s[36:37], s[24:25]
; %bb.487:                              ;   in Loop: Header=BB30_387 Depth=4
	v_or_b32_e32 v94, 0x10000, v95
	v_cmp_eq_u32_sdwa s[24:25], v95, v3 src0_sel:WORD_0 src1_sel:DWORD
	s_nop 1
	v_cndmask_b32_e64 v94, v94, v95, s[24:25]
; %bb.488:                              ;   in Loop: Header=BB30_387 Depth=4
	s_or_b64 exec, exec, s[36:37]
	v_and_b32_e32 v12, 0xffff0000, v12
	v_and_b32_e32 v95, 0xffff0000, v8
	v_max_f32_e32 v95, v95, v95
	v_max_f32_e32 v12, v12, v12
	v_min_f32_e32 v108, v12, v95
	v_max_f32_e32 v12, v12, v95
	v_cndmask_b32_e32 v95, v12, v108, vcc
	v_and_b32_e32 v12, 0x7f800000, v95
	v_cmp_ne_u32_e64 s[24:25], s43, v12
                                        ; implicit-def: $vgpr12
	s_and_saveexec_b64 s[8:9], s[24:25]
	s_xor_b64 s[24:25], exec, s[8:9]
; %bb.489:                              ;   in Loop: Header=BB30_387 Depth=4
	v_bfe_u32 v12, v95, 16, 1
	v_add3_u32 v12, v95, v12, s40
                                        ; implicit-def: $vgpr95
; %bb.490:                              ;   in Loop: Header=BB30_387 Depth=4
	s_andn2_saveexec_b64 s[36:37], s[24:25]
; %bb.491:                              ;   in Loop: Header=BB30_387 Depth=4
	v_or_b32_e32 v12, 0x10000, v95
	v_cmp_eq_u32_sdwa s[24:25], v95, v3 src0_sel:WORD_0 src1_sel:DWORD
	s_nop 1
	v_cndmask_b32_e64 v12, v12, v95, s[24:25]
; %bb.492:                              ;   in Loop: Header=BB30_387 Depth=4
	s_or_b64 exec, exec, s[36:37]
	v_lshlrev_b32_e32 v95, 16, v13
	v_lshlrev_b32_e32 v108, 16, v9
	v_max_f32_e32 v108, v108, v108
	v_max_f32_e32 v95, v95, v95
	v_min_f32_e32 v109, v95, v108
	v_max_f32_e32 v95, v95, v108
	v_cndmask_b32_e32 v108, v95, v109, vcc
	v_and_b32_e32 v95, 0x7f800000, v108
	v_cmp_ne_u32_e64 s[24:25], s43, v95
                                        ; implicit-def: $vgpr95
	s_and_saveexec_b64 s[8:9], s[24:25]
	s_xor_b64 s[24:25], exec, s[8:9]
; %bb.493:                              ;   in Loop: Header=BB30_387 Depth=4
	v_bfe_u32 v95, v108, 16, 1
	v_add3_u32 v95, v108, v95, s40
                                        ; implicit-def: $vgpr108
; %bb.494:                              ;   in Loop: Header=BB30_387 Depth=4
	s_andn2_saveexec_b64 s[36:37], s[24:25]
; %bb.495:                              ;   in Loop: Header=BB30_387 Depth=4
	v_or_b32_e32 v95, 0x10000, v108
	v_cmp_eq_u32_sdwa s[24:25], v108, v3 src0_sel:WORD_0 src1_sel:DWORD
	s_nop 1
	v_cndmask_b32_e64 v95, v95, v108, s[24:25]
; %bb.496:                              ;   in Loop: Header=BB30_387 Depth=4
	s_or_b64 exec, exec, s[36:37]
	v_and_b32_e32 v13, 0xffff0000, v13
	v_and_b32_e32 v108, 0xffff0000, v9
	v_max_f32_e32 v108, v108, v108
	v_max_f32_e32 v13, v13, v13
	v_min_f32_e32 v109, v13, v108
	v_max_f32_e32 v13, v13, v108
	v_cndmask_b32_e32 v108, v13, v109, vcc
	v_and_b32_e32 v13, 0x7f800000, v108
	v_cmp_ne_u32_e64 s[24:25], s43, v13
                                        ; implicit-def: $vgpr13
	s_and_saveexec_b64 s[8:9], s[24:25]
	s_xor_b64 s[24:25], exec, s[8:9]
; %bb.497:                              ;   in Loop: Header=BB30_387 Depth=4
	v_bfe_u32 v13, v108, 16, 1
	v_add3_u32 v13, v108, v13, s40
                                        ; implicit-def: $vgpr108
; %bb.498:                              ;   in Loop: Header=BB30_387 Depth=4
	s_andn2_saveexec_b64 s[36:37], s[24:25]
; %bb.499:                              ;   in Loop: Header=BB30_387 Depth=4
	v_or_b32_e32 v13, 0x10000, v108
	v_cmp_eq_u32_sdwa s[24:25], v108, v3 src0_sel:WORD_0 src1_sel:DWORD
	s_nop 1
	v_cndmask_b32_e64 v13, v13, v108, s[24:25]
; %bb.500:                              ;   in Loop: Header=BB30_387 Depth=4
	s_or_b64 exec, exec, s[36:37]
	v_lshlrev_b32_e32 v108, 16, v14
	v_lshlrev_b32_e32 v109, 16, v10
	v_max_f32_e32 v109, v109, v109
	v_max_f32_e32 v108, v108, v108
	v_min_f32_e32 v123, v108, v109
	v_max_f32_e32 v108, v108, v109
	v_cndmask_b32_e32 v109, v108, v123, vcc
	v_and_b32_e32 v108, 0x7f800000, v109
	v_cmp_ne_u32_e64 s[24:25], s43, v108
                                        ; implicit-def: $vgpr108
	s_and_saveexec_b64 s[8:9], s[24:25]
	s_xor_b64 s[24:25], exec, s[8:9]
; %bb.501:                              ;   in Loop: Header=BB30_387 Depth=4
	v_bfe_u32 v108, v109, 16, 1
	v_add3_u32 v108, v109, v108, s40
                                        ; implicit-def: $vgpr109
; %bb.502:                              ;   in Loop: Header=BB30_387 Depth=4
	s_andn2_saveexec_b64 s[36:37], s[24:25]
; %bb.503:                              ;   in Loop: Header=BB30_387 Depth=4
	v_or_b32_e32 v108, 0x10000, v109
	v_cmp_eq_u32_sdwa s[24:25], v109, v3 src0_sel:WORD_0 src1_sel:DWORD
	s_nop 1
	v_cndmask_b32_e64 v108, v108, v109, s[24:25]
; %bb.504:                              ;   in Loop: Header=BB30_387 Depth=4
	s_or_b64 exec, exec, s[36:37]
	v_and_b32_e32 v14, 0xffff0000, v14
	v_and_b32_e32 v109, 0xffff0000, v10
	v_max_f32_e32 v109, v109, v109
	v_max_f32_e32 v14, v14, v14
	v_min_f32_e32 v123, v14, v109
	v_max_f32_e32 v14, v14, v109
	v_cndmask_b32_e32 v109, v14, v123, vcc
	v_and_b32_e32 v14, 0x7f800000, v109
	v_cmp_ne_u32_e64 s[24:25], s43, v14
                                        ; implicit-def: $vgpr14
	s_and_saveexec_b64 s[8:9], s[24:25]
	s_xor_b64 s[24:25], exec, s[8:9]
; %bb.505:                              ;   in Loop: Header=BB30_387 Depth=4
	v_bfe_u32 v14, v109, 16, 1
	v_add3_u32 v14, v109, v14, s40
                                        ; implicit-def: $vgpr109
; %bb.506:                              ;   in Loop: Header=BB30_387 Depth=4
	s_andn2_saveexec_b64 s[36:37], s[24:25]
; %bb.507:                              ;   in Loop: Header=BB30_387 Depth=4
	v_or_b32_e32 v14, 0x10000, v109
	v_cmp_eq_u32_sdwa s[24:25], v109, v3 src0_sel:WORD_0 src1_sel:DWORD
	s_nop 1
	v_cndmask_b32_e64 v14, v14, v109, s[24:25]
; %bb.508:                              ;   in Loop: Header=BB30_387 Depth=4
	s_or_b64 exec, exec, s[36:37]
	v_lshlrev_b32_e32 v109, 16, v15
	v_lshlrev_b32_e32 v123, 16, v11
	v_max_f32_e32 v123, v123, v123
	v_max_f32_e32 v109, v109, v109
	v_min_f32_e32 v62, v109, v123
	v_max_f32_e32 v63, v109, v123
	v_cndmask_b32_e32 v123, v63, v62, vcc
	v_and_b32_e32 v62, 0x7f800000, v123
	v_cmp_ne_u32_e64 s[24:25], s43, v62
                                        ; implicit-def: $vgpr109
	s_and_saveexec_b64 s[8:9], s[24:25]
	s_xor_b64 s[24:25], exec, s[8:9]
; %bb.509:                              ;   in Loop: Header=BB30_387 Depth=4
	v_bfe_u32 v62, v123, 16, 1
	v_add3_u32 v109, v123, v62, s40
                                        ; implicit-def: $vgpr123
; %bb.510:                              ;   in Loop: Header=BB30_387 Depth=4
	s_andn2_saveexec_b64 s[36:37], s[24:25]
; %bb.511:                              ;   in Loop: Header=BB30_387 Depth=4
	v_or_b32_e32 v62, 0x10000, v123
	v_cmp_eq_u32_sdwa s[24:25], v123, v3 src0_sel:WORD_0 src1_sel:DWORD
	s_nop 1
	v_cndmask_b32_e64 v109, v62, v123, s[24:25]
; %bb.512:                              ;   in Loop: Header=BB30_387 Depth=4
	s_or_b64 exec, exec, s[36:37]
	v_and_b32_e32 v15, 0xffff0000, v15
	v_and_b32_e32 v62, 0xffff0000, v11
	v_max_f32_e32 v62, v62, v62
	v_max_f32_e32 v15, v15, v15
	v_min_f32_e32 v63, v15, v62
	v_max_f32_e32 v15, v15, v62
	v_cndmask_b32_e32 v123, v15, v63, vcc
	v_and_b32_e32 v15, 0x7f800000, v123
	v_cmp_ne_u32_e64 s[24:25], s43, v15
                                        ; implicit-def: $vgpr15
	s_and_saveexec_b64 s[8:9], s[24:25]
	s_xor_b64 s[24:25], exec, s[8:9]
; %bb.513:                              ;   in Loop: Header=BB30_387 Depth=4
	v_bfe_u32 v15, v123, 16, 1
	v_add3_u32 v15, v123, v15, s40
                                        ; implicit-def: $vgpr123
; %bb.514:                              ;   in Loop: Header=BB30_387 Depth=4
	s_andn2_saveexec_b64 s[36:37], s[24:25]
; %bb.515:                              ;   in Loop: Header=BB30_387 Depth=4
	v_or_b32_e32 v15, 0x10000, v123
	v_cmp_eq_u32_sdwa s[24:25], v123, v3 src0_sel:WORD_0 src1_sel:DWORD
	s_nop 1
	v_cndmask_b32_e64 v15, v15, v123, s[24:25]
; %bb.516:                              ;   in Loop: Header=BB30_387 Depth=4
	s_or_b64 exec, exec, s[36:37]
	v_lshrrev_b32_e32 v38, 16, v38
	v_and_or_b32 v24, v24, s41, v38
	v_lshrrev_b32_e32 v38, 16, v43
	v_and_or_b32 v26, v26, s41, v38
	;; [unrolled: 2-line block ×4, first 2 shown]
	v_lshrrev_b32_e32 v38, 16, v44
	v_lshrrev_b32_e32 v6, 16, v6
	v_and_or_b32 v36, v36, s41, v38
	v_and_or_b32 v38, v7, s41, v6
	v_lshrrev_b32_e32 v6, 16, v30
	v_and_or_b32 v39, v39, s41, v6
	v_lshrrev_b32_e32 v6, 16, v78
	;; [unrolled: 2-line block ×8, first 2 shown]
	v_lshrrev_b32_e32 v42, 16, v42
	v_and_or_b32 v14, v14, s41, v6
	v_lshrrev_b32_e32 v6, 16, v109
	v_and_or_b32 v25, v25, s41, v42
	v_and_or_b32 v15, v15, s41, v6
	global_store_dwordx4 v[116:117], v[80:83], off
	global_store_dwordx4 v[116:117], v[36:39], off offset:1024
	global_store_dwordx4 v[116:117], v[24:27], off offset:2048
	;; [unrolled: 1-line block ×3, first 2 shown]
	v_lshl_add_u64 v[116:117], v[116:117], 0, v[106:107]
.LBB30_517:                             ;   in Loop: Header=BB30_387 Depth=4
	s_or_b64 exec, exec, s[38:39]
	v_sub_u32_e32 v29, v29, v60
	v_lshl_add_u64 v[58:59], v[58:59], 0, v[106:107]
	v_lshl_add_u64 v[118:119], v[118:119], 0, v[106:107]
	v_cmp_lt_i32_e64 s[36:37], 0, v29
	s_and_saveexec_b64 s[24:25], s[36:37]
	s_cbranch_execz .LBB30_519
; %bb.518:                              ;   in Loop: Header=BB30_387 Depth=4
	global_load_dwordx4 v[80:83], v[58:59], off nt
	global_load_dwordx4 v[36:39], v[58:59], off offset:1024 nt
	global_load_dwordx4 v[24:27], v[58:59], off offset:2048 nt
	;; [unrolled: 1-line block ×3, first 2 shown]
	global_load_dwordx4 v[32:35], v[118:119], off nt
	global_load_dwordx4 v[20:23], v[118:119], off offset:1024 nt
	global_load_dwordx4 v[16:19], v[118:119], off offset:2048 nt
	;; [unrolled: 1-line block ×3, first 2 shown]
	v_lshl_add_u64 v[58:59], v[58:59], 0, s[72:73]
	v_lshl_add_u64 v[118:119], v[118:119], 0, s[72:73]
.LBB30_519:                             ;   in Loop: Header=BB30_387 Depth=4
	s_or_b64 exec, exec, s[24:25]
	s_waitcnt vmcnt(7)
	v_lshlrev_b32_e32 v6, 16, v100
	s_waitcnt vmcnt(3)
	v_lshlrev_b32_e32 v7, 16, v112
	v_max_f32_e32 v7, v7, v7
	v_max_f32_e32 v6, v6, v6
	v_min_f32_e32 v30, v6, v7
	v_max_f32_e32 v6, v6, v7
	v_cndmask_b32_e32 v6, v6, v30, vcc
	v_and_b32_e32 v7, 0x7f800000, v6
	v_cmp_ne_u32_e64 s[24:25], s43, v7
                                        ; implicit-def: $vgpr75
	s_and_saveexec_b64 s[8:9], s[24:25]
	s_xor_b64 s[24:25], exec, s[8:9]
; %bb.520:                              ;   in Loop: Header=BB30_387 Depth=4
	v_bfe_u32 v7, v6, 16, 1
	v_add3_u32 v75, v6, v7, s40
                                        ; implicit-def: $vgpr6
; %bb.521:                              ;   in Loop: Header=BB30_387 Depth=4
	s_andn2_saveexec_b64 s[38:39], s[24:25]
; %bb.522:                              ;   in Loop: Header=BB30_387 Depth=4
	v_or_b32_e32 v7, 0x10000, v6
	v_cmp_eq_u32_sdwa s[24:25], v6, v3 src0_sel:WORD_0 src1_sel:DWORD
	s_nop 1
	v_cndmask_b32_e64 v75, v7, v6, s[24:25]
; %bb.523:                              ;   in Loop: Header=BB30_387 Depth=4
	s_or_b64 exec, exec, s[38:39]
	v_and_b32_e32 v6, 0xffff0000, v100
	v_and_b32_e32 v7, 0xffff0000, v112
	v_max_f32_e32 v7, v7, v7
	v_max_f32_e32 v6, v6, v6
	v_min_f32_e32 v30, v6, v7
	v_max_f32_e32 v6, v6, v7
	v_cndmask_b32_e32 v6, v6, v30, vcc
	v_and_b32_e32 v7, 0x7f800000, v6
	v_cmp_ne_u32_e64 s[24:25], s43, v7
                                        ; implicit-def: $vgpr100
	s_and_saveexec_b64 s[8:9], s[24:25]
	s_xor_b64 s[24:25], exec, s[8:9]
; %bb.524:                              ;   in Loop: Header=BB30_387 Depth=4
	v_bfe_u32 v7, v6, 16, 1
	v_add3_u32 v100, v6, v7, s40
                                        ; implicit-def: $vgpr6
; %bb.525:                              ;   in Loop: Header=BB30_387 Depth=4
	s_andn2_saveexec_b64 s[38:39], s[24:25]
; %bb.526:                              ;   in Loop: Header=BB30_387 Depth=4
	v_or_b32_e32 v7, 0x10000, v6
	v_cmp_eq_u32_sdwa s[24:25], v6, v3 src0_sel:WORD_0 src1_sel:DWORD
	s_nop 1
	v_cndmask_b32_e64 v100, v7, v6, s[24:25]
; %bb.527:                              ;   in Loop: Header=BB30_387 Depth=4
	s_or_b64 exec, exec, s[38:39]
	v_lshlrev_b32_e32 v6, 16, v101
	v_lshlrev_b32_e32 v7, 16, v113
	v_max_f32_e32 v7, v7, v7
	v_max_f32_e32 v6, v6, v6
	v_min_f32_e32 v30, v6, v7
	v_max_f32_e32 v6, v6, v7
	v_cndmask_b32_e32 v6, v6, v30, vcc
	v_and_b32_e32 v7, 0x7f800000, v6
	v_cmp_ne_u32_e64 s[24:25], s43, v7
                                        ; implicit-def: $vgpr112
	s_and_saveexec_b64 s[8:9], s[24:25]
	s_xor_b64 s[24:25], exec, s[8:9]
; %bb.528:                              ;   in Loop: Header=BB30_387 Depth=4
	v_bfe_u32 v7, v6, 16, 1
	v_add3_u32 v112, v6, v7, s40
                                        ; implicit-def: $vgpr6
; %bb.529:                              ;   in Loop: Header=BB30_387 Depth=4
	s_andn2_saveexec_b64 s[38:39], s[24:25]
; %bb.530:                              ;   in Loop: Header=BB30_387 Depth=4
	v_or_b32_e32 v7, 0x10000, v6
	v_cmp_eq_u32_sdwa s[24:25], v6, v3 src0_sel:WORD_0 src1_sel:DWORD
	s_nop 1
	v_cndmask_b32_e64 v112, v7, v6, s[24:25]
; %bb.531:                              ;   in Loop: Header=BB30_387 Depth=4
	s_or_b64 exec, exec, s[38:39]
	v_and_b32_e32 v6, 0xffff0000, v101
	v_and_b32_e32 v7, 0xffff0000, v113
	v_max_f32_e32 v7, v7, v7
	v_max_f32_e32 v6, v6, v6
	v_min_f32_e32 v30, v6, v7
	v_max_f32_e32 v6, v6, v7
	v_cndmask_b32_e32 v6, v6, v30, vcc
	v_and_b32_e32 v7, 0x7f800000, v6
	v_cmp_ne_u32_e64 s[24:25], s43, v7
                                        ; implicit-def: $vgpr101
	s_and_saveexec_b64 s[8:9], s[24:25]
	s_xor_b64 s[24:25], exec, s[8:9]
; %bb.532:                              ;   in Loop: Header=BB30_387 Depth=4
	v_bfe_u32 v7, v6, 16, 1
	v_add3_u32 v101, v6, v7, s40
                                        ; implicit-def: $vgpr6
; %bb.533:                              ;   in Loop: Header=BB30_387 Depth=4
	s_andn2_saveexec_b64 s[38:39], s[24:25]
; %bb.534:                              ;   in Loop: Header=BB30_387 Depth=4
	v_or_b32_e32 v7, 0x10000, v6
	v_cmp_eq_u32_sdwa s[24:25], v6, v3 src0_sel:WORD_0 src1_sel:DWORD
	s_nop 1
	v_cndmask_b32_e64 v101, v7, v6, s[24:25]
; %bb.535:                              ;   in Loop: Header=BB30_387 Depth=4
	s_or_b64 exec, exec, s[38:39]
	v_lshlrev_b32_e32 v6, 16, v102
	v_lshlrev_b32_e32 v7, 16, v114
	v_max_f32_e32 v7, v7, v7
	v_max_f32_e32 v6, v6, v6
	v_min_f32_e32 v30, v6, v7
	v_max_f32_e32 v6, v6, v7
	v_cndmask_b32_e32 v6, v6, v30, vcc
	v_and_b32_e32 v7, 0x7f800000, v6
	v_cmp_ne_u32_e64 s[24:25], s43, v7
                                        ; implicit-def: $vgpr113
	s_and_saveexec_b64 s[8:9], s[24:25]
	s_xor_b64 s[24:25], exec, s[8:9]
; %bb.536:                              ;   in Loop: Header=BB30_387 Depth=4
	v_bfe_u32 v7, v6, 16, 1
	v_add3_u32 v113, v6, v7, s40
                                        ; implicit-def: $vgpr6
; %bb.537:                              ;   in Loop: Header=BB30_387 Depth=4
	s_andn2_saveexec_b64 s[38:39], s[24:25]
; %bb.538:                              ;   in Loop: Header=BB30_387 Depth=4
	v_or_b32_e32 v7, 0x10000, v6
	v_cmp_eq_u32_sdwa s[24:25], v6, v3 src0_sel:WORD_0 src1_sel:DWORD
	s_nop 1
	v_cndmask_b32_e64 v113, v7, v6, s[24:25]
; %bb.539:                              ;   in Loop: Header=BB30_387 Depth=4
	s_or_b64 exec, exec, s[38:39]
	v_and_b32_e32 v6, 0xffff0000, v102
	v_and_b32_e32 v7, 0xffff0000, v114
	v_max_f32_e32 v7, v7, v7
	v_max_f32_e32 v6, v6, v6
	v_min_f32_e32 v30, v6, v7
	v_max_f32_e32 v6, v6, v7
	v_cndmask_b32_e32 v6, v6, v30, vcc
	v_and_b32_e32 v7, 0x7f800000, v6
	v_cmp_ne_u32_e64 s[24:25], s43, v7
                                        ; implicit-def: $vgpr102
	s_and_saveexec_b64 s[8:9], s[24:25]
	s_xor_b64 s[24:25], exec, s[8:9]
; %bb.540:                              ;   in Loop: Header=BB30_387 Depth=4
	v_bfe_u32 v7, v6, 16, 1
	v_add3_u32 v102, v6, v7, s40
                                        ; implicit-def: $vgpr6
; %bb.541:                              ;   in Loop: Header=BB30_387 Depth=4
	s_andn2_saveexec_b64 s[38:39], s[24:25]
; %bb.542:                              ;   in Loop: Header=BB30_387 Depth=4
	v_or_b32_e32 v7, 0x10000, v6
	v_cmp_eq_u32_sdwa s[24:25], v6, v3 src0_sel:WORD_0 src1_sel:DWORD
	s_nop 1
	v_cndmask_b32_e64 v102, v7, v6, s[24:25]
; %bb.543:                              ;   in Loop: Header=BB30_387 Depth=4
	s_or_b64 exec, exec, s[38:39]
	v_lshlrev_b32_e32 v6, 16, v103
	v_lshlrev_b32_e32 v7, 16, v115
	v_max_f32_e32 v7, v7, v7
	v_max_f32_e32 v6, v6, v6
	v_min_f32_e32 v30, v6, v7
	v_max_f32_e32 v6, v6, v7
	v_cndmask_b32_e32 v6, v6, v30, vcc
	v_and_b32_e32 v7, 0x7f800000, v6
	v_cmp_ne_u32_e64 s[24:25], s43, v7
                                        ; implicit-def: $vgpr114
	s_and_saveexec_b64 s[8:9], s[24:25]
	s_xor_b64 s[24:25], exec, s[8:9]
; %bb.544:                              ;   in Loop: Header=BB30_387 Depth=4
	v_bfe_u32 v7, v6, 16, 1
	v_add3_u32 v114, v6, v7, s40
                                        ; implicit-def: $vgpr6
; %bb.545:                              ;   in Loop: Header=BB30_387 Depth=4
	s_andn2_saveexec_b64 s[38:39], s[24:25]
; %bb.546:                              ;   in Loop: Header=BB30_387 Depth=4
	v_or_b32_e32 v7, 0x10000, v6
	v_cmp_eq_u32_sdwa s[24:25], v6, v3 src0_sel:WORD_0 src1_sel:DWORD
	s_nop 1
	v_cndmask_b32_e64 v114, v7, v6, s[24:25]
; %bb.547:                              ;   in Loop: Header=BB30_387 Depth=4
	s_or_b64 exec, exec, s[38:39]
	v_and_b32_e32 v6, 0xffff0000, v103
	v_and_b32_e32 v7, 0xffff0000, v115
	v_max_f32_e32 v7, v7, v7
	v_max_f32_e32 v6, v6, v6
	v_min_f32_e32 v30, v6, v7
	v_max_f32_e32 v6, v6, v7
	v_cndmask_b32_e32 v6, v6, v30, vcc
	v_and_b32_e32 v7, 0x7f800000, v6
	v_cmp_ne_u32_e64 s[24:25], s43, v7
                                        ; implicit-def: $vgpr103
	s_and_saveexec_b64 s[8:9], s[24:25]
	s_xor_b64 s[24:25], exec, s[8:9]
; %bb.548:                              ;   in Loop: Header=BB30_387 Depth=4
	v_bfe_u32 v7, v6, 16, 1
	v_add3_u32 v103, v6, v7, s40
                                        ; implicit-def: $vgpr6
; %bb.549:                              ;   in Loop: Header=BB30_387 Depth=4
	s_andn2_saveexec_b64 s[38:39], s[24:25]
; %bb.550:                              ;   in Loop: Header=BB30_387 Depth=4
	v_or_b32_e32 v7, 0x10000, v6
	v_cmp_eq_u32_sdwa s[24:25], v6, v3 src0_sel:WORD_0 src1_sel:DWORD
	s_nop 1
	v_cndmask_b32_e64 v103, v7, v6, s[24:25]
; %bb.551:                              ;   in Loop: Header=BB30_387 Depth=4
	s_or_b64 exec, exec, s[38:39]
	v_lshlrev_b32_e32 v6, 16, v84
	s_waitcnt vmcnt(2)
	v_lshlrev_b32_e32 v7, 16, v96
	v_max_f32_e32 v7, v7, v7
	v_max_f32_e32 v6, v6, v6
	v_min_f32_e32 v30, v6, v7
	v_max_f32_e32 v6, v6, v7
	v_cndmask_b32_e32 v6, v6, v30, vcc
	v_and_b32_e32 v7, 0x7f800000, v6
	v_cmp_ne_u32_e64 s[24:25], s43, v7
                                        ; implicit-def: $vgpr115
	s_and_saveexec_b64 s[8:9], s[24:25]
	s_xor_b64 s[24:25], exec, s[8:9]
; %bb.552:                              ;   in Loop: Header=BB30_387 Depth=4
	v_bfe_u32 v7, v6, 16, 1
	v_add3_u32 v115, v6, v7, s40
                                        ; implicit-def: $vgpr6
; %bb.553:                              ;   in Loop: Header=BB30_387 Depth=4
	s_andn2_saveexec_b64 s[38:39], s[24:25]
; %bb.554:                              ;   in Loop: Header=BB30_387 Depth=4
	v_or_b32_e32 v7, 0x10000, v6
	v_cmp_eq_u32_sdwa s[24:25], v6, v3 src0_sel:WORD_0 src1_sel:DWORD
	s_nop 1
	v_cndmask_b32_e64 v115, v7, v6, s[24:25]
; %bb.555:                              ;   in Loop: Header=BB30_387 Depth=4
	s_or_b64 exec, exec, s[38:39]
	v_and_b32_e32 v6, 0xffff0000, v84
	v_and_b32_e32 v7, 0xffff0000, v96
	v_max_f32_e32 v7, v7, v7
	v_max_f32_e32 v6, v6, v6
	v_min_f32_e32 v30, v6, v7
	v_max_f32_e32 v6, v6, v7
	v_cndmask_b32_e32 v6, v6, v30, vcc
	v_and_b32_e32 v7, 0x7f800000, v6
	v_cmp_ne_u32_e64 s[24:25], s43, v7
                                        ; implicit-def: $vgpr84
	s_and_saveexec_b64 s[8:9], s[24:25]
	s_xor_b64 s[24:25], exec, s[8:9]
; %bb.556:                              ;   in Loop: Header=BB30_387 Depth=4
	v_bfe_u32 v7, v6, 16, 1
	v_add3_u32 v84, v6, v7, s40
                                        ; implicit-def: $vgpr6
; %bb.557:                              ;   in Loop: Header=BB30_387 Depth=4
	s_andn2_saveexec_b64 s[38:39], s[24:25]
; %bb.558:                              ;   in Loop: Header=BB30_387 Depth=4
	v_or_b32_e32 v7, 0x10000, v6
	v_cmp_eq_u32_sdwa s[24:25], v6, v3 src0_sel:WORD_0 src1_sel:DWORD
	s_nop 1
	v_cndmask_b32_e64 v84, v7, v6, s[24:25]
; %bb.559:                              ;   in Loop: Header=BB30_387 Depth=4
	s_or_b64 exec, exec, s[38:39]
	v_lshlrev_b32_e32 v6, 16, v85
	v_lshlrev_b32_e32 v7, 16, v97
	v_max_f32_e32 v7, v7, v7
	v_max_f32_e32 v6, v6, v6
	v_min_f32_e32 v30, v6, v7
	v_max_f32_e32 v6, v6, v7
	v_cndmask_b32_e32 v6, v6, v30, vcc
	v_and_b32_e32 v7, 0x7f800000, v6
	v_cmp_ne_u32_e64 s[24:25], s43, v7
                                        ; implicit-def: $vgpr96
	s_and_saveexec_b64 s[8:9], s[24:25]
	s_xor_b64 s[24:25], exec, s[8:9]
; %bb.560:                              ;   in Loop: Header=BB30_387 Depth=4
	v_bfe_u32 v7, v6, 16, 1
	v_add3_u32 v96, v6, v7, s40
                                        ; implicit-def: $vgpr6
; %bb.561:                              ;   in Loop: Header=BB30_387 Depth=4
	s_andn2_saveexec_b64 s[38:39], s[24:25]
; %bb.562:                              ;   in Loop: Header=BB30_387 Depth=4
	v_or_b32_e32 v7, 0x10000, v6
	v_cmp_eq_u32_sdwa s[24:25], v6, v3 src0_sel:WORD_0 src1_sel:DWORD
	s_nop 1
	v_cndmask_b32_e64 v96, v7, v6, s[24:25]
; %bb.563:                              ;   in Loop: Header=BB30_387 Depth=4
	s_or_b64 exec, exec, s[38:39]
	v_and_b32_e32 v6, 0xffff0000, v85
	v_and_b32_e32 v7, 0xffff0000, v97
	v_max_f32_e32 v7, v7, v7
	v_max_f32_e32 v6, v6, v6
	v_min_f32_e32 v30, v6, v7
	v_max_f32_e32 v6, v6, v7
	v_cndmask_b32_e32 v6, v6, v30, vcc
	v_and_b32_e32 v7, 0x7f800000, v6
	v_cmp_ne_u32_e64 s[24:25], s43, v7
                                        ; implicit-def: $vgpr85
	s_and_saveexec_b64 s[8:9], s[24:25]
	s_xor_b64 s[24:25], exec, s[8:9]
; %bb.564:                              ;   in Loop: Header=BB30_387 Depth=4
	v_bfe_u32 v7, v6, 16, 1
	v_add3_u32 v85, v6, v7, s40
                                        ; implicit-def: $vgpr6
; %bb.565:                              ;   in Loop: Header=BB30_387 Depth=4
	s_andn2_saveexec_b64 s[38:39], s[24:25]
; %bb.566:                              ;   in Loop: Header=BB30_387 Depth=4
	v_or_b32_e32 v7, 0x10000, v6
	v_cmp_eq_u32_sdwa s[24:25], v6, v3 src0_sel:WORD_0 src1_sel:DWORD
	s_nop 1
	v_cndmask_b32_e64 v85, v7, v6, s[24:25]
; %bb.567:                              ;   in Loop: Header=BB30_387 Depth=4
	s_or_b64 exec, exec, s[38:39]
	v_lshlrev_b32_e32 v6, 16, v86
	v_lshlrev_b32_e32 v7, 16, v98
	v_max_f32_e32 v7, v7, v7
	v_max_f32_e32 v6, v6, v6
	v_min_f32_e32 v30, v6, v7
	v_max_f32_e32 v6, v6, v7
	v_cndmask_b32_e32 v7, v6, v30, vcc
	v_and_b32_e32 v6, 0x7f800000, v7
	v_cmp_ne_u32_e64 s[24:25], s43, v6
                                        ; implicit-def: $vgpr6
	s_and_saveexec_b64 s[8:9], s[24:25]
	s_xor_b64 s[24:25], exec, s[8:9]
; %bb.568:                              ;   in Loop: Header=BB30_387 Depth=4
	v_bfe_u32 v6, v7, 16, 1
	v_add3_u32 v6, v7, v6, s40
                                        ; implicit-def: $vgpr7
; %bb.569:                              ;   in Loop: Header=BB30_387 Depth=4
	s_andn2_saveexec_b64 s[38:39], s[24:25]
; %bb.570:                              ;   in Loop: Header=BB30_387 Depth=4
	v_or_b32_e32 v6, 0x10000, v7
	v_cmp_eq_u32_sdwa s[24:25], v7, v3 src0_sel:WORD_0 src1_sel:DWORD
	s_nop 1
	v_cndmask_b32_e64 v6, v6, v7, s[24:25]
; %bb.571:                              ;   in Loop: Header=BB30_387 Depth=4
	s_or_b64 exec, exec, s[38:39]
	v_and_b32_e32 v7, 0xffff0000, v86
	v_and_b32_e32 v30, 0xffff0000, v98
	v_max_f32_e32 v30, v30, v30
	v_max_f32_e32 v7, v7, v7
	v_min_f32_e32 v86, v7, v30
	v_max_f32_e32 v7, v7, v30
	v_cndmask_b32_e32 v30, v7, v86, vcc
	v_and_b32_e32 v7, 0x7f800000, v30
	v_cmp_ne_u32_e64 s[24:25], s43, v7
                                        ; implicit-def: $vgpr7
	s_and_saveexec_b64 s[8:9], s[24:25]
	s_xor_b64 s[24:25], exec, s[8:9]
; %bb.572:                              ;   in Loop: Header=BB30_387 Depth=4
	v_bfe_u32 v7, v30, 16, 1
	v_add3_u32 v7, v30, v7, s40
                                        ; implicit-def: $vgpr30
; %bb.573:                              ;   in Loop: Header=BB30_387 Depth=4
	s_andn2_saveexec_b64 s[38:39], s[24:25]
; %bb.574:                              ;   in Loop: Header=BB30_387 Depth=4
	v_or_b32_e32 v7, 0x10000, v30
	v_cmp_eq_u32_sdwa s[24:25], v30, v3 src0_sel:WORD_0 src1_sel:DWORD
	s_nop 1
	v_cndmask_b32_e64 v7, v7, v30, s[24:25]
; %bb.575:                              ;   in Loop: Header=BB30_387 Depth=4
	s_or_b64 exec, exec, s[38:39]
	v_lshlrev_b32_e32 v30, 16, v87
	v_lshlrev_b32_e32 v86, 16, v99
	v_max_f32_e32 v86, v86, v86
	v_max_f32_e32 v30, v30, v30
	v_min_f32_e32 v97, v30, v86
	v_max_f32_e32 v30, v30, v86
	v_cndmask_b32_e32 v86, v30, v97, vcc
	v_and_b32_e32 v30, 0x7f800000, v86
	v_cmp_ne_u32_e64 s[24:25], s43, v30
                                        ; implicit-def: $vgpr30
	s_and_saveexec_b64 s[8:9], s[24:25]
	s_xor_b64 s[24:25], exec, s[8:9]
; %bb.576:                              ;   in Loop: Header=BB30_387 Depth=4
	v_bfe_u32 v30, v86, 16, 1
	v_add3_u32 v30, v86, v30, s40
                                        ; implicit-def: $vgpr86
; %bb.577:                              ;   in Loop: Header=BB30_387 Depth=4
	s_andn2_saveexec_b64 s[38:39], s[24:25]
; %bb.578:                              ;   in Loop: Header=BB30_387 Depth=4
	v_or_b32_e32 v30, 0x10000, v86
	v_cmp_eq_u32_sdwa s[24:25], v86, v3 src0_sel:WORD_0 src1_sel:DWORD
	s_nop 1
	v_cndmask_b32_e64 v30, v30, v86, s[24:25]
; %bb.579:                              ;   in Loop: Header=BB30_387 Depth=4
	s_or_b64 exec, exec, s[38:39]
	v_and_b32_e32 v86, 0xffff0000, v87
	v_and_b32_e32 v87, 0xffff0000, v99
	v_max_f32_e32 v87, v87, v87
	v_max_f32_e32 v86, v86, v86
	v_min_f32_e32 v97, v86, v87
	v_max_f32_e32 v86, v86, v87
	v_cndmask_b32_e32 v87, v86, v97, vcc
	v_and_b32_e32 v86, 0x7f800000, v87
	v_cmp_ne_u32_e64 s[24:25], s43, v86
                                        ; implicit-def: $vgpr86
	s_and_saveexec_b64 s[8:9], s[24:25]
	s_xor_b64 s[24:25], exec, s[8:9]
; %bb.580:                              ;   in Loop: Header=BB30_387 Depth=4
	v_bfe_u32 v86, v87, 16, 1
	v_add3_u32 v86, v87, v86, s40
                                        ; implicit-def: $vgpr87
; %bb.581:                              ;   in Loop: Header=BB30_387 Depth=4
	s_andn2_saveexec_b64 s[38:39], s[24:25]
; %bb.582:                              ;   in Loop: Header=BB30_387 Depth=4
	v_or_b32_e32 v86, 0x10000, v87
	v_cmp_eq_u32_sdwa s[24:25], v87, v3 src0_sel:WORD_0 src1_sel:DWORD
	s_nop 1
	v_cndmask_b32_e64 v86, v86, v87, s[24:25]
; %bb.583:                              ;   in Loop: Header=BB30_387 Depth=4
	s_or_b64 exec, exec, s[38:39]
	v_lshlrev_b32_e32 v87, 16, v64
	s_waitcnt vmcnt(1)
	v_lshlrev_b32_e32 v97, 16, v68
	v_max_f32_e32 v97, v97, v97
	v_max_f32_e32 v87, v87, v87
	v_min_f32_e32 v98, v87, v97
	v_max_f32_e32 v87, v87, v97
	v_cndmask_b32_e32 v97, v87, v98, vcc
	v_and_b32_e32 v87, 0x7f800000, v97
	v_cmp_ne_u32_e64 s[24:25], s43, v87
                                        ; implicit-def: $vgpr87
	s_and_saveexec_b64 s[8:9], s[24:25]
	s_xor_b64 s[24:25], exec, s[8:9]
; %bb.584:                              ;   in Loop: Header=BB30_387 Depth=4
	v_bfe_u32 v87, v97, 16, 1
	v_add3_u32 v87, v97, v87, s40
                                        ; implicit-def: $vgpr97
; %bb.585:                              ;   in Loop: Header=BB30_387 Depth=4
	s_andn2_saveexec_b64 s[38:39], s[24:25]
; %bb.586:                              ;   in Loop: Header=BB30_387 Depth=4
	v_or_b32_e32 v87, 0x10000, v97
	v_cmp_eq_u32_sdwa s[24:25], v97, v3 src0_sel:WORD_0 src1_sel:DWORD
	s_nop 1
	v_cndmask_b32_e64 v87, v87, v97, s[24:25]
; %bb.587:                              ;   in Loop: Header=BB30_387 Depth=4
	s_or_b64 exec, exec, s[38:39]
	v_and_b32_e32 v64, 0xffff0000, v64
	v_and_b32_e32 v68, 0xffff0000, v68
	v_max_f32_e32 v68, v68, v68
	v_max_f32_e32 v64, v64, v64
	v_min_f32_e32 v97, v64, v68
	v_max_f32_e32 v64, v64, v68
	v_cndmask_b32_e32 v68, v64, v97, vcc
	v_and_b32_e32 v64, 0x7f800000, v68
	v_cmp_ne_u32_e64 s[24:25], s43, v64
                                        ; implicit-def: $vgpr64
	s_and_saveexec_b64 s[8:9], s[24:25]
	s_xor_b64 s[24:25], exec, s[8:9]
; %bb.588:                              ;   in Loop: Header=BB30_387 Depth=4
	v_bfe_u32 v64, v68, 16, 1
	v_add3_u32 v64, v68, v64, s40
                                        ; implicit-def: $vgpr68
; %bb.589:                              ;   in Loop: Header=BB30_387 Depth=4
	s_andn2_saveexec_b64 s[38:39], s[24:25]
; %bb.590:                              ;   in Loop: Header=BB30_387 Depth=4
	v_or_b32_e32 v64, 0x10000, v68
	v_cmp_eq_u32_sdwa s[24:25], v68, v3 src0_sel:WORD_0 src1_sel:DWORD
	s_nop 1
	v_cndmask_b32_e64 v64, v64, v68, s[24:25]
; %bb.591:                              ;   in Loop: Header=BB30_387 Depth=4
	s_or_b64 exec, exec, s[38:39]
	v_lshlrev_b32_e32 v68, 16, v65
	v_lshlrev_b32_e32 v97, 16, v69
	v_max_f32_e32 v97, v97, v97
	v_max_f32_e32 v68, v68, v68
	v_min_f32_e32 v98, v68, v97
	v_max_f32_e32 v68, v68, v97
	v_cndmask_b32_e32 v97, v68, v98, vcc
	v_and_b32_e32 v68, 0x7f800000, v97
	v_cmp_ne_u32_e64 s[24:25], s43, v68
                                        ; implicit-def: $vgpr68
	s_and_saveexec_b64 s[8:9], s[24:25]
	s_xor_b64 s[24:25], exec, s[8:9]
; %bb.592:                              ;   in Loop: Header=BB30_387 Depth=4
	v_bfe_u32 v68, v97, 16, 1
	v_add3_u32 v68, v97, v68, s40
                                        ; implicit-def: $vgpr97
; %bb.593:                              ;   in Loop: Header=BB30_387 Depth=4
	s_andn2_saveexec_b64 s[38:39], s[24:25]
; %bb.594:                              ;   in Loop: Header=BB30_387 Depth=4
	v_or_b32_e32 v68, 0x10000, v97
	v_cmp_eq_u32_sdwa s[24:25], v97, v3 src0_sel:WORD_0 src1_sel:DWORD
	s_nop 1
	v_cndmask_b32_e64 v68, v68, v97, s[24:25]
; %bb.595:                              ;   in Loop: Header=BB30_387 Depth=4
	s_or_b64 exec, exec, s[38:39]
	v_and_b32_e32 v65, 0xffff0000, v65
	v_and_b32_e32 v69, 0xffff0000, v69
	v_max_f32_e32 v69, v69, v69
	v_max_f32_e32 v65, v65, v65
	v_min_f32_e32 v97, v65, v69
	v_max_f32_e32 v65, v65, v69
	v_cndmask_b32_e32 v69, v65, v97, vcc
	v_and_b32_e32 v65, 0x7f800000, v69
	v_cmp_ne_u32_e64 s[24:25], s43, v65
                                        ; implicit-def: $vgpr65
	s_and_saveexec_b64 s[8:9], s[24:25]
	s_xor_b64 s[24:25], exec, s[8:9]
; %bb.596:                              ;   in Loop: Header=BB30_387 Depth=4
	v_bfe_u32 v65, v69, 16, 1
	v_add3_u32 v65, v69, v65, s40
                                        ; implicit-def: $vgpr69
; %bb.597:                              ;   in Loop: Header=BB30_387 Depth=4
	s_andn2_saveexec_b64 s[38:39], s[24:25]
; %bb.598:                              ;   in Loop: Header=BB30_387 Depth=4
	v_or_b32_e32 v65, 0x10000, v69
	v_cmp_eq_u32_sdwa s[24:25], v69, v3 src0_sel:WORD_0 src1_sel:DWORD
	s_nop 1
	v_cndmask_b32_e64 v65, v65, v69, s[24:25]
; %bb.599:                              ;   in Loop: Header=BB30_387 Depth=4
	s_or_b64 exec, exec, s[38:39]
	v_lshlrev_b32_e32 v69, 16, v66
	v_lshlrev_b32_e32 v97, 16, v70
	v_max_f32_e32 v97, v97, v97
	v_max_f32_e32 v69, v69, v69
	v_min_f32_e32 v98, v69, v97
	v_max_f32_e32 v69, v69, v97
	v_cndmask_b32_e32 v97, v69, v98, vcc
	v_and_b32_e32 v69, 0x7f800000, v97
	v_cmp_ne_u32_e64 s[24:25], s43, v69
                                        ; implicit-def: $vgpr69
	s_and_saveexec_b64 s[8:9], s[24:25]
	s_xor_b64 s[24:25], exec, s[8:9]
; %bb.600:                              ;   in Loop: Header=BB30_387 Depth=4
	v_bfe_u32 v69, v97, 16, 1
	v_add3_u32 v69, v97, v69, s40
                                        ; implicit-def: $vgpr97
; %bb.601:                              ;   in Loop: Header=BB30_387 Depth=4
	s_andn2_saveexec_b64 s[38:39], s[24:25]
; %bb.602:                              ;   in Loop: Header=BB30_387 Depth=4
	v_or_b32_e32 v69, 0x10000, v97
	v_cmp_eq_u32_sdwa s[24:25], v97, v3 src0_sel:WORD_0 src1_sel:DWORD
	s_nop 1
	v_cndmask_b32_e64 v69, v69, v97, s[24:25]
; %bb.603:                              ;   in Loop: Header=BB30_387 Depth=4
	s_or_b64 exec, exec, s[38:39]
	v_and_b32_e32 v66, 0xffff0000, v66
	v_and_b32_e32 v70, 0xffff0000, v70
	v_max_f32_e32 v70, v70, v70
	v_max_f32_e32 v66, v66, v66
	v_min_f32_e32 v97, v66, v70
	v_max_f32_e32 v66, v66, v70
	v_cndmask_b32_e32 v70, v66, v97, vcc
	v_and_b32_e32 v66, 0x7f800000, v70
	v_cmp_ne_u32_e64 s[24:25], s43, v66
                                        ; implicit-def: $vgpr66
	s_and_saveexec_b64 s[8:9], s[24:25]
	s_xor_b64 s[24:25], exec, s[8:9]
; %bb.604:                              ;   in Loop: Header=BB30_387 Depth=4
	v_bfe_u32 v66, v70, 16, 1
	v_add3_u32 v66, v70, v66, s40
                                        ; implicit-def: $vgpr70
; %bb.605:                              ;   in Loop: Header=BB30_387 Depth=4
	s_andn2_saveexec_b64 s[38:39], s[24:25]
; %bb.606:                              ;   in Loop: Header=BB30_387 Depth=4
	v_or_b32_e32 v66, 0x10000, v70
	v_cmp_eq_u32_sdwa s[24:25], v70, v3 src0_sel:WORD_0 src1_sel:DWORD
	s_nop 1
	v_cndmask_b32_e64 v66, v66, v70, s[24:25]
; %bb.607:                              ;   in Loop: Header=BB30_387 Depth=4
	s_or_b64 exec, exec, s[38:39]
	v_lshlrev_b32_e32 v70, 16, v67
	v_lshlrev_b32_e32 v97, 16, v71
	v_max_f32_e32 v97, v97, v97
	v_max_f32_e32 v70, v70, v70
	v_min_f32_e32 v98, v70, v97
	v_max_f32_e32 v70, v70, v97
	v_cndmask_b32_e32 v97, v70, v98, vcc
	v_and_b32_e32 v70, 0x7f800000, v97
	v_cmp_ne_u32_e64 s[24:25], s43, v70
                                        ; implicit-def: $vgpr70
	s_and_saveexec_b64 s[8:9], s[24:25]
	s_xor_b64 s[24:25], exec, s[8:9]
; %bb.608:                              ;   in Loop: Header=BB30_387 Depth=4
	v_bfe_u32 v70, v97, 16, 1
	v_add3_u32 v70, v97, v70, s40
                                        ; implicit-def: $vgpr97
; %bb.609:                              ;   in Loop: Header=BB30_387 Depth=4
	s_andn2_saveexec_b64 s[38:39], s[24:25]
; %bb.610:                              ;   in Loop: Header=BB30_387 Depth=4
	v_or_b32_e32 v70, 0x10000, v97
	v_cmp_eq_u32_sdwa s[24:25], v97, v3 src0_sel:WORD_0 src1_sel:DWORD
	s_nop 1
	v_cndmask_b32_e64 v70, v70, v97, s[24:25]
; %bb.611:                              ;   in Loop: Header=BB30_387 Depth=4
	s_or_b64 exec, exec, s[38:39]
	v_and_b32_e32 v67, 0xffff0000, v67
	v_and_b32_e32 v71, 0xffff0000, v71
	v_max_f32_e32 v71, v71, v71
	v_max_f32_e32 v67, v67, v67
	v_min_f32_e32 v97, v67, v71
	v_max_f32_e32 v67, v67, v71
	v_cndmask_b32_e32 v71, v67, v97, vcc
	v_and_b32_e32 v67, 0x7f800000, v71
	v_cmp_ne_u32_e64 s[24:25], s43, v67
                                        ; implicit-def: $vgpr67
	s_and_saveexec_b64 s[8:9], s[24:25]
	s_xor_b64 s[24:25], exec, s[8:9]
; %bb.612:                              ;   in Loop: Header=BB30_387 Depth=4
	v_bfe_u32 v67, v71, 16, 1
	v_add3_u32 v67, v71, v67, s40
                                        ; implicit-def: $vgpr71
; %bb.613:                              ;   in Loop: Header=BB30_387 Depth=4
	s_andn2_saveexec_b64 s[38:39], s[24:25]
; %bb.614:                              ;   in Loop: Header=BB30_387 Depth=4
	v_or_b32_e32 v67, 0x10000, v71
	v_cmp_eq_u32_sdwa s[24:25], v71, v3 src0_sel:WORD_0 src1_sel:DWORD
	s_nop 1
	v_cndmask_b32_e64 v67, v67, v71, s[24:25]
; %bb.615:                              ;   in Loop: Header=BB30_387 Depth=4
	s_or_b64 exec, exec, s[38:39]
	v_lshlrev_b32_e32 v71, 16, v48
	s_waitcnt vmcnt(0)
	v_lshlrev_b32_e32 v97, 16, v52
	v_max_f32_e32 v97, v97, v97
	v_max_f32_e32 v71, v71, v71
	v_min_f32_e32 v98, v71, v97
	v_max_f32_e32 v71, v71, v97
	v_cndmask_b32_e32 v97, v71, v98, vcc
	v_and_b32_e32 v71, 0x7f800000, v97
	v_cmp_ne_u32_e64 s[24:25], s43, v71
                                        ; implicit-def: $vgpr71
	s_and_saveexec_b64 s[8:9], s[24:25]
	s_xor_b64 s[24:25], exec, s[8:9]
; %bb.616:                              ;   in Loop: Header=BB30_387 Depth=4
	v_bfe_u32 v71, v97, 16, 1
	v_add3_u32 v71, v97, v71, s40
                                        ; implicit-def: $vgpr97
; %bb.617:                              ;   in Loop: Header=BB30_387 Depth=4
	s_andn2_saveexec_b64 s[38:39], s[24:25]
; %bb.618:                              ;   in Loop: Header=BB30_387 Depth=4
	v_or_b32_e32 v71, 0x10000, v97
	v_cmp_eq_u32_sdwa s[24:25], v97, v3 src0_sel:WORD_0 src1_sel:DWORD
	s_nop 1
	v_cndmask_b32_e64 v71, v71, v97, s[24:25]
; %bb.619:                              ;   in Loop: Header=BB30_387 Depth=4
	s_or_b64 exec, exec, s[38:39]
	v_and_b32_e32 v48, 0xffff0000, v48
	v_and_b32_e32 v52, 0xffff0000, v52
	v_max_f32_e32 v52, v52, v52
	v_max_f32_e32 v48, v48, v48
	v_min_f32_e32 v97, v48, v52
	v_max_f32_e32 v48, v48, v52
	v_cndmask_b32_e32 v52, v48, v97, vcc
	v_and_b32_e32 v48, 0x7f800000, v52
	v_cmp_ne_u32_e64 s[24:25], s43, v48
                                        ; implicit-def: $vgpr48
	s_and_saveexec_b64 s[8:9], s[24:25]
	s_xor_b64 s[24:25], exec, s[8:9]
; %bb.620:                              ;   in Loop: Header=BB30_387 Depth=4
	v_bfe_u32 v48, v52, 16, 1
	v_add3_u32 v48, v52, v48, s40
                                        ; implicit-def: $vgpr52
; %bb.621:                              ;   in Loop: Header=BB30_387 Depth=4
	s_andn2_saveexec_b64 s[38:39], s[24:25]
; %bb.622:                              ;   in Loop: Header=BB30_387 Depth=4
	v_or_b32_e32 v48, 0x10000, v52
	v_cmp_eq_u32_sdwa s[24:25], v52, v3 src0_sel:WORD_0 src1_sel:DWORD
	s_nop 1
	v_cndmask_b32_e64 v48, v48, v52, s[24:25]
; %bb.623:                              ;   in Loop: Header=BB30_387 Depth=4
	s_or_b64 exec, exec, s[38:39]
	v_lshlrev_b32_e32 v52, 16, v49
	v_lshlrev_b32_e32 v97, 16, v53
	v_max_f32_e32 v97, v97, v97
	v_max_f32_e32 v52, v52, v52
	v_min_f32_e32 v98, v52, v97
	v_max_f32_e32 v52, v52, v97
	v_cndmask_b32_e32 v97, v52, v98, vcc
	v_and_b32_e32 v52, 0x7f800000, v97
	v_cmp_ne_u32_e64 s[24:25], s43, v52
                                        ; implicit-def: $vgpr52
	s_and_saveexec_b64 s[8:9], s[24:25]
	s_xor_b64 s[24:25], exec, s[8:9]
; %bb.624:                              ;   in Loop: Header=BB30_387 Depth=4
	v_bfe_u32 v52, v97, 16, 1
	v_add3_u32 v52, v97, v52, s40
                                        ; implicit-def: $vgpr97
; %bb.625:                              ;   in Loop: Header=BB30_387 Depth=4
	s_andn2_saveexec_b64 s[38:39], s[24:25]
; %bb.626:                              ;   in Loop: Header=BB30_387 Depth=4
	v_or_b32_e32 v52, 0x10000, v97
	v_cmp_eq_u32_sdwa s[24:25], v97, v3 src0_sel:WORD_0 src1_sel:DWORD
	s_nop 1
	v_cndmask_b32_e64 v52, v52, v97, s[24:25]
; %bb.627:                              ;   in Loop: Header=BB30_387 Depth=4
	s_or_b64 exec, exec, s[38:39]
	v_and_b32_e32 v49, 0xffff0000, v49
	v_and_b32_e32 v53, 0xffff0000, v53
	v_max_f32_e32 v53, v53, v53
	v_max_f32_e32 v49, v49, v49
	v_min_f32_e32 v97, v49, v53
	v_max_f32_e32 v49, v49, v53
	v_cndmask_b32_e32 v53, v49, v97, vcc
	v_and_b32_e32 v49, 0x7f800000, v53
	v_cmp_ne_u32_e64 s[24:25], s43, v49
                                        ; implicit-def: $vgpr49
	s_and_saveexec_b64 s[8:9], s[24:25]
	s_xor_b64 s[24:25], exec, s[8:9]
; %bb.628:                              ;   in Loop: Header=BB30_387 Depth=4
	v_bfe_u32 v49, v53, 16, 1
	v_add3_u32 v49, v53, v49, s40
                                        ; implicit-def: $vgpr53
; %bb.629:                              ;   in Loop: Header=BB30_387 Depth=4
	s_andn2_saveexec_b64 s[38:39], s[24:25]
; %bb.630:                              ;   in Loop: Header=BB30_387 Depth=4
	v_or_b32_e32 v49, 0x10000, v53
	v_cmp_eq_u32_sdwa s[24:25], v53, v3 src0_sel:WORD_0 src1_sel:DWORD
	s_nop 1
	v_cndmask_b32_e64 v49, v49, v53, s[24:25]
; %bb.631:                              ;   in Loop: Header=BB30_387 Depth=4
	s_or_b64 exec, exec, s[38:39]
	v_lshlrev_b32_e32 v53, 16, v50
	v_lshlrev_b32_e32 v97, 16, v54
	v_max_f32_e32 v97, v97, v97
	v_max_f32_e32 v53, v53, v53
	v_min_f32_e32 v98, v53, v97
	v_max_f32_e32 v53, v53, v97
	v_cndmask_b32_e32 v97, v53, v98, vcc
	v_and_b32_e32 v53, 0x7f800000, v97
	v_cmp_ne_u32_e64 s[24:25], s43, v53
                                        ; implicit-def: $vgpr53
	s_and_saveexec_b64 s[8:9], s[24:25]
	s_xor_b64 s[24:25], exec, s[8:9]
; %bb.632:                              ;   in Loop: Header=BB30_387 Depth=4
	v_bfe_u32 v53, v97, 16, 1
	v_add3_u32 v53, v97, v53, s40
                                        ; implicit-def: $vgpr97
; %bb.633:                              ;   in Loop: Header=BB30_387 Depth=4
	s_andn2_saveexec_b64 s[38:39], s[24:25]
; %bb.634:                              ;   in Loop: Header=BB30_387 Depth=4
	v_or_b32_e32 v53, 0x10000, v97
	v_cmp_eq_u32_sdwa s[24:25], v97, v3 src0_sel:WORD_0 src1_sel:DWORD
	s_nop 1
	v_cndmask_b32_e64 v53, v53, v97, s[24:25]
; %bb.635:                              ;   in Loop: Header=BB30_387 Depth=4
	s_or_b64 exec, exec, s[38:39]
	v_and_b32_e32 v50, 0xffff0000, v50
	v_and_b32_e32 v54, 0xffff0000, v54
	v_max_f32_e32 v54, v54, v54
	v_max_f32_e32 v50, v50, v50
	v_min_f32_e32 v97, v50, v54
	v_max_f32_e32 v50, v50, v54
	v_cndmask_b32_e32 v54, v50, v97, vcc
	v_and_b32_e32 v50, 0x7f800000, v54
	v_cmp_ne_u32_e64 s[24:25], s43, v50
                                        ; implicit-def: $vgpr50
	s_and_saveexec_b64 s[8:9], s[24:25]
	s_xor_b64 s[24:25], exec, s[8:9]
; %bb.636:                              ;   in Loop: Header=BB30_387 Depth=4
	v_bfe_u32 v50, v54, 16, 1
	v_add3_u32 v50, v54, v50, s40
                                        ; implicit-def: $vgpr54
; %bb.637:                              ;   in Loop: Header=BB30_387 Depth=4
	s_andn2_saveexec_b64 s[38:39], s[24:25]
; %bb.638:                              ;   in Loop: Header=BB30_387 Depth=4
	v_or_b32_e32 v50, 0x10000, v54
	v_cmp_eq_u32_sdwa s[24:25], v54, v3 src0_sel:WORD_0 src1_sel:DWORD
	s_nop 1
	v_cndmask_b32_e64 v50, v50, v54, s[24:25]
; %bb.639:                              ;   in Loop: Header=BB30_387 Depth=4
	s_or_b64 exec, exec, s[38:39]
	v_lshlrev_b32_e32 v54, 16, v51
	v_lshlrev_b32_e32 v97, 16, v55
	v_max_f32_e32 v97, v97, v97
	v_max_f32_e32 v54, v54, v54
	v_min_f32_e32 v98, v54, v97
	v_max_f32_e32 v54, v54, v97
	v_cndmask_b32_e32 v97, v54, v98, vcc
	v_and_b32_e32 v54, 0x7f800000, v97
	v_cmp_ne_u32_e64 s[24:25], s43, v54
                                        ; implicit-def: $vgpr54
	s_and_saveexec_b64 s[8:9], s[24:25]
	s_xor_b64 s[24:25], exec, s[8:9]
; %bb.640:                              ;   in Loop: Header=BB30_387 Depth=4
	v_bfe_u32 v54, v97, 16, 1
	v_add3_u32 v54, v97, v54, s40
                                        ; implicit-def: $vgpr97
; %bb.641:                              ;   in Loop: Header=BB30_387 Depth=4
	s_andn2_saveexec_b64 s[38:39], s[24:25]
; %bb.642:                              ;   in Loop: Header=BB30_387 Depth=4
	v_or_b32_e32 v54, 0x10000, v97
	v_cmp_eq_u32_sdwa s[24:25], v97, v3 src0_sel:WORD_0 src1_sel:DWORD
	s_nop 1
	v_cndmask_b32_e64 v54, v54, v97, s[24:25]
; %bb.643:                              ;   in Loop: Header=BB30_387 Depth=4
	s_or_b64 exec, exec, s[38:39]
	v_and_b32_e32 v51, 0xffff0000, v51
	v_and_b32_e32 v55, 0xffff0000, v55
	v_max_f32_e32 v55, v55, v55
	v_max_f32_e32 v51, v51, v51
	v_min_f32_e32 v97, v51, v55
	v_max_f32_e32 v51, v51, v55
	v_cndmask_b32_e32 v55, v51, v97, vcc
	v_and_b32_e32 v51, 0x7f800000, v55
	v_cmp_ne_u32_e64 s[24:25], s43, v51
                                        ; implicit-def: $vgpr51
	s_and_saveexec_b64 s[8:9], s[24:25]
	s_xor_b64 s[24:25], exec, s[8:9]
; %bb.644:                              ;   in Loop: Header=BB30_387 Depth=4
	v_bfe_u32 v51, v55, 16, 1
	v_add3_u32 v51, v55, v51, s40
                                        ; implicit-def: $vgpr55
; %bb.645:                              ;   in Loop: Header=BB30_387 Depth=4
	s_andn2_saveexec_b64 s[38:39], s[24:25]
	s_cbranch_execz .LBB30_386
; %bb.646:                              ;   in Loop: Header=BB30_387 Depth=4
	v_or_b32_e32 v51, 0x10000, v55
	v_cmp_eq_u32_sdwa s[24:25], v55, v3 src0_sel:WORD_0 src1_sel:DWORD
	s_nop 1
	v_cndmask_b32_e64 v51, v51, v55, s[24:25]
	s_branch .LBB30_386
.LBB30_647:                             ;   in Loop: Header=BB30_303 Depth=3
	scratch_load_dword v7, off, s33 offset:312 ; 4-byte Folded Reload
	s_waitcnt vmcnt(0)
	v_mov_b32_e32 v6, v7
	v_and_b32_e32 v14, 63, v7
	s_and_saveexec_b64 s[34:35], s[30:31]
	s_cbranch_execnz .LBB30_895
	s_branch .LBB30_1122
.LBB30_648:                             ;   in Loop: Header=BB30_303 Depth=3
	s_or_b64 exec, exec, s[28:29]
	scratch_load_dwordx2 v[100:101], off, s33 offset:364 ; 8-byte Folded Reload
	s_and_b64 s[24:25], s[34:35], exec
.LBB30_649:                             ;   in Loop: Header=BB30_303 Depth=3
	s_or_b64 exec, exec, s[26:27]
	s_and_saveexec_b64 s[26:27], s[24:25]
	s_cbranch_execz .LBB30_779
; %bb.650:                              ;   in Loop: Header=BB30_303 Depth=3
	s_and_b32 s8, 0xffff, s64
	v_lshlrev_b32_e32 v6, 16, v80
	v_lshlrev_b32_e32 v7, 16, v32
	s_cmp_eq_u32 s8, 0
	v_max_f32_e32 v7, v7, v7
	v_max_f32_e32 v6, v6, v6
	v_min_f32_e32 v30, v6, v7
	v_max_f32_e32 v6, v6, v7
	s_cselect_b64 vcc, -1, 0
	v_cndmask_b32_e32 v6, v6, v30, vcc
	v_and_b32_e32 v7, 0x7f800000, v6
	v_cmp_ne_u32_e64 s[24:25], s43, v7
                                        ; implicit-def: $vgpr48
	s_and_saveexec_b64 s[8:9], s[24:25]
	s_xor_b64 s[24:25], exec, s[8:9]
; %bb.651:                              ;   in Loop: Header=BB30_303 Depth=3
	v_bfe_u32 v7, v6, 16, 1
	v_add3_u32 v48, v6, v7, s40
                                        ; implicit-def: $vgpr6
; %bb.652:                              ;   in Loop: Header=BB30_303 Depth=3
	s_andn2_saveexec_b64 s[28:29], s[24:25]
; %bb.653:                              ;   in Loop: Header=BB30_303 Depth=3
	v_or_b32_e32 v7, 0x10000, v6
	v_cmp_eq_u32_sdwa s[24:25], v6, v3 src0_sel:WORD_0 src1_sel:DWORD
	s_nop 1
	v_cndmask_b32_e64 v48, v7, v6, s[24:25]
; %bb.654:                              ;   in Loop: Header=BB30_303 Depth=3
	s_or_b64 exec, exec, s[28:29]
	v_and_b32_e32 v6, 0xffff0000, v80
	v_and_b32_e32 v7, 0xffff0000, v32
	v_max_f32_e32 v7, v7, v7
	v_max_f32_e32 v6, v6, v6
	v_min_f32_e32 v30, v6, v7
	v_max_f32_e32 v6, v6, v7
	v_cndmask_b32_e32 v6, v6, v30, vcc
	v_and_b32_e32 v7, 0x7f800000, v6
	v_cmp_ne_u32_e64 s[24:25], s43, v7
                                        ; implicit-def: $vgpr32
	s_and_saveexec_b64 s[8:9], s[24:25]
	s_xor_b64 s[24:25], exec, s[8:9]
; %bb.655:                              ;   in Loop: Header=BB30_303 Depth=3
	v_bfe_u32 v7, v6, 16, 1
	v_add3_u32 v32, v6, v7, s40
                                        ; implicit-def: $vgpr6
; %bb.656:                              ;   in Loop: Header=BB30_303 Depth=3
	s_andn2_saveexec_b64 s[28:29], s[24:25]
; %bb.657:                              ;   in Loop: Header=BB30_303 Depth=3
	v_or_b32_e32 v7, 0x10000, v6
	v_cmp_eq_u32_sdwa s[24:25], v6, v3 src0_sel:WORD_0 src1_sel:DWORD
	s_nop 1
	v_cndmask_b32_e64 v32, v7, v6, s[24:25]
; %bb.658:                              ;   in Loop: Header=BB30_303 Depth=3
	s_or_b64 exec, exec, s[28:29]
	v_lshlrev_b32_e32 v6, 16, v81
	v_lshlrev_b32_e32 v7, 16, v33
	v_max_f32_e32 v7, v7, v7
	v_max_f32_e32 v6, v6, v6
	v_min_f32_e32 v30, v6, v7
	v_max_f32_e32 v6, v6, v7
	v_cndmask_b32_e32 v6, v6, v30, vcc
	v_and_b32_e32 v7, 0x7f800000, v6
	v_cmp_ne_u32_e64 s[24:25], s43, v7
                                        ; implicit-def: $vgpr49
	s_and_saveexec_b64 s[8:9], s[24:25]
	s_xor_b64 s[24:25], exec, s[8:9]
; %bb.659:                              ;   in Loop: Header=BB30_303 Depth=3
	v_bfe_u32 v7, v6, 16, 1
	v_add3_u32 v49, v6, v7, s40
                                        ; implicit-def: $vgpr6
; %bb.660:                              ;   in Loop: Header=BB30_303 Depth=3
	s_andn2_saveexec_b64 s[28:29], s[24:25]
; %bb.661:                              ;   in Loop: Header=BB30_303 Depth=3
	v_or_b32_e32 v7, 0x10000, v6
	v_cmp_eq_u32_sdwa s[24:25], v6, v3 src0_sel:WORD_0 src1_sel:DWORD
	s_nop 1
	v_cndmask_b32_e64 v49, v7, v6, s[24:25]
; %bb.662:                              ;   in Loop: Header=BB30_303 Depth=3
	s_or_b64 exec, exec, s[28:29]
	v_and_b32_e32 v6, 0xffff0000, v81
	v_and_b32_e32 v7, 0xffff0000, v33
	v_max_f32_e32 v7, v7, v7
	v_max_f32_e32 v6, v6, v6
	v_min_f32_e32 v30, v6, v7
	v_max_f32_e32 v6, v6, v7
	v_cndmask_b32_e32 v6, v6, v30, vcc
	v_and_b32_e32 v7, 0x7f800000, v6
	v_cmp_ne_u32_e64 s[24:25], s43, v7
                                        ; implicit-def: $vgpr33
	s_and_saveexec_b64 s[8:9], s[24:25]
	s_xor_b64 s[24:25], exec, s[8:9]
; %bb.663:                              ;   in Loop: Header=BB30_303 Depth=3
	v_bfe_u32 v7, v6, 16, 1
	v_add3_u32 v33, v6, v7, s40
                                        ; implicit-def: $vgpr6
; %bb.664:                              ;   in Loop: Header=BB30_303 Depth=3
	s_andn2_saveexec_b64 s[28:29], s[24:25]
; %bb.665:                              ;   in Loop: Header=BB30_303 Depth=3
	v_or_b32_e32 v7, 0x10000, v6
	v_cmp_eq_u32_sdwa s[24:25], v6, v3 src0_sel:WORD_0 src1_sel:DWORD
	s_nop 1
	v_cndmask_b32_e64 v33, v7, v6, s[24:25]
; %bb.666:                              ;   in Loop: Header=BB30_303 Depth=3
	s_or_b64 exec, exec, s[28:29]
	v_lshlrev_b32_e32 v6, 16, v82
	v_lshlrev_b32_e32 v7, 16, v34
	v_max_f32_e32 v7, v7, v7
	v_max_f32_e32 v6, v6, v6
	v_min_f32_e32 v30, v6, v7
	v_max_f32_e32 v6, v6, v7
	v_cndmask_b32_e32 v6, v6, v30, vcc
	v_and_b32_e32 v7, 0x7f800000, v6
	v_cmp_ne_u32_e64 s[24:25], s43, v7
                                        ; implicit-def: $vgpr50
	s_and_saveexec_b64 s[8:9], s[24:25]
	s_xor_b64 s[24:25], exec, s[8:9]
; %bb.667:                              ;   in Loop: Header=BB30_303 Depth=3
	v_bfe_u32 v7, v6, 16, 1
	v_add3_u32 v50, v6, v7, s40
                                        ; implicit-def: $vgpr6
; %bb.668:                              ;   in Loop: Header=BB30_303 Depth=3
	s_andn2_saveexec_b64 s[28:29], s[24:25]
; %bb.669:                              ;   in Loop: Header=BB30_303 Depth=3
	v_or_b32_e32 v7, 0x10000, v6
	v_cmp_eq_u32_sdwa s[24:25], v6, v3 src0_sel:WORD_0 src1_sel:DWORD
	s_nop 1
	v_cndmask_b32_e64 v50, v7, v6, s[24:25]
; %bb.670:                              ;   in Loop: Header=BB30_303 Depth=3
	s_or_b64 exec, exec, s[28:29]
	v_and_b32_e32 v6, 0xffff0000, v82
	v_and_b32_e32 v7, 0xffff0000, v34
	v_max_f32_e32 v7, v7, v7
	v_max_f32_e32 v6, v6, v6
	v_min_f32_e32 v30, v6, v7
	v_max_f32_e32 v6, v6, v7
	v_cndmask_b32_e32 v6, v6, v30, vcc
	v_and_b32_e32 v7, 0x7f800000, v6
	v_cmp_ne_u32_e64 s[24:25], s43, v7
                                        ; implicit-def: $vgpr34
	s_and_saveexec_b64 s[8:9], s[24:25]
	s_xor_b64 s[24:25], exec, s[8:9]
; %bb.671:                              ;   in Loop: Header=BB30_303 Depth=3
	v_bfe_u32 v7, v6, 16, 1
	v_add3_u32 v34, v6, v7, s40
                                        ; implicit-def: $vgpr6
; %bb.672:                              ;   in Loop: Header=BB30_303 Depth=3
	s_andn2_saveexec_b64 s[28:29], s[24:25]
; %bb.673:                              ;   in Loop: Header=BB30_303 Depth=3
	v_or_b32_e32 v7, 0x10000, v6
	v_cmp_eq_u32_sdwa s[24:25], v6, v3 src0_sel:WORD_0 src1_sel:DWORD
	s_nop 1
	v_cndmask_b32_e64 v34, v7, v6, s[24:25]
; %bb.674:                              ;   in Loop: Header=BB30_303 Depth=3
	s_or_b64 exec, exec, s[28:29]
	v_lshlrev_b32_e32 v6, 16, v83
	v_lshlrev_b32_e32 v7, 16, v35
	v_max_f32_e32 v7, v7, v7
	v_max_f32_e32 v6, v6, v6
	v_min_f32_e32 v30, v6, v7
	v_max_f32_e32 v6, v6, v7
	v_cndmask_b32_e32 v6, v6, v30, vcc
	v_and_b32_e32 v7, 0x7f800000, v6
	v_cmp_ne_u32_e64 s[24:25], s43, v7
                                        ; implicit-def: $vgpr51
	s_and_saveexec_b64 s[8:9], s[24:25]
	s_xor_b64 s[24:25], exec, s[8:9]
; %bb.675:                              ;   in Loop: Header=BB30_303 Depth=3
	v_bfe_u32 v7, v6, 16, 1
	v_add3_u32 v51, v6, v7, s40
                                        ; implicit-def: $vgpr6
; %bb.676:                              ;   in Loop: Header=BB30_303 Depth=3
	s_andn2_saveexec_b64 s[28:29], s[24:25]
; %bb.677:                              ;   in Loop: Header=BB30_303 Depth=3
	v_or_b32_e32 v7, 0x10000, v6
	v_cmp_eq_u32_sdwa s[24:25], v6, v3 src0_sel:WORD_0 src1_sel:DWORD
	s_nop 1
	v_cndmask_b32_e64 v51, v7, v6, s[24:25]
; %bb.678:                              ;   in Loop: Header=BB30_303 Depth=3
	s_or_b64 exec, exec, s[28:29]
	v_and_b32_e32 v6, 0xffff0000, v83
	v_and_b32_e32 v7, 0xffff0000, v35
	v_max_f32_e32 v7, v7, v7
	v_max_f32_e32 v6, v6, v6
	v_min_f32_e32 v30, v6, v7
	v_max_f32_e32 v6, v6, v7
	v_cndmask_b32_e32 v6, v6, v30, vcc
	v_and_b32_e32 v7, 0x7f800000, v6
	v_cmp_ne_u32_e64 s[24:25], s43, v7
                                        ; implicit-def: $vgpr35
	s_and_saveexec_b64 s[8:9], s[24:25]
	s_xor_b64 s[24:25], exec, s[8:9]
; %bb.679:                              ;   in Loop: Header=BB30_303 Depth=3
	v_bfe_u32 v7, v6, 16, 1
	v_add3_u32 v35, v6, v7, s40
                                        ; implicit-def: $vgpr6
; %bb.680:                              ;   in Loop: Header=BB30_303 Depth=3
	s_andn2_saveexec_b64 s[28:29], s[24:25]
; %bb.681:                              ;   in Loop: Header=BB30_303 Depth=3
	v_or_b32_e32 v7, 0x10000, v6
	v_cmp_eq_u32_sdwa s[24:25], v6, v3 src0_sel:WORD_0 src1_sel:DWORD
	s_nop 1
	v_cndmask_b32_e64 v35, v7, v6, s[24:25]
; %bb.682:                              ;   in Loop: Header=BB30_303 Depth=3
	s_or_b64 exec, exec, s[28:29]
	v_lshlrev_b32_e32 v6, 16, v36
	v_lshlrev_b32_e32 v7, 16, v20
	v_max_f32_e32 v7, v7, v7
	v_max_f32_e32 v6, v6, v6
	v_min_f32_e32 v30, v6, v7
	v_max_f32_e32 v6, v6, v7
	v_cndmask_b32_e32 v6, v6, v30, vcc
	v_and_b32_e32 v7, 0x7f800000, v6
	v_cmp_ne_u32_e64 s[24:25], s43, v7
                                        ; implicit-def: $vgpr52
	s_and_saveexec_b64 s[8:9], s[24:25]
	s_xor_b64 s[24:25], exec, s[8:9]
; %bb.683:                              ;   in Loop: Header=BB30_303 Depth=3
	v_bfe_u32 v7, v6, 16, 1
	v_add3_u32 v52, v6, v7, s40
                                        ; implicit-def: $vgpr6
; %bb.684:                              ;   in Loop: Header=BB30_303 Depth=3
	s_andn2_saveexec_b64 s[28:29], s[24:25]
; %bb.685:                              ;   in Loop: Header=BB30_303 Depth=3
	v_or_b32_e32 v7, 0x10000, v6
	v_cmp_eq_u32_sdwa s[24:25], v6, v3 src0_sel:WORD_0 src1_sel:DWORD
	s_nop 1
	v_cndmask_b32_e64 v52, v7, v6, s[24:25]
; %bb.686:                              ;   in Loop: Header=BB30_303 Depth=3
	s_or_b64 exec, exec, s[28:29]
	v_and_b32_e32 v6, 0xffff0000, v36
	v_and_b32_e32 v7, 0xffff0000, v20
	v_max_f32_e32 v7, v7, v7
	v_max_f32_e32 v6, v6, v6
	v_min_f32_e32 v20, v6, v7
	v_max_f32_e32 v6, v6, v7
	v_cndmask_b32_e32 v6, v6, v20, vcc
	v_and_b32_e32 v7, 0x7f800000, v6
	v_cmp_ne_u32_e64 s[24:25], s43, v7
                                        ; implicit-def: $vgpr20
	s_and_saveexec_b64 s[8:9], s[24:25]
	s_xor_b64 s[24:25], exec, s[8:9]
; %bb.687:                              ;   in Loop: Header=BB30_303 Depth=3
	v_bfe_u32 v7, v6, 16, 1
	v_add3_u32 v20, v6, v7, s40
                                        ; implicit-def: $vgpr6
; %bb.688:                              ;   in Loop: Header=BB30_303 Depth=3
	s_andn2_saveexec_b64 s[28:29], s[24:25]
; %bb.689:                              ;   in Loop: Header=BB30_303 Depth=3
	v_or_b32_e32 v7, 0x10000, v6
	v_cmp_eq_u32_sdwa s[24:25], v6, v3 src0_sel:WORD_0 src1_sel:DWORD
	s_nop 1
	v_cndmask_b32_e64 v20, v7, v6, s[24:25]
; %bb.690:                              ;   in Loop: Header=BB30_303 Depth=3
	s_or_b64 exec, exec, s[28:29]
	v_lshlrev_b32_e32 v6, 16, v37
	v_lshlrev_b32_e32 v7, 16, v21
	v_max_f32_e32 v7, v7, v7
	v_max_f32_e32 v6, v6, v6
	v_min_f32_e32 v30, v6, v7
	v_max_f32_e32 v6, v6, v7
	v_cndmask_b32_e32 v6, v6, v30, vcc
	v_and_b32_e32 v7, 0x7f800000, v6
	v_cmp_ne_u32_e64 s[24:25], s43, v7
                                        ; implicit-def: $vgpr36
	s_and_saveexec_b64 s[8:9], s[24:25]
	s_xor_b64 s[24:25], exec, s[8:9]
; %bb.691:                              ;   in Loop: Header=BB30_303 Depth=3
	v_bfe_u32 v7, v6, 16, 1
	v_add3_u32 v36, v6, v7, s40
                                        ; implicit-def: $vgpr6
; %bb.692:                              ;   in Loop: Header=BB30_303 Depth=3
	s_andn2_saveexec_b64 s[28:29], s[24:25]
; %bb.693:                              ;   in Loop: Header=BB30_303 Depth=3
	v_or_b32_e32 v7, 0x10000, v6
	v_cmp_eq_u32_sdwa s[24:25], v6, v3 src0_sel:WORD_0 src1_sel:DWORD
	s_nop 1
	v_cndmask_b32_e64 v36, v7, v6, s[24:25]
; %bb.694:                              ;   in Loop: Header=BB30_303 Depth=3
	s_or_b64 exec, exec, s[28:29]
	v_and_b32_e32 v6, 0xffff0000, v37
	v_and_b32_e32 v7, 0xffff0000, v21
	v_max_f32_e32 v7, v7, v7
	v_max_f32_e32 v6, v6, v6
	v_min_f32_e32 v21, v6, v7
	v_max_f32_e32 v6, v6, v7
	v_cndmask_b32_e32 v6, v6, v21, vcc
	v_and_b32_e32 v7, 0x7f800000, v6
	v_cmp_ne_u32_e64 s[24:25], s43, v7
                                        ; implicit-def: $vgpr21
	s_and_saveexec_b64 s[8:9], s[24:25]
	s_xor_b64 s[24:25], exec, s[8:9]
; %bb.695:                              ;   in Loop: Header=BB30_303 Depth=3
	v_bfe_u32 v7, v6, 16, 1
	v_add3_u32 v21, v6, v7, s40
                                        ; implicit-def: $vgpr6
; %bb.696:                              ;   in Loop: Header=BB30_303 Depth=3
	s_andn2_saveexec_b64 s[28:29], s[24:25]
; %bb.697:                              ;   in Loop: Header=BB30_303 Depth=3
	v_or_b32_e32 v7, 0x10000, v6
	v_cmp_eq_u32_sdwa s[24:25], v6, v3 src0_sel:WORD_0 src1_sel:DWORD
	s_nop 1
	v_cndmask_b32_e64 v21, v7, v6, s[24:25]
; %bb.698:                              ;   in Loop: Header=BB30_303 Depth=3
	s_or_b64 exec, exec, s[28:29]
	v_lshlrev_b32_e32 v6, 16, v38
	v_lshlrev_b32_e32 v7, 16, v22
	v_max_f32_e32 v7, v7, v7
	v_max_f32_e32 v6, v6, v6
	v_min_f32_e32 v30, v6, v7
	v_max_f32_e32 v6, v6, v7
	v_cndmask_b32_e32 v7, v6, v30, vcc
	v_and_b32_e32 v6, 0x7f800000, v7
	v_cmp_ne_u32_e64 s[24:25], s43, v6
                                        ; implicit-def: $vgpr6
	s_and_saveexec_b64 s[8:9], s[24:25]
	s_xor_b64 s[24:25], exec, s[8:9]
; %bb.699:                              ;   in Loop: Header=BB30_303 Depth=3
	v_bfe_u32 v6, v7, 16, 1
	v_add3_u32 v6, v7, v6, s40
                                        ; implicit-def: $vgpr7
; %bb.700:                              ;   in Loop: Header=BB30_303 Depth=3
	s_andn2_saveexec_b64 s[28:29], s[24:25]
; %bb.701:                              ;   in Loop: Header=BB30_303 Depth=3
	v_or_b32_e32 v6, 0x10000, v7
	v_cmp_eq_u32_sdwa s[24:25], v7, v3 src0_sel:WORD_0 src1_sel:DWORD
	s_nop 1
	v_cndmask_b32_e64 v6, v6, v7, s[24:25]
; %bb.702:                              ;   in Loop: Header=BB30_303 Depth=3
	s_or_b64 exec, exec, s[28:29]
	v_and_b32_e32 v7, 0xffff0000, v38
	v_and_b32_e32 v22, 0xffff0000, v22
	v_max_f32_e32 v22, v22, v22
	v_max_f32_e32 v7, v7, v7
	v_min_f32_e32 v30, v7, v22
	v_max_f32_e32 v7, v7, v22
	v_cndmask_b32_e32 v22, v7, v30, vcc
	v_and_b32_e32 v7, 0x7f800000, v22
	v_cmp_ne_u32_e64 s[24:25], s43, v7
                                        ; implicit-def: $vgpr7
	s_and_saveexec_b64 s[8:9], s[24:25]
	s_xor_b64 s[24:25], exec, s[8:9]
; %bb.703:                              ;   in Loop: Header=BB30_303 Depth=3
	v_bfe_u32 v7, v22, 16, 1
	v_add3_u32 v7, v22, v7, s40
                                        ; implicit-def: $vgpr22
; %bb.704:                              ;   in Loop: Header=BB30_303 Depth=3
	s_andn2_saveexec_b64 s[28:29], s[24:25]
; %bb.705:                              ;   in Loop: Header=BB30_303 Depth=3
	v_or_b32_e32 v7, 0x10000, v22
	v_cmp_eq_u32_sdwa s[24:25], v22, v3 src0_sel:WORD_0 src1_sel:DWORD
	s_nop 1
	v_cndmask_b32_e64 v7, v7, v22, s[24:25]
; %bb.706:                              ;   in Loop: Header=BB30_303 Depth=3
	s_or_b64 exec, exec, s[28:29]
	v_lshlrev_b32_e32 v22, 16, v39
	v_lshlrev_b32_e32 v30, 16, v23
	v_max_f32_e32 v30, v30, v30
	v_max_f32_e32 v22, v22, v22
	v_min_f32_e32 v37, v22, v30
	v_max_f32_e32 v22, v22, v30
	v_cndmask_b32_e32 v30, v22, v37, vcc
	v_and_b32_e32 v22, 0x7f800000, v30
	v_cmp_ne_u32_e64 s[24:25], s43, v22
                                        ; implicit-def: $vgpr22
	s_and_saveexec_b64 s[8:9], s[24:25]
	s_xor_b64 s[24:25], exec, s[8:9]
; %bb.707:                              ;   in Loop: Header=BB30_303 Depth=3
	v_bfe_u32 v22, v30, 16, 1
	v_add3_u32 v22, v30, v22, s40
                                        ; implicit-def: $vgpr30
; %bb.708:                              ;   in Loop: Header=BB30_303 Depth=3
	s_andn2_saveexec_b64 s[28:29], s[24:25]
; %bb.709:                              ;   in Loop: Header=BB30_303 Depth=3
	v_or_b32_e32 v22, 0x10000, v30
	v_cmp_eq_u32_sdwa s[24:25], v30, v3 src0_sel:WORD_0 src1_sel:DWORD
	s_nop 1
	v_cndmask_b32_e64 v22, v22, v30, s[24:25]
; %bb.710:                              ;   in Loop: Header=BB30_303 Depth=3
	s_or_b64 exec, exec, s[28:29]
	v_and_b32_e32 v30, 0xffff0000, v39
	v_and_b32_e32 v23, 0xffff0000, v23
	v_max_f32_e32 v23, v23, v23
	v_max_f32_e32 v30, v30, v30
	v_min_f32_e32 v37, v30, v23
	v_max_f32_e32 v23, v30, v23
	v_cndmask_b32_e32 v30, v23, v37, vcc
	v_and_b32_e32 v23, 0x7f800000, v30
	v_cmp_ne_u32_e64 s[24:25], s43, v23
                                        ; implicit-def: $vgpr23
	s_and_saveexec_b64 s[8:9], s[24:25]
	s_xor_b64 s[24:25], exec, s[8:9]
; %bb.711:                              ;   in Loop: Header=BB30_303 Depth=3
	v_bfe_u32 v23, v30, 16, 1
	v_add3_u32 v23, v30, v23, s40
                                        ; implicit-def: $vgpr30
; %bb.712:                              ;   in Loop: Header=BB30_303 Depth=3
	s_andn2_saveexec_b64 s[28:29], s[24:25]
; %bb.713:                              ;   in Loop: Header=BB30_303 Depth=3
	v_or_b32_e32 v23, 0x10000, v30
	v_cmp_eq_u32_sdwa s[24:25], v30, v3 src0_sel:WORD_0 src1_sel:DWORD
	s_nop 1
	v_cndmask_b32_e64 v23, v23, v30, s[24:25]
; %bb.714:                              ;   in Loop: Header=BB30_303 Depth=3
	s_or_b64 exec, exec, s[28:29]
	v_lshlrev_b32_e32 v30, 16, v24
	v_lshlrev_b32_e32 v37, 16, v16
	v_max_f32_e32 v37, v37, v37
	v_max_f32_e32 v30, v30, v30
	v_min_f32_e32 v38, v30, v37
	v_max_f32_e32 v30, v30, v37
	v_cndmask_b32_e32 v37, v30, v38, vcc
	v_and_b32_e32 v30, 0x7f800000, v37
	v_cmp_ne_u32_e64 s[24:25], s43, v30
                                        ; implicit-def: $vgpr30
	s_and_saveexec_b64 s[8:9], s[24:25]
	s_xor_b64 s[24:25], exec, s[8:9]
; %bb.715:                              ;   in Loop: Header=BB30_303 Depth=3
	v_bfe_u32 v30, v37, 16, 1
	v_add3_u32 v30, v37, v30, s40
                                        ; implicit-def: $vgpr37
; %bb.716:                              ;   in Loop: Header=BB30_303 Depth=3
	s_andn2_saveexec_b64 s[28:29], s[24:25]
; %bb.717:                              ;   in Loop: Header=BB30_303 Depth=3
	v_or_b32_e32 v30, 0x10000, v37
	v_cmp_eq_u32_sdwa s[24:25], v37, v3 src0_sel:WORD_0 src1_sel:DWORD
	s_nop 1
	v_cndmask_b32_e64 v30, v30, v37, s[24:25]
; %bb.718:                              ;   in Loop: Header=BB30_303 Depth=3
	s_or_b64 exec, exec, s[28:29]
	v_and_b32_e32 v24, 0xffff0000, v24
	v_and_b32_e32 v16, 0xffff0000, v16
	v_max_f32_e32 v16, v16, v16
	v_max_f32_e32 v24, v24, v24
	v_min_f32_e32 v37, v24, v16
	v_max_f32_e32 v16, v24, v16
	v_cndmask_b32_e32 v24, v16, v37, vcc
	v_and_b32_e32 v16, 0x7f800000, v24
	v_cmp_ne_u32_e64 s[24:25], s43, v16
                                        ; implicit-def: $vgpr16
	s_and_saveexec_b64 s[8:9], s[24:25]
	s_xor_b64 s[24:25], exec, s[8:9]
; %bb.719:                              ;   in Loop: Header=BB30_303 Depth=3
	v_bfe_u32 v16, v24, 16, 1
	v_add3_u32 v16, v24, v16, s40
                                        ; implicit-def: $vgpr24
; %bb.720:                              ;   in Loop: Header=BB30_303 Depth=3
	s_andn2_saveexec_b64 s[28:29], s[24:25]
; %bb.721:                              ;   in Loop: Header=BB30_303 Depth=3
	v_or_b32_e32 v16, 0x10000, v24
	v_cmp_eq_u32_sdwa s[24:25], v24, v3 src0_sel:WORD_0 src1_sel:DWORD
	s_nop 1
	v_cndmask_b32_e64 v16, v16, v24, s[24:25]
; %bb.722:                              ;   in Loop: Header=BB30_303 Depth=3
	s_or_b64 exec, exec, s[28:29]
	v_lshlrev_b32_e32 v24, 16, v25
	v_lshlrev_b32_e32 v37, 16, v17
	v_max_f32_e32 v37, v37, v37
	v_max_f32_e32 v24, v24, v24
	v_min_f32_e32 v38, v24, v37
	v_max_f32_e32 v24, v24, v37
	v_cndmask_b32_e32 v37, v24, v38, vcc
	v_and_b32_e32 v24, 0x7f800000, v37
	v_cmp_ne_u32_e64 s[24:25], s43, v24
                                        ; implicit-def: $vgpr24
	s_and_saveexec_b64 s[8:9], s[24:25]
	s_xor_b64 s[24:25], exec, s[8:9]
; %bb.723:                              ;   in Loop: Header=BB30_303 Depth=3
	v_bfe_u32 v24, v37, 16, 1
	v_add3_u32 v24, v37, v24, s40
                                        ; implicit-def: $vgpr37
; %bb.724:                              ;   in Loop: Header=BB30_303 Depth=3
	s_andn2_saveexec_b64 s[28:29], s[24:25]
; %bb.725:                              ;   in Loop: Header=BB30_303 Depth=3
	v_or_b32_e32 v24, 0x10000, v37
	v_cmp_eq_u32_sdwa s[24:25], v37, v3 src0_sel:WORD_0 src1_sel:DWORD
	s_nop 1
	v_cndmask_b32_e64 v24, v24, v37, s[24:25]
; %bb.726:                              ;   in Loop: Header=BB30_303 Depth=3
	s_or_b64 exec, exec, s[28:29]
	v_and_b32_e32 v25, 0xffff0000, v25
	v_and_b32_e32 v17, 0xffff0000, v17
	v_max_f32_e32 v17, v17, v17
	v_max_f32_e32 v25, v25, v25
	v_min_f32_e32 v37, v25, v17
	v_max_f32_e32 v17, v25, v17
	v_cndmask_b32_e32 v25, v17, v37, vcc
	v_and_b32_e32 v17, 0x7f800000, v25
	v_cmp_ne_u32_e64 s[24:25], s43, v17
                                        ; implicit-def: $vgpr17
	s_and_saveexec_b64 s[8:9], s[24:25]
	s_xor_b64 s[24:25], exec, s[8:9]
; %bb.727:                              ;   in Loop: Header=BB30_303 Depth=3
	v_bfe_u32 v17, v25, 16, 1
	v_add3_u32 v17, v25, v17, s40
                                        ; implicit-def: $vgpr25
; %bb.728:                              ;   in Loop: Header=BB30_303 Depth=3
	s_andn2_saveexec_b64 s[28:29], s[24:25]
; %bb.729:                              ;   in Loop: Header=BB30_303 Depth=3
	v_or_b32_e32 v17, 0x10000, v25
	v_cmp_eq_u32_sdwa s[24:25], v25, v3 src0_sel:WORD_0 src1_sel:DWORD
	s_nop 1
	v_cndmask_b32_e64 v17, v17, v25, s[24:25]
; %bb.730:                              ;   in Loop: Header=BB30_303 Depth=3
	s_or_b64 exec, exec, s[28:29]
	v_lshlrev_b32_e32 v25, 16, v26
	v_lshlrev_b32_e32 v37, 16, v18
	v_max_f32_e32 v37, v37, v37
	v_max_f32_e32 v25, v25, v25
	v_min_f32_e32 v38, v25, v37
	v_max_f32_e32 v25, v25, v37
	v_cndmask_b32_e32 v37, v25, v38, vcc
	v_and_b32_e32 v25, 0x7f800000, v37
	v_cmp_ne_u32_e64 s[24:25], s43, v25
                                        ; implicit-def: $vgpr25
	s_and_saveexec_b64 s[8:9], s[24:25]
	s_xor_b64 s[24:25], exec, s[8:9]
; %bb.731:                              ;   in Loop: Header=BB30_303 Depth=3
	v_bfe_u32 v25, v37, 16, 1
	v_add3_u32 v25, v37, v25, s40
                                        ; implicit-def: $vgpr37
; %bb.732:                              ;   in Loop: Header=BB30_303 Depth=3
	s_andn2_saveexec_b64 s[28:29], s[24:25]
; %bb.733:                              ;   in Loop: Header=BB30_303 Depth=3
	v_or_b32_e32 v25, 0x10000, v37
	v_cmp_eq_u32_sdwa s[24:25], v37, v3 src0_sel:WORD_0 src1_sel:DWORD
	s_nop 1
	v_cndmask_b32_e64 v25, v25, v37, s[24:25]
; %bb.734:                              ;   in Loop: Header=BB30_303 Depth=3
	s_or_b64 exec, exec, s[28:29]
	v_and_b32_e32 v26, 0xffff0000, v26
	v_and_b32_e32 v18, 0xffff0000, v18
	v_max_f32_e32 v18, v18, v18
	v_max_f32_e32 v26, v26, v26
	v_min_f32_e32 v37, v26, v18
	v_max_f32_e32 v18, v26, v18
	v_cndmask_b32_e32 v26, v18, v37, vcc
	v_and_b32_e32 v18, 0x7f800000, v26
	v_cmp_ne_u32_e64 s[24:25], s43, v18
                                        ; implicit-def: $vgpr18
	s_and_saveexec_b64 s[8:9], s[24:25]
	s_xor_b64 s[24:25], exec, s[8:9]
; %bb.735:                              ;   in Loop: Header=BB30_303 Depth=3
	v_bfe_u32 v18, v26, 16, 1
	v_add3_u32 v18, v26, v18, s40
                                        ; implicit-def: $vgpr26
; %bb.736:                              ;   in Loop: Header=BB30_303 Depth=3
	s_andn2_saveexec_b64 s[28:29], s[24:25]
; %bb.737:                              ;   in Loop: Header=BB30_303 Depth=3
	v_or_b32_e32 v18, 0x10000, v26
	v_cmp_eq_u32_sdwa s[24:25], v26, v3 src0_sel:WORD_0 src1_sel:DWORD
	s_nop 1
	v_cndmask_b32_e64 v18, v18, v26, s[24:25]
; %bb.738:                              ;   in Loop: Header=BB30_303 Depth=3
	s_or_b64 exec, exec, s[28:29]
	v_lshlrev_b32_e32 v26, 16, v27
	v_lshlrev_b32_e32 v37, 16, v19
	v_max_f32_e32 v37, v37, v37
	v_max_f32_e32 v26, v26, v26
	v_min_f32_e32 v38, v26, v37
	v_max_f32_e32 v26, v26, v37
	v_cndmask_b32_e32 v37, v26, v38, vcc
	v_and_b32_e32 v26, 0x7f800000, v37
	v_cmp_ne_u32_e64 s[24:25], s43, v26
                                        ; implicit-def: $vgpr26
	s_and_saveexec_b64 s[8:9], s[24:25]
	s_xor_b64 s[24:25], exec, s[8:9]
; %bb.739:                              ;   in Loop: Header=BB30_303 Depth=3
	v_bfe_u32 v26, v37, 16, 1
	v_add3_u32 v26, v37, v26, s40
                                        ; implicit-def: $vgpr37
; %bb.740:                              ;   in Loop: Header=BB30_303 Depth=3
	s_andn2_saveexec_b64 s[28:29], s[24:25]
; %bb.741:                              ;   in Loop: Header=BB30_303 Depth=3
	v_or_b32_e32 v26, 0x10000, v37
	v_cmp_eq_u32_sdwa s[24:25], v37, v3 src0_sel:WORD_0 src1_sel:DWORD
	s_nop 1
	v_cndmask_b32_e64 v26, v26, v37, s[24:25]
; %bb.742:                              ;   in Loop: Header=BB30_303 Depth=3
	s_or_b64 exec, exec, s[28:29]
	v_and_b32_e32 v27, 0xffff0000, v27
	v_and_b32_e32 v19, 0xffff0000, v19
	v_max_f32_e32 v19, v19, v19
	v_max_f32_e32 v27, v27, v27
	v_min_f32_e32 v37, v27, v19
	v_max_f32_e32 v19, v27, v19
	v_cndmask_b32_e32 v27, v19, v37, vcc
	v_and_b32_e32 v19, 0x7f800000, v27
	v_cmp_ne_u32_e64 s[24:25], s43, v19
                                        ; implicit-def: $vgpr19
	s_and_saveexec_b64 s[8:9], s[24:25]
	s_xor_b64 s[24:25], exec, s[8:9]
; %bb.743:                              ;   in Loop: Header=BB30_303 Depth=3
	v_bfe_u32 v19, v27, 16, 1
	v_add3_u32 v19, v27, v19, s40
                                        ; implicit-def: $vgpr27
; %bb.744:                              ;   in Loop: Header=BB30_303 Depth=3
	s_andn2_saveexec_b64 s[28:29], s[24:25]
; %bb.745:                              ;   in Loop: Header=BB30_303 Depth=3
	v_or_b32_e32 v19, 0x10000, v27
	v_cmp_eq_u32_sdwa s[24:25], v27, v3 src0_sel:WORD_0 src1_sel:DWORD
	s_nop 1
	v_cndmask_b32_e64 v19, v19, v27, s[24:25]
; %bb.746:                              ;   in Loop: Header=BB30_303 Depth=3
	s_or_b64 exec, exec, s[28:29]
	v_lshlrev_b32_e32 v27, 16, v12
	v_lshlrev_b32_e32 v37, 16, v8
	v_max_f32_e32 v37, v37, v37
	v_max_f32_e32 v27, v27, v27
	v_min_f32_e32 v38, v27, v37
	v_max_f32_e32 v27, v27, v37
	v_cndmask_b32_e32 v37, v27, v38, vcc
	v_and_b32_e32 v27, 0x7f800000, v37
	v_cmp_ne_u32_e64 s[24:25], s43, v27
                                        ; implicit-def: $vgpr27
	s_and_saveexec_b64 s[8:9], s[24:25]
	s_xor_b64 s[24:25], exec, s[8:9]
; %bb.747:                              ;   in Loop: Header=BB30_303 Depth=3
	v_bfe_u32 v27, v37, 16, 1
	v_add3_u32 v27, v37, v27, s40
                                        ; implicit-def: $vgpr37
; %bb.748:                              ;   in Loop: Header=BB30_303 Depth=3
	s_andn2_saveexec_b64 s[28:29], s[24:25]
; %bb.749:                              ;   in Loop: Header=BB30_303 Depth=3
	v_or_b32_e32 v27, 0x10000, v37
	v_cmp_eq_u32_sdwa s[24:25], v37, v3 src0_sel:WORD_0 src1_sel:DWORD
	s_nop 1
	v_cndmask_b32_e64 v27, v27, v37, s[24:25]
; %bb.750:                              ;   in Loop: Header=BB30_303 Depth=3
	s_or_b64 exec, exec, s[28:29]
	v_and_b32_e32 v12, 0xffff0000, v12
	v_and_b32_e32 v8, 0xffff0000, v8
	v_max_f32_e32 v8, v8, v8
	v_max_f32_e32 v12, v12, v12
	v_min_f32_e32 v37, v12, v8
	v_max_f32_e32 v8, v12, v8
	v_cndmask_b32_e32 v12, v8, v37, vcc
	v_and_b32_e32 v8, 0x7f800000, v12
	v_cmp_ne_u32_e64 s[24:25], s43, v8
                                        ; implicit-def: $vgpr8
	s_and_saveexec_b64 s[8:9], s[24:25]
	s_xor_b64 s[24:25], exec, s[8:9]
; %bb.751:                              ;   in Loop: Header=BB30_303 Depth=3
	v_bfe_u32 v8, v12, 16, 1
	v_add3_u32 v8, v12, v8, s40
                                        ; implicit-def: $vgpr12
; %bb.752:                              ;   in Loop: Header=BB30_303 Depth=3
	s_andn2_saveexec_b64 s[28:29], s[24:25]
; %bb.753:                              ;   in Loop: Header=BB30_303 Depth=3
	v_or_b32_e32 v8, 0x10000, v12
	v_cmp_eq_u32_sdwa s[24:25], v12, v3 src0_sel:WORD_0 src1_sel:DWORD
	s_nop 1
	v_cndmask_b32_e64 v8, v8, v12, s[24:25]
; %bb.754:                              ;   in Loop: Header=BB30_303 Depth=3
	s_or_b64 exec, exec, s[28:29]
	v_lshlrev_b32_e32 v12, 16, v13
	v_lshlrev_b32_e32 v37, 16, v9
	v_max_f32_e32 v37, v37, v37
	v_max_f32_e32 v12, v12, v12
	v_min_f32_e32 v38, v12, v37
	v_max_f32_e32 v12, v12, v37
	v_cndmask_b32_e32 v37, v12, v38, vcc
	v_and_b32_e32 v12, 0x7f800000, v37
	v_cmp_ne_u32_e64 s[24:25], s43, v12
                                        ; implicit-def: $vgpr12
	s_and_saveexec_b64 s[8:9], s[24:25]
	s_xor_b64 s[24:25], exec, s[8:9]
; %bb.755:                              ;   in Loop: Header=BB30_303 Depth=3
	v_bfe_u32 v12, v37, 16, 1
	v_add3_u32 v12, v37, v12, s40
                                        ; implicit-def: $vgpr37
; %bb.756:                              ;   in Loop: Header=BB30_303 Depth=3
	s_andn2_saveexec_b64 s[28:29], s[24:25]
; %bb.757:                              ;   in Loop: Header=BB30_303 Depth=3
	v_or_b32_e32 v12, 0x10000, v37
	v_cmp_eq_u32_sdwa s[24:25], v37, v3 src0_sel:WORD_0 src1_sel:DWORD
	s_nop 1
	v_cndmask_b32_e64 v12, v12, v37, s[24:25]
; %bb.758:                              ;   in Loop: Header=BB30_303 Depth=3
	s_or_b64 exec, exec, s[28:29]
	v_and_b32_e32 v13, 0xffff0000, v13
	v_and_b32_e32 v9, 0xffff0000, v9
	v_max_f32_e32 v9, v9, v9
	v_max_f32_e32 v13, v13, v13
	v_min_f32_e32 v37, v13, v9
	v_max_f32_e32 v9, v13, v9
	v_cndmask_b32_e32 v13, v9, v37, vcc
	v_and_b32_e32 v9, 0x7f800000, v13
	v_cmp_ne_u32_e64 s[24:25], s43, v9
                                        ; implicit-def: $vgpr9
	s_and_saveexec_b64 s[8:9], s[24:25]
	s_xor_b64 s[24:25], exec, s[8:9]
; %bb.759:                              ;   in Loop: Header=BB30_303 Depth=3
	v_bfe_u32 v9, v13, 16, 1
	v_add3_u32 v9, v13, v9, s40
                                        ; implicit-def: $vgpr13
; %bb.760:                              ;   in Loop: Header=BB30_303 Depth=3
	s_andn2_saveexec_b64 s[28:29], s[24:25]
; %bb.761:                              ;   in Loop: Header=BB30_303 Depth=3
	v_or_b32_e32 v9, 0x10000, v13
	v_cmp_eq_u32_sdwa s[24:25], v13, v3 src0_sel:WORD_0 src1_sel:DWORD
	s_nop 1
	v_cndmask_b32_e64 v9, v9, v13, s[24:25]
; %bb.762:                              ;   in Loop: Header=BB30_303 Depth=3
	s_or_b64 exec, exec, s[28:29]
	v_lshlrev_b32_e32 v13, 16, v14
	v_lshlrev_b32_e32 v37, 16, v10
	v_max_f32_e32 v37, v37, v37
	v_max_f32_e32 v13, v13, v13
	v_min_f32_e32 v38, v13, v37
	v_max_f32_e32 v13, v13, v37
	v_cndmask_b32_e32 v37, v13, v38, vcc
	v_and_b32_e32 v13, 0x7f800000, v37
	v_cmp_ne_u32_e64 s[24:25], s43, v13
                                        ; implicit-def: $vgpr13
	s_and_saveexec_b64 s[8:9], s[24:25]
	s_xor_b64 s[24:25], exec, s[8:9]
; %bb.763:                              ;   in Loop: Header=BB30_303 Depth=3
	v_bfe_u32 v13, v37, 16, 1
	v_add3_u32 v13, v37, v13, s40
                                        ; implicit-def: $vgpr37
; %bb.764:                              ;   in Loop: Header=BB30_303 Depth=3
	s_andn2_saveexec_b64 s[28:29], s[24:25]
; %bb.765:                              ;   in Loop: Header=BB30_303 Depth=3
	v_or_b32_e32 v13, 0x10000, v37
	v_cmp_eq_u32_sdwa s[24:25], v37, v3 src0_sel:WORD_0 src1_sel:DWORD
	s_nop 1
	v_cndmask_b32_e64 v13, v13, v37, s[24:25]
; %bb.766:                              ;   in Loop: Header=BB30_303 Depth=3
	s_or_b64 exec, exec, s[28:29]
	v_and_b32_e32 v14, 0xffff0000, v14
	v_and_b32_e32 v10, 0xffff0000, v10
	v_max_f32_e32 v10, v10, v10
	v_max_f32_e32 v14, v14, v14
	v_min_f32_e32 v37, v14, v10
	v_max_f32_e32 v10, v14, v10
	v_cndmask_b32_e32 v14, v10, v37, vcc
	v_and_b32_e32 v10, 0x7f800000, v14
	v_cmp_ne_u32_e64 s[24:25], s43, v10
                                        ; implicit-def: $vgpr10
	s_and_saveexec_b64 s[8:9], s[24:25]
	s_xor_b64 s[24:25], exec, s[8:9]
; %bb.767:                              ;   in Loop: Header=BB30_303 Depth=3
	v_bfe_u32 v10, v14, 16, 1
	v_add3_u32 v10, v14, v10, s40
                                        ; implicit-def: $vgpr14
; %bb.768:                              ;   in Loop: Header=BB30_303 Depth=3
	s_andn2_saveexec_b64 s[28:29], s[24:25]
; %bb.769:                              ;   in Loop: Header=BB30_303 Depth=3
	v_or_b32_e32 v10, 0x10000, v14
	v_cmp_eq_u32_sdwa s[24:25], v14, v3 src0_sel:WORD_0 src1_sel:DWORD
	s_nop 1
	v_cndmask_b32_e64 v10, v10, v14, s[24:25]
; %bb.770:                              ;   in Loop: Header=BB30_303 Depth=3
	s_or_b64 exec, exec, s[28:29]
	v_lshlrev_b32_e32 v14, 16, v15
	v_lshlrev_b32_e32 v37, 16, v11
	v_max_f32_e32 v37, v37, v37
	v_max_f32_e32 v14, v14, v14
	v_min_f32_e32 v38, v14, v37
	v_max_f32_e32 v14, v14, v37
	v_cndmask_b32_e32 v37, v14, v38, vcc
	v_and_b32_e32 v14, 0x7f800000, v37
	v_cmp_ne_u32_e64 s[24:25], s43, v14
                                        ; implicit-def: $vgpr14
	s_and_saveexec_b64 s[8:9], s[24:25]
	s_xor_b64 s[24:25], exec, s[8:9]
; %bb.771:                              ;   in Loop: Header=BB30_303 Depth=3
	v_bfe_u32 v14, v37, 16, 1
	v_add3_u32 v14, v37, v14, s40
                                        ; implicit-def: $vgpr37
; %bb.772:                              ;   in Loop: Header=BB30_303 Depth=3
	s_andn2_saveexec_b64 s[28:29], s[24:25]
; %bb.773:                              ;   in Loop: Header=BB30_303 Depth=3
	v_or_b32_e32 v14, 0x10000, v37
	v_cmp_eq_u32_sdwa s[24:25], v37, v3 src0_sel:WORD_0 src1_sel:DWORD
	s_nop 1
	v_cndmask_b32_e64 v14, v14, v37, s[24:25]
; %bb.774:                              ;   in Loop: Header=BB30_303 Depth=3
	s_or_b64 exec, exec, s[28:29]
	v_and_b32_e32 v15, 0xffff0000, v15
	v_and_b32_e32 v11, 0xffff0000, v11
	v_max_f32_e32 v11, v11, v11
	v_max_f32_e32 v15, v15, v15
	v_min_f32_e32 v37, v15, v11
	v_max_f32_e32 v11, v15, v11
	v_cndmask_b32_e32 v15, v11, v37, vcc
	v_and_b32_e32 v11, 0x7f800000, v15
	v_cmp_ne_u32_e32 vcc, s43, v11
                                        ; implicit-def: $vgpr11
	s_and_saveexec_b64 s[8:9], vcc
	s_xor_b64 s[24:25], exec, s[8:9]
; %bb.775:                              ;   in Loop: Header=BB30_303 Depth=3
	v_bfe_u32 v11, v15, 16, 1
	v_add3_u32 v11, v15, v11, s40
                                        ; implicit-def: $vgpr15
; %bb.776:                              ;   in Loop: Header=BB30_303 Depth=3
	s_andn2_saveexec_b64 s[24:25], s[24:25]
; %bb.777:                              ;   in Loop: Header=BB30_303 Depth=3
	v_or_b32_e32 v11, 0x10000, v15
	v_cmp_eq_u32_sdwa vcc, v15, v3 src0_sel:WORD_0 src1_sel:DWORD
	s_nop 1
	v_cndmask_b32_e32 v11, v11, v15, vcc
; %bb.778:                              ;   in Loop: Header=BB30_303 Depth=3
	s_or_b64 exec, exec, s[24:25]
	v_lshrrev_b32_e32 v15, 16, v24
	v_and_or_b32 v17, v17, s41, v15
	v_lshrrev_b32_e32 v15, 16, v30
	v_and_or_b32 v16, v16, s41, v15
	v_lshrrev_b32_e32 v15, 16, v25
	v_lshrrev_b32_e32 v6, 16, v6
	v_and_or_b32 v18, v18, s41, v15
	v_lshrrev_b32_e32 v15, 16, v26
	v_and_or_b32 v38, v7, s41, v6
	;; [unrolled: 2-line block ×7, first 2 shown]
	v_and_or_b32 v20, v32, s41, v6
	v_lshrrev_b32_e32 v6, 16, v50
	v_and_or_b32 v22, v34, s41, v6
	v_lshrrev_b32_e32 v6, 16, v51
	;; [unrolled: 2-line block ×5, first 2 shown]
	v_lshrrev_b32_e32 v9, 16, v14
	v_and_or_b32 v8, v10, s41, v8
	v_and_or_b32 v9, v11, s41, v9
	global_store_dwordx4 v[116:117], v[20:23], off
	global_store_dwordx4 v[116:117], v[36:39], off offset:1024
	global_store_dwordx4 v[116:117], v[16:19], off offset:2048
	;; [unrolled: 1-line block ×3, first 2 shown]
.LBB30_779:                             ;   in Loop: Header=BB30_303 Depth=3
	s_or_b64 exec, exec, s[26:27]
	v_lshlrev_b32_e32 v22, 12, v5
	v_cmp_ne_u32_e32 vcc, v2, v22
                                        ; implicit-def: $vgpr5
                                        ; implicit-def: $vgpr6
                                        ; implicit-def: $vgpr14
	s_and_saveexec_b64 s[34:35], vcc
	s_cbranch_execz .LBB30_894
; %bb.780:                              ;   in Loop: Header=BB30_303 Depth=3
	scratch_load_dword v7, off, s33 offset:312 ; 4-byte Folded Reload
	v_lshlrev_b32_e32 v5, 6, v29
	v_sub_u32_e32 v6, v2, v22
	s_mov_b64 s[26:27], 0
	s_waitcnt vmcnt(0)
	v_and_b32_e32 v7, 63, v7
	v_sub_u32_e32 v5, v7, v5
	v_ashrrev_i32_e32 v7, 31, v5
	v_lshrrev_b32_e32 v7, 26, v7
	v_add_u32_e32 v7, v5, v7
	v_ashrrev_i32_e32 v10, 6, v7
	v_and_b32_e32 v7, 0xffffffc0, v7
	v_sub_u32_e32 v23, v5, v7
	v_ashrrev_i32_e32 v7, 31, v6
	v_lshrrev_b32_e32 v7, 22, v7
	v_add_u32_e32 v7, v6, v7
	v_lshlrev_b32_e32 v5, 4, v23
	v_and_b32_e32 v24, 0xfffffc00, v7
	v_lshl_add_u32 v5, v10, 10, v5
	v_sub_u32_e32 v25, v6, v24
	v_add_u32_e32 v8, v5, v22
	v_ashrrev_i32_e32 v9, 10, v7
	v_cmp_lt_i32_e64 s[24:25], 15, v25
	v_sub_u32_e32 v5, v6, v5
	s_nop 0
	v_addc_co_u32_e64 v6, vcc, 0, v9, s[24:25]
	v_ashrrev_i32_e32 v9, 31, v8
	v_sub_u32_e32 v26, v6, v10
	v_lshl_add_u64 v[16:17], v[8:9], 0, v[120:121]
	v_cmp_lt_i32_e32 vcc, 15, v5
	s_and_saveexec_b64 s[36:37], vcc
	s_cbranch_execz .LBB30_857
; %bb.781:                              ;   in Loop: Header=BB30_303 Depth=3
	s_trap 2
	ds_read_b64 v[6:7], v0
	s_and_b32 s8, 0xffff, s64
	s_cmp_eq_u32 s8, 0
	v_lshl_add_u64 v[18:19], v[8:9], 0, v[72:73]
	s_mov_b64 s[50:51], 0
	s_waitcnt lgkmcnt(0)
	v_lshl_add_u64 v[20:21], v[6:7], 0, v[8:9]
	s_mov_b64 s[38:39], 0
	s_cselect_b64 s[26:27], -1, 0
                                        ; implicit-def: $sgpr48_sgpr49
	s_branch .LBB30_783
.LBB30_782:                             ;   in Loop: Header=BB30_783 Depth=4
	s_or_b64 exec, exec, s[28:29]
	v_cmp_gt_i32_e32 vcc, 16, v5
	s_or_b64 s[38:39], vcc, s[38:39]
	s_andn2_b64 s[8:9], s[48:49], exec
	s_and_b64 s[28:29], s[50:51], exec
	s_or_b64 s[48:49], s[8:9], s[28:29]
	s_andn2_b64 exec, exec, s[38:39]
	s_cbranch_execz .LBB30_856
.LBB30_783:                             ;   Parent Loop BB30_47 Depth=1
                                        ;     Parent Loop BB30_300 Depth=2
                                        ;       Parent Loop BB30_303 Depth=3
                                        ; =>      This Loop Header: Depth=4
                                        ;           Child Loop BB30_784 Depth 5
                                        ;           Child Loop BB30_821 Depth 5
	s_add_i32 s9, s33, 0xc0
	s_mov_b32 s8, s9
	s_mov_b64 s[52:53], -1
	s_mov_b64 s[28:29], 0
.LBB30_784:                             ;   Parent Loop BB30_47 Depth=1
                                        ;     Parent Loop BB30_300 Depth=2
                                        ;       Parent Loop BB30_303 Depth=3
                                        ;         Parent Loop BB30_783 Depth=4
                                        ; =>        This Inner Loop Header: Depth=5
	s_cmp_eq_u32 s28, 1
	s_cselect_b64 vcc, -1, 0
	v_cndmask_b32_e32 v11, v19, v21, vcc
	v_cndmask_b32_e32 v10, v18, v20, vcc
	global_load_dwordx4 v[6:9], v[10:11], off nt
	s_cmp_eq_u32 s28, 0
	s_cselect_b64 s[28:29], -1, 0
	s_waitcnt vmcnt(0)
	scratch_store_dwordx4 off, v[6:9], s8
	s_nop 1
	v_lshl_add_u64 v[6:7], v[10:11], 0, s[56:57]
	v_cndmask_b32_e64 v19, v19, v7, s[28:29]
	v_cndmask_b32_e64 v18, v18, v6, s[28:29]
	v_cndmask_b32_e32 v21, v21, v7, vcc
	v_cndmask_b32_e32 v20, v20, v6, vcc
	s_mov_b64 s[28:29], 1
	s_and_b64 vcc, exec, s[52:53]
	s_mov_b64 s[52:53], 0
	s_mov_b32 s8, s81
	s_cbranch_vccnz .LBB30_784
; %bb.785:                              ;   in Loop: Header=BB30_783 Depth=4
	s_and_saveexec_b64 s[28:29], s[50:51]
	s_cbranch_execz .LBB30_819
; %bb.786:                              ;   in Loop: Header=BB30_783 Depth=4
	scratch_load_dwordx4 v[8:11], off, s33 offset:224
	scratch_load_dwordx4 v[12:15], off, s33 offset:240
	s_waitcnt vmcnt(1)
	v_lshlrev_b32_e32 v6, 16, v8
	s_waitcnt vmcnt(0)
	v_lshlrev_b32_e32 v7, 16, v12
	v_max_f32_e32 v7, v7, v7
	v_max_f32_e32 v6, v6, v6
	v_min_f32_e32 v27, v6, v7
	v_max_f32_e32 v6, v6, v7
	v_cndmask_b32_e64 v7, v6, v27, s[26:27]
	v_and_b32_e32 v6, 0x7f800000, v7
	v_cmp_ne_u32_e32 vcc, s43, v6
                                        ; implicit-def: $vgpr6
	s_and_saveexec_b64 s[8:9], vcc
	s_xor_b64 vcc, exec, s[8:9]
; %bb.787:                              ;   in Loop: Header=BB30_783 Depth=4
	v_bfe_u32 v6, v7, 16, 1
	v_add3_u32 v6, v7, v6, s40
                                        ; implicit-def: $vgpr7
; %bb.788:                              ;   in Loop: Header=BB30_783 Depth=4
	s_andn2_saveexec_b64 s[50:51], vcc
; %bb.789:                              ;   in Loop: Header=BB30_783 Depth=4
	v_or_b32_e32 v6, 0x10000, v7
	v_cmp_eq_u32_sdwa vcc, v7, v3 src0_sel:WORD_0 src1_sel:DWORD
	s_nop 1
	v_cndmask_b32_e32 v6, v6, v7, vcc
; %bb.790:                              ;   in Loop: Header=BB30_783 Depth=4
	s_or_b64 exec, exec, s[50:51]
	v_and_b32_e32 v7, 0xffff0000, v8
	v_and_b32_e32 v8, 0xffff0000, v12
	v_max_f32_e32 v8, v8, v8
	v_max_f32_e32 v7, v7, v7
	v_min_f32_e32 v12, v7, v8
	v_max_f32_e32 v7, v7, v8
	v_cndmask_b32_e64 v8, v7, v12, s[26:27]
	v_and_b32_e32 v7, 0x7f800000, v8
	v_cmp_ne_u32_e32 vcc, s43, v7
                                        ; implicit-def: $vgpr7
	s_and_saveexec_b64 s[8:9], vcc
	s_xor_b64 vcc, exec, s[8:9]
; %bb.791:                              ;   in Loop: Header=BB30_783 Depth=4
	v_bfe_u32 v7, v8, 16, 1
	v_add3_u32 v7, v8, v7, s40
                                        ; implicit-def: $vgpr8
; %bb.792:                              ;   in Loop: Header=BB30_783 Depth=4
	s_andn2_saveexec_b64 s[50:51], vcc
; %bb.793:                              ;   in Loop: Header=BB30_783 Depth=4
	v_or_b32_e32 v7, 0x10000, v8
	v_cmp_eq_u32_sdwa vcc, v8, v3 src0_sel:WORD_0 src1_sel:DWORD
	s_nop 1
	v_cndmask_b32_e32 v7, v7, v8, vcc
; %bb.794:                              ;   in Loop: Header=BB30_783 Depth=4
	s_or_b64 exec, exec, s[50:51]
	v_lshlrev_b32_e32 v8, 16, v9
	v_lshlrev_b32_e32 v12, 16, v13
	v_max_f32_e32 v12, v12, v12
	v_max_f32_e32 v8, v8, v8
	v_min_f32_e32 v27, v8, v12
	v_max_f32_e32 v8, v8, v12
	v_cndmask_b32_e64 v12, v8, v27, s[26:27]
	v_and_b32_e32 v8, 0x7f800000, v12
	v_cmp_ne_u32_e32 vcc, s43, v8
                                        ; implicit-def: $vgpr8
	s_and_saveexec_b64 s[8:9], vcc
	s_xor_b64 vcc, exec, s[8:9]
; %bb.795:                              ;   in Loop: Header=BB30_783 Depth=4
	v_bfe_u32 v8, v12, 16, 1
	v_add3_u32 v8, v12, v8, s40
                                        ; implicit-def: $vgpr12
; %bb.796:                              ;   in Loop: Header=BB30_783 Depth=4
	s_andn2_saveexec_b64 s[50:51], vcc
; %bb.797:                              ;   in Loop: Header=BB30_783 Depth=4
	v_or_b32_e32 v8, 0x10000, v12
	v_cmp_eq_u32_sdwa vcc, v12, v3 src0_sel:WORD_0 src1_sel:DWORD
	s_nop 1
	v_cndmask_b32_e32 v8, v8, v12, vcc
; %bb.798:                              ;   in Loop: Header=BB30_783 Depth=4
	s_or_b64 exec, exec, s[50:51]
	v_and_b32_e32 v9, 0xffff0000, v9
	v_and_b32_e32 v12, 0xffff0000, v13
	v_max_f32_e32 v12, v12, v12
	v_max_f32_e32 v9, v9, v9
	v_min_f32_e32 v13, v9, v12
	v_max_f32_e32 v9, v9, v12
	v_cndmask_b32_e64 v12, v9, v13, s[26:27]
	v_and_b32_e32 v9, 0x7f800000, v12
	v_cmp_ne_u32_e32 vcc, s43, v9
                                        ; implicit-def: $vgpr9
	s_and_saveexec_b64 s[8:9], vcc
	s_xor_b64 vcc, exec, s[8:9]
; %bb.799:                              ;   in Loop: Header=BB30_783 Depth=4
	v_bfe_u32 v9, v12, 16, 1
	v_add3_u32 v9, v12, v9, s40
                                        ; implicit-def: $vgpr12
; %bb.800:                              ;   in Loop: Header=BB30_783 Depth=4
	s_andn2_saveexec_b64 s[50:51], vcc
; %bb.801:                              ;   in Loop: Header=BB30_783 Depth=4
	v_or_b32_e32 v9, 0x10000, v12
	v_cmp_eq_u32_sdwa vcc, v12, v3 src0_sel:WORD_0 src1_sel:DWORD
	s_nop 1
	v_cndmask_b32_e32 v9, v9, v12, vcc
; %bb.802:                              ;   in Loop: Header=BB30_783 Depth=4
	s_or_b64 exec, exec, s[50:51]
	v_lshlrev_b32_e32 v12, 16, v10
	v_lshlrev_b32_e32 v13, 16, v14
	v_max_f32_e32 v13, v13, v13
	v_max_f32_e32 v12, v12, v12
	v_min_f32_e32 v27, v12, v13
	v_max_f32_e32 v12, v12, v13
	v_cndmask_b32_e64 v13, v12, v27, s[26:27]
	v_and_b32_e32 v12, 0x7f800000, v13
	v_cmp_ne_u32_e32 vcc, s43, v12
                                        ; implicit-def: $vgpr12
	s_and_saveexec_b64 s[8:9], vcc
	s_xor_b64 vcc, exec, s[8:9]
; %bb.803:                              ;   in Loop: Header=BB30_783 Depth=4
	v_bfe_u32 v12, v13, 16, 1
	v_add3_u32 v12, v13, v12, s40
                                        ; implicit-def: $vgpr13
; %bb.804:                              ;   in Loop: Header=BB30_783 Depth=4
	s_andn2_saveexec_b64 s[50:51], vcc
; %bb.805:                              ;   in Loop: Header=BB30_783 Depth=4
	v_or_b32_e32 v12, 0x10000, v13
	v_cmp_eq_u32_sdwa vcc, v13, v3 src0_sel:WORD_0 src1_sel:DWORD
	s_nop 1
	v_cndmask_b32_e32 v12, v12, v13, vcc
; %bb.806:                              ;   in Loop: Header=BB30_783 Depth=4
	s_or_b64 exec, exec, s[50:51]
	v_and_b32_e32 v10, 0xffff0000, v10
	v_and_b32_e32 v13, 0xffff0000, v14
	v_max_f32_e32 v13, v13, v13
	v_max_f32_e32 v10, v10, v10
	v_min_f32_e32 v14, v10, v13
	v_max_f32_e32 v10, v10, v13
	v_cndmask_b32_e64 v13, v10, v14, s[26:27]
	v_and_b32_e32 v10, 0x7f800000, v13
	v_cmp_ne_u32_e32 vcc, s43, v10
                                        ; implicit-def: $vgpr10
	s_and_saveexec_b64 s[8:9], vcc
	s_xor_b64 vcc, exec, s[8:9]
; %bb.807:                              ;   in Loop: Header=BB30_783 Depth=4
	v_bfe_u32 v10, v13, 16, 1
	v_add3_u32 v10, v13, v10, s40
                                        ; implicit-def: $vgpr13
; %bb.808:                              ;   in Loop: Header=BB30_783 Depth=4
	s_andn2_saveexec_b64 s[50:51], vcc
; %bb.809:                              ;   in Loop: Header=BB30_783 Depth=4
	v_or_b32_e32 v10, 0x10000, v13
	v_cmp_eq_u32_sdwa vcc, v13, v3 src0_sel:WORD_0 src1_sel:DWORD
	s_nop 1
	v_cndmask_b32_e32 v10, v10, v13, vcc
; %bb.810:                              ;   in Loop: Header=BB30_783 Depth=4
	s_or_b64 exec, exec, s[50:51]
	v_lshlrev_b32_e32 v13, 16, v11
	v_lshlrev_b32_e32 v14, 16, v15
	v_max_f32_e32 v14, v14, v14
	v_max_f32_e32 v13, v13, v13
	v_min_f32_e32 v27, v13, v14
	v_max_f32_e32 v13, v13, v14
	v_cndmask_b32_e64 v14, v13, v27, s[26:27]
	v_and_b32_e32 v13, 0x7f800000, v14
	v_cmp_ne_u32_e32 vcc, s43, v13
                                        ; implicit-def: $vgpr13
	s_and_saveexec_b64 s[8:9], vcc
	s_xor_b64 vcc, exec, s[8:9]
; %bb.811:                              ;   in Loop: Header=BB30_783 Depth=4
	v_bfe_u32 v13, v14, 16, 1
	v_add3_u32 v13, v14, v13, s40
                                        ; implicit-def: $vgpr14
; %bb.812:                              ;   in Loop: Header=BB30_783 Depth=4
	s_andn2_saveexec_b64 s[50:51], vcc
; %bb.813:                              ;   in Loop: Header=BB30_783 Depth=4
	v_or_b32_e32 v13, 0x10000, v14
	v_cmp_eq_u32_sdwa vcc, v14, v3 src0_sel:WORD_0 src1_sel:DWORD
	s_nop 1
	v_cndmask_b32_e32 v13, v13, v14, vcc
; %bb.814:                              ;   in Loop: Header=BB30_783 Depth=4
	s_or_b64 exec, exec, s[50:51]
	v_and_b32_e32 v11, 0xffff0000, v11
	v_and_b32_e32 v14, 0xffff0000, v15
	v_max_f32_e32 v14, v14, v14
	v_max_f32_e32 v11, v11, v11
	v_min_f32_e32 v15, v11, v14
	v_max_f32_e32 v11, v11, v14
	v_cndmask_b32_e64 v14, v11, v15, s[26:27]
	v_and_b32_e32 v11, 0x7f800000, v14
	v_cmp_ne_u32_e32 vcc, s43, v11
                                        ; implicit-def: $vgpr11
	s_and_saveexec_b64 s[8:9], vcc
	s_xor_b64 vcc, exec, s[8:9]
; %bb.815:                              ;   in Loop: Header=BB30_783 Depth=4
	v_bfe_u32 v11, v14, 16, 1
	v_add3_u32 v11, v14, v11, s40
                                        ; implicit-def: $vgpr14
; %bb.816:                              ;   in Loop: Header=BB30_783 Depth=4
	s_andn2_saveexec_b64 s[50:51], vcc
; %bb.817:                              ;   in Loop: Header=BB30_783 Depth=4
	v_or_b32_e32 v11, 0x10000, v14
	v_cmp_eq_u32_sdwa vcc, v14, v3 src0_sel:WORD_0 src1_sel:DWORD
	s_nop 1
	v_cndmask_b32_e32 v11, v11, v14, vcc
; %bb.818:                              ;   in Loop: Header=BB30_783 Depth=4
	s_or_b64 exec, exec, s[50:51]
	v_lshrrev_b32_e32 v8, 16, v8
	v_lshrrev_b32_e32 v6, 16, v6
	v_and_or_b32 v9, v9, s41, v8
	v_and_or_b32 v8, v7, s41, v6
	v_lshrrev_b32_e32 v6, 16, v12
	v_and_or_b32 v10, v10, s41, v6
	v_lshrrev_b32_e32 v6, 16, v13
	v_and_or_b32 v11, v11, s41, v6
	scratch_store_dwordx4 off, v[8:11], s33 offset:224
	global_store_dwordx4 v[16:17], v[8:11], off
	scratch_load_dwordx2 v[6:7], off, s33 offset:264 ; 8-byte Folded Reload
	s_waitcnt vmcnt(0)
	v_lshl_add_u64 v[16:17], v[6:7], 0, v[16:17]
.LBB30_819:                             ;   in Loop: Header=BB30_783 Depth=4
	s_or_b64 exec, exec, s[28:29]
	v_sub_u32_e32 v5, v5, v111
	v_lshl_add_u64 v[18:19], v[18:19], 0, v[90:91]
	v_lshl_add_u64 v[20:21], v[20:21], 0, v[90:91]
	v_cmp_lt_i32_e64 s[50:51], 15, v5
	s_and_saveexec_b64 s[52:53], s[50:51]
	s_cbranch_execz .LBB30_822
; %bb.820:                              ;   in Loop: Header=BB30_783 Depth=4
	s_add_i32 s9, s33, 0xe0
	s_mov_b32 s8, s9
	s_mov_b64 s[28:29], 0
	s_mov_b64 s[54:55], -1
.LBB30_821:                             ;   Parent Loop BB30_47 Depth=1
                                        ;     Parent Loop BB30_300 Depth=2
                                        ;       Parent Loop BB30_303 Depth=3
                                        ;         Parent Loop BB30_783 Depth=4
                                        ; =>        This Inner Loop Header: Depth=5
	s_cmp_eq_u32 s28, 1
	s_cselect_b64 vcc, -1, 0
	v_cndmask_b32_e32 v11, v19, v21, vcc
	v_cndmask_b32_e32 v10, v18, v20, vcc
	global_load_dwordx4 v[6:9], v[10:11], off nt
	s_cmp_eq_u32 s28, 0
	s_cselect_b64 s[28:29], -1, 0
	s_waitcnt vmcnt(0)
	scratch_store_dwordx4 off, v[6:9], s8
	s_nop 1
	v_lshl_add_u64 v[6:7], v[10:11], 0, s[56:57]
	v_cndmask_b32_e64 v19, v19, v7, s[28:29]
	v_cndmask_b32_e64 v18, v18, v6, s[28:29]
	v_cndmask_b32_e32 v21, v21, v7, vcc
	v_cndmask_b32_e32 v20, v20, v6, vcc
	s_mov_b64 s[28:29], 1
	s_and_b64 vcc, exec, s[54:55]
	s_mov_b64 s[54:55], 0
	s_mov_b32 s8, s80
	s_cbranch_vccnz .LBB30_821
.LBB30_822:                             ;   in Loop: Header=BB30_783 Depth=4
	s_or_b64 exec, exec, s[52:53]
	scratch_load_dwordx4 v[8:11], off, s33 offset:192
	scratch_load_dwordx4 v[12:15], off, s33 offset:208
	s_waitcnt vmcnt(1)
	v_lshlrev_b32_e32 v6, 16, v8
	s_waitcnt vmcnt(0)
	v_lshlrev_b32_e32 v7, 16, v12
	v_max_f32_e32 v7, v7, v7
	v_max_f32_e32 v6, v6, v6
	v_min_f32_e32 v27, v6, v7
	v_max_f32_e32 v6, v6, v7
	v_cndmask_b32_e64 v7, v6, v27, s[26:27]
	v_and_b32_e32 v6, 0x7f800000, v7
	v_cmp_ne_u32_e32 vcc, s43, v6
                                        ; implicit-def: $vgpr6
	s_and_saveexec_b64 s[8:9], vcc
	s_xor_b64 s[28:29], exec, s[8:9]
; %bb.823:                              ;   in Loop: Header=BB30_783 Depth=4
	v_bfe_u32 v6, v7, 16, 1
	v_add3_u32 v6, v7, v6, s40
                                        ; implicit-def: $vgpr7
; %bb.824:                              ;   in Loop: Header=BB30_783 Depth=4
	s_andn2_saveexec_b64 s[28:29], s[28:29]
; %bb.825:                              ;   in Loop: Header=BB30_783 Depth=4
	v_or_b32_e32 v6, 0x10000, v7
	v_cmp_eq_u32_sdwa vcc, v7, v3 src0_sel:WORD_0 src1_sel:DWORD
	s_nop 1
	v_cndmask_b32_e32 v6, v6, v7, vcc
; %bb.826:                              ;   in Loop: Header=BB30_783 Depth=4
	s_or_b64 exec, exec, s[28:29]
	v_and_b32_e32 v7, 0xffff0000, v8
	v_and_b32_e32 v8, 0xffff0000, v12
	v_max_f32_e32 v8, v8, v8
	v_max_f32_e32 v7, v7, v7
	v_min_f32_e32 v12, v7, v8
	v_max_f32_e32 v7, v7, v8
	v_cndmask_b32_e64 v8, v7, v12, s[26:27]
	v_and_b32_e32 v7, 0x7f800000, v8
	v_cmp_ne_u32_e32 vcc, s43, v7
                                        ; implicit-def: $vgpr7
	s_and_saveexec_b64 s[8:9], vcc
	s_xor_b64 s[28:29], exec, s[8:9]
; %bb.827:                              ;   in Loop: Header=BB30_783 Depth=4
	v_bfe_u32 v7, v8, 16, 1
	v_add3_u32 v7, v8, v7, s40
                                        ; implicit-def: $vgpr8
; %bb.828:                              ;   in Loop: Header=BB30_783 Depth=4
	s_andn2_saveexec_b64 s[28:29], s[28:29]
; %bb.829:                              ;   in Loop: Header=BB30_783 Depth=4
	v_or_b32_e32 v7, 0x10000, v8
	v_cmp_eq_u32_sdwa vcc, v8, v3 src0_sel:WORD_0 src1_sel:DWORD
	s_nop 1
	v_cndmask_b32_e32 v7, v7, v8, vcc
; %bb.830:                              ;   in Loop: Header=BB30_783 Depth=4
	s_or_b64 exec, exec, s[28:29]
	v_lshlrev_b32_e32 v8, 16, v9
	v_lshlrev_b32_e32 v12, 16, v13
	v_max_f32_e32 v12, v12, v12
	v_max_f32_e32 v8, v8, v8
	v_min_f32_e32 v27, v8, v12
	v_max_f32_e32 v8, v8, v12
	v_cndmask_b32_e64 v12, v8, v27, s[26:27]
	v_and_b32_e32 v8, 0x7f800000, v12
	v_cmp_ne_u32_e32 vcc, s43, v8
                                        ; implicit-def: $vgpr8
	s_and_saveexec_b64 s[8:9], vcc
	s_xor_b64 s[28:29], exec, s[8:9]
; %bb.831:                              ;   in Loop: Header=BB30_783 Depth=4
	v_bfe_u32 v8, v12, 16, 1
	v_add3_u32 v8, v12, v8, s40
                                        ; implicit-def: $vgpr12
; %bb.832:                              ;   in Loop: Header=BB30_783 Depth=4
	s_andn2_saveexec_b64 s[28:29], s[28:29]
; %bb.833:                              ;   in Loop: Header=BB30_783 Depth=4
	v_or_b32_e32 v8, 0x10000, v12
	v_cmp_eq_u32_sdwa vcc, v12, v3 src0_sel:WORD_0 src1_sel:DWORD
	s_nop 1
	v_cndmask_b32_e32 v8, v8, v12, vcc
; %bb.834:                              ;   in Loop: Header=BB30_783 Depth=4
	s_or_b64 exec, exec, s[28:29]
	v_and_b32_e32 v9, 0xffff0000, v9
	v_and_b32_e32 v12, 0xffff0000, v13
	v_max_f32_e32 v12, v12, v12
	v_max_f32_e32 v9, v9, v9
	v_min_f32_e32 v13, v9, v12
	v_max_f32_e32 v9, v9, v12
	v_cndmask_b32_e64 v12, v9, v13, s[26:27]
	v_and_b32_e32 v9, 0x7f800000, v12
	v_cmp_ne_u32_e32 vcc, s43, v9
                                        ; implicit-def: $vgpr9
	s_and_saveexec_b64 s[8:9], vcc
	s_xor_b64 s[28:29], exec, s[8:9]
; %bb.835:                              ;   in Loop: Header=BB30_783 Depth=4
	v_bfe_u32 v9, v12, 16, 1
	v_add3_u32 v9, v12, v9, s40
                                        ; implicit-def: $vgpr12
; %bb.836:                              ;   in Loop: Header=BB30_783 Depth=4
	s_andn2_saveexec_b64 s[28:29], s[28:29]
; %bb.837:                              ;   in Loop: Header=BB30_783 Depth=4
	v_or_b32_e32 v9, 0x10000, v12
	v_cmp_eq_u32_sdwa vcc, v12, v3 src0_sel:WORD_0 src1_sel:DWORD
	s_nop 1
	v_cndmask_b32_e32 v9, v9, v12, vcc
; %bb.838:                              ;   in Loop: Header=BB30_783 Depth=4
	s_or_b64 exec, exec, s[28:29]
	v_lshlrev_b32_e32 v12, 16, v10
	v_lshlrev_b32_e32 v13, 16, v14
	v_max_f32_e32 v13, v13, v13
	v_max_f32_e32 v12, v12, v12
	v_min_f32_e32 v27, v12, v13
	v_max_f32_e32 v12, v12, v13
	v_cndmask_b32_e64 v13, v12, v27, s[26:27]
	v_and_b32_e32 v12, 0x7f800000, v13
	v_cmp_ne_u32_e32 vcc, s43, v12
                                        ; implicit-def: $vgpr12
	s_and_saveexec_b64 s[8:9], vcc
	s_xor_b64 s[28:29], exec, s[8:9]
; %bb.839:                              ;   in Loop: Header=BB30_783 Depth=4
	v_bfe_u32 v12, v13, 16, 1
	v_add3_u32 v12, v13, v12, s40
                                        ; implicit-def: $vgpr13
; %bb.840:                              ;   in Loop: Header=BB30_783 Depth=4
	s_andn2_saveexec_b64 s[28:29], s[28:29]
; %bb.841:                              ;   in Loop: Header=BB30_783 Depth=4
	v_or_b32_e32 v12, 0x10000, v13
	v_cmp_eq_u32_sdwa vcc, v13, v3 src0_sel:WORD_0 src1_sel:DWORD
	s_nop 1
	v_cndmask_b32_e32 v12, v12, v13, vcc
; %bb.842:                              ;   in Loop: Header=BB30_783 Depth=4
	s_or_b64 exec, exec, s[28:29]
	v_and_b32_e32 v10, 0xffff0000, v10
	v_and_b32_e32 v13, 0xffff0000, v14
	v_max_f32_e32 v13, v13, v13
	v_max_f32_e32 v10, v10, v10
	v_min_f32_e32 v14, v10, v13
	v_max_f32_e32 v10, v10, v13
	v_cndmask_b32_e64 v13, v10, v14, s[26:27]
	v_and_b32_e32 v10, 0x7f800000, v13
	v_cmp_ne_u32_e32 vcc, s43, v10
                                        ; implicit-def: $vgpr10
	s_and_saveexec_b64 s[8:9], vcc
	s_xor_b64 s[28:29], exec, s[8:9]
; %bb.843:                              ;   in Loop: Header=BB30_783 Depth=4
	v_bfe_u32 v10, v13, 16, 1
	v_add3_u32 v10, v13, v10, s40
                                        ; implicit-def: $vgpr13
; %bb.844:                              ;   in Loop: Header=BB30_783 Depth=4
	s_andn2_saveexec_b64 s[28:29], s[28:29]
; %bb.845:                              ;   in Loop: Header=BB30_783 Depth=4
	v_or_b32_e32 v10, 0x10000, v13
	v_cmp_eq_u32_sdwa vcc, v13, v3 src0_sel:WORD_0 src1_sel:DWORD
	s_nop 1
	v_cndmask_b32_e32 v10, v10, v13, vcc
; %bb.846:                              ;   in Loop: Header=BB30_783 Depth=4
	s_or_b64 exec, exec, s[28:29]
	v_lshlrev_b32_e32 v13, 16, v11
	v_lshlrev_b32_e32 v14, 16, v15
	v_max_f32_e32 v14, v14, v14
	v_max_f32_e32 v13, v13, v13
	v_min_f32_e32 v27, v13, v14
	v_max_f32_e32 v13, v13, v14
	v_cndmask_b32_e64 v14, v13, v27, s[26:27]
	v_and_b32_e32 v13, 0x7f800000, v14
	v_cmp_ne_u32_e32 vcc, s43, v13
                                        ; implicit-def: $vgpr13
	s_and_saveexec_b64 s[8:9], vcc
	s_xor_b64 s[28:29], exec, s[8:9]
; %bb.847:                              ;   in Loop: Header=BB30_783 Depth=4
	v_bfe_u32 v13, v14, 16, 1
	v_add3_u32 v13, v14, v13, s40
                                        ; implicit-def: $vgpr14
; %bb.848:                              ;   in Loop: Header=BB30_783 Depth=4
	s_andn2_saveexec_b64 s[28:29], s[28:29]
; %bb.849:                              ;   in Loop: Header=BB30_783 Depth=4
	v_or_b32_e32 v13, 0x10000, v14
	v_cmp_eq_u32_sdwa vcc, v14, v3 src0_sel:WORD_0 src1_sel:DWORD
	s_nop 1
	v_cndmask_b32_e32 v13, v13, v14, vcc
; %bb.850:                              ;   in Loop: Header=BB30_783 Depth=4
	s_or_b64 exec, exec, s[28:29]
	v_and_b32_e32 v11, 0xffff0000, v11
	v_and_b32_e32 v14, 0xffff0000, v15
	v_max_f32_e32 v14, v14, v14
	v_max_f32_e32 v11, v11, v11
	v_min_f32_e32 v15, v11, v14
	v_max_f32_e32 v11, v11, v14
	v_cndmask_b32_e64 v14, v11, v15, s[26:27]
	v_and_b32_e32 v11, 0x7f800000, v14
	v_cmp_ne_u32_e32 vcc, s43, v11
                                        ; implicit-def: $vgpr11
	s_and_saveexec_b64 s[8:9], vcc
	s_xor_b64 s[28:29], exec, s[8:9]
; %bb.851:                              ;   in Loop: Header=BB30_783 Depth=4
	v_bfe_u32 v11, v14, 16, 1
	v_add3_u32 v11, v14, v11, s40
                                        ; implicit-def: $vgpr14
; %bb.852:                              ;   in Loop: Header=BB30_783 Depth=4
	s_andn2_saveexec_b64 s[28:29], s[28:29]
; %bb.853:                              ;   in Loop: Header=BB30_783 Depth=4
	v_or_b32_e32 v11, 0x10000, v14
	v_cmp_eq_u32_sdwa vcc, v14, v3 src0_sel:WORD_0 src1_sel:DWORD
	s_nop 1
	v_cndmask_b32_e32 v11, v11, v14, vcc
; %bb.854:                              ;   in Loop: Header=BB30_783 Depth=4
	s_or_b64 exec, exec, s[28:29]
	v_lshrrev_b32_e32 v8, 16, v8
	v_lshrrev_b32_e32 v6, 16, v6
	v_and_or_b32 v9, v9, s41, v8
	v_and_or_b32 v8, v7, s41, v6
	v_lshrrev_b32_e32 v6, 16, v12
	v_and_or_b32 v10, v10, s41, v6
	v_lshrrev_b32_e32 v6, 16, v13
	v_and_or_b32 v11, v11, s41, v6
	v_sub_u32_e32 v26, v26, v60
	scratch_store_dwordx4 off, v[8:11], s33 offset:192
	global_store_dwordx4 v[16:17], v[8:11], off
	v_lshl_add_u64 v[16:17], v[16:17], 0, s[56:57]
	s_and_saveexec_b64 s[28:29], s[50:51]
	s_cbranch_execz .LBB30_782
; %bb.855:                              ;   in Loop: Header=BB30_783 Depth=4
	v_lshl_add_u64 v[18:19], v[18:19], 0, v[90:91]
	v_lshl_add_u64 v[20:21], v[20:21], 0, v[90:91]
	;; [unrolled: 1-line block ×3, first 2 shown]
	v_sub_u32_e32 v5, v5, v111
	v_sub_u32_e32 v26, v26, v60
	s_branch .LBB30_782
.LBB30_856:                             ;   in Loop: Header=BB30_303 Depth=3
	s_or_b64 exec, exec, s[38:39]
	s_and_b64 s[26:27], s[48:49], exec
.LBB30_857:                             ;   in Loop: Header=BB30_303 Depth=3
	s_or_b64 exec, exec, s[36:37]
	s_and_saveexec_b64 s[28:29], s[26:27]
	s_cbranch_execz .LBB30_891
; %bb.858:                              ;   in Loop: Header=BB30_303 Depth=3
	scratch_load_dwordx4 v[8:11], off, s33 offset:224
	scratch_load_dwordx4 v[12:15], off, s33 offset:240
	s_and_b32 s8, 0xffff, s64
	s_cmp_eq_u32 s8, 0
	s_cselect_b64 vcc, -1, 0
	s_waitcnt vmcnt(1)
	v_lshlrev_b32_e32 v5, 16, v8
	s_waitcnt vmcnt(0)
	v_lshlrev_b32_e32 v6, 16, v12
	v_max_f32_e32 v6, v6, v6
	v_max_f32_e32 v5, v5, v5
	v_min_f32_e32 v7, v5, v6
	v_max_f32_e32 v5, v5, v6
	v_cndmask_b32_e32 v6, v5, v7, vcc
	v_and_b32_e32 v5, 0x7f800000, v6
	v_cmp_ne_u32_e64 s[26:27], s43, v5
                                        ; implicit-def: $vgpr5
	s_and_saveexec_b64 s[8:9], s[26:27]
	s_xor_b64 s[26:27], exec, s[8:9]
; %bb.859:                              ;   in Loop: Header=BB30_303 Depth=3
	v_bfe_u32 v5, v6, 16, 1
	v_add3_u32 v5, v6, v5, s40
                                        ; implicit-def: $vgpr6
; %bb.860:                              ;   in Loop: Header=BB30_303 Depth=3
	s_andn2_saveexec_b64 s[36:37], s[26:27]
; %bb.861:                              ;   in Loop: Header=BB30_303 Depth=3
	v_or_b32_e32 v5, 0x10000, v6
	v_cmp_eq_u32_sdwa s[26:27], v6, v3 src0_sel:WORD_0 src1_sel:DWORD
	s_nop 1
	v_cndmask_b32_e64 v5, v5, v6, s[26:27]
; %bb.862:                              ;   in Loop: Header=BB30_303 Depth=3
	s_or_b64 exec, exec, s[36:37]
	v_and_b32_e32 v6, 0xffff0000, v8
	v_and_b32_e32 v7, 0xffff0000, v12
	v_max_f32_e32 v7, v7, v7
	v_max_f32_e32 v6, v6, v6
	v_min_f32_e32 v8, v6, v7
	v_max_f32_e32 v6, v6, v7
	v_cndmask_b32_e32 v7, v6, v8, vcc
	v_and_b32_e32 v6, 0x7f800000, v7
	v_cmp_ne_u32_e64 s[26:27], s43, v6
                                        ; implicit-def: $vgpr6
	s_and_saveexec_b64 s[8:9], s[26:27]
	s_xor_b64 s[26:27], exec, s[8:9]
; %bb.863:                              ;   in Loop: Header=BB30_303 Depth=3
	v_bfe_u32 v6, v7, 16, 1
	v_add3_u32 v6, v7, v6, s40
                                        ; implicit-def: $vgpr7
; %bb.864:                              ;   in Loop: Header=BB30_303 Depth=3
	s_andn2_saveexec_b64 s[36:37], s[26:27]
; %bb.865:                              ;   in Loop: Header=BB30_303 Depth=3
	v_or_b32_e32 v6, 0x10000, v7
	v_cmp_eq_u32_sdwa s[26:27], v7, v3 src0_sel:WORD_0 src1_sel:DWORD
	s_nop 1
	v_cndmask_b32_e64 v6, v6, v7, s[26:27]
; %bb.866:                              ;   in Loop: Header=BB30_303 Depth=3
	s_or_b64 exec, exec, s[36:37]
	v_lshlrev_b32_e32 v7, 16, v9
	v_lshlrev_b32_e32 v8, 16, v13
	v_max_f32_e32 v8, v8, v8
	v_max_f32_e32 v7, v7, v7
	v_min_f32_e32 v12, v7, v8
	v_max_f32_e32 v7, v7, v8
	v_cndmask_b32_e32 v8, v7, v12, vcc
	v_and_b32_e32 v7, 0x7f800000, v8
	v_cmp_ne_u32_e64 s[26:27], s43, v7
                                        ; implicit-def: $vgpr7
	s_and_saveexec_b64 s[8:9], s[26:27]
	s_xor_b64 s[26:27], exec, s[8:9]
; %bb.867:                              ;   in Loop: Header=BB30_303 Depth=3
	v_bfe_u32 v7, v8, 16, 1
	v_add3_u32 v7, v8, v7, s40
                                        ; implicit-def: $vgpr8
; %bb.868:                              ;   in Loop: Header=BB30_303 Depth=3
	s_andn2_saveexec_b64 s[36:37], s[26:27]
; %bb.869:                              ;   in Loop: Header=BB30_303 Depth=3
	v_or_b32_e32 v7, 0x10000, v8
	v_cmp_eq_u32_sdwa s[26:27], v8, v3 src0_sel:WORD_0 src1_sel:DWORD
	s_nop 1
	v_cndmask_b32_e64 v7, v7, v8, s[26:27]
; %bb.870:                              ;   in Loop: Header=BB30_303 Depth=3
	s_or_b64 exec, exec, s[36:37]
	v_and_b32_e32 v8, 0xffff0000, v9
	v_and_b32_e32 v9, 0xffff0000, v13
	v_max_f32_e32 v9, v9, v9
	v_max_f32_e32 v8, v8, v8
	v_min_f32_e32 v12, v8, v9
	v_max_f32_e32 v8, v8, v9
	v_cndmask_b32_e32 v9, v8, v12, vcc
	v_and_b32_e32 v8, 0x7f800000, v9
	v_cmp_ne_u32_e64 s[26:27], s43, v8
                                        ; implicit-def: $vgpr8
	s_and_saveexec_b64 s[8:9], s[26:27]
	s_xor_b64 s[26:27], exec, s[8:9]
; %bb.871:                              ;   in Loop: Header=BB30_303 Depth=3
	v_bfe_u32 v8, v9, 16, 1
	v_add3_u32 v8, v9, v8, s40
                                        ; implicit-def: $vgpr9
; %bb.872:                              ;   in Loop: Header=BB30_303 Depth=3
	s_andn2_saveexec_b64 s[36:37], s[26:27]
; %bb.873:                              ;   in Loop: Header=BB30_303 Depth=3
	v_or_b32_e32 v8, 0x10000, v9
	v_cmp_eq_u32_sdwa s[26:27], v9, v3 src0_sel:WORD_0 src1_sel:DWORD
	s_nop 1
	v_cndmask_b32_e64 v8, v8, v9, s[26:27]
; %bb.874:                              ;   in Loop: Header=BB30_303 Depth=3
	s_or_b64 exec, exec, s[36:37]
	v_lshlrev_b32_e32 v9, 16, v10
	v_lshlrev_b32_e32 v12, 16, v14
	v_max_f32_e32 v12, v12, v12
	v_max_f32_e32 v9, v9, v9
	v_min_f32_e32 v13, v9, v12
	v_max_f32_e32 v9, v9, v12
	v_cndmask_b32_e32 v12, v9, v13, vcc
	v_and_b32_e32 v9, 0x7f800000, v12
	v_cmp_ne_u32_e64 s[26:27], s43, v9
                                        ; implicit-def: $vgpr9
	s_and_saveexec_b64 s[8:9], s[26:27]
	s_xor_b64 s[26:27], exec, s[8:9]
; %bb.875:                              ;   in Loop: Header=BB30_303 Depth=3
	v_bfe_u32 v9, v12, 16, 1
	v_add3_u32 v9, v12, v9, s40
                                        ; implicit-def: $vgpr12
; %bb.876:                              ;   in Loop: Header=BB30_303 Depth=3
	s_andn2_saveexec_b64 s[36:37], s[26:27]
; %bb.877:                              ;   in Loop: Header=BB30_303 Depth=3
	v_or_b32_e32 v9, 0x10000, v12
	v_cmp_eq_u32_sdwa s[26:27], v12, v3 src0_sel:WORD_0 src1_sel:DWORD
	s_nop 1
	v_cndmask_b32_e64 v9, v9, v12, s[26:27]
; %bb.878:                              ;   in Loop: Header=BB30_303 Depth=3
	s_or_b64 exec, exec, s[36:37]
	v_and_b32_e32 v10, 0xffff0000, v10
	v_and_b32_e32 v12, 0xffff0000, v14
	v_max_f32_e32 v12, v12, v12
	v_max_f32_e32 v10, v10, v10
	v_min_f32_e32 v13, v10, v12
	v_max_f32_e32 v10, v10, v12
	v_cndmask_b32_e32 v12, v10, v13, vcc
	v_and_b32_e32 v10, 0x7f800000, v12
	v_cmp_ne_u32_e64 s[26:27], s43, v10
                                        ; implicit-def: $vgpr10
	s_and_saveexec_b64 s[8:9], s[26:27]
	s_xor_b64 s[26:27], exec, s[8:9]
; %bb.879:                              ;   in Loop: Header=BB30_303 Depth=3
	v_bfe_u32 v10, v12, 16, 1
	v_add3_u32 v10, v12, v10, s40
                                        ; implicit-def: $vgpr12
; %bb.880:                              ;   in Loop: Header=BB30_303 Depth=3
	s_andn2_saveexec_b64 s[36:37], s[26:27]
; %bb.881:                              ;   in Loop: Header=BB30_303 Depth=3
	v_or_b32_e32 v10, 0x10000, v12
	v_cmp_eq_u32_sdwa s[26:27], v12, v3 src0_sel:WORD_0 src1_sel:DWORD
	s_nop 1
	v_cndmask_b32_e64 v10, v10, v12, s[26:27]
; %bb.882:                              ;   in Loop: Header=BB30_303 Depth=3
	s_or_b64 exec, exec, s[36:37]
	v_lshlrev_b32_e32 v12, 16, v11
	v_lshlrev_b32_e32 v13, 16, v15
	v_max_f32_e32 v13, v13, v13
	v_max_f32_e32 v12, v12, v12
	v_min_f32_e32 v14, v12, v13
	v_max_f32_e32 v12, v12, v13
	v_cndmask_b32_e32 v13, v12, v14, vcc
	v_and_b32_e32 v12, 0x7f800000, v13
	v_cmp_ne_u32_e64 s[26:27], s43, v12
                                        ; implicit-def: $vgpr12
	s_and_saveexec_b64 s[8:9], s[26:27]
	s_xor_b64 s[26:27], exec, s[8:9]
; %bb.883:                              ;   in Loop: Header=BB30_303 Depth=3
	v_bfe_u32 v12, v13, 16, 1
	v_add3_u32 v12, v13, v12, s40
                                        ; implicit-def: $vgpr13
; %bb.884:                              ;   in Loop: Header=BB30_303 Depth=3
	s_andn2_saveexec_b64 s[36:37], s[26:27]
; %bb.885:                              ;   in Loop: Header=BB30_303 Depth=3
	v_or_b32_e32 v12, 0x10000, v13
	v_cmp_eq_u32_sdwa s[26:27], v13, v3 src0_sel:WORD_0 src1_sel:DWORD
	s_nop 1
	v_cndmask_b32_e64 v12, v12, v13, s[26:27]
; %bb.886:                              ;   in Loop: Header=BB30_303 Depth=3
	s_or_b64 exec, exec, s[36:37]
	v_and_b32_e32 v11, 0xffff0000, v11
	v_and_b32_e32 v13, 0xffff0000, v15
	v_max_f32_e32 v13, v13, v13
	v_max_f32_e32 v11, v11, v11
	v_min_f32_e32 v14, v11, v13
	v_max_f32_e32 v11, v11, v13
	v_cndmask_b32_e32 v13, v11, v14, vcc
	v_and_b32_e32 v11, 0x7f800000, v13
	v_cmp_ne_u32_e32 vcc, s43, v11
                                        ; implicit-def: $vgpr11
	s_and_saveexec_b64 s[8:9], vcc
	s_xor_b64 s[26:27], exec, s[8:9]
; %bb.887:                              ;   in Loop: Header=BB30_303 Depth=3
	v_bfe_u32 v11, v13, 16, 1
	v_add3_u32 v11, v13, v11, s40
                                        ; implicit-def: $vgpr13
; %bb.888:                              ;   in Loop: Header=BB30_303 Depth=3
	s_andn2_saveexec_b64 s[26:27], s[26:27]
; %bb.889:                              ;   in Loop: Header=BB30_303 Depth=3
	v_or_b32_e32 v11, 0x10000, v13
	v_cmp_eq_u32_sdwa vcc, v13, v3 src0_sel:WORD_0 src1_sel:DWORD
	s_nop 1
	v_cndmask_b32_e32 v11, v11, v13, vcc
; %bb.890:                              ;   in Loop: Header=BB30_303 Depth=3
	s_or_b64 exec, exec, s[26:27]
	v_lshrrev_b32_e32 v5, 16, v5
	v_lshrrev_b32_e32 v7, 16, v7
	v_and_or_b32 v6, v6, s41, v5
	v_lshrrev_b32_e32 v5, 16, v9
	v_and_or_b32 v7, v8, s41, v7
	v_and_or_b32 v8, v10, s41, v5
	v_lshrrev_b32_e32 v5, 16, v12
	v_and_or_b32 v9, v11, s41, v5
	global_store_dwordx4 v[16:17], v[6:9], off
.LBB30_891:                             ;   in Loop: Header=BB30_303 Depth=3
	s_or_b64 exec, exec, s[28:29]
	s_nop 0
	v_and_b32_e32 v7, 14, v2
	v_cndmask_b32_e64 v2, v25, v7, s[24:25]
	v_cmp_ne_u32_e32 vcc, 0, v2
	s_mov_b64 s[28:29], s[30:31]
                                        ; implicit-def: $vgpr5
                                        ; implicit-def: $vgpr6
                                        ; implicit-def: $vgpr14
	s_and_saveexec_b64 s[26:27], vcc
	s_cbranch_execz .LBB30_893
; %bb.892:                              ;   in Loop: Header=BB30_303 Depth=3
	v_cmp_lt_i32_e32 vcc, 0, v26
	v_sub_u32_e32 v5, v25, v7
	v_cndmask_b32_e64 v5, 0, v5, s[24:25]
	v_cndmask_b32_e32 v6, 0, v60, vcc
	v_sub_u32_e32 v6, v6, v26
	v_lshl_add_u32 v6, v6, 6, v23
	v_ashrrev_i32_e32 v7, 31, v6
	v_lshrrev_b32_e32 v7, 26, v7
	v_add_u32_e32 v7, v6, v7
	v_and_b32_e32 v7, 0xffffffc0, v7
	v_add3_u32 v5, v24, v22, v5
	v_sub_u32_e32 v14, v6, v7
	s_or_b64 s[28:29], s[30:31], exec
.LBB30_893:                             ;   in Loop: Header=BB30_303 Depth=3
	s_or_b64 exec, exec, s[26:27]
	s_andn2_b64 s[8:9], s[30:31], exec
	s_and_b64 s[24:25], s[28:29], exec
	s_or_b64 s[30:31], s[8:9], s[24:25]
.LBB30_894:                             ;   in Loop: Header=BB30_303 Depth=3
	s_or_b64 exec, exec, s[34:35]
	s_and_saveexec_b64 s[34:35], s[30:31]
	s_cbranch_execz .LBB30_1122
.LBB30_895:                             ;   in Loop: Header=BB30_303 Depth=3
	v_ashrrev_i32_e32 v7, 31, v6
	v_lshrrev_b32_e32 v7, 26, v7
	v_add_u32_e32 v6, v6, v7
	v_ashrrev_i32_e32 v6, 6, v6
	v_lshlrev_b32_e32 v7, 11, v6
	v_lshlrev_b32_e32 v8, 1, v14
	v_add3_u32 v12, v5, v8, v7
	v_ashrrev_i32_e32 v7, 31, v2
	v_lshrrev_b32_e32 v7, 21, v7
	v_add_u32_e32 v7, v2, v7
	v_ashrrev_i32_e32 v15, 11, v7
	v_ashrrev_i32_e32 v13, 31, v12
	v_sub_u32_e32 v16, v15, v6
	v_lshl_add_u64 v[8:9], v[120:121], 0, v[12:13]
	v_cmp_lt_i32_e32 vcc, 0, v16
	v_mov_b32_e32 v97, 0
	s_mov_b64 s[24:25], 0
	v_mov_b32_e32 v86, 0
	v_mov_b32_e32 v84, 0
	;; [unrolled: 1-line block ×31, first 2 shown]
	s_and_saveexec_b64 s[26:27], vcc
	s_cbranch_execz .LBB30_1031
; %bb.896:                              ;   in Loop: Header=BB30_303 Depth=3
	s_trap 2
	ds_read_b64 v[6:7], v0
	s_and_b32 s8, s64, 0xff
	s_cmp_eq_u32 s8, 0
	v_lshl_add_u64 v[10:11], v[12:13], 0, v[72:73]
	s_mov_b64 s[36:37], 0
	s_waitcnt lgkmcnt(0)
	v_lshl_add_u64 v[12:13], v[6:7], 0, v[12:13]
	s_mov_b64 s[30:31], 0
	s_cselect_b64 vcc, -1, 0
                                        ; implicit-def: $sgpr28_sgpr29
                                        ; implicit-def: $vgpr115
                                        ; implicit-def: $vgpr112
                                        ; implicit-def: $vgpr101
                                        ; implicit-def: $vgpr98
                                        ; implicit-def: $vgpr87
                                        ; implicit-def: $vgpr83
                                        ; implicit-def: $vgpr80
                                        ; implicit-def: $vgpr69
                                        ; implicit-def: $vgpr66
                                        ; implicit-def: $vgpr55
                                        ; implicit-def: $vgpr51
                                        ; implicit-def: $vgpr48
                                        ; implicit-def: $vgpr39
                                        ; implicit-def: $vgpr38
                                        ; implicit-def: $vgpr37
                                        ; implicit-def: $vgpr36
                                        ; implicit-def: $vgpr17
                                        ; implicit-def: $vgpr18
                                        ; implicit-def: $vgpr19
                                        ; implicit-def: $vgpr20
                                        ; implicit-def: $vgpr21
                                        ; implicit-def: $vgpr22
                                        ; implicit-def: $vgpr23
                                        ; implicit-def: $vgpr24
                                        ; implicit-def: $vgpr25
                                        ; implicit-def: $vgpr26
                                        ; implicit-def: $vgpr27
                                        ; implicit-def: $vgpr29
                                        ; implicit-def: $vgpr32
                                        ; implicit-def: $vgpr33
                                        ; implicit-def: $vgpr34
                                        ; implicit-def: $vgpr35
	s_branch .LBB30_898
.LBB30_897:                             ;   in Loop: Header=BB30_898 Depth=4
	s_or_b64 exec, exec, s[38:39]
	flat_store_short_d16_hi v[8:9], v6 nt
	flat_store_short_d16_hi v[8:9], v7 offset:128 nt
	flat_store_short_d16_hi v[8:9], v30 offset:256 nt
	;; [unrolled: 1-line block ×15, first 2 shown]
	v_lshl_add_u64 v[6:7], v[10:11], 0, v[76:77]
	v_cndmask_b32_e64 v10, v10, v6, s[36:37]
	v_cndmask_b32_e64 v6, 0, v60, s[36:37]
	v_sub_u32_e32 v16, v16, v6
	v_cmp_gt_i32_e64 s[24:25], 1, v16
	v_mov_b32_e32 v30, 0x800
	s_or_b64 s[30:31], s[24:25], s[30:31]
	v_lshl_add_u64 v[52:53], v[12:13], 0, v[76:77]
	v_cndmask_b32_e64 v65, 0, v105, s[36:37]
	v_cndmask_b32_e64 v64, v30, v104, s[36:37]
	s_andn2_b64 s[8:9], s[28:29], exec
	s_and_b64 s[24:25], s[36:37], exec
	v_lshl_add_u64 v[8:9], v[8:9], 0, v[64:65]
	v_cndmask_b32_e64 v11, v11, v7, s[36:37]
	v_cndmask_b32_e64 v13, v13, v53, s[36:37]
	;; [unrolled: 1-line block ×3, first 2 shown]
	s_or_b64 s[28:29], s[8:9], s[24:25]
	s_andn2_b64 exec, exec, s[30:31]
	s_cbranch_execz .LBB30_1030
.LBB30_898:                             ;   Parent Loop BB30_47 Depth=1
                                        ;     Parent Loop BB30_300 Depth=2
                                        ;       Parent Loop BB30_303 Depth=3
                                        ; =>      This Inner Loop Header: Depth=4
	flat_load_ushort v44, v[10:11] nt
	flat_load_ushort v58, v[10:11] offset:128 nt
	flat_load_ushort v118, v[10:11] offset:256 nt
	;; [unrolled: 1-line block ×15, first 2 shown]
	flat_load_ushort v45, v[12:13] nt
	flat_load_ushort v59, v[12:13] offset:128 nt
	flat_load_ushort v119, v[12:13] offset:256 nt
	;; [unrolled: 1-line block ×5, first 2 shown]
	s_waitcnt vmcnt(0)
	flat_load_ushort v100, v[12:13] offset:768 nt
	flat_load_ushort v97, v[12:13] offset:896 nt
	;; [unrolled: 1-line block ×10, first 2 shown]
	s_and_saveexec_b64 s[38:39], s[36:37]
	s_cbranch_execz .LBB30_964
; %bb.899:                              ;   in Loop: Header=BB30_898 Depth=4
	v_lshlrev_b32_e32 v6, 16, v115
	v_lshlrev_b32_e32 v7, 16, v17
	v_max_f32_e32 v7, v7, v7
	v_max_f32_e32 v6, v6, v6
	v_min_f32_e32 v30, v6, v7
	v_max_f32_e32 v6, v6, v7
	v_cndmask_b32_e32 v7, v6, v30, vcc
	v_and_b32_e32 v6, 0x7f800000, v7
	v_cmp_ne_u32_e64 s[24:25], s43, v6
                                        ; implicit-def: $vgpr6
	s_and_saveexec_b64 s[8:9], s[24:25]
	s_xor_b64 s[24:25], exec, s[8:9]
; %bb.900:                              ;   in Loop: Header=BB30_898 Depth=4
	v_bfe_u32 v6, v7, 16, 1
	v_add3_u32 v6, v7, v6, s40
                                        ; implicit-def: $vgpr7
; %bb.901:                              ;   in Loop: Header=BB30_898 Depth=4
	s_andn2_saveexec_b64 s[36:37], s[24:25]
; %bb.902:                              ;   in Loop: Header=BB30_898 Depth=4
	v_or_b32_e32 v6, 0x10000, v7
	v_cmp_eq_u32_sdwa s[24:25], v7, v3 src0_sel:WORD_0 src1_sel:DWORD
	s_nop 1
	v_cndmask_b32_e64 v6, v6, v7, s[24:25]
; %bb.903:                              ;   in Loop: Header=BB30_898 Depth=4
	s_or_b64 exec, exec, s[36:37]
	v_lshlrev_b32_e32 v7, 16, v112
	v_lshlrev_b32_e32 v30, 16, v18
	v_max_f32_e32 v30, v30, v30
	v_max_f32_e32 v7, v7, v7
	v_min_f32_e32 v112, v7, v30
	v_max_f32_e32 v7, v7, v30
	v_cndmask_b32_e32 v30, v7, v112, vcc
	v_and_b32_e32 v7, 0x7f800000, v30
	v_cmp_ne_u32_e64 s[24:25], s43, v7
                                        ; implicit-def: $vgpr7
	s_and_saveexec_b64 s[8:9], s[24:25]
	s_xor_b64 s[24:25], exec, s[8:9]
; %bb.904:                              ;   in Loop: Header=BB30_898 Depth=4
	v_bfe_u32 v7, v30, 16, 1
	v_add3_u32 v7, v30, v7, s40
                                        ; implicit-def: $vgpr30
; %bb.905:                              ;   in Loop: Header=BB30_898 Depth=4
	s_andn2_saveexec_b64 s[36:37], s[24:25]
; %bb.906:                              ;   in Loop: Header=BB30_898 Depth=4
	v_or_b32_e32 v7, 0x10000, v30
	v_cmp_eq_u32_sdwa s[24:25], v30, v3 src0_sel:WORD_0 src1_sel:DWORD
	s_nop 1
	v_cndmask_b32_e64 v7, v7, v30, s[24:25]
; %bb.907:                              ;   in Loop: Header=BB30_898 Depth=4
	s_or_b64 exec, exec, s[36:37]
	v_lshlrev_b32_e32 v30, 16, v101
	v_lshlrev_b32_e32 v101, 16, v19
	v_max_f32_e32 v101, v101, v101
	v_max_f32_e32 v30, v30, v30
	v_min_f32_e32 v112, v30, v101
	v_max_f32_e32 v30, v30, v101
	v_cndmask_b32_e32 v101, v30, v112, vcc
	v_and_b32_e32 v30, 0x7f800000, v101
	v_cmp_ne_u32_e64 s[24:25], s43, v30
                                        ; implicit-def: $vgpr30
	s_and_saveexec_b64 s[8:9], s[24:25]
	s_xor_b64 s[24:25], exec, s[8:9]
; %bb.908:                              ;   in Loop: Header=BB30_898 Depth=4
	v_bfe_u32 v30, v101, 16, 1
	v_add3_u32 v30, v101, v30, s40
                                        ; implicit-def: $vgpr101
; %bb.909:                              ;   in Loop: Header=BB30_898 Depth=4
	s_andn2_saveexec_b64 s[36:37], s[24:25]
; %bb.910:                              ;   in Loop: Header=BB30_898 Depth=4
	v_or_b32_e32 v30, 0x10000, v101
	v_cmp_eq_u32_sdwa s[24:25], v101, v3 src0_sel:WORD_0 src1_sel:DWORD
	s_nop 1
	v_cndmask_b32_e64 v30, v30, v101, s[24:25]
; %bb.911:                              ;   in Loop: Header=BB30_898 Depth=4
	s_or_b64 exec, exec, s[36:37]
	v_lshlrev_b32_e32 v98, 16, v98
	v_lshlrev_b32_e32 v101, 16, v20
	v_max_f32_e32 v101, v101, v101
	v_max_f32_e32 v98, v98, v98
	v_min_f32_e32 v112, v98, v101
	v_max_f32_e32 v98, v98, v101
	v_cndmask_b32_e32 v101, v98, v112, vcc
	v_and_b32_e32 v98, 0x7f800000, v101
	v_cmp_ne_u32_e64 s[24:25], s43, v98
                                        ; implicit-def: $vgpr98
	s_and_saveexec_b64 s[8:9], s[24:25]
	s_xor_b64 s[24:25], exec, s[8:9]
; %bb.912:                              ;   in Loop: Header=BB30_898 Depth=4
	v_bfe_u32 v98, v101, 16, 1
	v_add3_u32 v98, v101, v98, s40
                                        ; implicit-def: $vgpr101
; %bb.913:                              ;   in Loop: Header=BB30_898 Depth=4
	s_andn2_saveexec_b64 s[36:37], s[24:25]
; %bb.914:                              ;   in Loop: Header=BB30_898 Depth=4
	v_or_b32_e32 v98, 0x10000, v101
	v_cmp_eq_u32_sdwa s[24:25], v101, v3 src0_sel:WORD_0 src1_sel:DWORD
	s_nop 1
	v_cndmask_b32_e64 v98, v98, v101, s[24:25]
; %bb.915:                              ;   in Loop: Header=BB30_898 Depth=4
	s_or_b64 exec, exec, s[36:37]
	v_lshlrev_b32_e32 v87, 16, v87
	v_lshlrev_b32_e32 v101, 16, v21
	v_max_f32_e32 v101, v101, v101
	v_max_f32_e32 v87, v87, v87
	v_min_f32_e32 v112, v87, v101
	v_max_f32_e32 v87, v87, v101
	v_cndmask_b32_e32 v101, v87, v112, vcc
	v_and_b32_e32 v87, 0x7f800000, v101
	v_cmp_ne_u32_e64 s[24:25], s43, v87
                                        ; implicit-def: $vgpr87
	s_and_saveexec_b64 s[8:9], s[24:25]
	s_xor_b64 s[24:25], exec, s[8:9]
; %bb.916:                              ;   in Loop: Header=BB30_898 Depth=4
	v_bfe_u32 v87, v101, 16, 1
	v_add3_u32 v87, v101, v87, s40
                                        ; implicit-def: $vgpr101
; %bb.917:                              ;   in Loop: Header=BB30_898 Depth=4
	s_andn2_saveexec_b64 s[36:37], s[24:25]
; %bb.918:                              ;   in Loop: Header=BB30_898 Depth=4
	v_or_b32_e32 v87, 0x10000, v101
	v_cmp_eq_u32_sdwa s[24:25], v101, v3 src0_sel:WORD_0 src1_sel:DWORD
	s_nop 1
	v_cndmask_b32_e64 v87, v87, v101, s[24:25]
; %bb.919:                              ;   in Loop: Header=BB30_898 Depth=4
	s_or_b64 exec, exec, s[36:37]
	v_lshlrev_b32_e32 v83, 16, v83
	v_lshlrev_b32_e32 v101, 16, v22
	v_max_f32_e32 v101, v101, v101
	v_max_f32_e32 v83, v83, v83
	v_min_f32_e32 v112, v83, v101
	v_max_f32_e32 v83, v83, v101
	v_cndmask_b32_e32 v101, v83, v112, vcc
	v_and_b32_e32 v83, 0x7f800000, v101
	v_cmp_ne_u32_e64 s[24:25], s43, v83
                                        ; implicit-def: $vgpr83
	s_and_saveexec_b64 s[8:9], s[24:25]
	s_xor_b64 s[24:25], exec, s[8:9]
; %bb.920:                              ;   in Loop: Header=BB30_898 Depth=4
	v_bfe_u32 v83, v101, 16, 1
	v_add3_u32 v83, v101, v83, s40
                                        ; implicit-def: $vgpr101
; %bb.921:                              ;   in Loop: Header=BB30_898 Depth=4
	s_andn2_saveexec_b64 s[36:37], s[24:25]
; %bb.922:                              ;   in Loop: Header=BB30_898 Depth=4
	v_or_b32_e32 v83, 0x10000, v101
	v_cmp_eq_u32_sdwa s[24:25], v101, v3 src0_sel:WORD_0 src1_sel:DWORD
	s_nop 1
	v_cndmask_b32_e64 v83, v83, v101, s[24:25]
; %bb.923:                              ;   in Loop: Header=BB30_898 Depth=4
	s_or_b64 exec, exec, s[36:37]
	v_lshlrev_b32_e32 v80, 16, v80
	v_lshlrev_b32_e32 v101, 16, v23
	v_max_f32_e32 v101, v101, v101
	v_max_f32_e32 v80, v80, v80
	v_min_f32_e32 v112, v80, v101
	v_max_f32_e32 v80, v80, v101
	v_cndmask_b32_e32 v101, v80, v112, vcc
	v_and_b32_e32 v80, 0x7f800000, v101
	v_cmp_ne_u32_e64 s[24:25], s43, v80
                                        ; implicit-def: $vgpr80
	s_and_saveexec_b64 s[8:9], s[24:25]
	s_xor_b64 s[24:25], exec, s[8:9]
; %bb.924:                              ;   in Loop: Header=BB30_898 Depth=4
	v_bfe_u32 v80, v101, 16, 1
	v_add3_u32 v80, v101, v80, s40
                                        ; implicit-def: $vgpr101
; %bb.925:                              ;   in Loop: Header=BB30_898 Depth=4
	s_andn2_saveexec_b64 s[36:37], s[24:25]
; %bb.926:                              ;   in Loop: Header=BB30_898 Depth=4
	v_or_b32_e32 v80, 0x10000, v101
	v_cmp_eq_u32_sdwa s[24:25], v101, v3 src0_sel:WORD_0 src1_sel:DWORD
	s_nop 1
	v_cndmask_b32_e64 v80, v80, v101, s[24:25]
; %bb.927:                              ;   in Loop: Header=BB30_898 Depth=4
	s_or_b64 exec, exec, s[36:37]
	v_lshlrev_b32_e32 v69, 16, v69
	v_lshlrev_b32_e32 v101, 16, v24
	v_max_f32_e32 v101, v101, v101
	v_max_f32_e32 v69, v69, v69
	v_min_f32_e32 v112, v69, v101
	v_max_f32_e32 v69, v69, v101
	v_cndmask_b32_e32 v101, v69, v112, vcc
	v_and_b32_e32 v69, 0x7f800000, v101
	v_cmp_ne_u32_e64 s[24:25], s43, v69
                                        ; implicit-def: $vgpr69
	s_and_saveexec_b64 s[8:9], s[24:25]
	s_xor_b64 s[24:25], exec, s[8:9]
; %bb.928:                              ;   in Loop: Header=BB30_898 Depth=4
	v_bfe_u32 v69, v101, 16, 1
	v_add3_u32 v69, v101, v69, s40
                                        ; implicit-def: $vgpr101
; %bb.929:                              ;   in Loop: Header=BB30_898 Depth=4
	s_andn2_saveexec_b64 s[36:37], s[24:25]
; %bb.930:                              ;   in Loop: Header=BB30_898 Depth=4
	v_or_b32_e32 v69, 0x10000, v101
	v_cmp_eq_u32_sdwa s[24:25], v101, v3 src0_sel:WORD_0 src1_sel:DWORD
	s_nop 1
	v_cndmask_b32_e64 v69, v69, v101, s[24:25]
; %bb.931:                              ;   in Loop: Header=BB30_898 Depth=4
	s_or_b64 exec, exec, s[36:37]
	v_lshlrev_b32_e32 v66, 16, v66
	v_lshlrev_b32_e32 v101, 16, v25
	v_max_f32_e32 v101, v101, v101
	v_max_f32_e32 v66, v66, v66
	v_min_f32_e32 v112, v66, v101
	v_max_f32_e32 v66, v66, v101
	v_cndmask_b32_e32 v101, v66, v112, vcc
	v_and_b32_e32 v66, 0x7f800000, v101
	v_cmp_ne_u32_e64 s[24:25], s43, v66
                                        ; implicit-def: $vgpr66
	s_and_saveexec_b64 s[8:9], s[24:25]
	s_xor_b64 s[24:25], exec, s[8:9]
; %bb.932:                              ;   in Loop: Header=BB30_898 Depth=4
	v_bfe_u32 v66, v101, 16, 1
	v_add3_u32 v66, v101, v66, s40
                                        ; implicit-def: $vgpr101
; %bb.933:                              ;   in Loop: Header=BB30_898 Depth=4
	s_andn2_saveexec_b64 s[36:37], s[24:25]
; %bb.934:                              ;   in Loop: Header=BB30_898 Depth=4
	v_or_b32_e32 v66, 0x10000, v101
	v_cmp_eq_u32_sdwa s[24:25], v101, v3 src0_sel:WORD_0 src1_sel:DWORD
	s_nop 1
	v_cndmask_b32_e64 v66, v66, v101, s[24:25]
; %bb.935:                              ;   in Loop: Header=BB30_898 Depth=4
	s_or_b64 exec, exec, s[36:37]
	v_lshlrev_b32_e32 v55, 16, v55
	v_lshlrev_b32_e32 v101, 16, v26
	v_max_f32_e32 v101, v101, v101
	v_max_f32_e32 v55, v55, v55
	v_min_f32_e32 v112, v55, v101
	v_max_f32_e32 v55, v55, v101
	v_cndmask_b32_e32 v101, v55, v112, vcc
	v_and_b32_e32 v55, 0x7f800000, v101
	v_cmp_ne_u32_e64 s[24:25], s43, v55
                                        ; implicit-def: $vgpr55
	s_and_saveexec_b64 s[8:9], s[24:25]
	s_xor_b64 s[24:25], exec, s[8:9]
; %bb.936:                              ;   in Loop: Header=BB30_898 Depth=4
	v_bfe_u32 v55, v101, 16, 1
	v_add3_u32 v55, v101, v55, s40
                                        ; implicit-def: $vgpr101
; %bb.937:                              ;   in Loop: Header=BB30_898 Depth=4
	s_andn2_saveexec_b64 s[36:37], s[24:25]
; %bb.938:                              ;   in Loop: Header=BB30_898 Depth=4
	v_or_b32_e32 v55, 0x10000, v101
	v_cmp_eq_u32_sdwa s[24:25], v101, v3 src0_sel:WORD_0 src1_sel:DWORD
	s_nop 1
	v_cndmask_b32_e64 v55, v55, v101, s[24:25]
; %bb.939:                              ;   in Loop: Header=BB30_898 Depth=4
	s_or_b64 exec, exec, s[36:37]
	v_lshlrev_b32_e32 v51, 16, v51
	v_lshlrev_b32_e32 v101, 16, v27
	v_max_f32_e32 v101, v101, v101
	v_max_f32_e32 v51, v51, v51
	v_min_f32_e32 v112, v51, v101
	v_max_f32_e32 v51, v51, v101
	v_cndmask_b32_e32 v101, v51, v112, vcc
	v_and_b32_e32 v51, 0x7f800000, v101
	v_cmp_ne_u32_e64 s[24:25], s43, v51
                                        ; implicit-def: $vgpr51
	s_and_saveexec_b64 s[8:9], s[24:25]
	s_xor_b64 s[24:25], exec, s[8:9]
; %bb.940:                              ;   in Loop: Header=BB30_898 Depth=4
	v_bfe_u32 v51, v101, 16, 1
	v_add3_u32 v51, v101, v51, s40
                                        ; implicit-def: $vgpr101
; %bb.941:                              ;   in Loop: Header=BB30_898 Depth=4
	s_andn2_saveexec_b64 s[36:37], s[24:25]
; %bb.942:                              ;   in Loop: Header=BB30_898 Depth=4
	v_or_b32_e32 v51, 0x10000, v101
	v_cmp_eq_u32_sdwa s[24:25], v101, v3 src0_sel:WORD_0 src1_sel:DWORD
	s_nop 1
	v_cndmask_b32_e64 v51, v51, v101, s[24:25]
; %bb.943:                              ;   in Loop: Header=BB30_898 Depth=4
	s_or_b64 exec, exec, s[36:37]
	v_lshlrev_b32_e32 v48, 16, v48
	v_lshlrev_b32_e32 v101, 16, v29
	v_max_f32_e32 v101, v101, v101
	v_max_f32_e32 v48, v48, v48
	v_min_f32_e32 v112, v48, v101
	v_max_f32_e32 v48, v48, v101
	v_cndmask_b32_e32 v101, v48, v112, vcc
	v_and_b32_e32 v48, 0x7f800000, v101
	v_cmp_ne_u32_e64 s[24:25], s43, v48
                                        ; implicit-def: $vgpr48
	s_and_saveexec_b64 s[8:9], s[24:25]
	s_xor_b64 s[24:25], exec, s[8:9]
; %bb.944:                              ;   in Loop: Header=BB30_898 Depth=4
	v_bfe_u32 v48, v101, 16, 1
	v_add3_u32 v48, v101, v48, s40
                                        ; implicit-def: $vgpr101
; %bb.945:                              ;   in Loop: Header=BB30_898 Depth=4
	s_andn2_saveexec_b64 s[36:37], s[24:25]
; %bb.946:                              ;   in Loop: Header=BB30_898 Depth=4
	v_or_b32_e32 v48, 0x10000, v101
	v_cmp_eq_u32_sdwa s[24:25], v101, v3 src0_sel:WORD_0 src1_sel:DWORD
	s_nop 1
	v_cndmask_b32_e64 v48, v48, v101, s[24:25]
; %bb.947:                              ;   in Loop: Header=BB30_898 Depth=4
	s_or_b64 exec, exec, s[36:37]
	v_lshlrev_b32_e32 v39, 16, v39
	v_lshlrev_b32_e32 v101, 16, v32
	v_max_f32_e32 v101, v101, v101
	v_max_f32_e32 v39, v39, v39
	v_min_f32_e32 v112, v39, v101
	v_max_f32_e32 v39, v39, v101
	v_cndmask_b32_e32 v101, v39, v112, vcc
	v_and_b32_e32 v39, 0x7f800000, v101
	v_cmp_ne_u32_e64 s[24:25], s43, v39
                                        ; implicit-def: $vgpr39
	s_and_saveexec_b64 s[8:9], s[24:25]
	s_xor_b64 s[24:25], exec, s[8:9]
; %bb.948:                              ;   in Loop: Header=BB30_898 Depth=4
	v_bfe_u32 v39, v101, 16, 1
	v_add3_u32 v39, v101, v39, s40
                                        ; implicit-def: $vgpr101
; %bb.949:                              ;   in Loop: Header=BB30_898 Depth=4
	s_andn2_saveexec_b64 s[36:37], s[24:25]
; %bb.950:                              ;   in Loop: Header=BB30_898 Depth=4
	v_or_b32_e32 v39, 0x10000, v101
	v_cmp_eq_u32_sdwa s[24:25], v101, v3 src0_sel:WORD_0 src1_sel:DWORD
	s_nop 1
	v_cndmask_b32_e64 v39, v39, v101, s[24:25]
; %bb.951:                              ;   in Loop: Header=BB30_898 Depth=4
	s_or_b64 exec, exec, s[36:37]
	v_lshlrev_b32_e32 v38, 16, v38
	v_lshlrev_b32_e32 v101, 16, v33
	v_max_f32_e32 v101, v101, v101
	v_max_f32_e32 v38, v38, v38
	v_min_f32_e32 v112, v38, v101
	v_max_f32_e32 v38, v38, v101
	v_cndmask_b32_e32 v101, v38, v112, vcc
	v_and_b32_e32 v38, 0x7f800000, v101
	v_cmp_ne_u32_e64 s[24:25], s43, v38
                                        ; implicit-def: $vgpr38
	s_and_saveexec_b64 s[8:9], s[24:25]
	s_xor_b64 s[24:25], exec, s[8:9]
; %bb.952:                              ;   in Loop: Header=BB30_898 Depth=4
	v_bfe_u32 v38, v101, 16, 1
	v_add3_u32 v38, v101, v38, s40
                                        ; implicit-def: $vgpr101
; %bb.953:                              ;   in Loop: Header=BB30_898 Depth=4
	s_andn2_saveexec_b64 s[36:37], s[24:25]
; %bb.954:                              ;   in Loop: Header=BB30_898 Depth=4
	v_or_b32_e32 v38, 0x10000, v101
	v_cmp_eq_u32_sdwa s[24:25], v101, v3 src0_sel:WORD_0 src1_sel:DWORD
	s_nop 1
	v_cndmask_b32_e64 v38, v38, v101, s[24:25]
; %bb.955:                              ;   in Loop: Header=BB30_898 Depth=4
	s_or_b64 exec, exec, s[36:37]
	v_lshlrev_b32_e32 v37, 16, v37
	v_lshlrev_b32_e32 v101, 16, v34
	v_max_f32_e32 v101, v101, v101
	v_max_f32_e32 v37, v37, v37
	v_min_f32_e32 v112, v37, v101
	v_max_f32_e32 v37, v37, v101
	v_cndmask_b32_e32 v101, v37, v112, vcc
	v_and_b32_e32 v37, 0x7f800000, v101
	v_cmp_ne_u32_e64 s[24:25], s43, v37
                                        ; implicit-def: $vgpr37
	s_and_saveexec_b64 s[8:9], s[24:25]
	s_xor_b64 s[24:25], exec, s[8:9]
; %bb.956:                              ;   in Loop: Header=BB30_898 Depth=4
	v_bfe_u32 v37, v101, 16, 1
	v_add3_u32 v37, v101, v37, s40
                                        ; implicit-def: $vgpr101
; %bb.957:                              ;   in Loop: Header=BB30_898 Depth=4
	s_andn2_saveexec_b64 s[36:37], s[24:25]
; %bb.958:                              ;   in Loop: Header=BB30_898 Depth=4
	v_or_b32_e32 v37, 0x10000, v101
	v_cmp_eq_u32_sdwa s[24:25], v101, v3 src0_sel:WORD_0 src1_sel:DWORD
	s_nop 1
	v_cndmask_b32_e64 v37, v37, v101, s[24:25]
; %bb.959:                              ;   in Loop: Header=BB30_898 Depth=4
	s_or_b64 exec, exec, s[36:37]
	v_lshlrev_b32_e32 v36, 16, v36
	v_lshlrev_b32_e32 v101, 16, v35
	v_max_f32_e32 v101, v101, v101
	v_max_f32_e32 v36, v36, v36
	v_min_f32_e32 v112, v36, v101
	v_max_f32_e32 v36, v36, v101
	v_cndmask_b32_e32 v101, v36, v112, vcc
	v_and_b32_e32 v36, 0x7f800000, v101
	v_cmp_ne_u32_e64 s[24:25], s43, v36
                                        ; implicit-def: $vgpr36
	s_and_saveexec_b64 s[8:9], s[24:25]
	s_xor_b64 s[24:25], exec, s[8:9]
; %bb.960:                              ;   in Loop: Header=BB30_898 Depth=4
	v_bfe_u32 v36, v101, 16, 1
	v_add3_u32 v36, v101, v36, s40
                                        ; implicit-def: $vgpr101
; %bb.961:                              ;   in Loop: Header=BB30_898 Depth=4
	s_andn2_saveexec_b64 s[36:37], s[24:25]
; %bb.962:                              ;   in Loop: Header=BB30_898 Depth=4
	v_or_b32_e32 v36, 0x10000, v101
	v_cmp_eq_u32_sdwa s[24:25], v101, v3 src0_sel:WORD_0 src1_sel:DWORD
	s_nop 1
	v_cndmask_b32_e64 v36, v36, v101, s[24:25]
; %bb.963:                              ;   in Loop: Header=BB30_898 Depth=4
	s_or_b64 exec, exec, s[36:37]
	v_lshrrev_b32_e32 v115, 16, v6
	v_lshrrev_b32_e32 v37, 16, v37
	;; [unrolled: 1-line block ×16, first 2 shown]
	flat_store_short v[8:9], v115 nt
	flat_store_short v[8:9], v112 offset:128 nt
	flat_store_short v[8:9], v101 offset:256 nt
	;; [unrolled: 1-line block ×15, first 2 shown]
	v_lshl_add_u64 v[8:9], v[8:9], 0, v[104:105]
.LBB30_964:                             ;   in Loop: Header=BB30_898 Depth=4
	s_or_b64 exec, exec, s[38:39]
	v_sub_u32_e32 v16, v16, v60
	v_lshl_add_u64 v[10:11], v[10:11], 0, v[104:105]
	v_lshl_add_u64 v[12:13], v[12:13], 0, v[104:105]
	v_cmp_lt_i32_e64 s[36:37], 0, v16
	s_and_saveexec_b64 s[24:25], s[36:37]
	s_cbranch_execz .LBB30_966
; %bb.965:                              ;   in Loop: Header=BB30_898 Depth=4
	flat_load_ushort v115, v[10:11] nt
	flat_load_ushort v112, v[10:11] offset:128 nt
	flat_load_ushort v101, v[10:11] offset:256 nt
	;; [unrolled: 1-line block ×15, first 2 shown]
	flat_load_ushort v17, v[12:13] nt
	flat_load_ushort v18, v[12:13] offset:128 nt
	flat_load_ushort v19, v[12:13] offset:256 nt
	;; [unrolled: 1-line block ×15, first 2 shown]
	v_lshl_add_u64 v[10:11], v[10:11], 0, s[58:59]
	v_lshl_add_u64 v[12:13], v[12:13], 0, s[58:59]
.LBB30_966:                             ;   in Loop: Header=BB30_898 Depth=4
	s_or_b64 exec, exec, s[24:25]
	s_waitcnt lgkmcnt(0)
	v_lshlrev_b32_e32 v6, 16, v44
	v_lshlrev_b32_e32 v7, 16, v45
	v_max_f32_e32 v7, v7, v7
	v_max_f32_e32 v6, v6, v6
	v_min_f32_e32 v30, v6, v7
	v_max_f32_e32 v6, v6, v7
	v_cndmask_b32_e32 v7, v6, v30, vcc
	v_and_b32_e32 v6, 0x7f800000, v7
	v_cmp_ne_u32_e64 s[24:25], s43, v6
                                        ; implicit-def: $vgpr6
	s_and_saveexec_b64 s[8:9], s[24:25]
	s_xor_b64 s[24:25], exec, s[8:9]
; %bb.967:                              ;   in Loop: Header=BB30_898 Depth=4
	v_bfe_u32 v6, v7, 16, 1
	v_add3_u32 v6, v7, v6, s40
                                        ; implicit-def: $vgpr7
; %bb.968:                              ;   in Loop: Header=BB30_898 Depth=4
	s_andn2_saveexec_b64 s[38:39], s[24:25]
; %bb.969:                              ;   in Loop: Header=BB30_898 Depth=4
	v_or_b32_e32 v6, 0x10000, v7
	v_cmp_eq_u32_sdwa s[24:25], v7, v3 src0_sel:WORD_0 src1_sel:DWORD
	s_nop 1
	v_cndmask_b32_e64 v6, v6, v7, s[24:25]
; %bb.970:                              ;   in Loop: Header=BB30_898 Depth=4
	s_or_b64 exec, exec, s[38:39]
	v_lshlrev_b32_e32 v7, 16, v58
	v_lshlrev_b32_e32 v30, 16, v59
	v_max_f32_e32 v30, v30, v30
	v_max_f32_e32 v7, v7, v7
	v_min_f32_e32 v42, v7, v30
	v_max_f32_e32 v7, v7, v30
	v_cndmask_b32_e32 v30, v7, v42, vcc
	v_and_b32_e32 v7, 0x7f800000, v30
	v_cmp_ne_u32_e64 s[24:25], s43, v7
                                        ; implicit-def: $vgpr7
	s_and_saveexec_b64 s[8:9], s[24:25]
	s_xor_b64 s[24:25], exec, s[8:9]
; %bb.971:                              ;   in Loop: Header=BB30_898 Depth=4
	v_bfe_u32 v7, v30, 16, 1
	v_add3_u32 v7, v30, v7, s40
                                        ; implicit-def: $vgpr30
; %bb.972:                              ;   in Loop: Header=BB30_898 Depth=4
	s_andn2_saveexec_b64 s[38:39], s[24:25]
; %bb.973:                              ;   in Loop: Header=BB30_898 Depth=4
	v_or_b32_e32 v7, 0x10000, v30
	v_cmp_eq_u32_sdwa s[24:25], v30, v3 src0_sel:WORD_0 src1_sel:DWORD
	s_nop 1
	v_cndmask_b32_e64 v7, v7, v30, s[24:25]
; %bb.974:                              ;   in Loop: Header=BB30_898 Depth=4
	s_or_b64 exec, exec, s[38:39]
	v_lshlrev_b32_e32 v30, 16, v118
	v_lshlrev_b32_e32 v118, 16, v119
	v_max_f32_e32 v118, v118, v118
	v_max_f32_e32 v30, v30, v30
	v_min_f32_e32 v119, v30, v118
	v_max_f32_e32 v30, v30, v118
	v_cndmask_b32_e32 v118, v30, v119, vcc
	v_and_b32_e32 v30, 0x7f800000, v118
	v_cmp_ne_u32_e64 s[24:25], s43, v30
                                        ; implicit-def: $vgpr30
	s_and_saveexec_b64 s[8:9], s[24:25]
	s_xor_b64 s[24:25], exec, s[8:9]
; %bb.975:                              ;   in Loop: Header=BB30_898 Depth=4
	v_bfe_u32 v30, v118, 16, 1
	v_add3_u32 v30, v118, v30, s40
                                        ; implicit-def: $vgpr118
; %bb.976:                              ;   in Loop: Header=BB30_898 Depth=4
	s_andn2_saveexec_b64 s[38:39], s[24:25]
; %bb.977:                              ;   in Loop: Header=BB30_898 Depth=4
	v_or_b32_e32 v30, 0x10000, v118
	v_cmp_eq_u32_sdwa s[24:25], v118, v3 src0_sel:WORD_0 src1_sel:DWORD
	s_nop 1
	v_cndmask_b32_e64 v30, v30, v118, s[24:25]
; %bb.978:                              ;   in Loop: Header=BB30_898 Depth=4
	s_or_b64 exec, exec, s[38:39]
	v_lshlrev_b32_e32 v116, 16, v116
	v_lshlrev_b32_e32 v117, 16, v117
	v_max_f32_e32 v117, v117, v117
	v_max_f32_e32 v116, v116, v116
	v_min_f32_e32 v118, v116, v117
	v_max_f32_e32 v116, v116, v117
	v_cndmask_b32_e32 v117, v116, v118, vcc
	v_and_b32_e32 v116, 0x7f800000, v117
	v_cmp_ne_u32_e64 s[24:25], s43, v116
                                        ; implicit-def: $vgpr116
	s_and_saveexec_b64 s[8:9], s[24:25]
	s_xor_b64 s[24:25], exec, s[8:9]
; %bb.979:                              ;   in Loop: Header=BB30_898 Depth=4
	v_bfe_u32 v116, v117, 16, 1
	v_add3_u32 v116, v117, v116, s40
                                        ; implicit-def: $vgpr117
; %bb.980:                              ;   in Loop: Header=BB30_898 Depth=4
	s_andn2_saveexec_b64 s[38:39], s[24:25]
; %bb.981:                              ;   in Loop: Header=BB30_898 Depth=4
	v_or_b32_e32 v116, 0x10000, v117
	v_cmp_eq_u32_sdwa s[24:25], v117, v3 src0_sel:WORD_0 src1_sel:DWORD
	s_nop 1
	v_cndmask_b32_e64 v116, v116, v117, s[24:25]
; %bb.982:                              ;   in Loop: Header=BB30_898 Depth=4
	s_or_b64 exec, exec, s[38:39]
	v_lshlrev_b32_e32 v113, 16, v113
	v_lshlrev_b32_e32 v114, 16, v114
	v_max_f32_e32 v114, v114, v114
	v_max_f32_e32 v113, v113, v113
	v_min_f32_e32 v117, v113, v114
	v_max_f32_e32 v113, v113, v114
	v_cndmask_b32_e32 v114, v113, v117, vcc
	v_and_b32_e32 v113, 0x7f800000, v114
	v_cmp_ne_u32_e64 s[24:25], s43, v113
                                        ; implicit-def: $vgpr113
	s_and_saveexec_b64 s[8:9], s[24:25]
	s_xor_b64 s[24:25], exec, s[8:9]
; %bb.983:                              ;   in Loop: Header=BB30_898 Depth=4
	v_bfe_u32 v113, v114, 16, 1
	v_add3_u32 v113, v114, v113, s40
                                        ; implicit-def: $vgpr114
; %bb.984:                              ;   in Loop: Header=BB30_898 Depth=4
	s_andn2_saveexec_b64 s[38:39], s[24:25]
; %bb.985:                              ;   in Loop: Header=BB30_898 Depth=4
	v_or_b32_e32 v113, 0x10000, v114
	v_cmp_eq_u32_sdwa s[24:25], v114, v3 src0_sel:WORD_0 src1_sel:DWORD
	s_nop 1
	v_cndmask_b32_e64 v113, v113, v114, s[24:25]
; %bb.986:                              ;   in Loop: Header=BB30_898 Depth=4
	s_or_b64 exec, exec, s[38:39]
	v_lshlrev_b32_e32 v102, 16, v102
	v_lshlrev_b32_e32 v103, 16, v103
	v_max_f32_e32 v103, v103, v103
	v_max_f32_e32 v102, v102, v102
	v_min_f32_e32 v114, v102, v103
	v_max_f32_e32 v102, v102, v103
	v_cndmask_b32_e32 v103, v102, v114, vcc
	v_and_b32_e32 v102, 0x7f800000, v103
	v_cmp_ne_u32_e64 s[24:25], s43, v102
                                        ; implicit-def: $vgpr102
	s_and_saveexec_b64 s[8:9], s[24:25]
	s_xor_b64 s[24:25], exec, s[8:9]
; %bb.987:                              ;   in Loop: Header=BB30_898 Depth=4
	v_bfe_u32 v102, v103, 16, 1
	v_add3_u32 v102, v103, v102, s40
                                        ; implicit-def: $vgpr103
; %bb.988:                              ;   in Loop: Header=BB30_898 Depth=4
	s_andn2_saveexec_b64 s[38:39], s[24:25]
; %bb.989:                              ;   in Loop: Header=BB30_898 Depth=4
	v_or_b32_e32 v102, 0x10000, v103
	v_cmp_eq_u32_sdwa s[24:25], v103, v3 src0_sel:WORD_0 src1_sel:DWORD
	s_nop 1
	v_cndmask_b32_e64 v102, v102, v103, s[24:25]
; %bb.990:                              ;   in Loop: Header=BB30_898 Depth=4
	s_or_b64 exec, exec, s[38:39]
	v_lshlrev_b32_e32 v99, 16, v99
	s_waitcnt vmcnt(0)
	v_lshlrev_b32_e32 v100, 16, v100
	v_max_f32_e32 v100, v100, v100
	v_max_f32_e32 v99, v99, v99
	v_min_f32_e32 v103, v99, v100
	v_max_f32_e32 v99, v99, v100
	v_cndmask_b32_e32 v100, v99, v103, vcc
	v_and_b32_e32 v99, 0x7f800000, v100
	v_cmp_ne_u32_e64 s[24:25], s43, v99
                                        ; implicit-def: $vgpr99
	s_and_saveexec_b64 s[8:9], s[24:25]
	s_xor_b64 s[24:25], exec, s[8:9]
; %bb.991:                              ;   in Loop: Header=BB30_898 Depth=4
	v_bfe_u32 v99, v100, 16, 1
	v_add3_u32 v99, v100, v99, s40
                                        ; implicit-def: $vgpr100
; %bb.992:                              ;   in Loop: Header=BB30_898 Depth=4
	s_andn2_saveexec_b64 s[38:39], s[24:25]
; %bb.993:                              ;   in Loop: Header=BB30_898 Depth=4
	v_or_b32_e32 v99, 0x10000, v100
	v_cmp_eq_u32_sdwa s[24:25], v100, v3 src0_sel:WORD_0 src1_sel:DWORD
	s_nop 1
	v_cndmask_b32_e64 v99, v99, v100, s[24:25]
; %bb.994:                              ;   in Loop: Header=BB30_898 Depth=4
	s_or_b64 exec, exec, s[38:39]
	v_lshlrev_b32_e32 v96, 16, v96
	v_lshlrev_b32_e32 v97, 16, v97
	v_max_f32_e32 v97, v97, v97
	v_max_f32_e32 v96, v96, v96
	v_min_f32_e32 v100, v96, v97
	v_max_f32_e32 v96, v96, v97
	v_cndmask_b32_e32 v97, v96, v100, vcc
	v_and_b32_e32 v96, 0x7f800000, v97
	v_cmp_ne_u32_e64 s[24:25], s43, v96
                                        ; implicit-def: $vgpr96
	s_and_saveexec_b64 s[8:9], s[24:25]
	s_xor_b64 s[24:25], exec, s[8:9]
; %bb.995:                              ;   in Loop: Header=BB30_898 Depth=4
	v_bfe_u32 v96, v97, 16, 1
	v_add3_u32 v96, v97, v96, s40
                                        ; implicit-def: $vgpr97
; %bb.996:                              ;   in Loop: Header=BB30_898 Depth=4
	s_andn2_saveexec_b64 s[38:39], s[24:25]
; %bb.997:                              ;   in Loop: Header=BB30_898 Depth=4
	v_or_b32_e32 v96, 0x10000, v97
	v_cmp_eq_u32_sdwa s[24:25], v97, v3 src0_sel:WORD_0 src1_sel:DWORD
	s_nop 1
	v_cndmask_b32_e64 v96, v96, v97, s[24:25]
; %bb.998:                              ;   in Loop: Header=BB30_898 Depth=4
	s_or_b64 exec, exec, s[38:39]
	v_lshlrev_b32_e32 v85, 16, v85
	v_lshlrev_b32_e32 v86, 16, v86
	v_max_f32_e32 v86, v86, v86
	v_max_f32_e32 v85, v85, v85
	v_min_f32_e32 v97, v85, v86
	v_max_f32_e32 v85, v85, v86
	v_cndmask_b32_e32 v86, v85, v97, vcc
	v_and_b32_e32 v85, 0x7f800000, v86
	v_cmp_ne_u32_e64 s[24:25], s43, v85
                                        ; implicit-def: $vgpr85
	s_and_saveexec_b64 s[8:9], s[24:25]
	s_xor_b64 s[24:25], exec, s[8:9]
; %bb.999:                              ;   in Loop: Header=BB30_898 Depth=4
	v_bfe_u32 v85, v86, 16, 1
	v_add3_u32 v85, v86, v85, s40
                                        ; implicit-def: $vgpr86
; %bb.1000:                             ;   in Loop: Header=BB30_898 Depth=4
	s_andn2_saveexec_b64 s[38:39], s[24:25]
; %bb.1001:                             ;   in Loop: Header=BB30_898 Depth=4
	v_or_b32_e32 v85, 0x10000, v86
	v_cmp_eq_u32_sdwa s[24:25], v86, v3 src0_sel:WORD_0 src1_sel:DWORD
	s_nop 1
	v_cndmask_b32_e64 v85, v85, v86, s[24:25]
; %bb.1002:                             ;   in Loop: Header=BB30_898 Depth=4
	s_or_b64 exec, exec, s[38:39]
	v_lshlrev_b32_e32 v82, 16, v82
	v_lshlrev_b32_e32 v84, 16, v84
	v_max_f32_e32 v84, v84, v84
	v_max_f32_e32 v82, v82, v82
	v_min_f32_e32 v86, v82, v84
	v_max_f32_e32 v82, v82, v84
	v_cndmask_b32_e32 v84, v82, v86, vcc
	v_and_b32_e32 v82, 0x7f800000, v84
	v_cmp_ne_u32_e64 s[24:25], s43, v82
                                        ; implicit-def: $vgpr82
	s_and_saveexec_b64 s[8:9], s[24:25]
	s_xor_b64 s[24:25], exec, s[8:9]
; %bb.1003:                             ;   in Loop: Header=BB30_898 Depth=4
	v_bfe_u32 v82, v84, 16, 1
	v_add3_u32 v82, v84, v82, s40
                                        ; implicit-def: $vgpr84
; %bb.1004:                             ;   in Loop: Header=BB30_898 Depth=4
	s_andn2_saveexec_b64 s[38:39], s[24:25]
; %bb.1005:                             ;   in Loop: Header=BB30_898 Depth=4
	v_or_b32_e32 v82, 0x10000, v84
	v_cmp_eq_u32_sdwa s[24:25], v84, v3 src0_sel:WORD_0 src1_sel:DWORD
	s_nop 1
	v_cndmask_b32_e64 v82, v82, v84, s[24:25]
; %bb.1006:                             ;   in Loop: Header=BB30_898 Depth=4
	s_or_b64 exec, exec, s[38:39]
	v_lshlrev_b32_e32 v71, 16, v71
	v_lshlrev_b32_e32 v81, 16, v81
	v_max_f32_e32 v81, v81, v81
	v_max_f32_e32 v71, v71, v71
	v_min_f32_e32 v84, v71, v81
	v_max_f32_e32 v71, v71, v81
	v_cndmask_b32_e32 v81, v71, v84, vcc
	v_and_b32_e32 v71, 0x7f800000, v81
	v_cmp_ne_u32_e64 s[24:25], s43, v71
                                        ; implicit-def: $vgpr71
	s_and_saveexec_b64 s[8:9], s[24:25]
	s_xor_b64 s[24:25], exec, s[8:9]
; %bb.1007:                             ;   in Loop: Header=BB30_898 Depth=4
	v_bfe_u32 v71, v81, 16, 1
	v_add3_u32 v71, v81, v71, s40
                                        ; implicit-def: $vgpr81
; %bb.1008:                             ;   in Loop: Header=BB30_898 Depth=4
	s_andn2_saveexec_b64 s[38:39], s[24:25]
; %bb.1009:                             ;   in Loop: Header=BB30_898 Depth=4
	v_or_b32_e32 v71, 0x10000, v81
	v_cmp_eq_u32_sdwa s[24:25], v81, v3 src0_sel:WORD_0 src1_sel:DWORD
	s_nop 1
	v_cndmask_b32_e64 v71, v71, v81, s[24:25]
; %bb.1010:                             ;   in Loop: Header=BB30_898 Depth=4
	s_or_b64 exec, exec, s[38:39]
	v_lshlrev_b32_e32 v68, 16, v68
	v_lshlrev_b32_e32 v70, 16, v70
	v_max_f32_e32 v70, v70, v70
	v_max_f32_e32 v68, v68, v68
	v_min_f32_e32 v81, v68, v70
	v_max_f32_e32 v68, v68, v70
	v_cndmask_b32_e32 v70, v68, v81, vcc
	v_and_b32_e32 v68, 0x7f800000, v70
	v_cmp_ne_u32_e64 s[24:25], s43, v68
                                        ; implicit-def: $vgpr68
	s_and_saveexec_b64 s[8:9], s[24:25]
	s_xor_b64 s[24:25], exec, s[8:9]
; %bb.1011:                             ;   in Loop: Header=BB30_898 Depth=4
	v_bfe_u32 v68, v70, 16, 1
	v_add3_u32 v68, v70, v68, s40
                                        ; implicit-def: $vgpr70
; %bb.1012:                             ;   in Loop: Header=BB30_898 Depth=4
	s_andn2_saveexec_b64 s[38:39], s[24:25]
; %bb.1013:                             ;   in Loop: Header=BB30_898 Depth=4
	v_or_b32_e32 v68, 0x10000, v70
	v_cmp_eq_u32_sdwa s[24:25], v70, v3 src0_sel:WORD_0 src1_sel:DWORD
	s_nop 1
	v_cndmask_b32_e64 v68, v68, v70, s[24:25]
; %bb.1014:                             ;   in Loop: Header=BB30_898 Depth=4
	s_or_b64 exec, exec, s[38:39]
	v_lshlrev_b32_e32 v65, 16, v65
	v_lshlrev_b32_e32 v67, 16, v67
	v_max_f32_e32 v67, v67, v67
	v_max_f32_e32 v65, v65, v65
	v_min_f32_e32 v70, v65, v67
	v_max_f32_e32 v65, v65, v67
	v_cndmask_b32_e32 v67, v65, v70, vcc
	v_and_b32_e32 v65, 0x7f800000, v67
	v_cmp_ne_u32_e64 s[24:25], s43, v65
                                        ; implicit-def: $vgpr65
	s_and_saveexec_b64 s[8:9], s[24:25]
	s_xor_b64 s[24:25], exec, s[8:9]
; %bb.1015:                             ;   in Loop: Header=BB30_898 Depth=4
	v_bfe_u32 v65, v67, 16, 1
	v_add3_u32 v65, v67, v65, s40
                                        ; implicit-def: $vgpr67
; %bb.1016:                             ;   in Loop: Header=BB30_898 Depth=4
	s_andn2_saveexec_b64 s[38:39], s[24:25]
; %bb.1017:                             ;   in Loop: Header=BB30_898 Depth=4
	v_or_b32_e32 v65, 0x10000, v67
	v_cmp_eq_u32_sdwa s[24:25], v67, v3 src0_sel:WORD_0 src1_sel:DWORD
	s_nop 1
	v_cndmask_b32_e64 v65, v65, v67, s[24:25]
; %bb.1018:                             ;   in Loop: Header=BB30_898 Depth=4
	s_or_b64 exec, exec, s[38:39]
	v_lshlrev_b32_e32 v54, 16, v54
	v_lshlrev_b32_e32 v64, 16, v64
	v_max_f32_e32 v64, v64, v64
	v_max_f32_e32 v54, v54, v54
	v_min_f32_e32 v67, v54, v64
	v_max_f32_e32 v54, v54, v64
	v_cndmask_b32_e32 v64, v54, v67, vcc
	v_and_b32_e32 v54, 0x7f800000, v64
	v_cmp_ne_u32_e64 s[24:25], s43, v54
                                        ; implicit-def: $vgpr54
	s_and_saveexec_b64 s[8:9], s[24:25]
	s_xor_b64 s[24:25], exec, s[8:9]
; %bb.1019:                             ;   in Loop: Header=BB30_898 Depth=4
	v_bfe_u32 v54, v64, 16, 1
	v_add3_u32 v54, v64, v54, s40
                                        ; implicit-def: $vgpr64
; %bb.1020:                             ;   in Loop: Header=BB30_898 Depth=4
	s_andn2_saveexec_b64 s[38:39], s[24:25]
; %bb.1021:                             ;   in Loop: Header=BB30_898 Depth=4
	v_or_b32_e32 v54, 0x10000, v64
	v_cmp_eq_u32_sdwa s[24:25], v64, v3 src0_sel:WORD_0 src1_sel:DWORD
	s_nop 1
	v_cndmask_b32_e64 v54, v54, v64, s[24:25]
; %bb.1022:                             ;   in Loop: Header=BB30_898 Depth=4
	s_or_b64 exec, exec, s[38:39]
	v_lshlrev_b32_e32 v52, 16, v52
	v_lshlrev_b32_e32 v53, 16, v53
	v_max_f32_e32 v53, v53, v53
	v_max_f32_e32 v52, v52, v52
	v_min_f32_e32 v64, v52, v53
	v_max_f32_e32 v52, v52, v53
	v_cndmask_b32_e32 v53, v52, v64, vcc
	v_and_b32_e32 v52, 0x7f800000, v53
	v_cmp_ne_u32_e64 s[24:25], s43, v52
                                        ; implicit-def: $vgpr52
	s_and_saveexec_b64 s[8:9], s[24:25]
	s_xor_b64 s[24:25], exec, s[8:9]
; %bb.1023:                             ;   in Loop: Header=BB30_898 Depth=4
	v_bfe_u32 v52, v53, 16, 1
	v_add3_u32 v52, v53, v52, s40
                                        ; implicit-def: $vgpr53
; %bb.1024:                             ;   in Loop: Header=BB30_898 Depth=4
	s_andn2_saveexec_b64 s[38:39], s[24:25]
; %bb.1025:                             ;   in Loop: Header=BB30_898 Depth=4
	v_or_b32_e32 v52, 0x10000, v53
	v_cmp_eq_u32_sdwa s[24:25], v53, v3 src0_sel:WORD_0 src1_sel:DWORD
	s_nop 1
	v_cndmask_b32_e64 v52, v52, v53, s[24:25]
; %bb.1026:                             ;   in Loop: Header=BB30_898 Depth=4
	s_or_b64 exec, exec, s[38:39]
	v_lshlrev_b32_e32 v49, 16, v49
	v_lshlrev_b32_e32 v50, 16, v50
	v_max_f32_e32 v50, v50, v50
	v_max_f32_e32 v49, v49, v49
	v_min_f32_e32 v53, v49, v50
	v_max_f32_e32 v49, v49, v50
	v_cndmask_b32_e32 v50, v49, v53, vcc
	v_and_b32_e32 v49, 0x7f800000, v50
	v_cmp_ne_u32_e64 s[24:25], s43, v49
                                        ; implicit-def: $vgpr49
	s_and_saveexec_b64 s[8:9], s[24:25]
	s_xor_b64 s[24:25], exec, s[8:9]
; %bb.1027:                             ;   in Loop: Header=BB30_898 Depth=4
	v_bfe_u32 v49, v50, 16, 1
	v_add3_u32 v49, v50, v49, s40
                                        ; implicit-def: $vgpr50
; %bb.1028:                             ;   in Loop: Header=BB30_898 Depth=4
	s_andn2_saveexec_b64 s[38:39], s[24:25]
	s_cbranch_execz .LBB30_897
; %bb.1029:                             ;   in Loop: Header=BB30_898 Depth=4
	v_or_b32_e32 v49, 0x10000, v50
	v_cmp_eq_u32_sdwa s[24:25], v50, v3 src0_sel:WORD_0 src1_sel:DWORD
	s_nop 1
	v_cndmask_b32_e64 v49, v49, v50, s[24:25]
	s_branch .LBB30_897
.LBB30_1030:                            ;   in Loop: Header=BB30_303 Depth=3
	s_or_b64 exec, exec, s[30:31]
	v_lshlrev_b32_e32 v84, 16, v101
	scratch_load_dwordx2 v[100:101], off, s33 offset:364 ; 8-byte Folded Reload
	v_lshlrev_b32_e32 v97, 16, v115
	v_lshlrev_b32_e32 v99, 16, v17
	v_lshlrev_b32_e32 v86, 16, v112
	v_lshlrev_b32_e32 v96, 16, v18
	v_lshlrev_b32_e32 v85, 16, v19
	v_lshlrev_b32_e32 v81, 16, v98
	v_lshlrev_b32_e32 v82, 16, v20
	v_lshlrev_b32_e32 v70, 16, v87
	v_lshlrev_b32_e32 v71, 16, v21
	v_lshlrev_b32_e32 v67, 16, v83
	v_lshlrev_b32_e32 v68, 16, v22
	v_lshlrev_b32_e32 v64, 16, v80
	v_lshlrev_b32_e32 v65, 16, v23
	v_lshlrev_b32_e32 v53, 16, v69
	v_lshlrev_b32_e32 v54, 16, v24
	v_lshlrev_b32_e32 v50, 16, v66
	v_lshlrev_b32_e32 v52, 16, v25
	v_lshlrev_b32_e32 v30, 16, v55
	v_lshlrev_b32_e32 v49, 16, v26
	v_lshlrev_b32_e32 v24, 16, v51
	v_lshlrev_b32_e32 v25, 16, v27
	v_lshlrev_b32_e32 v21, 16, v48
	v_lshlrev_b32_e32 v22, 16, v29
	v_lshlrev_b32_e32 v19, 16, v39
	v_lshlrev_b32_e32 v20, 16, v32
	v_lshlrev_b32_e32 v17, 16, v38
	v_lshlrev_b32_e32 v18, 16, v33
	v_lshlrev_b32_e32 v10, 16, v37
	v_lshlrev_b32_e32 v11, 16, v34
	v_lshlrev_b32_e32 v6, 16, v36
	v_lshlrev_b32_e32 v7, 16, v35
	s_and_b64 s[24:25], s[28:29], exec
.LBB30_1031:                            ;   in Loop: Header=BB30_303 Depth=3
	s_or_b64 exec, exec, s[26:27]
	s_and_saveexec_b64 s[26:27], s[24:25]
	s_cbranch_execz .LBB30_1097
; %bb.1032:                             ;   in Loop: Header=BB30_303 Depth=3
	s_and_b32 s8, s64, 0xff
	s_cmp_eq_u32 s8, 0
	v_max_f32_e32 v12, v99, v99
	v_max_f32_e32 v13, v97, v97
	v_min_f32_e32 v23, v13, v12
	v_max_f32_e32 v12, v13, v12
	s_cselect_b64 vcc, -1, 0
	v_cndmask_b32_e32 v13, v12, v23, vcc
	v_and_b32_e32 v12, 0x7f800000, v13
	v_cmp_ne_u32_e64 s[24:25], s43, v12
                                        ; implicit-def: $vgpr12
	s_and_saveexec_b64 s[8:9], s[24:25]
	s_xor_b64 s[24:25], exec, s[8:9]
; %bb.1033:                             ;   in Loop: Header=BB30_303 Depth=3
	v_bfe_u32 v12, v13, 16, 1
	v_add3_u32 v12, v13, v12, s40
                                        ; implicit-def: $vgpr13
; %bb.1034:                             ;   in Loop: Header=BB30_303 Depth=3
	s_andn2_saveexec_b64 s[28:29], s[24:25]
; %bb.1035:                             ;   in Loop: Header=BB30_303 Depth=3
	v_or_b32_e32 v12, 0x10000, v13
	v_cmp_eq_u32_sdwa s[24:25], v13, v3 src0_sel:WORD_0 src1_sel:DWORD
	s_nop 1
	v_cndmask_b32_e64 v12, v12, v13, s[24:25]
; %bb.1036:                             ;   in Loop: Header=BB30_303 Depth=3
	s_or_b64 exec, exec, s[28:29]
	v_max_f32_e32 v13, v96, v96
	v_max_f32_e32 v23, v86, v86
	v_min_f32_e32 v26, v23, v13
	v_max_f32_e32 v13, v23, v13
	v_cndmask_b32_e32 v23, v13, v26, vcc
	v_and_b32_e32 v13, 0x7f800000, v23
	v_cmp_ne_u32_e64 s[24:25], s43, v13
                                        ; implicit-def: $vgpr13
	s_and_saveexec_b64 s[8:9], s[24:25]
	s_xor_b64 s[24:25], exec, s[8:9]
; %bb.1037:                             ;   in Loop: Header=BB30_303 Depth=3
	v_bfe_u32 v13, v23, 16, 1
	v_add3_u32 v13, v23, v13, s40
                                        ; implicit-def: $vgpr23
; %bb.1038:                             ;   in Loop: Header=BB30_303 Depth=3
	s_andn2_saveexec_b64 s[28:29], s[24:25]
; %bb.1039:                             ;   in Loop: Header=BB30_303 Depth=3
	v_or_b32_e32 v13, 0x10000, v23
	v_cmp_eq_u32_sdwa s[24:25], v23, v3 src0_sel:WORD_0 src1_sel:DWORD
	s_nop 1
	v_cndmask_b32_e64 v13, v13, v23, s[24:25]
; %bb.1040:                             ;   in Loop: Header=BB30_303 Depth=3
	s_or_b64 exec, exec, s[28:29]
	v_max_f32_e32 v23, v85, v85
	v_max_f32_e32 v26, v84, v84
	v_min_f32_e32 v27, v26, v23
	v_max_f32_e32 v23, v26, v23
	v_cndmask_b32_e32 v26, v23, v27, vcc
	v_and_b32_e32 v23, 0x7f800000, v26
	v_cmp_ne_u32_e64 s[24:25], s43, v23
                                        ; implicit-def: $vgpr23
	s_and_saveexec_b64 s[8:9], s[24:25]
	s_xor_b64 s[24:25], exec, s[8:9]
; %bb.1041:                             ;   in Loop: Header=BB30_303 Depth=3
	v_bfe_u32 v23, v26, 16, 1
	v_add3_u32 v23, v26, v23, s40
                                        ; implicit-def: $vgpr26
; %bb.1042:                             ;   in Loop: Header=BB30_303 Depth=3
	s_andn2_saveexec_b64 s[28:29], s[24:25]
; %bb.1043:                             ;   in Loop: Header=BB30_303 Depth=3
	v_or_b32_e32 v23, 0x10000, v26
	v_cmp_eq_u32_sdwa s[24:25], v26, v3 src0_sel:WORD_0 src1_sel:DWORD
	s_nop 1
	v_cndmask_b32_e64 v23, v23, v26, s[24:25]
; %bb.1044:                             ;   in Loop: Header=BB30_303 Depth=3
	s_or_b64 exec, exec, s[28:29]
	v_max_f32_e32 v26, v82, v82
	v_max_f32_e32 v27, v81, v81
	v_min_f32_e32 v29, v27, v26
	v_max_f32_e32 v26, v27, v26
	v_cndmask_b32_e32 v27, v26, v29, vcc
	v_and_b32_e32 v26, 0x7f800000, v27
	v_cmp_ne_u32_e64 s[24:25], s43, v26
                                        ; implicit-def: $vgpr26
	s_and_saveexec_b64 s[8:9], s[24:25]
	s_xor_b64 s[24:25], exec, s[8:9]
; %bb.1045:                             ;   in Loop: Header=BB30_303 Depth=3
	v_bfe_u32 v26, v27, 16, 1
	v_add3_u32 v26, v27, v26, s40
                                        ; implicit-def: $vgpr27
; %bb.1046:                             ;   in Loop: Header=BB30_303 Depth=3
	s_andn2_saveexec_b64 s[28:29], s[24:25]
; %bb.1047:                             ;   in Loop: Header=BB30_303 Depth=3
	v_or_b32_e32 v26, 0x10000, v27
	v_cmp_eq_u32_sdwa s[24:25], v27, v3 src0_sel:WORD_0 src1_sel:DWORD
	s_nop 1
	v_cndmask_b32_e64 v26, v26, v27, s[24:25]
; %bb.1048:                             ;   in Loop: Header=BB30_303 Depth=3
	s_or_b64 exec, exec, s[28:29]
	v_max_f32_e32 v27, v71, v71
	v_max_f32_e32 v29, v70, v70
	v_min_f32_e32 v32, v29, v27
	v_max_f32_e32 v27, v29, v27
	v_cndmask_b32_e32 v29, v27, v32, vcc
	v_and_b32_e32 v27, 0x7f800000, v29
	v_cmp_ne_u32_e64 s[24:25], s43, v27
                                        ; implicit-def: $vgpr27
	s_and_saveexec_b64 s[8:9], s[24:25]
	s_xor_b64 s[24:25], exec, s[8:9]
; %bb.1049:                             ;   in Loop: Header=BB30_303 Depth=3
	v_bfe_u32 v27, v29, 16, 1
	v_add3_u32 v27, v29, v27, s40
                                        ; implicit-def: $vgpr29
; %bb.1050:                             ;   in Loop: Header=BB30_303 Depth=3
	s_andn2_saveexec_b64 s[28:29], s[24:25]
; %bb.1051:                             ;   in Loop: Header=BB30_303 Depth=3
	v_or_b32_e32 v27, 0x10000, v29
	v_cmp_eq_u32_sdwa s[24:25], v29, v3 src0_sel:WORD_0 src1_sel:DWORD
	s_nop 1
	v_cndmask_b32_e64 v27, v27, v29, s[24:25]
; %bb.1052:                             ;   in Loop: Header=BB30_303 Depth=3
	s_or_b64 exec, exec, s[28:29]
	v_max_f32_e32 v29, v68, v68
	v_max_f32_e32 v32, v67, v67
	v_min_f32_e32 v33, v32, v29
	v_max_f32_e32 v29, v32, v29
	v_cndmask_b32_e32 v32, v29, v33, vcc
	v_and_b32_e32 v29, 0x7f800000, v32
	v_cmp_ne_u32_e64 s[24:25], s43, v29
                                        ; implicit-def: $vgpr29
	s_and_saveexec_b64 s[8:9], s[24:25]
	s_xor_b64 s[24:25], exec, s[8:9]
; %bb.1053:                             ;   in Loop: Header=BB30_303 Depth=3
	v_bfe_u32 v29, v32, 16, 1
	v_add3_u32 v29, v32, v29, s40
                                        ; implicit-def: $vgpr32
; %bb.1054:                             ;   in Loop: Header=BB30_303 Depth=3
	s_andn2_saveexec_b64 s[28:29], s[24:25]
; %bb.1055:                             ;   in Loop: Header=BB30_303 Depth=3
	v_or_b32_e32 v29, 0x10000, v32
	v_cmp_eq_u32_sdwa s[24:25], v32, v3 src0_sel:WORD_0 src1_sel:DWORD
	s_nop 1
	v_cndmask_b32_e64 v29, v29, v32, s[24:25]
; %bb.1056:                             ;   in Loop: Header=BB30_303 Depth=3
	s_or_b64 exec, exec, s[28:29]
	v_max_f32_e32 v32, v65, v65
	v_max_f32_e32 v33, v64, v64
	v_min_f32_e32 v34, v33, v32
	v_max_f32_e32 v32, v33, v32
	v_cndmask_b32_e32 v33, v32, v34, vcc
	v_and_b32_e32 v32, 0x7f800000, v33
	v_cmp_ne_u32_e64 s[24:25], s43, v32
                                        ; implicit-def: $vgpr32
	s_and_saveexec_b64 s[8:9], s[24:25]
	s_xor_b64 s[24:25], exec, s[8:9]
; %bb.1057:                             ;   in Loop: Header=BB30_303 Depth=3
	v_bfe_u32 v32, v33, 16, 1
	v_add3_u32 v32, v33, v32, s40
                                        ; implicit-def: $vgpr33
; %bb.1058:                             ;   in Loop: Header=BB30_303 Depth=3
	s_andn2_saveexec_b64 s[28:29], s[24:25]
; %bb.1059:                             ;   in Loop: Header=BB30_303 Depth=3
	v_or_b32_e32 v32, 0x10000, v33
	v_cmp_eq_u32_sdwa s[24:25], v33, v3 src0_sel:WORD_0 src1_sel:DWORD
	s_nop 1
	v_cndmask_b32_e64 v32, v32, v33, s[24:25]
; %bb.1060:                             ;   in Loop: Header=BB30_303 Depth=3
	s_or_b64 exec, exec, s[28:29]
	v_max_f32_e32 v33, v54, v54
	v_max_f32_e32 v34, v53, v53
	v_min_f32_e32 v35, v34, v33
	v_max_f32_e32 v33, v34, v33
	v_cndmask_b32_e32 v34, v33, v35, vcc
	v_and_b32_e32 v33, 0x7f800000, v34
	v_cmp_ne_u32_e64 s[24:25], s43, v33
                                        ; implicit-def: $vgpr33
	s_and_saveexec_b64 s[8:9], s[24:25]
	s_xor_b64 s[24:25], exec, s[8:9]
; %bb.1061:                             ;   in Loop: Header=BB30_303 Depth=3
	v_bfe_u32 v33, v34, 16, 1
	v_add3_u32 v33, v34, v33, s40
                                        ; implicit-def: $vgpr34
; %bb.1062:                             ;   in Loop: Header=BB30_303 Depth=3
	s_andn2_saveexec_b64 s[28:29], s[24:25]
; %bb.1063:                             ;   in Loop: Header=BB30_303 Depth=3
	v_or_b32_e32 v33, 0x10000, v34
	v_cmp_eq_u32_sdwa s[24:25], v34, v3 src0_sel:WORD_0 src1_sel:DWORD
	s_nop 1
	v_cndmask_b32_e64 v33, v33, v34, s[24:25]
; %bb.1064:                             ;   in Loop: Header=BB30_303 Depth=3
	s_or_b64 exec, exec, s[28:29]
	v_max_f32_e32 v34, v52, v52
	v_max_f32_e32 v35, v50, v50
	v_min_f32_e32 v36, v35, v34
	v_max_f32_e32 v34, v35, v34
	v_cndmask_b32_e32 v35, v34, v36, vcc
	v_and_b32_e32 v34, 0x7f800000, v35
	v_cmp_ne_u32_e64 s[24:25], s43, v34
                                        ; implicit-def: $vgpr34
	s_and_saveexec_b64 s[8:9], s[24:25]
	s_xor_b64 s[24:25], exec, s[8:9]
; %bb.1065:                             ;   in Loop: Header=BB30_303 Depth=3
	v_bfe_u32 v34, v35, 16, 1
	v_add3_u32 v34, v35, v34, s40
                                        ; implicit-def: $vgpr35
; %bb.1066:                             ;   in Loop: Header=BB30_303 Depth=3
	s_andn2_saveexec_b64 s[28:29], s[24:25]
; %bb.1067:                             ;   in Loop: Header=BB30_303 Depth=3
	v_or_b32_e32 v34, 0x10000, v35
	v_cmp_eq_u32_sdwa s[24:25], v35, v3 src0_sel:WORD_0 src1_sel:DWORD
	s_nop 1
	v_cndmask_b32_e64 v34, v34, v35, s[24:25]
; %bb.1068:                             ;   in Loop: Header=BB30_303 Depth=3
	s_or_b64 exec, exec, s[28:29]
	v_max_f32_e32 v35, v49, v49
	v_max_f32_e32 v30, v30, v30
	v_min_f32_e32 v36, v30, v35
	v_max_f32_e32 v30, v30, v35
	v_cndmask_b32_e32 v35, v30, v36, vcc
	v_and_b32_e32 v30, 0x7f800000, v35
	v_cmp_ne_u32_e64 s[24:25], s43, v30
                                        ; implicit-def: $vgpr30
	s_and_saveexec_b64 s[8:9], s[24:25]
	s_xor_b64 s[24:25], exec, s[8:9]
; %bb.1069:                             ;   in Loop: Header=BB30_303 Depth=3
	v_bfe_u32 v30, v35, 16, 1
	v_add3_u32 v30, v35, v30, s40
                                        ; implicit-def: $vgpr35
; %bb.1070:                             ;   in Loop: Header=BB30_303 Depth=3
	s_andn2_saveexec_b64 s[28:29], s[24:25]
; %bb.1071:                             ;   in Loop: Header=BB30_303 Depth=3
	v_or_b32_e32 v30, 0x10000, v35
	v_cmp_eq_u32_sdwa s[24:25], v35, v3 src0_sel:WORD_0 src1_sel:DWORD
	s_nop 1
	v_cndmask_b32_e64 v30, v30, v35, s[24:25]
; %bb.1072:                             ;   in Loop: Header=BB30_303 Depth=3
	s_or_b64 exec, exec, s[28:29]
	v_max_f32_e32 v25, v25, v25
	v_max_f32_e32 v24, v24, v24
	v_min_f32_e32 v35, v24, v25
	v_max_f32_e32 v24, v24, v25
	v_cndmask_b32_e32 v25, v24, v35, vcc
	v_and_b32_e32 v24, 0x7f800000, v25
	v_cmp_ne_u32_e64 s[24:25], s43, v24
                                        ; implicit-def: $vgpr24
	s_and_saveexec_b64 s[8:9], s[24:25]
	s_xor_b64 s[24:25], exec, s[8:9]
; %bb.1073:                             ;   in Loop: Header=BB30_303 Depth=3
	v_bfe_u32 v24, v25, 16, 1
	v_add3_u32 v24, v25, v24, s40
                                        ; implicit-def: $vgpr25
; %bb.1074:                             ;   in Loop: Header=BB30_303 Depth=3
	s_andn2_saveexec_b64 s[28:29], s[24:25]
; %bb.1075:                             ;   in Loop: Header=BB30_303 Depth=3
	v_or_b32_e32 v24, 0x10000, v25
	v_cmp_eq_u32_sdwa s[24:25], v25, v3 src0_sel:WORD_0 src1_sel:DWORD
	s_nop 1
	v_cndmask_b32_e64 v24, v24, v25, s[24:25]
; %bb.1076:                             ;   in Loop: Header=BB30_303 Depth=3
	s_or_b64 exec, exec, s[28:29]
	v_max_f32_e32 v22, v22, v22
	v_max_f32_e32 v21, v21, v21
	v_min_f32_e32 v25, v21, v22
	v_max_f32_e32 v21, v21, v22
	v_cndmask_b32_e32 v22, v21, v25, vcc
	v_and_b32_e32 v21, 0x7f800000, v22
	v_cmp_ne_u32_e64 s[24:25], s43, v21
                                        ; implicit-def: $vgpr21
	s_and_saveexec_b64 s[8:9], s[24:25]
	s_xor_b64 s[24:25], exec, s[8:9]
; %bb.1077:                             ;   in Loop: Header=BB30_303 Depth=3
	v_bfe_u32 v21, v22, 16, 1
	v_add3_u32 v21, v22, v21, s40
                                        ; implicit-def: $vgpr22
; %bb.1078:                             ;   in Loop: Header=BB30_303 Depth=3
	s_andn2_saveexec_b64 s[28:29], s[24:25]
; %bb.1079:                             ;   in Loop: Header=BB30_303 Depth=3
	v_or_b32_e32 v21, 0x10000, v22
	v_cmp_eq_u32_sdwa s[24:25], v22, v3 src0_sel:WORD_0 src1_sel:DWORD
	s_nop 1
	v_cndmask_b32_e64 v21, v21, v22, s[24:25]
; %bb.1080:                             ;   in Loop: Header=BB30_303 Depth=3
	s_or_b64 exec, exec, s[28:29]
	v_max_f32_e32 v20, v20, v20
	v_max_f32_e32 v19, v19, v19
	v_min_f32_e32 v22, v19, v20
	v_max_f32_e32 v19, v19, v20
	v_cndmask_b32_e32 v20, v19, v22, vcc
	v_and_b32_e32 v19, 0x7f800000, v20
	v_cmp_ne_u32_e64 s[24:25], s43, v19
                                        ; implicit-def: $vgpr19
	s_and_saveexec_b64 s[8:9], s[24:25]
	s_xor_b64 s[24:25], exec, s[8:9]
; %bb.1081:                             ;   in Loop: Header=BB30_303 Depth=3
	v_bfe_u32 v19, v20, 16, 1
	v_add3_u32 v19, v20, v19, s40
                                        ; implicit-def: $vgpr20
; %bb.1082:                             ;   in Loop: Header=BB30_303 Depth=3
	s_andn2_saveexec_b64 s[28:29], s[24:25]
; %bb.1083:                             ;   in Loop: Header=BB30_303 Depth=3
	v_or_b32_e32 v19, 0x10000, v20
	v_cmp_eq_u32_sdwa s[24:25], v20, v3 src0_sel:WORD_0 src1_sel:DWORD
	s_nop 1
	v_cndmask_b32_e64 v19, v19, v20, s[24:25]
; %bb.1084:                             ;   in Loop: Header=BB30_303 Depth=3
	s_or_b64 exec, exec, s[28:29]
	v_max_f32_e32 v18, v18, v18
	v_max_f32_e32 v17, v17, v17
	v_min_f32_e32 v20, v17, v18
	v_max_f32_e32 v17, v17, v18
	v_cndmask_b32_e32 v18, v17, v20, vcc
	v_and_b32_e32 v17, 0x7f800000, v18
	v_cmp_ne_u32_e64 s[24:25], s43, v17
                                        ; implicit-def: $vgpr17
	s_and_saveexec_b64 s[8:9], s[24:25]
	s_xor_b64 s[24:25], exec, s[8:9]
; %bb.1085:                             ;   in Loop: Header=BB30_303 Depth=3
	v_bfe_u32 v17, v18, 16, 1
	v_add3_u32 v17, v18, v17, s40
                                        ; implicit-def: $vgpr18
; %bb.1086:                             ;   in Loop: Header=BB30_303 Depth=3
	s_andn2_saveexec_b64 s[28:29], s[24:25]
; %bb.1087:                             ;   in Loop: Header=BB30_303 Depth=3
	v_or_b32_e32 v17, 0x10000, v18
	v_cmp_eq_u32_sdwa s[24:25], v18, v3 src0_sel:WORD_0 src1_sel:DWORD
	s_nop 1
	v_cndmask_b32_e64 v17, v17, v18, s[24:25]
; %bb.1088:                             ;   in Loop: Header=BB30_303 Depth=3
	s_or_b64 exec, exec, s[28:29]
	v_max_f32_e32 v11, v11, v11
	v_max_f32_e32 v10, v10, v10
	v_min_f32_e32 v18, v10, v11
	v_max_f32_e32 v10, v10, v11
	v_cndmask_b32_e32 v11, v10, v18, vcc
	v_and_b32_e32 v10, 0x7f800000, v11
	v_cmp_ne_u32_e64 s[24:25], s43, v10
                                        ; implicit-def: $vgpr10
	s_and_saveexec_b64 s[8:9], s[24:25]
	s_xor_b64 s[24:25], exec, s[8:9]
; %bb.1089:                             ;   in Loop: Header=BB30_303 Depth=3
	v_bfe_u32 v10, v11, 16, 1
	v_add3_u32 v10, v11, v10, s40
                                        ; implicit-def: $vgpr11
; %bb.1090:                             ;   in Loop: Header=BB30_303 Depth=3
	s_andn2_saveexec_b64 s[28:29], s[24:25]
; %bb.1091:                             ;   in Loop: Header=BB30_303 Depth=3
	v_or_b32_e32 v10, 0x10000, v11
	v_cmp_eq_u32_sdwa s[24:25], v11, v3 src0_sel:WORD_0 src1_sel:DWORD
	s_nop 1
	v_cndmask_b32_e64 v10, v10, v11, s[24:25]
; %bb.1092:                             ;   in Loop: Header=BB30_303 Depth=3
	s_or_b64 exec, exec, s[28:29]
	v_max_f32_e32 v7, v7, v7
	v_max_f32_e32 v6, v6, v6
	v_min_f32_e32 v11, v6, v7
	v_max_f32_e32 v6, v6, v7
	v_cndmask_b32_e32 v7, v6, v11, vcc
	v_and_b32_e32 v6, 0x7f800000, v7
	v_cmp_ne_u32_e32 vcc, s43, v6
                                        ; implicit-def: $vgpr6
	s_and_saveexec_b64 s[8:9], vcc
	s_xor_b64 s[24:25], exec, s[8:9]
; %bb.1093:                             ;   in Loop: Header=BB30_303 Depth=3
	v_bfe_u32 v6, v7, 16, 1
	v_add3_u32 v6, v7, v6, s40
                                        ; implicit-def: $vgpr7
; %bb.1094:                             ;   in Loop: Header=BB30_303 Depth=3
	s_andn2_saveexec_b64 s[24:25], s[24:25]
; %bb.1095:                             ;   in Loop: Header=BB30_303 Depth=3
	v_or_b32_e32 v6, 0x10000, v7
	v_cmp_eq_u32_sdwa vcc, v7, v3 src0_sel:WORD_0 src1_sel:DWORD
	s_nop 1
	v_cndmask_b32_e32 v6, v6, v7, vcc
; %bb.1096:                             ;   in Loop: Header=BB30_303 Depth=3
	s_or_b64 exec, exec, s[24:25]
	flat_store_short_d16_hi v[8:9], v12 nt
	flat_store_short_d16_hi v[8:9], v13 offset:128 nt
	flat_store_short_d16_hi v[8:9], v23 offset:256 nt
	;; [unrolled: 1-line block ×15, first 2 shown]
.LBB30_1097:                            ;   in Loop: Header=BB30_303 Depth=3
	s_or_b64 exec, exec, s[26:27]
	v_lshlrev_b32_e32 v6, 11, v15
	v_cmp_ne_u32_e32 vcc, v2, v6
	s_and_b64 exec, exec, vcc
	s_cbranch_execz .LBB30_1122
; %bb.1098:                             ;   in Loop: Header=BB30_303 Depth=3
	v_lshlrev_b32_e32 v7, 6, v16
	v_sub_u32_e32 v7, v14, v7
	v_ashrrev_i32_e32 v8, 31, v7
	v_lshrrev_b32_e32 v8, 26, v8
	v_add_u32_e32 v8, v7, v8
	v_and_b32_e32 v9, 0x7fffffc0, v8
	v_sub_u32_e32 v7, v7, v9
	v_lshlrev_b32_e32 v8, 1, v8
	v_and_b32_e32 v8, 0xffffff80, v8
	v_lshlrev_b32_e32 v7, 1, v7
	v_add3_u32 v6, v8, v7, v6
	v_sub_u32_e32 v2, v2, v6
	v_cmp_lt_i32_e32 vcc, 1, v2
	s_and_b64 exec, exec, vcc
	s_cbranch_execz .LBB30_1122
; %bb.1099:                             ;   in Loop: Header=BB30_303 Depth=3
	s_trap 2
	ds_read_b64 v[10:11], v0
	v_add_u32_e32 v6, v6, v5
	s_and_b32 s8, s64, 0xff
	v_ashrrev_i32_e32 v7, 31, v6
	s_cmp_eq_u32 s8, 0
	v_lshl_add_u64 v[8:9], v[120:121], 0, v[6:7]
	v_lshl_add_u64 v[12:13], v[6:7], 0, v[72:73]
	s_waitcnt lgkmcnt(0)
	v_lshl_add_u64 v[10:11], v[10:11], 0, v[6:7]
	s_mov_b64 s[38:39], 0
	s_mov_b64 s[30:31], 0
	s_cselect_b64 s[24:25], -1, 0
                                        ; implicit-def: $sgpr36_sgpr37
	s_branch .LBB30_1101
.LBB30_1100:                            ;   in Loop: Header=BB30_1101 Depth=4
	s_or_b64 exec, exec, s[26:27]
	v_lshrrev_b32_e32 v5, 16, v6
	scratch_store_short off, v5, s33 offset:192
	flat_store_short v[8:9], v5 nt
	scratch_load_dwordx2 v[16:17], off, s33 offset:256 ; 8-byte Folded Reload
	v_mov_b32_e32 v5, 0x80
	v_lshl_add_u64 v[6:7], v[12:13], 0, v[92:93]
	v_lshl_add_u64 v[14:15], v[10:11], 0, v[92:93]
	v_cndmask_b32_e64 v11, v11, v15, s[38:39]
	v_cndmask_b32_e64 v10, v10, v14, s[38:39]
	;; [unrolled: 1-line block ×4, first 2 shown]
	s_waitcnt vmcnt(0)
	v_cndmask_b32_e64 v16, v5, v16, s[38:39]
	v_cndmask_b32_e64 v5, 0, v31, s[38:39]
	v_sub_u32_e32 v2, v2, v5
	v_cmp_gt_i32_e32 vcc, 2, v2
	s_or_b64 s[30:31], vcc, s[30:31]
	v_cndmask_b32_e64 v17, 0, v17, s[38:39]
	s_andn2_b64 s[8:9], s[36:37], exec
	s_and_b64 s[26:27], s[38:39], exec
	v_lshl_add_u64 v[8:9], v[8:9], 0, v[16:17]
	s_or_b64 s[36:37], s[8:9], s[26:27]
	s_andn2_b64 exec, exec, s[30:31]
	s_cbranch_execz .LBB30_1116
.LBB30_1101:                            ;   Parent Loop BB30_47 Depth=1
                                        ;     Parent Loop BB30_300 Depth=2
                                        ;       Parent Loop BB30_303 Depth=3
                                        ; =>      This Loop Header: Depth=4
                                        ;           Child Loop BB30_1102 Depth 5
                                        ;           Child Loop BB30_1111 Depth 5
	s_add_i32 s9, s33, 0xc0
	s_mov_b32 s8, s9
	s_mov_b64 s[48:49], -1
	s_mov_b64 s[50:51], 0
.LBB30_1102:                            ;   Parent Loop BB30_47 Depth=1
                                        ;     Parent Loop BB30_300 Depth=2
                                        ;       Parent Loop BB30_303 Depth=3
                                        ;         Parent Loop BB30_1101 Depth=4
                                        ; =>        This Inner Loop Header: Depth=5
	s_cmp_eq_u32 s50, 1
	s_cselect_b64 vcc, -1, 0
	v_cndmask_b32_e32 v7, v13, v11, vcc
	v_cndmask_b32_e32 v6, v12, v10, vcc
	flat_load_ushort v5, v[6:7] nt
	s_cmp_eq_u32 s50, 0
	s_cselect_b64 s[26:27], -1, 0
	s_and_b64 s[28:29], exec, s[48:49]
	v_lshl_add_u64 v[6:7], v[6:7], 0, s[60:61]
	s_add_i32 s9, s33, 0xe0
	s_mov_b64 s[50:51], 1
	s_mov_b64 s[48:49], 0
	v_cndmask_b32_e32 v11, v11, v7, vcc
	v_cndmask_b32_e32 v10, v10, v6, vcc
	v_cndmask_b32_e64 v13, v13, v7, s[26:27]
	v_cndmask_b32_e64 v12, v12, v6, s[26:27]
	s_mov_b64 vcc, s[28:29]
	s_waitcnt vmcnt(0) lgkmcnt(0)
	scratch_store_short off, v5, s8
	s_mov_b32 s8, s9
	s_cbranch_vccnz .LBB30_1102
; %bb.1103:                             ;   in Loop: Header=BB30_1101 Depth=4
	s_and_saveexec_b64 s[26:27], s[38:39]
	s_cbranch_execz .LBB30_1109
; %bb.1104:                             ;   in Loop: Header=BB30_1101 Depth=4
	scratch_load_ushort v5, off, s33 offset:184
	scratch_load_ushort v6, off, s33 offset:186
	s_waitcnt vmcnt(1)
	v_lshlrev_b32_e32 v5, 16, v5
	s_waitcnt vmcnt(0)
	v_lshlrev_b32_e32 v6, 16, v6
	v_max_f32_e32 v6, v6, v6
	v_max_f32_e32 v5, v5, v5
	v_min_f32_e32 v7, v5, v6
	v_max_f32_e32 v5, v5, v6
	v_cndmask_b32_e64 v5, v5, v7, s[24:25]
	v_and_b32_e32 v6, 0x7f800000, v5
	v_cmp_ne_u32_e32 vcc, s43, v6
                                        ; implicit-def: $vgpr6
	s_and_saveexec_b64 s[8:9], vcc
	s_xor_b64 s[28:29], exec, s[8:9]
; %bb.1105:                             ;   in Loop: Header=BB30_1101 Depth=4
	v_bfe_u32 v6, v5, 16, 1
	v_add3_u32 v6, v5, v6, s40
                                        ; implicit-def: $vgpr5
; %bb.1106:                             ;   in Loop: Header=BB30_1101 Depth=4
	s_andn2_saveexec_b64 s[28:29], s[28:29]
; %bb.1107:                             ;   in Loop: Header=BB30_1101 Depth=4
	v_or_b32_e32 v6, 0x10000, v5
	v_cmp_eq_u32_sdwa vcc, v5, v3 src0_sel:WORD_0 src1_sel:DWORD
	s_nop 1
	v_cndmask_b32_e32 v6, v6, v5, vcc
; %bb.1108:                             ;   in Loop: Header=BB30_1101 Depth=4
	s_or_b64 exec, exec, s[28:29]
	v_lshrrev_b32_e32 v5, 16, v6
	scratch_store_short off, v5, s33 offset:184
	flat_store_short v[8:9], v5 nt
	scratch_load_dwordx2 v[6:7], off, s33 offset:256 ; 8-byte Folded Reload
	s_waitcnt vmcnt(0)
	v_lshl_add_u64 v[8:9], v[8:9], 0, v[6:7]
.LBB30_1109:                            ;   in Loop: Header=BB30_1101 Depth=4
	s_or_b64 exec, exec, s[26:27]
	v_sub_u32_e32 v2, v2, v31
	v_lshl_add_u64 v[12:13], v[12:13], 0, v[92:93]
	v_lshl_add_u64 v[10:11], v[10:11], 0, v[92:93]
	v_cmp_lt_i32_e64 s[38:39], 1, v2
	s_and_saveexec_b64 s[48:49], s[38:39]
	s_cbranch_execz .LBB30_1112
; %bb.1110:                             ;   in Loop: Header=BB30_1101 Depth=4
	s_add_i32 s9, s33, 0xb8
	s_mov_b32 s8, s9
	s_mov_b64 s[52:53], 0
	s_mov_b64 s[50:51], -1
.LBB30_1111:                            ;   Parent Loop BB30_47 Depth=1
                                        ;     Parent Loop BB30_300 Depth=2
                                        ;       Parent Loop BB30_303 Depth=3
                                        ;         Parent Loop BB30_1101 Depth=4
                                        ; =>        This Inner Loop Header: Depth=5
	s_cmp_eq_u32 s52, 1
	s_cselect_b64 vcc, -1, 0
	v_cndmask_b32_e32 v7, v13, v11, vcc
	v_cndmask_b32_e32 v6, v12, v10, vcc
	flat_load_ushort v5, v[6:7] nt
	s_cmp_eq_u32 s52, 0
	s_cselect_b64 s[26:27], -1, 0
	s_and_b64 s[28:29], exec, s[50:51]
	v_lshl_add_u64 v[6:7], v[6:7], 0, s[60:61]
	s_add_i32 s9, s33, 0xba
	s_mov_b64 s[52:53], 1
	s_mov_b64 s[50:51], 0
	v_cndmask_b32_e64 v13, v13, v7, s[26:27]
	v_cndmask_b32_e64 v12, v12, v6, s[26:27]
	v_cndmask_b32_e32 v11, v11, v7, vcc
	v_cndmask_b32_e32 v10, v10, v6, vcc
	s_mov_b64 vcc, s[28:29]
	s_waitcnt vmcnt(0) lgkmcnt(0)
	scratch_store_short off, v5, s8
	s_mov_b32 s8, s9
	s_cbranch_vccnz .LBB30_1111
.LBB30_1112:                            ;   in Loop: Header=BB30_1101 Depth=4
	s_or_b64 exec, exec, s[48:49]
	scratch_load_ushort v5, off, s33 offset:192
	scratch_load_ushort v6, off, s33 offset:224
	s_waitcnt vmcnt(0)
	v_lshlrev_b32_e32 v5, 16, v5
	v_lshlrev_b32_e32 v6, 16, v6
	v_max_f32_e32 v6, v6, v6
	v_max_f32_e32 v5, v5, v5
	v_min_f32_e32 v7, v5, v6
	v_max_f32_e32 v5, v5, v6
	v_cndmask_b32_e64 v5, v5, v7, s[24:25]
	v_and_b32_e32 v6, 0x7f800000, v5
	v_cmp_ne_u32_e32 vcc, s43, v6
                                        ; implicit-def: $vgpr6
	s_and_saveexec_b64 s[8:9], vcc
	s_xor_b64 s[26:27], exec, s[8:9]
; %bb.1113:                             ;   in Loop: Header=BB30_1101 Depth=4
	v_bfe_u32 v6, v5, 16, 1
	v_add3_u32 v6, v5, v6, s40
                                        ; implicit-def: $vgpr5
; %bb.1114:                             ;   in Loop: Header=BB30_1101 Depth=4
	s_andn2_saveexec_b64 s[26:27], s[26:27]
	s_cbranch_execz .LBB30_1100
; %bb.1115:                             ;   in Loop: Header=BB30_1101 Depth=4
	v_or_b32_e32 v6, 0x10000, v5
	v_cmp_eq_u32_sdwa vcc, v5, v3 src0_sel:WORD_0 src1_sel:DWORD
	s_nop 1
	v_cndmask_b32_e32 v6, v6, v5, vcc
	s_branch .LBB30_1100
.LBB30_1116:                            ;   in Loop: Header=BB30_303 Depth=3
	s_or_b64 exec, exec, s[30:31]
	s_and_b64 exec, exec, s[36:37]
	s_cbranch_execz .LBB30_1122
; %bb.1117:                             ;   in Loop: Header=BB30_303 Depth=3
	scratch_load_ushort v2, off, s33 offset:184
	scratch_load_ushort v5, off, s33 offset:186
	s_waitcnt vmcnt(0)
	v_lshlrev_b32_e32 v2, 16, v2
	v_lshlrev_b32_e32 v5, 16, v5
	v_max_f32_e32 v5, v5, v5
	v_max_f32_e32 v2, v2, v2
	v_min_f32_e32 v6, v2, v5
	v_max_f32_e32 v2, v2, v5
	v_cndmask_b32_e64 v2, v2, v6, s[24:25]
	v_and_b32_e32 v5, 0x7f800000, v2
	v_cmp_ne_u32_e32 vcc, s43, v5
                                        ; implicit-def: $vgpr5
	s_and_saveexec_b64 s[8:9], vcc
	s_xor_b64 s[24:25], exec, s[8:9]
; %bb.1118:                             ;   in Loop: Header=BB30_303 Depth=3
	v_bfe_u32 v5, v2, 16, 1
	v_add3_u32 v5, v2, v5, s40
                                        ; implicit-def: $vgpr2
; %bb.1119:                             ;   in Loop: Header=BB30_303 Depth=3
	s_andn2_saveexec_b64 s[24:25], s[24:25]
; %bb.1120:                             ;   in Loop: Header=BB30_303 Depth=3
	v_or_b32_e32 v5, 0x10000, v2
	v_cmp_eq_u32_sdwa vcc, v2, v3 src0_sel:WORD_0 src1_sel:DWORD
	s_nop 1
	v_cndmask_b32_e32 v5, v5, v2, vcc
; %bb.1121:                             ;   in Loop: Header=BB30_303 Depth=3
	s_or_b64 exec, exec, s[24:25]
	flat_store_short_d16_hi v[8:9], v5 nt
.LBB30_1122:                            ;   in Loop: Header=BB30_303 Depth=3
	s_or_b64 exec, exec, s[34:35]
	v_cmp_lt_i32_e64 s[24:25], 0, v1
	s_and_saveexec_b64 s[26:27], s[4:5]
	s_cbranch_execz .LBB30_378
.LBB30_1123:                            ;   in Loop: Header=BB30_303 Depth=3
	s_and_saveexec_b64 s[8:9], s[44:45]
	s_xor_b64 s[28:29], exec, s[8:9]
	s_cbranch_execz .LBB30_1138
; %bb.1124:                             ;   in Loop: Header=BB30_303 Depth=3
	s_and_saveexec_b64 s[30:31], s[12:13]
	s_cbranch_execz .LBB30_1137
; %bb.1125:                             ;   in Loop: Header=BB30_303 Depth=3
	s_mov_b64 s[36:37], exec
	v_mbcnt_lo_u32_b32 v1, s36, 0
	v_mbcnt_hi_u32_b32 v1, s37, v1
	v_cmp_eq_u32_e32 vcc, 0, v1
	s_waitcnt lgkmcnt(0)
	s_and_saveexec_b64 s[34:35], vcc
	s_cbranch_execz .LBB30_1127
; %bb.1126:                             ;   in Loop: Header=BB30_303 Depth=3
	s_bcnt1_i32_b64 s8, s[36:37]
	v_mov_b32_e32 v2, s8
	ds_add_u64 v0, v[2:3]
	s_trap 2
.LBB30_1127:                            ;   in Loop: Header=BB30_303 Depth=3
	s_or_b64 exec, exec, s[34:35]
	s_trap 2
	ds_read_b64 v[6:7], v0
	s_waitcnt lgkmcnt(0)
	v_lshl_add_u64 v[46:47], v[46:47], 0, v[60:61]
	v_cmp_lt_u64_e32 vcc, v[6:7], v[46:47]
	s_and_saveexec_b64 s[34:35], vcc
	s_cbranch_execz .LBB30_1136
; %bb.1128:                             ;   in Loop: Header=BB30_303 Depth=3
	s_mov_b32 s8, 0
	s_mov_b64 s[36:37], 0
                                        ; implicit-def: $sgpr38_sgpr39
                                        ; implicit-def: $sgpr48_sgpr49
	s_branch .LBB30_1130
.LBB30_1129:                            ;   in Loop: Header=BB30_1130 Depth=4
	s_or_b64 exec, exec, s[52:53]
	s_and_b64 vcc, exec, vcc
	s_or_b64 s[36:37], vcc, s[36:37]
	s_andn2_b64 vcc, s[38:39], exec
	s_and_b64 s[38:39], s[48:49], exec
	s_or_b64 s[38:39], vcc, s[38:39]
	s_andn2_b64 exec, exec, s[36:37]
	s_cbranch_execz .LBB30_1134
.LBB30_1130:                            ;   Parent Loop BB30_47 Depth=1
                                        ;     Parent Loop BB30_300 Depth=2
                                        ;       Parent Loop BB30_303 Depth=3
                                        ; =>      This Inner Loop Header: Depth=4
	s_add_i32 s8, s8, 1
	s_cmpk_lg_i32 s8, 0x2710
	s_cselect_b64 s[50:51], -1, 0
	s_and_b64 vcc, exec, s[50:51]
	s_cbranch_vccz .LBB30_1132
; %bb.1131:                             ;   in Loop: Header=BB30_1130 Depth=4
	s_mov_b64 vcc, -1
	s_or_b64 s[48:49], s[48:49], exec
	s_and_saveexec_b64 s[52:53], s[50:51]
	s_cbranch_execz .LBB30_1129
	s_branch .LBB30_1133
.LBB30_1132:                            ;   in Loop: Header=BB30_1130 Depth=4
	s_trap 2
	ds_read_b64 v[6:7], v0
	s_andn2_b64 s[50:51], s[50:51], exec
	s_mov_b32 s8, 0
	s_waitcnt vmcnt(0) lgkmcnt(0)
	flat_load_dword v1, v[6:7] sc0 sc1
	s_waitcnt vmcnt(0) lgkmcnt(0)
	buffer_inv sc0 sc1
	v_cmp_eq_u32_e32 vcc, 0, v1
	s_and_b64 vcc, vcc, exec
	s_or_b64 s[50:51], s[50:51], vcc
	s_mov_b64 vcc, -1
	s_or_b64 s[48:49], s[48:49], exec
	s_and_saveexec_b64 s[52:53], s[50:51]
	s_cbranch_execz .LBB30_1129
.LBB30_1133:                            ;   in Loop: Header=BB30_1130 Depth=4
	s_sleep 1
	s_trap 2
	ds_read_b64 v[6:7], v0
	s_waitcnt lgkmcnt(0)
	s_andn2_b64 s[48:49], s[48:49], exec
	v_cmp_ge_u64_e32 vcc, v[6:7], v[46:47]
	s_orn2_b64 vcc, vcc, exec
	s_branch .LBB30_1129
.LBB30_1134:                            ;   in Loop: Header=BB30_303 Depth=3
	s_or_b64 exec, exec, s[36:37]
	s_and_saveexec_b64 s[8:9], s[38:39]
	s_xor_b64 s[8:9], exec, s[8:9]
	s_cbranch_execz .LBB30_1136
; %bb.1135:                             ;   in Loop: Header=BB30_303 Depth=3
	v_mov_b32_e32 v1, 1
	ds_write_b32 v0, v1
	s_trap 2
.LBB30_1136:                            ;   in Loop: Header=BB30_303 Depth=3
	s_or_b64 exec, exec, s[34:35]
	;;#ASMSTART
	s_wakeup
	;;#ASMEND
.LBB30_1137:                            ;   in Loop: Header=BB30_303 Depth=3
	s_or_b64 exec, exec, s[30:31]
.LBB30_1138:                            ;   in Loop: Header=BB30_303 Depth=3
	s_andn2_saveexec_b64 s[28:29], s[28:29]
	s_cbranch_execz .LBB30_1140
; %bb.1139:                             ;   in Loop: Header=BB30_303 Depth=3
	s_waitcnt lgkmcnt(0)
	s_barrier
.LBB30_1140:                            ;   in Loop: Header=BB30_303 Depth=3
	s_or_b64 exec, exec, s[28:29]
	s_or_b64 exec, exec, s[26:27]
                                        ; implicit-def: $vgpr1
	s_and_saveexec_b64 s[8:9], s[20:21]
	s_xor_b64 s[26:27], exec, s[8:9]
	s_cbranch_execnz .LBB30_379
.LBB30_1141:                            ;   in Loop: Header=BB30_303 Depth=3
	s_andn2_saveexec_b64 s[24:25], s[26:27]
	s_cbranch_execz .LBB30_1160
.LBB30_1142:                            ;   in Loop: Header=BB30_303 Depth=3
	s_and_saveexec_b64 s[8:9], s[44:45]
	s_xor_b64 s[26:27], exec, s[8:9]
	s_cbranch_execz .LBB30_1157
; %bb.1143:                             ;   in Loop: Header=BB30_303 Depth=3
	s_and_saveexec_b64 s[28:29], s[12:13]
	s_cbranch_execz .LBB30_1156
; %bb.1144:                             ;   in Loop: Header=BB30_303 Depth=3
	s_mov_b64 s[34:35], exec
	v_mbcnt_lo_u32_b32 v1, s34, 0
	v_mbcnt_hi_u32_b32 v1, s35, v1
	v_cmp_eq_u32_e32 vcc, 0, v1
	;;#ASMSTART
	s_waitcnt lgkmcnt(0) vmcnt(0)
	;;#ASMEND
	s_and_saveexec_b64 s[30:31], vcc
	s_cbranch_execz .LBB30_1146
; %bb.1145:                             ;   in Loop: Header=BB30_303 Depth=3
	s_bcnt1_i32_b64 s8, s[34:35]
	v_mov_b32_e32 v2, s8
	s_waitcnt lgkmcnt(0)
	ds_add_u64 v0, v[2:3]
	s_trap 2
.LBB30_1146:                            ;   in Loop: Header=BB30_303 Depth=3
	s_or_b64 exec, exec, s[30:31]
	s_trap 2
	ds_read_b64 v[6:7], v0
	s_waitcnt lgkmcnt(0)
	v_lshl_add_u64 v[46:47], v[46:47], 0, v[60:61]
	v_cmp_lt_u64_e32 vcc, v[6:7], v[46:47]
	s_and_saveexec_b64 s[30:31], vcc
	s_cbranch_execz .LBB30_1155
; %bb.1147:                             ;   in Loop: Header=BB30_303 Depth=3
	s_mov_b32 s8, 0
	s_mov_b64 s[34:35], 0
                                        ; implicit-def: $sgpr36_sgpr37
                                        ; implicit-def: $sgpr38_sgpr39
	s_branch .LBB30_1149
.LBB30_1148:                            ;   in Loop: Header=BB30_1149 Depth=4
	s_or_b64 exec, exec, s[50:51]
	s_and_b64 vcc, exec, vcc
	s_or_b64 s[34:35], vcc, s[34:35]
	s_andn2_b64 vcc, s[36:37], exec
	s_and_b64 s[36:37], s[38:39], exec
	s_or_b64 s[36:37], vcc, s[36:37]
	s_andn2_b64 exec, exec, s[34:35]
	s_cbranch_execz .LBB30_1153
.LBB30_1149:                            ;   Parent Loop BB30_47 Depth=1
                                        ;     Parent Loop BB30_300 Depth=2
                                        ;       Parent Loop BB30_303 Depth=3
                                        ; =>      This Inner Loop Header: Depth=4
	s_add_i32 s8, s8, 1
	s_cmpk_lg_i32 s8, 0x2710
	s_cselect_b64 s[48:49], -1, 0
	s_and_b64 vcc, exec, s[48:49]
	s_cbranch_vccz .LBB30_1151
; %bb.1150:                             ;   in Loop: Header=BB30_1149 Depth=4
	s_mov_b64 vcc, -1
	s_or_b64 s[38:39], s[38:39], exec
	s_and_saveexec_b64 s[50:51], s[48:49]
	s_cbranch_execz .LBB30_1148
	s_branch .LBB30_1152
.LBB30_1151:                            ;   in Loop: Header=BB30_1149 Depth=4
	s_trap 2
	ds_read_b64 v[6:7], v0
	s_andn2_b64 s[48:49], s[48:49], exec
	s_mov_b32 s8, 0
	s_waitcnt vmcnt(0) lgkmcnt(0)
	flat_load_dword v1, v[6:7] sc0 sc1
	s_waitcnt vmcnt(0) lgkmcnt(0)
	buffer_inv sc0 sc1
	v_cmp_eq_u32_e32 vcc, 0, v1
	s_and_b64 vcc, vcc, exec
	s_or_b64 s[48:49], s[48:49], vcc
	s_mov_b64 vcc, -1
	s_or_b64 s[38:39], s[38:39], exec
	s_and_saveexec_b64 s[50:51], s[48:49]
	s_cbranch_execz .LBB30_1148
.LBB30_1152:                            ;   in Loop: Header=BB30_1149 Depth=4
	s_sleep 1
	s_trap 2
	ds_read_b64 v[6:7], v0
	s_waitcnt lgkmcnt(0)
	s_andn2_b64 s[38:39], s[38:39], exec
	v_cmp_ge_u64_e32 vcc, v[6:7], v[46:47]
	s_orn2_b64 vcc, vcc, exec
	s_branch .LBB30_1148
.LBB30_1153:                            ;   in Loop: Header=BB30_303 Depth=3
	s_or_b64 exec, exec, s[34:35]
	s_and_saveexec_b64 s[8:9], s[36:37]
	s_xor_b64 s[8:9], exec, s[8:9]
	s_cbranch_execz .LBB30_1155
; %bb.1154:                             ;   in Loop: Header=BB30_303 Depth=3
	v_mov_b32_e32 v1, 1
	ds_write_b32 v0, v1
	s_trap 2
.LBB30_1155:                            ;   in Loop: Header=BB30_303 Depth=3
	s_or_b64 exec, exec, s[30:31]
	;;#ASMSTART
	s_wakeup
	;;#ASMEND
.LBB30_1156:                            ;   in Loop: Header=BB30_303 Depth=3
	s_or_b64 exec, exec, s[28:29]
.LBB30_1157:                            ;   in Loop: Header=BB30_303 Depth=3
	s_andn2_saveexec_b64 s[26:27], s[26:27]
	s_cbranch_execz .LBB30_1159
; %bb.1158:                             ;   in Loop: Header=BB30_303 Depth=3
	;;#ASMSTART
	s_waitcnt lgkmcnt(0) vmcnt(0)
	;;#ASMEND
	s_barrier
.LBB30_1159:                            ;   in Loop: Header=BB30_303 Depth=3
	s_or_b64 exec, exec, s[26:27]
	v_and_b32_e32 v1, 16, v110
.LBB30_1160:                            ;   in Loop: Header=BB30_303 Depth=3
	s_or_b64 exec, exec, s[24:25]
	v_cmp_ne_u32_e32 vcc, 0, v1
	s_xor_b64 s[8:9], s[6:7], -1
	s_and_b64 s[8:9], vcc, s[8:9]
	s_and_saveexec_b64 s[24:25], s[8:9]
	s_cbranch_execz .LBB30_1162
; %bb.1161:                             ;   in Loop: Header=BB30_303 Depth=3
	scratch_load_dwordx2 v[6:7], off, s33 offset:304 ; 8-byte Folded Reload
	v_mov_b32_e32 v1, 1
	s_waitcnt vmcnt(0)
	flat_store_dword v[6:7], v1 sc0 sc1
.LBB30_1162:                            ;   in Loop: Header=BB30_303 Depth=3
	s_or_b64 exec, exec, s[24:25]
	v_and_b32_e32 v1, 48, v110
	v_cmp_ne_u32_e32 vcc, 0, v1
	s_and_saveexec_b64 s[24:25], vcc
	s_cbranch_execz .LBB30_302
; %bb.1163:                             ;   in Loop: Header=BB30_303 Depth=3
	v_lshl_add_u64 v[124:125], v[124:125], 0, 2
	flat_store_dwordx2 v[40:41], v[124:125] sc0 sc1
	s_branch .LBB30_302
.LBB30_1164:                            ;   in Loop: Header=BB30_300 Depth=2
	s_or_b64 exec, exec, s[92:93]
.LBB30_1165:                            ;   in Loop: Header=BB30_300 Depth=2
	s_or_b64 exec, exec, s[90:91]
	v_cmp_gt_i32_e32 vcc, 2, v1
	s_and_saveexec_b64 s[26:27], vcc
	s_cbranch_execz .LBB30_299
; %bb.1166:                             ;   in Loop: Header=BB30_300 Depth=2
	v_cmp_eq_u32_e64 s[90:91], 0, v1
	s_mov_b64 s[28:29], 0
	s_branch .LBB30_1168
.LBB30_1167:                            ;   in Loop: Header=BB30_1168 Depth=3
	s_or_b64 exec, exec, s[24:25]
	v_add_u32_e32 v28, v4, v28
	s_mov_b64 s[90:91], 0
	s_andn2_b64 exec, exec, s[28:29]
	s_cbranch_execz .LBB30_298
.LBB30_1168:                            ;   Parent Loop BB30_47 Depth=1
                                        ;     Parent Loop BB30_300 Depth=2
                                        ; =>    This Loop Header: Depth=3
                                        ;         Child Loop BB30_1174 Depth 4
                                        ;         Child Loop BB30_1202 Depth 4
                                        ;         Child Loop BB30_1221 Depth 4
	v_sub_u32_e32 v1, v0, v28
	v_min_i32_e32 v4, v4, v1
	v_and_b32_e32 v1, 12, v110
	v_cmp_ne_u32_e32 vcc, 0, v1
	s_and_saveexec_b64 s[92:93], vcc
	s_cbranch_execz .LBB30_1194
; %bb.1169:                             ;   in Loop: Header=BB30_1168 Depth=3
	v_and_b32_e32 v2, 8, v110
	s_waitcnt lgkmcnt(0)
	v_lshl_add_u64 v[6:7], v[56:57], 0, v[2:3]
	v_lshl_add_u64 v[8:9], v[124:125], 0, 2
	v_cmp_lt_u64_e32 vcc, v[6:7], v[8:9]
	s_and_saveexec_b64 s[94:95], vcc
	s_cbranch_execz .LBB30_1181
; %bb.1170:                             ;   in Loop: Header=BB30_1168 Depth=3
	v_and_b32_e32 v1, 64, v110
	s_mov_b32 s8, 0
	v_cmp_eq_u32_e32 vcc, 0, v1
	s_mov_b64 s[30:31], 0
                                        ; implicit-def: $sgpr34_sgpr35
                                        ; implicit-def: $sgpr36_sgpr37
                                        ; implicit-def: $sgpr38_sgpr39
	s_branch .LBB30_1174
.LBB30_1171:                            ;   in Loop: Header=BB30_1174 Depth=4
	s_waitcnt vmcnt(0) lgkmcnt(0)
	v_lshl_add_u64 v[6:7], v[56:57], 0, v[2:3]
	v_cmp_ge_u64_e64 s[24:25], v[6:7], v[8:9]
	s_or_b64 s[52:53], s[52:53], exec
	s_orn2_b64 s[50:51], s[24:25], exec
.LBB30_1172:                            ;   in Loop: Header=BB30_1174 Depth=4
	s_or_b64 exec, exec, s[64:65]
	s_andn2_b64 s[24:25], s[38:39], exec
	s_and_b64 s[38:39], s[52:53], exec
	s_or_b64 s[38:39], s[24:25], s[38:39]
	s_andn2_b64 s[24:25], s[36:37], exec
	s_and_b64 s[36:37], s[50:51], exec
	s_or_b64 s[36:37], s[24:25], s[36:37]
.LBB30_1173:                            ;   in Loop: Header=BB30_1174 Depth=4
	s_or_b64 exec, exec, s[48:49]
	s_and_b64 s[24:25], exec, s[36:37]
	s_or_b64 s[30:31], s[24:25], s[30:31]
	s_andn2_b64 s[24:25], s[34:35], exec
	s_and_b64 s[34:35], s[38:39], exec
	s_or_b64 s[34:35], s[24:25], s[34:35]
	s_andn2_b64 exec, exec, s[30:31]
	s_cbranch_execz .LBB30_1178
.LBB30_1174:                            ;   Parent Loop BB30_47 Depth=1
                                        ;     Parent Loop BB30_300 Depth=2
                                        ;       Parent Loop BB30_1168 Depth=3
                                        ; =>      This Inner Loop Header: Depth=4
	s_sleep 1
	s_waitcnt vmcnt(0) lgkmcnt(0)
	flat_load_dwordx2 v[56:57], v[40:41] sc0 sc1
	s_or_b64 s[38:39], s[38:39], exec
	s_or_b64 s[36:37], s[36:37], exec
                                        ; implicit-def: $vgpr1
	s_and_saveexec_b64 s[48:49], vcc
	s_cbranch_execz .LBB30_1173
; %bb.1175:                             ;   in Loop: Header=BB30_1174 Depth=4
	s_cmpk_lt_i32 s8, 0x270f
	s_cselect_b64 s[54:55], -1, 0
	s_cmpk_gt_i32 s8, 0x270e
	s_mov_b64 s[50:51], -1
	s_cbranch_scc0 .LBB30_1177
; %bb.1176:                             ;   in Loop: Header=BB30_1174 Depth=4
	s_trap 2
	ds_read_b64 v[6:7], v0
	s_andn2_b64 s[54:55], s[54:55], exec
	s_mov_b32 s8, 0
	s_mov_b64 s[52:53], 0
	s_waitcnt vmcnt(0) lgkmcnt(0)
	flat_load_dword v1, v[6:7] sc0 sc1
	s_waitcnt vmcnt(0) lgkmcnt(0)
	buffer_inv sc0 sc1
	v_cmp_eq_u32_e64 s[24:25], 0, v1
	s_and_b64 s[24:25], s[24:25], exec
	s_or_b64 s[54:55], s[54:55], s[24:25]
	s_and_saveexec_b64 s[64:65], s[54:55]
	s_cbranch_execz .LBB30_1172
	s_branch .LBB30_1171
.LBB30_1177:                            ;   in Loop: Header=BB30_1174 Depth=4
	s_add_i32 s8, s8, 1
	s_mov_b64 s[52:53], -1
                                        ; implicit-def: $vgpr1
	s_and_saveexec_b64 s[64:65], s[54:55]
	s_cbranch_execz .LBB30_1172
	s_branch .LBB30_1171
.LBB30_1178:                            ;   in Loop: Header=BB30_1168 Depth=3
	s_or_b64 exec, exec, s[30:31]
	s_xor_b64 s[8:9], s[34:35], -1
	s_and_saveexec_b64 s[24:25], s[8:9]
	s_xor_b64 s[24:25], exec, s[24:25]
	s_cbranch_execz .LBB30_1180
; %bb.1179:                             ;   in Loop: Header=BB30_1168 Depth=3
	v_or_b32_e32 v110, 64, v110
	s_waitcnt lgkmcnt(0)
	ds_write_b32 v0, v1
	s_trap 2
.LBB30_1180:                            ;   in Loop: Header=BB30_1168 Depth=3
	s_or_b64 exec, exec, s[24:25]
.LBB30_1181:                            ;   in Loop: Header=BB30_1168 Depth=3
	s_or_b64 exec, exec, s[94:95]
	v_and_b32_e32 v1, 0x108, v110
	v_cmp_ne_u32_e32 vcc, s42, v1
	;;#ASMSTART
	s_wakeup
	;;#ASMEND
                                        ; implicit-def: $vgpr10_vgpr11
	s_and_saveexec_b64 s[8:9], vcc
	s_xor_b64 s[24:25], exec, s[8:9]
; %bb.1182:                             ;   in Loop: Header=BB30_1168 Depth=3
	v_and_b32_e32 v10, 7, v124
	v_mov_b32_e32 v11, v3
                                        ; implicit-def: $vgpr124_vgpr125
; %bb.1183:                             ;   in Loop: Header=BB30_1168 Depth=3
	s_andn2_saveexec_b64 s[24:25], s[24:25]
	s_cbranch_execz .LBB30_1185
; %bb.1184:                             ;   in Loop: Header=BB30_1168 Depth=3
	scratch_load_dwordx4 v[12:15], off, s33 offset:288 ; 16-byte Folded Reload
	v_and_b32_e32 v10, 7, v124
	v_ashrrev_i32_e32 v5, 31, v4
	v_mov_b32_e32 v11, v3
	s_waitcnt vmcnt(0)
	v_mad_u64_u32 v[6:7], s[8:9], v10, 24, v[12:13]
	v_lshlrev_b64 v[12:13], 1, v[4:5]
	flat_store_dwordx2 v[6:7], v[12:13] offset:8
.LBB30_1185:                            ;   in Loop: Header=BB30_1168 Depth=3
	s_or_b64 exec, exec, s[24:25]
	v_and_b32_e32 v1, 0x100, v110
	v_cmp_ne_u32_e32 vcc, 0, v1
	s_mov_b64 s[24:25], -1
                                        ; implicit-def: $vgpr12_vgpr13
	s_and_saveexec_b64 s[94:95], vcc
	s_cbranch_execz .LBB30_1189
; %bb.1186:                             ;   in Loop: Header=BB30_1168 Depth=3
	scratch_load_dwordx4 v[12:15], off, s33 offset:288 ; 16-byte Folded Reload
	s_waitcnt vmcnt(0)
	v_mad_u64_u32 v[14:15], s[8:9], v10, 24, v[12:13]
	v_mov_b32_e32 v6, v15
	v_mad_u64_u32 v[6:7], s[8:9], v11, 24, v[6:7]
	v_mov_b32_e32 v15, v6
	flat_load_dword v1, v[14:15]
                                        ; implicit-def: $vgpr12_vgpr13
	s_waitcnt vmcnt(0) lgkmcnt(0)
	v_cmp_ne_u32_e32 vcc, 1, v1
	v_cmp_eq_u32_e64 s[24:25], 1, v1
	s_and_saveexec_b64 s[30:31], s[24:25]
	s_cbranch_execz .LBB30_1188
; %bb.1187:                             ;   in Loop: Header=BB30_1168 Depth=3
	flat_load_dword v6, v[14:15] offset:4 sc0 sc1
	s_waitcnt vmcnt(0) lgkmcnt(0)
	v_ashrrev_i32_e32 v7, 31, v6
	v_lshrrev_b64 v[12:13], 1, v[6:7]
.LBB30_1188:                            ;   in Loop: Header=BB30_1168 Depth=3
	s_or_b64 exec, exec, s[30:31]
	s_orn2_b64 s[24:25], vcc, exec
.LBB30_1189:                            ;   in Loop: Header=BB30_1168 Depth=3
	s_or_b64 exec, exec, s[94:95]
	s_and_saveexec_b64 s[94:95], s[24:25]
	s_cbranch_execz .LBB30_1191
; %bb.1190:                             ;   in Loop: Header=BB30_1168 Depth=3
	scratch_load_dwordx2 v[6:7], off, s33 offset:316 ; 8-byte Folded Reload
	scratch_load_dwordx2 v[12:13], off, s33 offset:324 ; 8-byte Folded Reload
	s_waitcnt vmcnt(0)
	v_mul_lo_u32 v1, v11, v6
	v_mul_lo_u32 v5, v10, v13
	v_mad_u64_u32 v[12:13], s[8:9], v10, v6, 0
	v_add3_u32 v13, v13, v5, v1
.LBB30_1191:                            ;   in Loop: Header=BB30_1168 Depth=3
	s_or_b64 exec, exec, s[94:95]
	scratch_load_dwordx2 v[6:7], off, s33 offset:280 ; 8-byte Folded Reload
	v_cmp_eq_u32_e32 vcc, 0, v2
	v_mov_b32_e32 v1, 0xc8
	v_mov_b32_e32 v2, 0x90
	v_cndmask_b32_e32 v1, v1, v2, vcc
	v_add_u32_e32 v1, v0, v1
	s_waitcnt vmcnt(0)
	v_lshl_add_u64 v[6:7], v[12:13], 1, v[6:7]
	ds_write_b64 v1, v[6:7] offset:584
	v_and_b32_e32 v1, 0x2000, v110
	v_cmp_ne_u32_e32 vcc, 0, v1
	s_and_saveexec_b64 s[24:25], vcc
	s_cbranch_execz .LBB30_1193
; %bb.1192:                             ;   in Loop: Header=BB30_1168 Depth=3
	ds_read_b64 v[6:7], v0 offset:872
	s_waitcnt lgkmcnt(0)
	v_lshl_add_u64 v[6:7], v[6:7], 0, 1
	ds_write_b64 v0, v[6:7] offset:872
.LBB30_1193:                            ;   in Loop: Header=BB30_1168 Depth=3
	s_or_b64 exec, exec, s[24:25]
	v_mov_b64_e32 v[124:125], v[8:9]
.LBB30_1194:                            ;   in Loop: Header=BB30_1168 Depth=3
	s_or_b64 exec, exec, s[92:93]
	s_xor_b64 s[8:9], s[90:91], -1
	s_and_b64 s[8:9], exec, s[8:9]
	s_or_b64 s[28:29], s[8:9], s[28:29]
	s_and_saveexec_b64 s[24:25], s[4:5]
	s_cbranch_execz .LBB30_1213
; %bb.1195:                             ;   in Loop: Header=BB30_1168 Depth=3
	s_and_saveexec_b64 s[8:9], s[44:45]
	s_xor_b64 s[90:91], exec, s[8:9]
	s_cbranch_execz .LBB30_1210
; %bb.1196:                             ;   in Loop: Header=BB30_1168 Depth=3
	s_and_saveexec_b64 s[92:93], s[12:13]
	s_cbranch_execz .LBB30_1209
; %bb.1197:                             ;   in Loop: Header=BB30_1168 Depth=3
	s_mov_b64 s[30:31], exec
	v_mbcnt_lo_u32_b32 v1, s30, 0
	v_mbcnt_hi_u32_b32 v1, s31, v1
	v_cmp_eq_u32_e32 vcc, 0, v1
	s_waitcnt lgkmcnt(0)
	s_and_saveexec_b64 s[94:95], vcc
	s_cbranch_execz .LBB30_1199
; %bb.1198:                             ;   in Loop: Header=BB30_1168 Depth=3
	s_bcnt1_i32_b64 s8, s[30:31]
	v_mov_b32_e32 v2, s8
	ds_add_u64 v0, v[2:3]
	s_trap 2
.LBB30_1199:                            ;   in Loop: Header=BB30_1168 Depth=3
	s_or_b64 exec, exec, s[94:95]
	s_trap 2
	ds_read_b64 v[6:7], v0
	s_waitcnt lgkmcnt(0)
	v_lshl_add_u64 v[46:47], v[46:47], 0, v[60:61]
	v_cmp_lt_u64_e32 vcc, v[6:7], v[46:47]
	s_and_saveexec_b64 s[94:95], vcc
	s_cbranch_execz .LBB30_1208
; %bb.1200:                             ;   in Loop: Header=BB30_1168 Depth=3
	s_mov_b32 s8, 0
	s_mov_b64 s[30:31], 0
                                        ; implicit-def: $sgpr34_sgpr35
                                        ; implicit-def: $sgpr36_sgpr37
	s_branch .LBB30_1202
.LBB30_1201:                            ;   in Loop: Header=BB30_1202 Depth=4
	s_or_b64 exec, exec, s[48:49]
	s_and_b64 vcc, exec, vcc
	s_or_b64 s[30:31], vcc, s[30:31]
	s_andn2_b64 vcc, s[34:35], exec
	s_and_b64 s[34:35], s[36:37], exec
	s_or_b64 s[34:35], vcc, s[34:35]
	s_andn2_b64 exec, exec, s[30:31]
	s_cbranch_execz .LBB30_1206
.LBB30_1202:                            ;   Parent Loop BB30_47 Depth=1
                                        ;     Parent Loop BB30_300 Depth=2
                                        ;       Parent Loop BB30_1168 Depth=3
                                        ; =>      This Inner Loop Header: Depth=4
	s_add_i32 s8, s8, 1
	s_cmpk_lg_i32 s8, 0x2710
	s_cselect_b64 s[38:39], -1, 0
	s_and_b64 vcc, exec, s[38:39]
	s_cbranch_vccz .LBB30_1204
; %bb.1203:                             ;   in Loop: Header=BB30_1202 Depth=4
	s_mov_b64 vcc, -1
	s_or_b64 s[36:37], s[36:37], exec
	s_and_saveexec_b64 s[48:49], s[38:39]
	s_cbranch_execz .LBB30_1201
	s_branch .LBB30_1205
.LBB30_1204:                            ;   in Loop: Header=BB30_1202 Depth=4
	s_trap 2
	ds_read_b64 v[6:7], v0
	s_andn2_b64 s[38:39], s[38:39], exec
	s_mov_b32 s8, 0
	s_waitcnt vmcnt(0) lgkmcnt(0)
	flat_load_dword v1, v[6:7] sc0 sc1
	s_waitcnt vmcnt(0) lgkmcnt(0)
	buffer_inv sc0 sc1
	v_cmp_eq_u32_e32 vcc, 0, v1
	s_and_b64 vcc, vcc, exec
	s_or_b64 s[38:39], s[38:39], vcc
	s_mov_b64 vcc, -1
	s_or_b64 s[36:37], s[36:37], exec
	s_and_saveexec_b64 s[48:49], s[38:39]
	s_cbranch_execz .LBB30_1201
.LBB30_1205:                            ;   in Loop: Header=BB30_1202 Depth=4
	s_sleep 1
	s_trap 2
	ds_read_b64 v[6:7], v0
	s_waitcnt lgkmcnt(0)
	s_andn2_b64 s[36:37], s[36:37], exec
	v_cmp_ge_u64_e32 vcc, v[6:7], v[46:47]
	s_orn2_b64 vcc, vcc, exec
	s_branch .LBB30_1201
.LBB30_1206:                            ;   in Loop: Header=BB30_1168 Depth=3
	s_or_b64 exec, exec, s[30:31]
	s_and_saveexec_b64 s[8:9], s[34:35]
	s_xor_b64 s[8:9], exec, s[8:9]
	s_cbranch_execz .LBB30_1208
; %bb.1207:                             ;   in Loop: Header=BB30_1168 Depth=3
	v_mov_b32_e32 v1, 1
	ds_write_b32 v0, v1
	s_trap 2
.LBB30_1208:                            ;   in Loop: Header=BB30_1168 Depth=3
	s_or_b64 exec, exec, s[94:95]
	;;#ASMSTART
	s_wakeup
	;;#ASMEND
.LBB30_1209:                            ;   in Loop: Header=BB30_1168 Depth=3
	s_or_b64 exec, exec, s[92:93]
.LBB30_1210:                            ;   in Loop: Header=BB30_1168 Depth=3
	s_andn2_saveexec_b64 s[90:91], s[90:91]
	s_cbranch_execz .LBB30_1212
; %bb.1211:                             ;   in Loop: Header=BB30_1168 Depth=3
	s_waitcnt lgkmcnt(0)
	s_barrier
.LBB30_1212:                            ;   in Loop: Header=BB30_1168 Depth=3
	s_or_b64 exec, exec, s[90:91]
.LBB30_1213:                            ;   in Loop: Header=BB30_1168 Depth=3
	s_or_b64 exec, exec, s[24:25]
                                        ; implicit-def: $vgpr1
	s_and_saveexec_b64 s[8:9], s[78:79]
	s_xor_b64 s[24:25], exec, s[8:9]
	s_cbranch_execz .LBB30_1225
; %bb.1214:                             ;   in Loop: Header=BB30_1168 Depth=3
	s_and_saveexec_b64 s[8:9], s[44:45]
	s_xor_b64 s[90:91], exec, s[8:9]
	s_cbranch_execz .LBB30_1230
; %bb.1215:                             ;   in Loop: Header=BB30_1168 Depth=3
	s_and_saveexec_b64 s[92:93], s[12:13]
	s_cbranch_execz .LBB30_1229
; %bb.1216:                             ;   in Loop: Header=BB30_1168 Depth=3
	s_mov_b64 s[30:31], exec
	v_mbcnt_lo_u32_b32 v1, s30, 0
	v_mbcnt_hi_u32_b32 v1, s31, v1
	v_cmp_eq_u32_e32 vcc, 0, v1
	;;#ASMSTART
	s_waitcnt lgkmcnt(0) vmcnt(0)
	;;#ASMEND
	s_and_saveexec_b64 s[94:95], vcc
	s_cbranch_execz .LBB30_1218
; %bb.1217:                             ;   in Loop: Header=BB30_1168 Depth=3
	s_bcnt1_i32_b64 s8, s[30:31]
	v_mov_b32_e32 v2, s8
	s_waitcnt lgkmcnt(0)
	ds_add_u64 v0, v[2:3]
	s_trap 2
.LBB30_1218:                            ;   in Loop: Header=BB30_1168 Depth=3
	s_or_b64 exec, exec, s[94:95]
	s_trap 2
	ds_read_b64 v[6:7], v0
	s_waitcnt lgkmcnt(0)
	v_lshl_add_u64 v[46:47], v[46:47], 0, v[60:61]
	v_cmp_lt_u64_e32 vcc, v[6:7], v[46:47]
	s_and_saveexec_b64 s[94:95], vcc
	s_cbranch_execz .LBB30_1228
; %bb.1219:                             ;   in Loop: Header=BB30_1168 Depth=3
	s_mov_b32 s8, 0
	s_mov_b64 s[30:31], 0
                                        ; implicit-def: $sgpr34_sgpr35
                                        ; implicit-def: $sgpr36_sgpr37
	s_branch .LBB30_1221
.LBB30_1220:                            ;   in Loop: Header=BB30_1221 Depth=4
	s_or_b64 exec, exec, s[48:49]
	s_and_b64 vcc, exec, vcc
	s_or_b64 s[30:31], vcc, s[30:31]
	s_andn2_b64 vcc, s[34:35], exec
	s_and_b64 s[34:35], s[36:37], exec
	s_or_b64 s[34:35], vcc, s[34:35]
	s_andn2_b64 exec, exec, s[30:31]
	s_cbranch_execz .LBB30_1226
.LBB30_1221:                            ;   Parent Loop BB30_47 Depth=1
                                        ;     Parent Loop BB30_300 Depth=2
                                        ;       Parent Loop BB30_1168 Depth=3
                                        ; =>      This Inner Loop Header: Depth=4
	s_add_i32 s8, s8, 1
	s_cmpk_lg_i32 s8, 0x2710
	s_cselect_b64 s[38:39], -1, 0
	s_and_b64 vcc, exec, s[38:39]
	s_cbranch_vccz .LBB30_1223
; %bb.1222:                             ;   in Loop: Header=BB30_1221 Depth=4
	s_mov_b64 vcc, -1
	s_or_b64 s[36:37], s[36:37], exec
	s_and_saveexec_b64 s[48:49], s[38:39]
	s_cbranch_execz .LBB30_1220
	s_branch .LBB30_1224
.LBB30_1223:                            ;   in Loop: Header=BB30_1221 Depth=4
	s_trap 2
	ds_read_b64 v[6:7], v0
	s_andn2_b64 s[38:39], s[38:39], exec
	s_mov_b32 s8, 0
	s_waitcnt vmcnt(0) lgkmcnt(0)
	flat_load_dword v1, v[6:7] sc0 sc1
	s_waitcnt vmcnt(0) lgkmcnt(0)
	buffer_inv sc0 sc1
	v_cmp_eq_u32_e32 vcc, 0, v1
	s_and_b64 vcc, vcc, exec
	s_or_b64 s[38:39], s[38:39], vcc
	s_mov_b64 vcc, -1
	s_or_b64 s[36:37], s[36:37], exec
	s_and_saveexec_b64 s[48:49], s[38:39]
	s_cbranch_execz .LBB30_1220
.LBB30_1224:                            ;   in Loop: Header=BB30_1221 Depth=4
	s_sleep 1
	s_trap 2
	ds_read_b64 v[6:7], v0
	s_waitcnt lgkmcnt(0)
	s_andn2_b64 s[36:37], s[36:37], exec
	v_cmp_ge_u64_e32 vcc, v[6:7], v[46:47]
	s_orn2_b64 vcc, vcc, exec
	s_branch .LBB30_1220
.LBB30_1225:                            ;   in Loop: Header=BB30_1168 Depth=3
	s_andn2_saveexec_b64 s[24:25], s[24:25]
	s_cbranch_execnz .LBB30_1233
	s_branch .LBB30_1236
.LBB30_1226:                            ;   in Loop: Header=BB30_1168 Depth=3
	s_or_b64 exec, exec, s[30:31]
	s_and_saveexec_b64 s[8:9], s[34:35]
	s_xor_b64 s[8:9], exec, s[8:9]
	s_cbranch_execz .LBB30_1228
; %bb.1227:                             ;   in Loop: Header=BB30_1168 Depth=3
	v_mov_b32_e32 v1, 1
	ds_write_b32 v0, v1
	s_trap 2
.LBB30_1228:                            ;   in Loop: Header=BB30_1168 Depth=3
	s_or_b64 exec, exec, s[94:95]
	;;#ASMSTART
	s_wakeup
	;;#ASMEND
.LBB30_1229:                            ;   in Loop: Header=BB30_1168 Depth=3
	s_or_b64 exec, exec, s[92:93]
.LBB30_1230:                            ;   in Loop: Header=BB30_1168 Depth=3
	s_andn2_saveexec_b64 s[90:91], s[90:91]
	s_cbranch_execz .LBB30_1232
; %bb.1231:                             ;   in Loop: Header=BB30_1168 Depth=3
	;;#ASMSTART
	s_waitcnt lgkmcnt(0) vmcnt(0)
	;;#ASMEND
	s_barrier
.LBB30_1232:                            ;   in Loop: Header=BB30_1168 Depth=3
	s_or_b64 exec, exec, s[90:91]
	v_and_b32_e32 v1, 16, v110
	s_andn2_saveexec_b64 s[24:25], s[24:25]
	s_cbranch_execz .LBB30_1236
.LBB30_1233:                            ;   in Loop: Header=BB30_1168 Depth=3
	s_trap 2
	ds_read_b32 v2, v0
	v_cmp_lt_i32_e32 vcc, 0, v4
	v_and_b32_e32 v5, 16, v110
	v_and_b32_e32 v1, 16, v110
	s_waitcnt lgkmcnt(0)
	v_readfirstlane_b32 s8, v2
	s_cmp_eq_u32 s8, 0
	s_cselect_b64 s[8:9], -1, 0
	s_and_b64 s[8:9], vcc, s[8:9]
	v_cmp_ne_u32_e32 vcc, 0, v5
	s_and_b64 s[8:9], vcc, s[8:9]
	s_and_saveexec_b64 s[90:91], s[8:9]
	s_cbranch_execz .LBB30_1235
; %bb.1234:                             ;   in Loop: Header=BB30_1168 Depth=3
	v_mov_b32_e32 v1, 1
	buffer_wbl2 sc1
	s_waitcnt vmcnt(0)
	buffer_inv sc1
.LBB30_1235:                            ;   in Loop: Header=BB30_1168 Depth=3
	s_or_b64 exec, exec, s[90:91]
.LBB30_1236:                            ;   in Loop: Header=BB30_1168 Depth=3
	s_or_b64 exec, exec, s[24:25]
	v_cmp_ne_u32_e32 vcc, 0, v1
	s_xor_b64 s[8:9], s[6:7], -1
	s_and_b64 s[8:9], vcc, s[8:9]
	s_and_saveexec_b64 s[24:25], s[8:9]
	s_cbranch_execz .LBB30_1238
; %bb.1237:                             ;   in Loop: Header=BB30_1168 Depth=3
	scratch_load_dwordx2 v[6:7], off, s33 offset:304 ; 8-byte Folded Reload
	v_mov_b32_e32 v1, 1
	s_waitcnt vmcnt(0)
	flat_store_dword v[6:7], v1 sc0 sc1
.LBB30_1238:                            ;   in Loop: Header=BB30_1168 Depth=3
	s_or_b64 exec, exec, s[24:25]
	v_and_b32_e32 v1, 48, v110
	v_cmp_ne_u32_e32 vcc, 0, v1
	s_and_saveexec_b64 s[24:25], vcc
	s_cbranch_execz .LBB30_1167
; %bb.1239:                             ;   in Loop: Header=BB30_1168 Depth=3
	v_lshl_add_u64 v[124:125], v[124:125], 0, 2
	flat_store_dwordx2 v[40:41], v[124:125] sc0 sc1
	s_branch .LBB30_1167
.LBB30_1240:                            ;   in Loop: Header=BB30_47 Depth=1
	scratch_load_dwordx2 v[6:7], off, s33 offset:388 ; 8-byte Folded Reload
	v_mov_b32_e32 v62, 0
	s_waitcnt vmcnt(0)
	v_mul_lo_u32 v0, v7, s66
	v_mul_lo_u32 v1, v6, s67
	v_mad_u64_u32 v[4:5], s[8:9], v6, s66, 0
	v_add3_u32 v5, v5, v1, v0
	scratch_load_dwordx2 v[0:1], off, s33 offset:380 ; 8-byte Folded Reload
	s_waitcnt vmcnt(0)
	v_sub_co_u32_e32 v0, vcc, v0, v4
	s_nop 1
	v_subb_co_u32_e32 v1, vcc, v1, v5, vcc
	v_cmp_lt_i64_e32 vcc, v[6:7], v[0:1]
	s_nop 1
	v_cndmask_b32_e32 v1, v0, v6, vcc
	v_max_i32_e32 v108, 0, v1
	v_add_u32_e32 v2, 31, v108
	v_ashrrev_i32_e32 v6, 31, v2
	v_lshrrev_b32_e32 v6, 27, v6
	v_add_u32_e32 v2, v2, v6
	v_ashrrev_i32_e32 v2, 5, v2
	v_lshlrev_b32_e32 v2, 4, v2
	v_cmp_lt_i32_e32 vcc, 0, v1
	v_mov_b32_e32 v0, 0
	v_max_i32_e32 v28, s71, v2
	s_and_b64 s[8:9], s[88:89], vcc
	s_and_saveexec_b64 s[90:91], s[8:9]
	s_cbranch_execz .LBB30_2869
; %bb.1241:                             ;   in Loop: Header=BB30_47 Depth=1
	scratch_load_dwordx2 v[0:1], off, s33 offset:340 ; 8-byte Folded Reload
	s_mov_b32 s74, 1
	s_mov_b64 s[94:95], -1
	v_mov_b32_e32 v62, 0
	s_mov_b64 s[92:93], 0
	s_waitcnt vmcnt(0)
	v_lshl_add_u64 v[0:1], v[4:5], 0, v[0:1]
	v_lshlrev_b64 v[122:123], 1, v[0:1]
	s_branch .LBB30_1243
.LBB30_1242:                            ;   in Loop: Header=BB30_1243 Depth=2
	s_or_b64 exec, exec, s[24:25]
	v_add_u32_e32 v62, v28, v62
	v_cmp_ge_i32_e32 vcc, v62, v108
	s_xor_b64 s[8:9], s[94:95], -1
	s_or_b64 s[8:9], s[8:9], vcc
	s_and_b64 s[8:9], exec, s[8:9]
	s_or_b64 s[92:93], s[8:9], s[92:93]
	s_mov_b64 s[94:95], 0
	v_mov_b32_e32 v0, s74
	s_mov_b32 s74, 2
	s_andn2_b64 exec, exec, s[92:93]
	s_cbranch_execz .LBB30_2868
.LBB30_1243:                            ;   Parent Loop BB30_47 Depth=1
                                        ; =>  This Loop Header: Depth=2
                                        ;       Child Loop BB30_1251 Depth 3
                                        ;       Child Loop BB30_1279 Depth 3
                                        ;       Child Loop BB30_1298 Depth 3
                                        ;       Child Loop BB30_1321 Depth 3
                                        ;       Child Loop BB30_1721 Depth 3
                                        ;         Child Loop BB30_1722 Depth 4
                                        ;         Child Loop BB30_1757 Depth 4
	;; [unrolled: 1-line block ×4, first 2 shown]
                                        ;       Child Loop BB30_1833 Depth 3
                                        ;       Child Loop BB30_1841 Depth 3
	;; [unrolled: 1-line block ×3, first 2 shown]
                                        ;         Child Loop BB30_2047 Depth 4
                                        ;         Child Loop BB30_2054 Depth 4
	;; [unrolled: 1-line block ×4, first 2 shown]
                                        ;       Child Loop BB30_2073 Depth 3
                                        ;       Child Loop BB30_2085 Depth 3
	;; [unrolled: 1-line block ×3, first 2 shown]
                                        ;         Child Loop BB30_2484 Depth 4
                                        ;         Child Loop BB30_2521 Depth 4
                                        ;       Child Loop BB30_2598 Depth 3
                                        ;       Child Loop BB30_2801 Depth 3
                                        ;         Child Loop BB30_2802 Depth 4
                                        ;         Child Loop BB30_2811 Depth 4
                                        ;       Child Loop BB30_2830 Depth 3
                                        ;       Child Loop BB30_2853 Depth 3
	s_and_saveexec_b64 s[24:25], s[0:1]
	s_cbranch_execz .LBB30_1245
; %bb.1244:                             ;   in Loop: Header=BB30_1243 Depth=2
	s_trap 2
	ds_read2_b64 v[4:7], v0 offset1:1
	ds_read_b64 v[0:1], v0
	v_ashrrev_i32_e32 v63, 31, v62
	v_lshlrev_b64 v[8:9], 1, v[62:63]
	s_waitcnt lgkmcnt(0)
	v_lshl_add_u64 v[4:5], v[4:5], 0, v[122:123]
	v_lshl_add_u64 v[4:5], v[4:5], 0, v[8:9]
	ds_write_b64 v0, v[4:5]
	v_lshl_add_u64 v[4:5], v[6:7], 0, v[122:123]
	v_lshl_add_u64 v[4:5], v[4:5], 0, v[8:9]
	ds_write_b64 v0, v[4:5]
	v_lshl_add_u64 v[4:5], v[0:1], 0, v[122:123]
	v_lshl_add_u64 v[4:5], v[4:5], 0, v[8:9]
	v_cmp_ne_u64_e32 vcc, 0, v[0:1]
	s_nop 1
	v_cndmask_b32_e32 v1, 0, v5, vcc
	v_cndmask_b32_e32 v0, 0, v4, vcc
	ds_write_b64 v0, v[0:1]
.LBB30_1245:                            ;   in Loop: Header=BB30_1243 Depth=2
	s_or_b64 exec, exec, s[24:25]
	v_sub_u32_e32 v0, v108, v62
	v_min_i32_e32 v28, v28, v0
	v_and_b32_e32 v0, 12, v110
	v_cmp_ne_u32_e32 vcc, 0, v0
	s_and_saveexec_b64 s[26:27], vcc
	s_cbranch_execz .LBB30_1271
; %bb.1246:                             ;   in Loop: Header=BB30_1243 Depth=2
	v_and_b32_e32 v2, 8, v110
	s_waitcnt lgkmcnt(0)
	v_lshl_add_u64 v[0:1], v[56:57], 0, v[2:3]
	v_lshl_add_u64 v[4:5], v[124:125], 0, 2
	v_cmp_lt_u64_e32 vcc, v[0:1], v[4:5]
	s_and_saveexec_b64 s[28:29], vcc
	s_cbranch_execz .LBB30_1258
; %bb.1247:                             ;   in Loop: Header=BB30_1243 Depth=2
	v_and_b32_e32 v0, 64, v110
	s_mov_b32 s75, 0
	v_cmp_eq_u32_e32 vcc, 0, v0
	s_mov_b64 s[30:31], 0
                                        ; implicit-def: $sgpr34_sgpr35
                                        ; implicit-def: $sgpr36_sgpr37
                                        ; implicit-def: $sgpr38_sgpr39
	s_branch .LBB30_1251
.LBB30_1248:                            ;   in Loop: Header=BB30_1251 Depth=3
	s_waitcnt vmcnt(0) lgkmcnt(0)
	v_lshl_add_u64 v[6:7], v[56:57], 0, v[2:3]
	v_cmp_ge_u64_e64 s[24:25], v[6:7], v[4:5]
	s_or_b64 s[52:53], s[52:53], exec
	s_orn2_b64 s[50:51], s[24:25], exec
.LBB30_1249:                            ;   in Loop: Header=BB30_1251 Depth=3
	s_or_b64 exec, exec, s[64:65]
	s_andn2_b64 s[8:9], s[38:39], exec
	s_and_b64 s[24:25], s[52:53], exec
	s_or_b64 s[38:39], s[8:9], s[24:25]
	s_andn2_b64 s[8:9], s[36:37], exec
	s_and_b64 s[24:25], s[50:51], exec
	s_or_b64 s[36:37], s[8:9], s[24:25]
.LBB30_1250:                            ;   in Loop: Header=BB30_1251 Depth=3
	s_or_b64 exec, exec, s[48:49]
	s_and_b64 s[8:9], exec, s[36:37]
	s_or_b64 s[30:31], s[8:9], s[30:31]
	s_andn2_b64 s[8:9], s[34:35], exec
	s_and_b64 s[24:25], s[38:39], exec
	s_or_b64 s[34:35], s[8:9], s[24:25]
	s_andn2_b64 exec, exec, s[30:31]
	s_cbranch_execz .LBB30_1255
.LBB30_1251:                            ;   Parent Loop BB30_47 Depth=1
                                        ;     Parent Loop BB30_1243 Depth=2
                                        ; =>    This Inner Loop Header: Depth=3
	s_sleep 1
	s_waitcnt vmcnt(0) lgkmcnt(0)
	flat_load_dwordx2 v[56:57], v[40:41] sc0 sc1
	s_or_b64 s[38:39], s[38:39], exec
	s_or_b64 s[36:37], s[36:37], exec
                                        ; implicit-def: $vgpr0
	s_and_saveexec_b64 s[48:49], vcc
	s_cbranch_execz .LBB30_1250
; %bb.1252:                             ;   in Loop: Header=BB30_1251 Depth=3
	s_cmpk_lt_i32 s75, 0x270f
	s_cselect_b64 s[54:55], -1, 0
	s_cmpk_gt_i32 s75, 0x270e
	s_mov_b64 s[50:51], -1
	s_cbranch_scc0 .LBB30_1254
; %bb.1253:                             ;   in Loop: Header=BB30_1251 Depth=3
	s_trap 2
	ds_read_b64 v[0:1], v0
	s_andn2_b64 s[8:9], s[54:55], exec
	s_mov_b32 s75, 0
	s_mov_b64 s[52:53], 0
	s_waitcnt vmcnt(0) lgkmcnt(0)
	flat_load_dword v0, v[0:1] sc0 sc1
	s_waitcnt vmcnt(0) lgkmcnt(0)
	buffer_inv sc0 sc1
	v_cmp_eq_u32_e64 s[24:25], 0, v0
	s_and_b64 s[24:25], s[24:25], exec
	s_or_b64 s[54:55], s[8:9], s[24:25]
	s_and_saveexec_b64 s[64:65], s[54:55]
	s_cbranch_execz .LBB30_1249
	s_branch .LBB30_1248
.LBB30_1254:                            ;   in Loop: Header=BB30_1251 Depth=3
	s_add_i32 s75, s75, 1
	s_mov_b64 s[52:53], -1
                                        ; implicit-def: $vgpr0
	s_and_saveexec_b64 s[64:65], s[54:55]
	s_cbranch_execz .LBB30_1249
	s_branch .LBB30_1248
.LBB30_1255:                            ;   in Loop: Header=BB30_1243 Depth=2
	s_or_b64 exec, exec, s[30:31]
	s_xor_b64 s[8:9], s[34:35], -1
	s_and_saveexec_b64 s[24:25], s[8:9]
	s_xor_b64 s[24:25], exec, s[24:25]
	s_cbranch_execz .LBB30_1257
; %bb.1256:                             ;   in Loop: Header=BB30_1243 Depth=2
	v_or_b32_e32 v110, 64, v110
	s_waitcnt lgkmcnt(0)
	ds_write_b32 v0, v0
	s_trap 2
.LBB30_1257:                            ;   in Loop: Header=BB30_1243 Depth=2
	s_or_b64 exec, exec, s[24:25]
.LBB30_1258:                            ;   in Loop: Header=BB30_1243 Depth=2
	s_or_b64 exec, exec, s[28:29]
	v_and_b32_e32 v0, 0x108, v110
	v_cmp_ne_u32_e32 vcc, s42, v0
	v_and_b32_e32 v8, 7, v124
	;;#ASMSTART
	s_wakeup
	;;#ASMEND
	s_and_saveexec_b64 s[8:9], vcc
	s_xor_b64 s[24:25], exec, s[8:9]
                                        ; implicit-def: $vgpr9
; %bb.1259:                             ;   in Loop: Header=BB30_1243 Depth=2
	v_mov_b32_e32 v9, v3
; %bb.1260:                             ;   in Loop: Header=BB30_1243 Depth=2
	s_andn2_saveexec_b64 s[24:25], s[24:25]
	s_cbranch_execz .LBB30_1262
; %bb.1261:                             ;   in Loop: Header=BB30_1243 Depth=2
	scratch_load_dwordx4 v[10:13], off, s33 offset:288 ; 16-byte Folded Reload
	v_ashrrev_i32_e32 v29, 31, v28
	v_mov_b32_e32 v9, v3
	v_lshlrev_b64 v[6:7], 1, v[28:29]
	s_waitcnt vmcnt(0)
	v_mad_u64_u32 v[0:1], s[8:9], v8, 24, v[10:11]
	flat_store_dwordx2 v[0:1], v[6:7] offset:8
.LBB30_1262:                            ;   in Loop: Header=BB30_1243 Depth=2
	s_or_b64 exec, exec, s[24:25]
	v_and_b32_e32 v0, 0x100, v110
	v_cmp_ne_u32_e32 vcc, 0, v0
	s_mov_b64 s[24:25], -1
                                        ; implicit-def: $vgpr10_vgpr11
	s_and_saveexec_b64 s[28:29], vcc
	s_cbranch_execz .LBB30_1266
; %bb.1263:                             ;   in Loop: Header=BB30_1243 Depth=2
	scratch_load_dwordx4 v[10:13], off, s33 offset:288 ; 16-byte Folded Reload
	s_waitcnt vmcnt(0)
	v_mad_u64_u32 v[12:13], s[8:9], v8, 24, v[10:11]
	v_mov_b32_e32 v0, v13
	v_mad_u64_u32 v[0:1], s[8:9], v9, 24, v[0:1]
	v_mov_b32_e32 v13, v0
	flat_load_dword v0, v[12:13]
                                        ; implicit-def: $vgpr10_vgpr11
	s_waitcnt vmcnt(0) lgkmcnt(0)
	v_cmp_ne_u32_e32 vcc, 1, v0
	v_cmp_eq_u32_e64 s[24:25], 1, v0
	s_and_saveexec_b64 s[30:31], s[24:25]
	s_cbranch_execz .LBB30_1265
; %bb.1264:                             ;   in Loop: Header=BB30_1243 Depth=2
	flat_load_dword v0, v[12:13] offset:4 sc0 sc1
	s_waitcnt vmcnt(0) lgkmcnt(0)
	v_ashrrev_i32_e32 v1, 31, v0
	v_lshrrev_b64 v[10:11], 1, v[0:1]
.LBB30_1265:                            ;   in Loop: Header=BB30_1243 Depth=2
	s_or_b64 exec, exec, s[30:31]
	s_orn2_b64 s[24:25], vcc, exec
.LBB30_1266:                            ;   in Loop: Header=BB30_1243 Depth=2
	s_or_b64 exec, exec, s[28:29]
	s_and_saveexec_b64 s[28:29], s[24:25]
	s_cbranch_execz .LBB30_1268
; %bb.1267:                             ;   in Loop: Header=BB30_1243 Depth=2
	scratch_load_dwordx2 v[0:1], off, s33 offset:316 ; 8-byte Folded Reload
	scratch_load_dwordx2 v[10:11], off, s33 offset:324 ; 8-byte Folded Reload
	s_waitcnt vmcnt(0)
	v_mov_b32_e32 v6, v0
	v_mul_lo_u32 v0, v9, v6
	v_mul_lo_u32 v1, v8, v11
	v_mad_u64_u32 v[10:11], s[8:9], v8, v6, 0
	v_add3_u32 v11, v11, v1, v0
.LBB30_1268:                            ;   in Loop: Header=BB30_1243 Depth=2
	s_or_b64 exec, exec, s[28:29]
	v_cmp_eq_u32_e32 vcc, 0, v2
	v_mov_b32_e32 v0, 0x90
	v_mov_b32_e32 v1, 0xd0
	v_cndmask_b32_e32 v2, v1, v0, vcc
	scratch_load_dwordx2 v[0:1], off, s33 offset:280 ; 8-byte Folded Reload
	s_waitcnt vmcnt(0)
	v_lshl_add_u64 v[0:1], v[10:11], 1, v[0:1]
	v_add_u32_e32 v2, v0, v2
	ds_write_b64 v2, v[0:1] offset:584
	v_and_b32_e32 v0, 0x2000, v110
	v_cmp_ne_u32_e32 vcc, 0, v0
	s_and_saveexec_b64 s[24:25], vcc
	s_cbranch_execz .LBB30_1270
; %bb.1269:                             ;   in Loop: Header=BB30_1243 Depth=2
	ds_read_b64 v[0:1], v0 offset:872
	s_waitcnt lgkmcnt(0)
	v_lshl_add_u64 v[0:1], v[0:1], 0, 1
	ds_write_b64 v0, v[0:1] offset:872
.LBB30_1270:                            ;   in Loop: Header=BB30_1243 Depth=2
	s_or_b64 exec, exec, s[24:25]
	v_mov_b64_e32 v[124:125], v[4:5]
.LBB30_1271:                            ;   in Loop: Header=BB30_1243 Depth=2
	s_or_b64 exec, exec, s[26:27]
	s_and_saveexec_b64 s[24:25], s[4:5]
	s_cbranch_execz .LBB30_1290
; %bb.1272:                             ;   in Loop: Header=BB30_1243 Depth=2
	s_and_saveexec_b64 s[8:9], s[44:45]
	s_xor_b64 s[26:27], exec, s[8:9]
	s_cbranch_execz .LBB30_1287
; %bb.1273:                             ;   in Loop: Header=BB30_1243 Depth=2
	s_and_saveexec_b64 s[28:29], s[12:13]
	s_cbranch_execz .LBB30_1286
; %bb.1274:                             ;   in Loop: Header=BB30_1243 Depth=2
	s_mov_b64 s[34:35], exec
	v_mbcnt_lo_u32_b32 v0, s34, 0
	v_mbcnt_hi_u32_b32 v0, s35, v0
	v_cmp_eq_u32_e32 vcc, 0, v0
	s_waitcnt lgkmcnt(0)
	s_and_saveexec_b64 s[30:31], vcc
	s_cbranch_execz .LBB30_1276
; %bb.1275:                             ;   in Loop: Header=BB30_1243 Depth=2
	s_bcnt1_i32_b64 s8, s[34:35]
	v_mov_b32_e32 v2, s8
	ds_add_u64 v0, v[2:3]
	s_trap 2
.LBB30_1276:                            ;   in Loop: Header=BB30_1243 Depth=2
	s_or_b64 exec, exec, s[30:31]
	s_trap 2
	ds_read_b64 v[0:1], v0
	s_waitcnt lgkmcnt(0)
	v_lshl_add_u64 v[46:47], v[46:47], 0, v[60:61]
	v_cmp_lt_u64_e32 vcc, v[0:1], v[46:47]
	s_and_saveexec_b64 s[30:31], vcc
	s_cbranch_execz .LBB30_1285
; %bb.1277:                             ;   in Loop: Header=BB30_1243 Depth=2
	s_mov_b32 s8, 0
	s_mov_b64 s[34:35], 0
                                        ; implicit-def: $sgpr36_sgpr37
                                        ; implicit-def: $sgpr38_sgpr39
	s_branch .LBB30_1279
.LBB30_1278:                            ;   in Loop: Header=BB30_1279 Depth=3
	s_or_b64 exec, exec, s[50:51]
	s_and_b64 vcc, exec, vcc
	s_or_b64 s[34:35], vcc, s[34:35]
	s_andn2_b64 vcc, s[36:37], exec
	s_and_b64 s[36:37], s[38:39], exec
	s_or_b64 s[36:37], vcc, s[36:37]
	s_andn2_b64 exec, exec, s[34:35]
	s_cbranch_execz .LBB30_1283
.LBB30_1279:                            ;   Parent Loop BB30_47 Depth=1
                                        ;     Parent Loop BB30_1243 Depth=2
                                        ; =>    This Inner Loop Header: Depth=3
	s_add_i32 s8, s8, 1
	s_cmpk_lg_i32 s8, 0x2710
	s_cselect_b64 s[48:49], -1, 0
	s_and_b64 vcc, exec, s[48:49]
	s_cbranch_vccz .LBB30_1281
; %bb.1280:                             ;   in Loop: Header=BB30_1279 Depth=3
	s_mov_b64 vcc, -1
	s_or_b64 s[38:39], s[38:39], exec
	s_and_saveexec_b64 s[50:51], s[48:49]
	s_cbranch_execz .LBB30_1278
	s_branch .LBB30_1282
.LBB30_1281:                            ;   in Loop: Header=BB30_1279 Depth=3
	s_trap 2
	ds_read_b64 v[0:1], v0
	s_andn2_b64 s[48:49], s[48:49], exec
	s_mov_b32 s8, 0
	s_waitcnt lgkmcnt(0)
	flat_load_dword v0, v[0:1] sc0 sc1
	s_waitcnt vmcnt(0) lgkmcnt(0)
	buffer_inv sc0 sc1
	v_cmp_eq_u32_e32 vcc, 0, v0
	s_and_b64 vcc, vcc, exec
	s_or_b64 s[48:49], s[48:49], vcc
	s_mov_b64 vcc, -1
	s_or_b64 s[38:39], s[38:39], exec
	s_and_saveexec_b64 s[50:51], s[48:49]
	s_cbranch_execz .LBB30_1278
.LBB30_1282:                            ;   in Loop: Header=BB30_1279 Depth=3
	s_sleep 1
	s_trap 2
	ds_read_b64 v[0:1], v0
	s_waitcnt lgkmcnt(0)
	s_andn2_b64 s[38:39], s[38:39], exec
	v_cmp_ge_u64_e32 vcc, v[0:1], v[46:47]
	s_orn2_b64 vcc, vcc, exec
	s_branch .LBB30_1278
.LBB30_1283:                            ;   in Loop: Header=BB30_1243 Depth=2
	s_or_b64 exec, exec, s[34:35]
	s_and_saveexec_b64 s[8:9], s[36:37]
	s_xor_b64 s[8:9], exec, s[8:9]
	s_cbranch_execz .LBB30_1285
; %bb.1284:                             ;   in Loop: Header=BB30_1243 Depth=2
	v_mov_b32_e32 v0, 1
	ds_write_b32 v0, v0
	s_trap 2
.LBB30_1285:                            ;   in Loop: Header=BB30_1243 Depth=2
	s_or_b64 exec, exec, s[30:31]
	;;#ASMSTART
	s_wakeup
	;;#ASMEND
.LBB30_1286:                            ;   in Loop: Header=BB30_1243 Depth=2
	s_or_b64 exec, exec, s[28:29]
.LBB30_1287:                            ;   in Loop: Header=BB30_1243 Depth=2
	s_andn2_saveexec_b64 s[26:27], s[26:27]
	s_cbranch_execz .LBB30_1289
; %bb.1288:                             ;   in Loop: Header=BB30_1243 Depth=2
	s_waitcnt lgkmcnt(0)
	s_barrier
.LBB30_1289:                            ;   in Loop: Header=BB30_1243 Depth=2
	s_or_b64 exec, exec, s[26:27]
.LBB30_1290:                            ;   in Loop: Header=BB30_1243 Depth=2
	s_or_b64 exec, exec, s[24:25]
	s_trap 2
	ds_read_b32 v0, v0
	v_and_b32_e32 v1, 0x4000, v110
	v_cmp_ne_u32_e32 vcc, 0, v1
	s_xor_b64 s[8:9], s[2:3], -1
	s_and_b64 s[8:9], s[8:9], vcc
	s_and_saveexec_b64 s[24:25], s[8:9]
	s_cbranch_execz .LBB30_1309
; %bb.1291:                             ;   in Loop: Header=BB30_1243 Depth=2
	s_and_saveexec_b64 s[8:9], s[44:45]
	s_xor_b64 s[26:27], exec, s[8:9]
	s_cbranch_execz .LBB30_1306
; %bb.1292:                             ;   in Loop: Header=BB30_1243 Depth=2
	s_and_saveexec_b64 s[28:29], s[12:13]
	s_cbranch_execz .LBB30_1305
; %bb.1293:                             ;   in Loop: Header=BB30_1243 Depth=2
	s_mov_b64 s[34:35], exec
	v_mbcnt_lo_u32_b32 v1, s34, 0
	v_mbcnt_hi_u32_b32 v1, s35, v1
	v_cmp_eq_u32_e32 vcc, 0, v1
	s_waitcnt lgkmcnt(0)
	s_and_saveexec_b64 s[30:31], vcc
	s_cbranch_execz .LBB30_1295
; %bb.1294:                             ;   in Loop: Header=BB30_1243 Depth=2
	s_bcnt1_i32_b64 s8, s[34:35]
	v_mov_b32_e32 v2, s8
	ds_add_u64 v0, v[2:3]
	s_trap 2
.LBB30_1295:                            ;   in Loop: Header=BB30_1243 Depth=2
	s_or_b64 exec, exec, s[30:31]
	s_trap 2
	ds_read_b64 v[4:5], v0
	s_waitcnt lgkmcnt(0)
	v_lshl_add_u64 v[46:47], v[46:47], 0, v[60:61]
	v_cmp_lt_u64_e32 vcc, v[4:5], v[46:47]
	s_and_saveexec_b64 s[30:31], vcc
	s_cbranch_execz .LBB30_1304
; %bb.1296:                             ;   in Loop: Header=BB30_1243 Depth=2
	s_mov_b32 s8, 0
	s_mov_b64 s[34:35], 0
                                        ; implicit-def: $sgpr36_sgpr37
                                        ; implicit-def: $sgpr38_sgpr39
	s_branch .LBB30_1298
.LBB30_1297:                            ;   in Loop: Header=BB30_1298 Depth=3
	s_or_b64 exec, exec, s[50:51]
	s_and_b64 vcc, exec, vcc
	s_or_b64 s[34:35], vcc, s[34:35]
	s_andn2_b64 vcc, s[36:37], exec
	s_and_b64 s[36:37], s[38:39], exec
	s_or_b64 s[36:37], vcc, s[36:37]
	s_andn2_b64 exec, exec, s[34:35]
	s_cbranch_execz .LBB30_1302
.LBB30_1298:                            ;   Parent Loop BB30_47 Depth=1
                                        ;     Parent Loop BB30_1243 Depth=2
                                        ; =>    This Inner Loop Header: Depth=3
	s_add_i32 s8, s8, 1
	s_cmpk_lg_i32 s8, 0x2710
	s_cselect_b64 s[48:49], -1, 0
	s_and_b64 vcc, exec, s[48:49]
	s_cbranch_vccz .LBB30_1300
; %bb.1299:                             ;   in Loop: Header=BB30_1298 Depth=3
	s_mov_b64 vcc, -1
	s_or_b64 s[38:39], s[38:39], exec
	s_and_saveexec_b64 s[50:51], s[48:49]
	s_cbranch_execz .LBB30_1297
	s_branch .LBB30_1301
.LBB30_1300:                            ;   in Loop: Header=BB30_1298 Depth=3
	s_trap 2
	ds_read_b64 v[4:5], v0
	s_andn2_b64 s[48:49], s[48:49], exec
	s_mov_b32 s8, 0
	s_waitcnt lgkmcnt(0)
	flat_load_dword v1, v[4:5] sc0 sc1
	s_waitcnt vmcnt(0) lgkmcnt(0)
	buffer_inv sc0 sc1
	v_cmp_eq_u32_e32 vcc, 0, v1
	s_and_b64 vcc, vcc, exec
	s_or_b64 s[48:49], s[48:49], vcc
	s_mov_b64 vcc, -1
	s_or_b64 s[38:39], s[38:39], exec
	s_and_saveexec_b64 s[50:51], s[48:49]
	s_cbranch_execz .LBB30_1297
.LBB30_1301:                            ;   in Loop: Header=BB30_1298 Depth=3
	s_sleep 1
	s_trap 2
	ds_read_b64 v[4:5], v0
	s_waitcnt lgkmcnt(0)
	s_andn2_b64 s[38:39], s[38:39], exec
	v_cmp_ge_u64_e32 vcc, v[4:5], v[46:47]
	s_orn2_b64 vcc, vcc, exec
	s_branch .LBB30_1297
.LBB30_1302:                            ;   in Loop: Header=BB30_1243 Depth=2
	s_or_b64 exec, exec, s[34:35]
	s_and_saveexec_b64 s[8:9], s[36:37]
	s_xor_b64 s[8:9], exec, s[8:9]
	s_cbranch_execz .LBB30_1304
; %bb.1303:                             ;   in Loop: Header=BB30_1243 Depth=2
	v_mov_b32_e32 v1, 1
	ds_write_b32 v0, v1
	s_trap 2
.LBB30_1304:                            ;   in Loop: Header=BB30_1243 Depth=2
	s_or_b64 exec, exec, s[30:31]
	;;#ASMSTART
	s_wakeup
	;;#ASMEND
.LBB30_1305:                            ;   in Loop: Header=BB30_1243 Depth=2
	s_or_b64 exec, exec, s[28:29]
.LBB30_1306:                            ;   in Loop: Header=BB30_1243 Depth=2
	s_andn2_saveexec_b64 s[26:27], s[26:27]
	s_cbranch_execz .LBB30_1308
; %bb.1307:                             ;   in Loop: Header=BB30_1243 Depth=2
	s_waitcnt lgkmcnt(0)
	s_barrier
.LBB30_1308:                            ;   in Loop: Header=BB30_1243 Depth=2
	s_or_b64 exec, exec, s[26:27]
.LBB30_1309:                            ;   in Loop: Header=BB30_1243 Depth=2
	s_or_b64 exec, exec, s[24:25]
	s_trap 2
	s_waitcnt vmcnt(0) lgkmcnt(0)
	ds_read_b64 v[120:121], v0
	s_waitcnt lgkmcnt(0)
	v_cmp_eq_u64_e32 vcc, 0, v[120:121]
	s_cbranch_vccnz .LBB30_1583
; %bb.1310:                             ;   in Loop: Header=BB30_1243 Depth=2
	s_trap 2
	ds_read_b64 v[32:33], v0
	s_waitcnt lgkmcnt(0)
	v_cmp_eq_u64_e32 vcc, 0, v[32:33]
	s_cbranch_vccnz .LBB30_1583
; %bb.1311:                             ;   in Loop: Header=BB30_1243 Depth=2
	s_trap 2
	ds_read_b64 v[34:35], v0
	v_cmp_eq_u32_e32 vcc, 0, v0
	s_mov_b64 s[24:25], -1
	s_waitcnt lgkmcnt(0)
	v_readfirstlane_b32 s75, v34
	v_cndmask_b32_e32 v2, 0, v28, vcc
	v_cmp_ne_u64_e32 vcc, 0, v[34:35]
	v_lshlrev_b32_e32 v29, 1, v2
	s_cbranch_vccz .LBB30_2075
; %bb.1312:                             ;   in Loop: Header=BB30_1243 Depth=2
	s_and_saveexec_b64 s[26:27], s[18:19]
	s_cbranch_execz .LBB30_1314
; %bb.1313:                             ;   in Loop: Header=BB30_1243 Depth=2
	ds_read_b32 v0, v0 offset:720
	s_waitcnt lgkmcnt(0)
	v_and_b32_e32 v0, 15, v0
	v_cmp_eq_u32_e32 vcc, 0, v0
	s_orn2_b64 s[24:25], vcc, exec
.LBB30_1314:                            ;   in Loop: Header=BB30_1243 Depth=2
	s_or_b64 exec, exec, s[26:27]
	s_and_saveexec_b64 s[26:27], s[18:19]
	s_cbranch_execz .LBB30_1316
; %bb.1315:                             ;   in Loop: Header=BB30_1243 Depth=2
	ds_read_b32 v0, v0 offset:784
	s_waitcnt lgkmcnt(0)
	v_and_b32_e32 v0, 15, v0
	v_cmp_eq_u32_e32 vcc, 0, v0
	s_and_b64 s[8:9], s[24:25], vcc
	s_andn2_b64 s[24:25], s[24:25], exec
	s_and_b64 s[8:9], s[8:9], exec
	s_or_b64 s[24:25], s[24:25], s[8:9]
.LBB30_1316:                            ;   in Loop: Header=BB30_1243 Depth=2
	s_or_b64 exec, exec, s[26:27]
	s_xor_b64 s[8:9], s[24:25], -1
	v_cndmask_b32_e64 v0, 0, 1, s[8:9]
	s_mov_b64 s[26:27], -1
	v_cmp_ne_u32_e32 vcc, 0, v0
	s_cbranch_vccz .LBB30_1584
; %bb.1317:                             ;   in Loop: Header=BB30_1243 Depth=2
	s_and_b32 s64, s75, 1
	s_mov_b64 s[30:31], -1
	v_mov_b32_e32 v1, 0
	s_cbranch_execnz .LBB30_1585
.LBB30_1318:                            ;   in Loop: Header=BB30_1243 Depth=2
	v_ashrrev_i32_e32 v0, 31, v29
	v_lshrrev_b32_e32 v0, 20, v0
	v_add_u32_e32 v0, v29, v0
	v_ashrrev_i32_e32 v1, 12, v0
	scratch_load_dword v0, off, s33 offset:312 ; 4-byte Folded Reload
	scratch_load_dwordx2 v[4:5], off, s33 offset:356 ; 8-byte Folded Reload
	s_and_b32 s64, s75, 1
	s_mov_b64 s[24:25], 0
	scratch_store_dwordx2 off, v[32:33], s33 offset:364 ; 8-byte Folded Spill
	scratch_store_dwordx2 off, v[34:35], s33 offset:412 ; 8-byte Folded Spill
                                        ; implicit-def: $vgpr80_vgpr81
                                        ; implicit-def: $vgpr36_vgpr37
                                        ; implicit-def: $vgpr24_vgpr25
                                        ; implicit-def: $vgpr12_vgpr13
                                        ; implicit-def: $vgpr20_vgpr21
                                        ; implicit-def: $vgpr16_vgpr17
                                        ; implicit-def: $vgpr8_vgpr9
	s_waitcnt vmcnt(3)
	v_lshrrev_b32_e32 v0, 6, v0
	v_sub_u32_e32 v0, v1, v0
	s_waitcnt vmcnt(2)
	v_lshl_add_u64 v[116:117], v[32:33], 0, v[4:5]
	v_lshl_add_u64 v[72:73], v[34:35], 0, v[4:5]
	v_cmp_lt_i32_e32 vcc, 0, v0
                                        ; implicit-def: $vgpr32_vgpr33
	s_and_saveexec_b64 s[26:27], vcc
	s_cbranch_execz .LBB30_1587
; %bb.1319:                             ;   in Loop: Header=BB30_1243 Depth=2
	s_trap 2
	scratch_load_dwordx2 v[6:7], off, s33 offset:356 ; 8-byte Folded Reload
	ds_read_b64 v[4:5], v0
	s_and_b32 s8, 0xffff, s64
	s_cmp_eq_u32 s8, 0
	scratch_store_dwordx2 off, v[120:121], s33 offset:420 ; 8-byte Folded Spill
	s_mov_b64 s[36:37], 0
	s_mov_b64 s[28:29], 0
	s_cselect_b64 vcc, -1, 0
                                        ; implicit-def: $sgpr34_sgpr35
                                        ; implicit-def: $vgpr80_vgpr81
                                        ; implicit-def: $vgpr36_vgpr37
                                        ; implicit-def: $vgpr24_vgpr25
                                        ; implicit-def: $vgpr12_vgpr13
                                        ; implicit-def: $vgpr32_vgpr33
                                        ; implicit-def: $vgpr20_vgpr21
                                        ; implicit-def: $vgpr16_vgpr17
                                        ; implicit-def: $vgpr8_vgpr9
	s_waitcnt vmcnt(1)
	v_lshl_add_u64 v[120:121], v[120:121], 0, v[6:7]
	s_waitcnt lgkmcnt(0)
	v_lshl_add_u64 v[4:5], v[4:5], 0, v[6:7]
	s_branch .LBB30_1321
.LBB30_1320:                            ;   in Loop: Header=BB30_1321 Depth=3
	s_or_b64 exec, exec, s[24:25]
	v_cmp_gt_i32_e64 s[24:25], 1, v0
	s_or_b64 s[28:29], s[24:25], s[28:29]
	s_andn2_b64 s[8:9], s[34:35], exec
	s_and_b64 s[24:25], s[36:37], exec
	s_or_b64 s[34:35], s[8:9], s[24:25]
	s_andn2_b64 exec, exec, s[28:29]
	s_cbranch_execz .LBB30_1586
.LBB30_1321:                            ;   Parent Loop BB30_47 Depth=1
                                        ;     Parent Loop BB30_1243 Depth=2
                                        ; =>    This Inner Loop Header: Depth=3
	global_load_dwordx4 v[100:103], v[120:121], off nt
	global_load_dwordx4 v[84:87], v[120:121], off offset:1024 nt
	global_load_dwordx4 v[64:67], v[120:121], off offset:2048 nt
	;; [unrolled: 1-line block ×3, first 2 shown]
	global_load_dwordx4 v[112:115], v[4:5], off nt
	global_load_dwordx4 v[96:99], v[4:5], off offset:1024 nt
	global_load_dwordx4 v[68:71], v[4:5], off offset:2048 nt
	;; [unrolled: 1-line block ×3, first 2 shown]
	s_and_saveexec_b64 s[38:39], s[36:37]
	s_cbranch_execz .LBB30_1451
; %bb.1322:                             ;   in Loop: Header=BB30_1321 Depth=3
	v_lshlrev_b32_e32 v6, 16, v80
	v_lshlrev_b32_e32 v7, 16, v32
	v_max_f32_e32 v7, v7, v7
	v_max_f32_e32 v6, v6, v6
	v_min_f32_e32 v30, v6, v7
	v_max_f32_e32 v6, v6, v7
	v_cndmask_b32_e32 v6, v6, v30, vcc
	v_and_b32_e32 v7, 0x7f800000, v6
	v_cmp_ne_u32_e64 s[24:25], s43, v7
                                        ; implicit-def: $vgpr118
	s_and_saveexec_b64 s[8:9], s[24:25]
	s_xor_b64 s[24:25], exec, s[8:9]
; %bb.1323:                             ;   in Loop: Header=BB30_1321 Depth=3
	v_bfe_u32 v7, v6, 16, 1
	v_add3_u32 v118, v6, v7, s40
                                        ; implicit-def: $vgpr6
; %bb.1324:                             ;   in Loop: Header=BB30_1321 Depth=3
	s_andn2_saveexec_b64 s[36:37], s[24:25]
; %bb.1325:                             ;   in Loop: Header=BB30_1321 Depth=3
	v_or_b32_e32 v7, 0x10000, v6
	v_cmp_eq_u32_sdwa s[24:25], v6, v3 src0_sel:WORD_0 src1_sel:DWORD
	s_nop 1
	v_cndmask_b32_e64 v118, v7, v6, s[24:25]
; %bb.1326:                             ;   in Loop: Header=BB30_1321 Depth=3
	s_or_b64 exec, exec, s[36:37]
	v_and_b32_e32 v6, 0xffff0000, v80
	v_and_b32_e32 v7, 0xffff0000, v32
	v_max_f32_e32 v7, v7, v7
	v_max_f32_e32 v6, v6, v6
	v_min_f32_e32 v30, v6, v7
	v_max_f32_e32 v6, v6, v7
	v_cndmask_b32_e32 v6, v6, v30, vcc
	v_and_b32_e32 v7, 0x7f800000, v6
	v_cmp_ne_u32_e64 s[24:25], s43, v7
                                        ; implicit-def: $vgpr80
	s_and_saveexec_b64 s[8:9], s[24:25]
	s_xor_b64 s[24:25], exec, s[8:9]
; %bb.1327:                             ;   in Loop: Header=BB30_1321 Depth=3
	v_bfe_u32 v7, v6, 16, 1
	v_add3_u32 v80, v6, v7, s40
                                        ; implicit-def: $vgpr6
; %bb.1328:                             ;   in Loop: Header=BB30_1321 Depth=3
	s_andn2_saveexec_b64 s[36:37], s[24:25]
; %bb.1329:                             ;   in Loop: Header=BB30_1321 Depth=3
	v_or_b32_e32 v7, 0x10000, v6
	v_cmp_eq_u32_sdwa s[24:25], v6, v3 src0_sel:WORD_0 src1_sel:DWORD
	s_nop 1
	v_cndmask_b32_e64 v80, v7, v6, s[24:25]
; %bb.1330:                             ;   in Loop: Header=BB30_1321 Depth=3
	s_or_b64 exec, exec, s[36:37]
	v_lshlrev_b32_e32 v6, 16, v81
	v_lshlrev_b32_e32 v7, 16, v33
	v_max_f32_e32 v7, v7, v7
	v_max_f32_e32 v6, v6, v6
	v_min_f32_e32 v30, v6, v7
	v_max_f32_e32 v6, v6, v7
	v_cndmask_b32_e32 v6, v6, v30, vcc
	v_and_b32_e32 v7, 0x7f800000, v6
	v_cmp_ne_u32_e64 s[24:25], s43, v7
                                        ; implicit-def: $vgpr119
	s_and_saveexec_b64 s[8:9], s[24:25]
	s_xor_b64 s[24:25], exec, s[8:9]
; %bb.1331:                             ;   in Loop: Header=BB30_1321 Depth=3
	v_bfe_u32 v7, v6, 16, 1
	v_add3_u32 v119, v6, v7, s40
                                        ; implicit-def: $vgpr6
; %bb.1332:                             ;   in Loop: Header=BB30_1321 Depth=3
	s_andn2_saveexec_b64 s[36:37], s[24:25]
; %bb.1333:                             ;   in Loop: Header=BB30_1321 Depth=3
	v_or_b32_e32 v7, 0x10000, v6
	v_cmp_eq_u32_sdwa s[24:25], v6, v3 src0_sel:WORD_0 src1_sel:DWORD
	s_nop 1
	v_cndmask_b32_e64 v119, v7, v6, s[24:25]
; %bb.1334:                             ;   in Loop: Header=BB30_1321 Depth=3
	s_or_b64 exec, exec, s[36:37]
	v_and_b32_e32 v6, 0xffff0000, v81
	v_and_b32_e32 v7, 0xffff0000, v33
	v_max_f32_e32 v7, v7, v7
	v_max_f32_e32 v6, v6, v6
	v_min_f32_e32 v30, v6, v7
	v_max_f32_e32 v6, v6, v7
	v_cndmask_b32_e32 v6, v6, v30, vcc
	v_and_b32_e32 v7, 0x7f800000, v6
	v_cmp_ne_u32_e64 s[24:25], s43, v7
                                        ; implicit-def: $vgpr81
	s_and_saveexec_b64 s[8:9], s[24:25]
	s_xor_b64 s[24:25], exec, s[8:9]
; %bb.1335:                             ;   in Loop: Header=BB30_1321 Depth=3
	v_bfe_u32 v7, v6, 16, 1
	v_add3_u32 v81, v6, v7, s40
                                        ; implicit-def: $vgpr6
; %bb.1336:                             ;   in Loop: Header=BB30_1321 Depth=3
	s_andn2_saveexec_b64 s[36:37], s[24:25]
; %bb.1337:                             ;   in Loop: Header=BB30_1321 Depth=3
	v_or_b32_e32 v7, 0x10000, v6
	v_cmp_eq_u32_sdwa s[24:25], v6, v3 src0_sel:WORD_0 src1_sel:DWORD
	s_nop 1
	v_cndmask_b32_e64 v81, v7, v6, s[24:25]
; %bb.1338:                             ;   in Loop: Header=BB30_1321 Depth=3
	s_or_b64 exec, exec, s[36:37]
	v_lshlrev_b32_e32 v6, 16, v82
	v_lshlrev_b32_e32 v7, 16, v34
	v_max_f32_e32 v7, v7, v7
	v_max_f32_e32 v6, v6, v6
	v_min_f32_e32 v30, v6, v7
	v_max_f32_e32 v6, v6, v7
	v_cndmask_b32_e32 v6, v6, v30, vcc
	v_and_b32_e32 v7, 0x7f800000, v6
	v_cmp_ne_u32_e64 s[24:25], s43, v7
                                        ; implicit-def: $vgpr58
	s_and_saveexec_b64 s[8:9], s[24:25]
	s_xor_b64 s[24:25], exec, s[8:9]
; %bb.1339:                             ;   in Loop: Header=BB30_1321 Depth=3
	v_bfe_u32 v7, v6, 16, 1
	v_add3_u32 v58, v6, v7, s40
                                        ; implicit-def: $vgpr6
; %bb.1340:                             ;   in Loop: Header=BB30_1321 Depth=3
	s_andn2_saveexec_b64 s[36:37], s[24:25]
; %bb.1341:                             ;   in Loop: Header=BB30_1321 Depth=3
	v_or_b32_e32 v7, 0x10000, v6
	v_cmp_eq_u32_sdwa s[24:25], v6, v3 src0_sel:WORD_0 src1_sel:DWORD
	s_nop 1
	v_cndmask_b32_e64 v58, v7, v6, s[24:25]
; %bb.1342:                             ;   in Loop: Header=BB30_1321 Depth=3
	s_or_b64 exec, exec, s[36:37]
	v_and_b32_e32 v6, 0xffff0000, v82
	v_and_b32_e32 v7, 0xffff0000, v34
	v_max_f32_e32 v7, v7, v7
	v_max_f32_e32 v6, v6, v6
	v_min_f32_e32 v30, v6, v7
	v_max_f32_e32 v6, v6, v7
	v_cndmask_b32_e32 v6, v6, v30, vcc
	v_and_b32_e32 v7, 0x7f800000, v6
	v_cmp_ne_u32_e64 s[24:25], s43, v7
                                        ; implicit-def: $vgpr82
	s_and_saveexec_b64 s[8:9], s[24:25]
	s_xor_b64 s[24:25], exec, s[8:9]
; %bb.1343:                             ;   in Loop: Header=BB30_1321 Depth=3
	v_bfe_u32 v7, v6, 16, 1
	v_add3_u32 v82, v6, v7, s40
                                        ; implicit-def: $vgpr6
; %bb.1344:                             ;   in Loop: Header=BB30_1321 Depth=3
	s_andn2_saveexec_b64 s[36:37], s[24:25]
; %bb.1345:                             ;   in Loop: Header=BB30_1321 Depth=3
	v_or_b32_e32 v7, 0x10000, v6
	v_cmp_eq_u32_sdwa s[24:25], v6, v3 src0_sel:WORD_0 src1_sel:DWORD
	s_nop 1
	v_cndmask_b32_e64 v82, v7, v6, s[24:25]
; %bb.1346:                             ;   in Loop: Header=BB30_1321 Depth=3
	s_or_b64 exec, exec, s[36:37]
	v_lshlrev_b32_e32 v6, 16, v83
	v_lshlrev_b32_e32 v7, 16, v35
	v_max_f32_e32 v7, v7, v7
	v_max_f32_e32 v6, v6, v6
	v_min_f32_e32 v30, v6, v7
	v_max_f32_e32 v6, v6, v7
	v_cndmask_b32_e32 v6, v6, v30, vcc
	v_and_b32_e32 v7, 0x7f800000, v6
	v_cmp_ne_u32_e64 s[24:25], s43, v7
                                        ; implicit-def: $vgpr59
	s_and_saveexec_b64 s[8:9], s[24:25]
	s_xor_b64 s[24:25], exec, s[8:9]
; %bb.1347:                             ;   in Loop: Header=BB30_1321 Depth=3
	v_bfe_u32 v7, v6, 16, 1
	v_add3_u32 v59, v6, v7, s40
                                        ; implicit-def: $vgpr6
; %bb.1348:                             ;   in Loop: Header=BB30_1321 Depth=3
	s_andn2_saveexec_b64 s[36:37], s[24:25]
; %bb.1349:                             ;   in Loop: Header=BB30_1321 Depth=3
	v_or_b32_e32 v7, 0x10000, v6
	v_cmp_eq_u32_sdwa s[24:25], v6, v3 src0_sel:WORD_0 src1_sel:DWORD
	s_nop 1
	v_cndmask_b32_e64 v59, v7, v6, s[24:25]
; %bb.1350:                             ;   in Loop: Header=BB30_1321 Depth=3
	s_or_b64 exec, exec, s[36:37]
	v_and_b32_e32 v6, 0xffff0000, v83
	v_and_b32_e32 v7, 0xffff0000, v35
	v_max_f32_e32 v7, v7, v7
	v_max_f32_e32 v6, v6, v6
	v_min_f32_e32 v30, v6, v7
	v_max_f32_e32 v6, v6, v7
	v_cndmask_b32_e32 v6, v6, v30, vcc
	v_and_b32_e32 v7, 0x7f800000, v6
	v_cmp_ne_u32_e64 s[24:25], s43, v7
                                        ; implicit-def: $vgpr83
	s_and_saveexec_b64 s[8:9], s[24:25]
	s_xor_b64 s[24:25], exec, s[8:9]
; %bb.1351:                             ;   in Loop: Header=BB30_1321 Depth=3
	v_bfe_u32 v7, v6, 16, 1
	v_add3_u32 v83, v6, v7, s40
                                        ; implicit-def: $vgpr6
; %bb.1352:                             ;   in Loop: Header=BB30_1321 Depth=3
	s_andn2_saveexec_b64 s[36:37], s[24:25]
; %bb.1353:                             ;   in Loop: Header=BB30_1321 Depth=3
	v_or_b32_e32 v7, 0x10000, v6
	v_cmp_eq_u32_sdwa s[24:25], v6, v3 src0_sel:WORD_0 src1_sel:DWORD
	s_nop 1
	v_cndmask_b32_e64 v83, v7, v6, s[24:25]
; %bb.1354:                             ;   in Loop: Header=BB30_1321 Depth=3
	s_or_b64 exec, exec, s[36:37]
	v_lshlrev_b32_e32 v6, 16, v36
	v_lshlrev_b32_e32 v7, 16, v20
	v_max_f32_e32 v7, v7, v7
	v_max_f32_e32 v6, v6, v6
	v_min_f32_e32 v30, v6, v7
	v_max_f32_e32 v6, v6, v7
	v_cndmask_b32_e32 v6, v6, v30, vcc
	v_and_b32_e32 v7, 0x7f800000, v6
	v_cmp_ne_u32_e64 s[24:25], s43, v7
                                        ; implicit-def: $vgpr63
	s_and_saveexec_b64 s[8:9], s[24:25]
	s_xor_b64 s[24:25], exec, s[8:9]
; %bb.1355:                             ;   in Loop: Header=BB30_1321 Depth=3
	v_bfe_u32 v7, v6, 16, 1
	v_add3_u32 v63, v6, v7, s40
                                        ; implicit-def: $vgpr6
; %bb.1356:                             ;   in Loop: Header=BB30_1321 Depth=3
	s_andn2_saveexec_b64 s[36:37], s[24:25]
; %bb.1357:                             ;   in Loop: Header=BB30_1321 Depth=3
	v_or_b32_e32 v7, 0x10000, v6
	v_cmp_eq_u32_sdwa s[24:25], v6, v3 src0_sel:WORD_0 src1_sel:DWORD
	s_nop 1
	v_cndmask_b32_e64 v63, v7, v6, s[24:25]
; %bb.1358:                             ;   in Loop: Header=BB30_1321 Depth=3
	s_or_b64 exec, exec, s[36:37]
	v_and_b32_e32 v6, 0xffff0000, v36
	v_and_b32_e32 v7, 0xffff0000, v20
	v_max_f32_e32 v7, v7, v7
	v_max_f32_e32 v6, v6, v6
	v_min_f32_e32 v30, v6, v7
	v_max_f32_e32 v6, v6, v7
	v_cndmask_b32_e32 v6, v6, v30, vcc
	v_and_b32_e32 v7, 0x7f800000, v6
	v_cmp_ne_u32_e64 s[24:25], s43, v7
                                        ; implicit-def: $vgpr36
	s_and_saveexec_b64 s[8:9], s[24:25]
	s_xor_b64 s[24:25], exec, s[8:9]
; %bb.1359:                             ;   in Loop: Header=BB30_1321 Depth=3
	v_bfe_u32 v7, v6, 16, 1
	v_add3_u32 v36, v6, v7, s40
                                        ; implicit-def: $vgpr6
; %bb.1360:                             ;   in Loop: Header=BB30_1321 Depth=3
	s_andn2_saveexec_b64 s[36:37], s[24:25]
; %bb.1361:                             ;   in Loop: Header=BB30_1321 Depth=3
	v_or_b32_e32 v7, 0x10000, v6
	v_cmp_eq_u32_sdwa s[24:25], v6, v3 src0_sel:WORD_0 src1_sel:DWORD
	s_nop 1
	v_cndmask_b32_e64 v36, v7, v6, s[24:25]
; %bb.1362:                             ;   in Loop: Header=BB30_1321 Depth=3
	s_or_b64 exec, exec, s[36:37]
	v_lshlrev_b32_e32 v6, 16, v37
	v_lshlrev_b32_e32 v7, 16, v21
	v_max_f32_e32 v7, v7, v7
	v_max_f32_e32 v6, v6, v6
	v_min_f32_e32 v30, v6, v7
	v_max_f32_e32 v6, v6, v7
	v_cndmask_b32_e32 v6, v6, v30, vcc
	v_and_b32_e32 v7, 0x7f800000, v6
	v_cmp_ne_u32_e64 s[24:25], s43, v7
                                        ; implicit-def: $vgpr44
	s_and_saveexec_b64 s[8:9], s[24:25]
	s_xor_b64 s[24:25], exec, s[8:9]
; %bb.1363:                             ;   in Loop: Header=BB30_1321 Depth=3
	v_bfe_u32 v7, v6, 16, 1
	v_add3_u32 v44, v6, v7, s40
                                        ; implicit-def: $vgpr6
; %bb.1364:                             ;   in Loop: Header=BB30_1321 Depth=3
	s_andn2_saveexec_b64 s[36:37], s[24:25]
; %bb.1365:                             ;   in Loop: Header=BB30_1321 Depth=3
	v_or_b32_e32 v7, 0x10000, v6
	v_cmp_eq_u32_sdwa s[24:25], v6, v3 src0_sel:WORD_0 src1_sel:DWORD
	s_nop 1
	v_cndmask_b32_e64 v44, v7, v6, s[24:25]
; %bb.1366:                             ;   in Loop: Header=BB30_1321 Depth=3
	s_or_b64 exec, exec, s[36:37]
	v_and_b32_e32 v6, 0xffff0000, v37
	v_and_b32_e32 v7, 0xffff0000, v21
	v_max_f32_e32 v7, v7, v7
	v_max_f32_e32 v6, v6, v6
	v_min_f32_e32 v30, v6, v7
	v_max_f32_e32 v6, v6, v7
	v_cndmask_b32_e32 v6, v6, v30, vcc
	v_and_b32_e32 v7, 0x7f800000, v6
	v_cmp_ne_u32_e64 s[24:25], s43, v7
                                        ; implicit-def: $vgpr37
	s_and_saveexec_b64 s[8:9], s[24:25]
	s_xor_b64 s[24:25], exec, s[8:9]
; %bb.1367:                             ;   in Loop: Header=BB30_1321 Depth=3
	v_bfe_u32 v7, v6, 16, 1
	v_add3_u32 v37, v6, v7, s40
                                        ; implicit-def: $vgpr6
; %bb.1368:                             ;   in Loop: Header=BB30_1321 Depth=3
	s_andn2_saveexec_b64 s[36:37], s[24:25]
; %bb.1369:                             ;   in Loop: Header=BB30_1321 Depth=3
	v_or_b32_e32 v7, 0x10000, v6
	v_cmp_eq_u32_sdwa s[24:25], v6, v3 src0_sel:WORD_0 src1_sel:DWORD
	s_nop 1
	v_cndmask_b32_e64 v37, v7, v6, s[24:25]
; %bb.1370:                             ;   in Loop: Header=BB30_1321 Depth=3
	s_or_b64 exec, exec, s[36:37]
	v_lshlrev_b32_e32 v6, 16, v38
	v_lshlrev_b32_e32 v7, 16, v22
	v_max_f32_e32 v7, v7, v7
	v_max_f32_e32 v6, v6, v6
	v_min_f32_e32 v30, v6, v7
	v_max_f32_e32 v6, v6, v7
	v_cndmask_b32_e32 v6, v6, v30, vcc
	v_and_b32_e32 v7, 0x7f800000, v6
	v_cmp_ne_u32_e64 s[24:25], s43, v7
                                        ; implicit-def: $vgpr45
	s_and_saveexec_b64 s[8:9], s[24:25]
	s_xor_b64 s[24:25], exec, s[8:9]
; %bb.1371:                             ;   in Loop: Header=BB30_1321 Depth=3
	v_bfe_u32 v7, v6, 16, 1
	v_add3_u32 v45, v6, v7, s40
                                        ; implicit-def: $vgpr6
; %bb.1372:                             ;   in Loop: Header=BB30_1321 Depth=3
	s_andn2_saveexec_b64 s[36:37], s[24:25]
; %bb.1373:                             ;   in Loop: Header=BB30_1321 Depth=3
	v_or_b32_e32 v7, 0x10000, v6
	v_cmp_eq_u32_sdwa s[24:25], v6, v3 src0_sel:WORD_0 src1_sel:DWORD
	s_nop 1
	v_cndmask_b32_e64 v45, v7, v6, s[24:25]
; %bb.1374:                             ;   in Loop: Header=BB30_1321 Depth=3
	s_or_b64 exec, exec, s[36:37]
	v_and_b32_e32 v6, 0xffff0000, v38
	v_and_b32_e32 v7, 0xffff0000, v22
	v_max_f32_e32 v7, v7, v7
	v_max_f32_e32 v6, v6, v6
	v_min_f32_e32 v30, v6, v7
	v_max_f32_e32 v6, v6, v7
	v_cndmask_b32_e32 v7, v6, v30, vcc
	v_and_b32_e32 v6, 0x7f800000, v7
	v_cmp_ne_u32_e64 s[24:25], s43, v6
                                        ; implicit-def: $vgpr6
	s_and_saveexec_b64 s[8:9], s[24:25]
	s_xor_b64 s[24:25], exec, s[8:9]
; %bb.1375:                             ;   in Loop: Header=BB30_1321 Depth=3
	v_bfe_u32 v6, v7, 16, 1
	v_add3_u32 v6, v7, v6, s40
                                        ; implicit-def: $vgpr7
; %bb.1376:                             ;   in Loop: Header=BB30_1321 Depth=3
	s_andn2_saveexec_b64 s[36:37], s[24:25]
; %bb.1377:                             ;   in Loop: Header=BB30_1321 Depth=3
	v_or_b32_e32 v6, 0x10000, v7
	v_cmp_eq_u32_sdwa s[24:25], v7, v3 src0_sel:WORD_0 src1_sel:DWORD
	s_nop 1
	v_cndmask_b32_e64 v6, v6, v7, s[24:25]
; %bb.1378:                             ;   in Loop: Header=BB30_1321 Depth=3
	s_or_b64 exec, exec, s[36:37]
	v_lshlrev_b32_e32 v7, 16, v39
	v_lshlrev_b32_e32 v30, 16, v23
	v_max_f32_e32 v30, v30, v30
	v_max_f32_e32 v7, v7, v7
	v_min_f32_e32 v38, v7, v30
	v_max_f32_e32 v7, v7, v30
	v_cndmask_b32_e32 v30, v7, v38, vcc
	v_and_b32_e32 v7, 0x7f800000, v30
	v_cmp_ne_u32_e64 s[24:25], s43, v7
                                        ; implicit-def: $vgpr7
	s_and_saveexec_b64 s[8:9], s[24:25]
	s_xor_b64 s[24:25], exec, s[8:9]
; %bb.1379:                             ;   in Loop: Header=BB30_1321 Depth=3
	v_bfe_u32 v7, v30, 16, 1
	v_add3_u32 v7, v30, v7, s40
                                        ; implicit-def: $vgpr30
; %bb.1380:                             ;   in Loop: Header=BB30_1321 Depth=3
	s_andn2_saveexec_b64 s[36:37], s[24:25]
; %bb.1381:                             ;   in Loop: Header=BB30_1321 Depth=3
	v_or_b32_e32 v7, 0x10000, v30
	v_cmp_eq_u32_sdwa s[24:25], v30, v3 src0_sel:WORD_0 src1_sel:DWORD
	s_nop 1
	v_cndmask_b32_e64 v7, v7, v30, s[24:25]
; %bb.1382:                             ;   in Loop: Header=BB30_1321 Depth=3
	s_or_b64 exec, exec, s[36:37]
	v_and_b32_e32 v30, 0xffff0000, v39
	v_and_b32_e32 v38, 0xffff0000, v23
	v_max_f32_e32 v38, v38, v38
	v_max_f32_e32 v30, v30, v30
	v_min_f32_e32 v39, v30, v38
	v_max_f32_e32 v30, v30, v38
	v_cndmask_b32_e32 v38, v30, v39, vcc
	v_and_b32_e32 v30, 0x7f800000, v38
	v_cmp_ne_u32_e64 s[24:25], s43, v30
                                        ; implicit-def: $vgpr30
	s_and_saveexec_b64 s[8:9], s[24:25]
	s_xor_b64 s[24:25], exec, s[8:9]
; %bb.1383:                             ;   in Loop: Header=BB30_1321 Depth=3
	v_bfe_u32 v30, v38, 16, 1
	v_add3_u32 v30, v38, v30, s40
                                        ; implicit-def: $vgpr38
; %bb.1384:                             ;   in Loop: Header=BB30_1321 Depth=3
	s_andn2_saveexec_b64 s[36:37], s[24:25]
; %bb.1385:                             ;   in Loop: Header=BB30_1321 Depth=3
	v_or_b32_e32 v30, 0x10000, v38
	v_cmp_eq_u32_sdwa s[24:25], v38, v3 src0_sel:WORD_0 src1_sel:DWORD
	s_nop 1
	v_cndmask_b32_e64 v30, v30, v38, s[24:25]
; %bb.1386:                             ;   in Loop: Header=BB30_1321 Depth=3
	s_or_b64 exec, exec, s[36:37]
	v_lshlrev_b32_e32 v38, 16, v24
	v_lshlrev_b32_e32 v39, 16, v16
	v_max_f32_e32 v39, v39, v39
	v_max_f32_e32 v38, v38, v38
	v_min_f32_e32 v42, v38, v39
	v_max_f32_e32 v38, v38, v39
	v_cndmask_b32_e32 v39, v38, v42, vcc
	v_and_b32_e32 v38, 0x7f800000, v39
	v_cmp_ne_u32_e64 s[24:25], s43, v38
                                        ; implicit-def: $vgpr38
	s_and_saveexec_b64 s[8:9], s[24:25]
	s_xor_b64 s[24:25], exec, s[8:9]
; %bb.1387:                             ;   in Loop: Header=BB30_1321 Depth=3
	v_bfe_u32 v38, v39, 16, 1
	v_add3_u32 v38, v39, v38, s40
                                        ; implicit-def: $vgpr39
; %bb.1388:                             ;   in Loop: Header=BB30_1321 Depth=3
	s_andn2_saveexec_b64 s[36:37], s[24:25]
; %bb.1389:                             ;   in Loop: Header=BB30_1321 Depth=3
	v_or_b32_e32 v38, 0x10000, v39
	v_cmp_eq_u32_sdwa s[24:25], v39, v3 src0_sel:WORD_0 src1_sel:DWORD
	s_nop 1
	v_cndmask_b32_e64 v38, v38, v39, s[24:25]
; %bb.1390:                             ;   in Loop: Header=BB30_1321 Depth=3
	s_or_b64 exec, exec, s[36:37]
	v_and_b32_e32 v24, 0xffff0000, v24
	v_and_b32_e32 v39, 0xffff0000, v16
	v_max_f32_e32 v39, v39, v39
	v_max_f32_e32 v24, v24, v24
	v_min_f32_e32 v42, v24, v39
	v_max_f32_e32 v24, v24, v39
	v_cndmask_b32_e32 v39, v24, v42, vcc
	v_and_b32_e32 v24, 0x7f800000, v39
	v_cmp_ne_u32_e64 s[24:25], s43, v24
                                        ; implicit-def: $vgpr24
	s_and_saveexec_b64 s[8:9], s[24:25]
	s_xor_b64 s[24:25], exec, s[8:9]
; %bb.1391:                             ;   in Loop: Header=BB30_1321 Depth=3
	v_bfe_u32 v24, v39, 16, 1
	v_add3_u32 v24, v39, v24, s40
                                        ; implicit-def: $vgpr39
; %bb.1392:                             ;   in Loop: Header=BB30_1321 Depth=3
	s_andn2_saveexec_b64 s[36:37], s[24:25]
; %bb.1393:                             ;   in Loop: Header=BB30_1321 Depth=3
	v_or_b32_e32 v24, 0x10000, v39
	v_cmp_eq_u32_sdwa s[24:25], v39, v3 src0_sel:WORD_0 src1_sel:DWORD
	s_nop 1
	v_cndmask_b32_e64 v24, v24, v39, s[24:25]
; %bb.1394:                             ;   in Loop: Header=BB30_1321 Depth=3
	s_or_b64 exec, exec, s[36:37]
	v_lshlrev_b32_e32 v39, 16, v25
	v_lshlrev_b32_e32 v42, 16, v17
	v_max_f32_e32 v42, v42, v42
	v_max_f32_e32 v39, v39, v39
	v_min_f32_e32 v43, v39, v42
	v_max_f32_e32 v39, v39, v42
	v_cndmask_b32_e32 v42, v39, v43, vcc
	v_and_b32_e32 v39, 0x7f800000, v42
	v_cmp_ne_u32_e64 s[24:25], s43, v39
                                        ; implicit-def: $vgpr39
	s_and_saveexec_b64 s[8:9], s[24:25]
	s_xor_b64 s[24:25], exec, s[8:9]
; %bb.1395:                             ;   in Loop: Header=BB30_1321 Depth=3
	v_bfe_u32 v39, v42, 16, 1
	v_add3_u32 v39, v42, v39, s40
                                        ; implicit-def: $vgpr42
; %bb.1396:                             ;   in Loop: Header=BB30_1321 Depth=3
	s_andn2_saveexec_b64 s[36:37], s[24:25]
; %bb.1397:                             ;   in Loop: Header=BB30_1321 Depth=3
	v_or_b32_e32 v39, 0x10000, v42
	v_cmp_eq_u32_sdwa s[24:25], v42, v3 src0_sel:WORD_0 src1_sel:DWORD
	s_nop 1
	v_cndmask_b32_e64 v39, v39, v42, s[24:25]
; %bb.1398:                             ;   in Loop: Header=BB30_1321 Depth=3
	s_or_b64 exec, exec, s[36:37]
	v_and_b32_e32 v25, 0xffff0000, v25
	v_and_b32_e32 v42, 0xffff0000, v17
	v_max_f32_e32 v42, v42, v42
	v_max_f32_e32 v25, v25, v25
	v_min_f32_e32 v43, v25, v42
	v_max_f32_e32 v25, v25, v42
	v_cndmask_b32_e32 v42, v25, v43, vcc
	v_and_b32_e32 v25, 0x7f800000, v42
	v_cmp_ne_u32_e64 s[24:25], s43, v25
                                        ; implicit-def: $vgpr25
	s_and_saveexec_b64 s[8:9], s[24:25]
	s_xor_b64 s[24:25], exec, s[8:9]
; %bb.1399:                             ;   in Loop: Header=BB30_1321 Depth=3
	v_bfe_u32 v25, v42, 16, 1
	v_add3_u32 v25, v42, v25, s40
                                        ; implicit-def: $vgpr42
; %bb.1400:                             ;   in Loop: Header=BB30_1321 Depth=3
	s_andn2_saveexec_b64 s[36:37], s[24:25]
; %bb.1401:                             ;   in Loop: Header=BB30_1321 Depth=3
	v_or_b32_e32 v25, 0x10000, v42
	v_cmp_eq_u32_sdwa s[24:25], v42, v3 src0_sel:WORD_0 src1_sel:DWORD
	s_nop 1
	v_cndmask_b32_e64 v25, v25, v42, s[24:25]
; %bb.1402:                             ;   in Loop: Header=BB30_1321 Depth=3
	s_or_b64 exec, exec, s[36:37]
	v_lshlrev_b32_e32 v42, 16, v26
	v_lshlrev_b32_e32 v43, 16, v18
	v_max_f32_e32 v43, v43, v43
	v_max_f32_e32 v42, v42, v42
	v_min_f32_e32 v74, v42, v43
	v_max_f32_e32 v42, v42, v43
	v_cndmask_b32_e32 v43, v42, v74, vcc
	v_and_b32_e32 v42, 0x7f800000, v43
	v_cmp_ne_u32_e64 s[24:25], s43, v42
                                        ; implicit-def: $vgpr42
	s_and_saveexec_b64 s[8:9], s[24:25]
	s_xor_b64 s[24:25], exec, s[8:9]
; %bb.1403:                             ;   in Loop: Header=BB30_1321 Depth=3
	v_bfe_u32 v42, v43, 16, 1
	v_add3_u32 v42, v43, v42, s40
                                        ; implicit-def: $vgpr43
; %bb.1404:                             ;   in Loop: Header=BB30_1321 Depth=3
	s_andn2_saveexec_b64 s[36:37], s[24:25]
; %bb.1405:                             ;   in Loop: Header=BB30_1321 Depth=3
	v_or_b32_e32 v42, 0x10000, v43
	v_cmp_eq_u32_sdwa s[24:25], v43, v3 src0_sel:WORD_0 src1_sel:DWORD
	s_nop 1
	v_cndmask_b32_e64 v42, v42, v43, s[24:25]
; %bb.1406:                             ;   in Loop: Header=BB30_1321 Depth=3
	s_or_b64 exec, exec, s[36:37]
	v_and_b32_e32 v26, 0xffff0000, v26
	v_and_b32_e32 v43, 0xffff0000, v18
	v_max_f32_e32 v43, v43, v43
	v_max_f32_e32 v26, v26, v26
	v_min_f32_e32 v74, v26, v43
	v_max_f32_e32 v26, v26, v43
	v_cndmask_b32_e32 v43, v26, v74, vcc
	v_and_b32_e32 v26, 0x7f800000, v43
	v_cmp_ne_u32_e64 s[24:25], s43, v26
                                        ; implicit-def: $vgpr26
	s_and_saveexec_b64 s[8:9], s[24:25]
	s_xor_b64 s[24:25], exec, s[8:9]
; %bb.1407:                             ;   in Loop: Header=BB30_1321 Depth=3
	v_bfe_u32 v26, v43, 16, 1
	v_add3_u32 v26, v43, v26, s40
                                        ; implicit-def: $vgpr43
; %bb.1408:                             ;   in Loop: Header=BB30_1321 Depth=3
	s_andn2_saveexec_b64 s[36:37], s[24:25]
; %bb.1409:                             ;   in Loop: Header=BB30_1321 Depth=3
	v_or_b32_e32 v26, 0x10000, v43
	v_cmp_eq_u32_sdwa s[24:25], v43, v3 src0_sel:WORD_0 src1_sel:DWORD
	s_nop 1
	v_cndmask_b32_e64 v26, v26, v43, s[24:25]
; %bb.1410:                             ;   in Loop: Header=BB30_1321 Depth=3
	s_or_b64 exec, exec, s[36:37]
	v_lshlrev_b32_e32 v43, 16, v27
	v_lshlrev_b32_e32 v74, 16, v19
	v_max_f32_e32 v74, v74, v74
	v_max_f32_e32 v43, v43, v43
	v_min_f32_e32 v75, v43, v74
	v_max_f32_e32 v43, v43, v74
	v_cndmask_b32_e32 v74, v43, v75, vcc
	v_and_b32_e32 v43, 0x7f800000, v74
	v_cmp_ne_u32_e64 s[24:25], s43, v43
                                        ; implicit-def: $vgpr43
	s_and_saveexec_b64 s[8:9], s[24:25]
	s_xor_b64 s[24:25], exec, s[8:9]
; %bb.1411:                             ;   in Loop: Header=BB30_1321 Depth=3
	v_bfe_u32 v43, v74, 16, 1
	v_add3_u32 v43, v74, v43, s40
                                        ; implicit-def: $vgpr74
; %bb.1412:                             ;   in Loop: Header=BB30_1321 Depth=3
	s_andn2_saveexec_b64 s[36:37], s[24:25]
; %bb.1413:                             ;   in Loop: Header=BB30_1321 Depth=3
	v_or_b32_e32 v43, 0x10000, v74
	v_cmp_eq_u32_sdwa s[24:25], v74, v3 src0_sel:WORD_0 src1_sel:DWORD
	s_nop 1
	v_cndmask_b32_e64 v43, v43, v74, s[24:25]
; %bb.1414:                             ;   in Loop: Header=BB30_1321 Depth=3
	s_or_b64 exec, exec, s[36:37]
	v_and_b32_e32 v27, 0xffff0000, v27
	v_and_b32_e32 v74, 0xffff0000, v19
	v_max_f32_e32 v74, v74, v74
	v_max_f32_e32 v27, v27, v27
	v_min_f32_e32 v75, v27, v74
	v_max_f32_e32 v27, v27, v74
	v_cndmask_b32_e32 v74, v27, v75, vcc
	v_and_b32_e32 v27, 0x7f800000, v74
	v_cmp_ne_u32_e64 s[24:25], s43, v27
                                        ; implicit-def: $vgpr27
	s_and_saveexec_b64 s[8:9], s[24:25]
	s_xor_b64 s[24:25], exec, s[8:9]
; %bb.1415:                             ;   in Loop: Header=BB30_1321 Depth=3
	v_bfe_u32 v27, v74, 16, 1
	v_add3_u32 v27, v74, v27, s40
                                        ; implicit-def: $vgpr74
; %bb.1416:                             ;   in Loop: Header=BB30_1321 Depth=3
	s_andn2_saveexec_b64 s[36:37], s[24:25]
; %bb.1417:                             ;   in Loop: Header=BB30_1321 Depth=3
	v_or_b32_e32 v27, 0x10000, v74
	v_cmp_eq_u32_sdwa s[24:25], v74, v3 src0_sel:WORD_0 src1_sel:DWORD
	s_nop 1
	v_cndmask_b32_e64 v27, v27, v74, s[24:25]
; %bb.1418:                             ;   in Loop: Header=BB30_1321 Depth=3
	s_or_b64 exec, exec, s[36:37]
	v_lshlrev_b32_e32 v74, 16, v12
	v_lshlrev_b32_e32 v75, 16, v8
	v_max_f32_e32 v75, v75, v75
	v_max_f32_e32 v74, v74, v74
	v_min_f32_e32 v78, v74, v75
	v_max_f32_e32 v74, v74, v75
	v_cndmask_b32_e32 v75, v74, v78, vcc
	v_and_b32_e32 v74, 0x7f800000, v75
	v_cmp_ne_u32_e64 s[24:25], s43, v74
                                        ; implicit-def: $vgpr74
	s_and_saveexec_b64 s[8:9], s[24:25]
	s_xor_b64 s[24:25], exec, s[8:9]
; %bb.1419:                             ;   in Loop: Header=BB30_1321 Depth=3
	v_bfe_u32 v74, v75, 16, 1
	v_add3_u32 v74, v75, v74, s40
                                        ; implicit-def: $vgpr75
; %bb.1420:                             ;   in Loop: Header=BB30_1321 Depth=3
	s_andn2_saveexec_b64 s[36:37], s[24:25]
; %bb.1421:                             ;   in Loop: Header=BB30_1321 Depth=3
	v_or_b32_e32 v74, 0x10000, v75
	v_cmp_eq_u32_sdwa s[24:25], v75, v3 src0_sel:WORD_0 src1_sel:DWORD
	s_nop 1
	v_cndmask_b32_e64 v74, v74, v75, s[24:25]
; %bb.1422:                             ;   in Loop: Header=BB30_1321 Depth=3
	s_or_b64 exec, exec, s[36:37]
	v_and_b32_e32 v12, 0xffff0000, v12
	v_and_b32_e32 v75, 0xffff0000, v8
	v_max_f32_e32 v75, v75, v75
	v_max_f32_e32 v12, v12, v12
	v_min_f32_e32 v78, v12, v75
	v_max_f32_e32 v12, v12, v75
	v_cndmask_b32_e32 v75, v12, v78, vcc
	v_and_b32_e32 v12, 0x7f800000, v75
	v_cmp_ne_u32_e64 s[24:25], s43, v12
                                        ; implicit-def: $vgpr12
	s_and_saveexec_b64 s[8:9], s[24:25]
	s_xor_b64 s[24:25], exec, s[8:9]
; %bb.1423:                             ;   in Loop: Header=BB30_1321 Depth=3
	v_bfe_u32 v12, v75, 16, 1
	v_add3_u32 v12, v75, v12, s40
                                        ; implicit-def: $vgpr75
; %bb.1424:                             ;   in Loop: Header=BB30_1321 Depth=3
	s_andn2_saveexec_b64 s[36:37], s[24:25]
; %bb.1425:                             ;   in Loop: Header=BB30_1321 Depth=3
	v_or_b32_e32 v12, 0x10000, v75
	v_cmp_eq_u32_sdwa s[24:25], v75, v3 src0_sel:WORD_0 src1_sel:DWORD
	s_nop 1
	v_cndmask_b32_e64 v12, v12, v75, s[24:25]
; %bb.1426:                             ;   in Loop: Header=BB30_1321 Depth=3
	s_or_b64 exec, exec, s[36:37]
	v_lshlrev_b32_e32 v75, 16, v13
	v_lshlrev_b32_e32 v78, 16, v9
	v_max_f32_e32 v78, v78, v78
	v_max_f32_e32 v75, v75, v75
	v_min_f32_e32 v79, v75, v78
	v_max_f32_e32 v75, v75, v78
	v_cndmask_b32_e32 v78, v75, v79, vcc
	v_and_b32_e32 v75, 0x7f800000, v78
	v_cmp_ne_u32_e64 s[24:25], s43, v75
                                        ; implicit-def: $vgpr75
	s_and_saveexec_b64 s[8:9], s[24:25]
	s_xor_b64 s[24:25], exec, s[8:9]
; %bb.1427:                             ;   in Loop: Header=BB30_1321 Depth=3
	v_bfe_u32 v75, v78, 16, 1
	v_add3_u32 v75, v78, v75, s40
                                        ; implicit-def: $vgpr78
; %bb.1428:                             ;   in Loop: Header=BB30_1321 Depth=3
	s_andn2_saveexec_b64 s[36:37], s[24:25]
; %bb.1429:                             ;   in Loop: Header=BB30_1321 Depth=3
	v_or_b32_e32 v75, 0x10000, v78
	v_cmp_eq_u32_sdwa s[24:25], v78, v3 src0_sel:WORD_0 src1_sel:DWORD
	s_nop 1
	v_cndmask_b32_e64 v75, v75, v78, s[24:25]
; %bb.1430:                             ;   in Loop: Header=BB30_1321 Depth=3
	s_or_b64 exec, exec, s[36:37]
	v_and_b32_e32 v13, 0xffff0000, v13
	v_and_b32_e32 v78, 0xffff0000, v9
	v_max_f32_e32 v78, v78, v78
	v_max_f32_e32 v13, v13, v13
	v_min_f32_e32 v79, v13, v78
	v_max_f32_e32 v13, v13, v78
	v_cndmask_b32_e32 v78, v13, v79, vcc
	v_and_b32_e32 v13, 0x7f800000, v78
	v_cmp_ne_u32_e64 s[24:25], s43, v13
                                        ; implicit-def: $vgpr13
	s_and_saveexec_b64 s[8:9], s[24:25]
	s_xor_b64 s[24:25], exec, s[8:9]
; %bb.1431:                             ;   in Loop: Header=BB30_1321 Depth=3
	v_bfe_u32 v13, v78, 16, 1
	v_add3_u32 v13, v78, v13, s40
                                        ; implicit-def: $vgpr78
; %bb.1432:                             ;   in Loop: Header=BB30_1321 Depth=3
	s_andn2_saveexec_b64 s[36:37], s[24:25]
; %bb.1433:                             ;   in Loop: Header=BB30_1321 Depth=3
	v_or_b32_e32 v13, 0x10000, v78
	v_cmp_eq_u32_sdwa s[24:25], v78, v3 src0_sel:WORD_0 src1_sel:DWORD
	s_nop 1
	v_cndmask_b32_e64 v13, v13, v78, s[24:25]
; %bb.1434:                             ;   in Loop: Header=BB30_1321 Depth=3
	s_or_b64 exec, exec, s[36:37]
	v_lshlrev_b32_e32 v78, 16, v14
	v_lshlrev_b32_e32 v79, 16, v10
	v_max_f32_e32 v79, v79, v79
	v_max_f32_e32 v78, v78, v78
	v_min_f32_e32 v94, v78, v79
	v_max_f32_e32 v78, v78, v79
	v_cndmask_b32_e32 v79, v78, v94, vcc
	v_and_b32_e32 v78, 0x7f800000, v79
	v_cmp_ne_u32_e64 s[24:25], s43, v78
                                        ; implicit-def: $vgpr78
	s_and_saveexec_b64 s[8:9], s[24:25]
	s_xor_b64 s[24:25], exec, s[8:9]
; %bb.1435:                             ;   in Loop: Header=BB30_1321 Depth=3
	v_bfe_u32 v78, v79, 16, 1
	v_add3_u32 v78, v79, v78, s40
                                        ; implicit-def: $vgpr79
; %bb.1436:                             ;   in Loop: Header=BB30_1321 Depth=3
	s_andn2_saveexec_b64 s[36:37], s[24:25]
; %bb.1437:                             ;   in Loop: Header=BB30_1321 Depth=3
	v_or_b32_e32 v78, 0x10000, v79
	v_cmp_eq_u32_sdwa s[24:25], v79, v3 src0_sel:WORD_0 src1_sel:DWORD
	s_nop 1
	v_cndmask_b32_e64 v78, v78, v79, s[24:25]
; %bb.1438:                             ;   in Loop: Header=BB30_1321 Depth=3
	s_or_b64 exec, exec, s[36:37]
	v_and_b32_e32 v14, 0xffff0000, v14
	v_and_b32_e32 v79, 0xffff0000, v10
	v_max_f32_e32 v79, v79, v79
	v_max_f32_e32 v14, v14, v14
	v_min_f32_e32 v94, v14, v79
	v_max_f32_e32 v14, v14, v79
	v_cndmask_b32_e32 v79, v14, v94, vcc
	v_and_b32_e32 v14, 0x7f800000, v79
	v_cmp_ne_u32_e64 s[24:25], s43, v14
                                        ; implicit-def: $vgpr14
	s_and_saveexec_b64 s[8:9], s[24:25]
	s_xor_b64 s[24:25], exec, s[8:9]
; %bb.1439:                             ;   in Loop: Header=BB30_1321 Depth=3
	v_bfe_u32 v14, v79, 16, 1
	v_add3_u32 v14, v79, v14, s40
                                        ; implicit-def: $vgpr79
; %bb.1440:                             ;   in Loop: Header=BB30_1321 Depth=3
	s_andn2_saveexec_b64 s[36:37], s[24:25]
; %bb.1441:                             ;   in Loop: Header=BB30_1321 Depth=3
	v_or_b32_e32 v14, 0x10000, v79
	v_cmp_eq_u32_sdwa s[24:25], v79, v3 src0_sel:WORD_0 src1_sel:DWORD
	s_nop 1
	v_cndmask_b32_e64 v14, v14, v79, s[24:25]
; %bb.1442:                             ;   in Loop: Header=BB30_1321 Depth=3
	s_or_b64 exec, exec, s[36:37]
	v_lshlrev_b32_e32 v79, 16, v15
	v_lshlrev_b32_e32 v94, 16, v11
	v_max_f32_e32 v94, v94, v94
	v_max_f32_e32 v79, v79, v79
	v_min_f32_e32 v95, v79, v94
	v_max_f32_e32 v79, v79, v94
	v_cndmask_b32_e32 v94, v79, v95, vcc
	v_and_b32_e32 v79, 0x7f800000, v94
	v_cmp_ne_u32_e64 s[24:25], s43, v79
                                        ; implicit-def: $vgpr79
	s_and_saveexec_b64 s[8:9], s[24:25]
	s_xor_b64 s[24:25], exec, s[8:9]
; %bb.1443:                             ;   in Loop: Header=BB30_1321 Depth=3
	v_bfe_u32 v79, v94, 16, 1
	v_add3_u32 v79, v94, v79, s40
                                        ; implicit-def: $vgpr94
; %bb.1444:                             ;   in Loop: Header=BB30_1321 Depth=3
	s_andn2_saveexec_b64 s[36:37], s[24:25]
; %bb.1445:                             ;   in Loop: Header=BB30_1321 Depth=3
	v_or_b32_e32 v79, 0x10000, v94
	v_cmp_eq_u32_sdwa s[24:25], v94, v3 src0_sel:WORD_0 src1_sel:DWORD
	s_nop 1
	v_cndmask_b32_e64 v79, v79, v94, s[24:25]
; %bb.1446:                             ;   in Loop: Header=BB30_1321 Depth=3
	s_or_b64 exec, exec, s[36:37]
	v_and_b32_e32 v15, 0xffff0000, v15
	v_and_b32_e32 v94, 0xffff0000, v11
	v_max_f32_e32 v94, v94, v94
	v_max_f32_e32 v15, v15, v15
	v_min_f32_e32 v95, v15, v94
	v_max_f32_e32 v15, v15, v94
	v_cndmask_b32_e32 v94, v15, v95, vcc
	v_and_b32_e32 v15, 0x7f800000, v94
	v_cmp_ne_u32_e64 s[24:25], s43, v15
                                        ; implicit-def: $vgpr15
	s_and_saveexec_b64 s[8:9], s[24:25]
	s_xor_b64 s[24:25], exec, s[8:9]
; %bb.1447:                             ;   in Loop: Header=BB30_1321 Depth=3
	v_bfe_u32 v15, v94, 16, 1
	v_add3_u32 v15, v94, v15, s40
                                        ; implicit-def: $vgpr94
; %bb.1448:                             ;   in Loop: Header=BB30_1321 Depth=3
	s_andn2_saveexec_b64 s[36:37], s[24:25]
; %bb.1449:                             ;   in Loop: Header=BB30_1321 Depth=3
	v_or_b32_e32 v15, 0x10000, v94
	v_cmp_eq_u32_sdwa s[24:25], v94, v3 src0_sel:WORD_0 src1_sel:DWORD
	s_nop 1
	v_cndmask_b32_e64 v15, v15, v94, s[24:25]
; %bb.1450:                             ;   in Loop: Header=BB30_1321 Depth=3
	s_or_b64 exec, exec, s[36:37]
	v_lshrrev_b32_e32 v38, 16, v38
	v_and_or_b32 v24, v24, s41, v38
	v_lshrrev_b32_e32 v38, 16, v42
	v_and_or_b32 v26, v26, s41, v38
	;; [unrolled: 2-line block ×5, first 2 shown]
	v_lshrrev_b32_e32 v38, 16, v45
	v_lshrrev_b32_e32 v39, 16, v39
	v_and_or_b32 v38, v6, s41, v38
	v_lshrrev_b32_e32 v6, 16, v7
	v_and_or_b32 v25, v25, s41, v39
	v_and_or_b32 v39, v30, s41, v6
	v_lshrrev_b32_e32 v6, 16, v119
	v_and_or_b32 v81, v81, s41, v6
	v_lshrrev_b32_e32 v6, 16, v118
	;; [unrolled: 2-line block ×8, first 2 shown]
	v_and_or_b32 v15, v15, s41, v6
	global_store_dwordx4 v[116:117], v[80:83], off
	global_store_dwordx4 v[116:117], v[36:39], off offset:1024
	global_store_dwordx4 v[116:117], v[24:27], off offset:2048
	;; [unrolled: 1-line block ×3, first 2 shown]
	global_store_dwordx4 v[72:73], v[80:83], off
	global_store_dwordx4 v[72:73], v[36:39], off offset:1024
	global_store_dwordx4 v[72:73], v[24:27], off offset:2048
	;; [unrolled: 1-line block ×3, first 2 shown]
	v_lshl_add_u64 v[116:117], v[116:117], 0, v[106:107]
	v_lshl_add_u64 v[72:73], v[72:73], 0, v[106:107]
.LBB30_1451:                            ;   in Loop: Header=BB30_1321 Depth=3
	s_or_b64 exec, exec, s[38:39]
	v_sub_u32_e32 v0, v0, v60
	v_lshl_add_u64 v[120:121], v[120:121], 0, v[106:107]
	v_lshl_add_u64 v[4:5], v[4:5], 0, v[106:107]
	v_cmp_lt_i32_e64 s[36:37], 0, v0
	s_and_saveexec_b64 s[24:25], s[36:37]
	s_cbranch_execz .LBB30_1453
; %bb.1452:                             ;   in Loop: Header=BB30_1321 Depth=3
	global_load_dwordx4 v[80:83], v[120:121], off nt
	global_load_dwordx4 v[36:39], v[120:121], off offset:1024 nt
	global_load_dwordx4 v[24:27], v[120:121], off offset:2048 nt
	;; [unrolled: 1-line block ×3, first 2 shown]
	global_load_dwordx4 v[32:35], v[4:5], off nt
	global_load_dwordx4 v[20:23], v[4:5], off offset:1024 nt
	global_load_dwordx4 v[16:19], v[4:5], off offset:2048 nt
	;; [unrolled: 1-line block ×3, first 2 shown]
	v_lshl_add_u64 v[120:121], v[120:121], 0, s[72:73]
	v_lshl_add_u64 v[4:5], v[4:5], 0, s[72:73]
.LBB30_1453:                            ;   in Loop: Header=BB30_1321 Depth=3
	s_or_b64 exec, exec, s[24:25]
	s_waitcnt vmcnt(7)
	v_lshlrev_b32_e32 v6, 16, v100
	s_waitcnt vmcnt(3)
	v_lshlrev_b32_e32 v7, 16, v112
	v_max_f32_e32 v7, v7, v7
	v_max_f32_e32 v6, v6, v6
	v_min_f32_e32 v30, v6, v7
	v_max_f32_e32 v6, v6, v7
	v_cndmask_b32_e32 v6, v6, v30, vcc
	v_and_b32_e32 v7, 0x7f800000, v6
	v_cmp_ne_u32_e64 s[24:25], s43, v7
                                        ; implicit-def: $vgpr118
	s_and_saveexec_b64 s[8:9], s[24:25]
	s_xor_b64 s[24:25], exec, s[8:9]
; %bb.1454:                             ;   in Loop: Header=BB30_1321 Depth=3
	v_bfe_u32 v7, v6, 16, 1
	v_add3_u32 v118, v6, v7, s40
                                        ; implicit-def: $vgpr6
; %bb.1455:                             ;   in Loop: Header=BB30_1321 Depth=3
	s_andn2_saveexec_b64 s[38:39], s[24:25]
; %bb.1456:                             ;   in Loop: Header=BB30_1321 Depth=3
	v_or_b32_e32 v7, 0x10000, v6
	v_cmp_eq_u32_sdwa s[24:25], v6, v3 src0_sel:WORD_0 src1_sel:DWORD
	s_nop 1
	v_cndmask_b32_e64 v118, v7, v6, s[24:25]
; %bb.1457:                             ;   in Loop: Header=BB30_1321 Depth=3
	s_or_b64 exec, exec, s[38:39]
	v_and_b32_e32 v6, 0xffff0000, v100
	v_and_b32_e32 v7, 0xffff0000, v112
	v_max_f32_e32 v7, v7, v7
	v_max_f32_e32 v6, v6, v6
	v_min_f32_e32 v30, v6, v7
	v_max_f32_e32 v6, v6, v7
	v_cndmask_b32_e32 v6, v6, v30, vcc
	v_and_b32_e32 v7, 0x7f800000, v6
	v_cmp_ne_u32_e64 s[24:25], s43, v7
                                        ; implicit-def: $vgpr100
	s_and_saveexec_b64 s[8:9], s[24:25]
	s_xor_b64 s[24:25], exec, s[8:9]
; %bb.1458:                             ;   in Loop: Header=BB30_1321 Depth=3
	v_bfe_u32 v7, v6, 16, 1
	v_add3_u32 v100, v6, v7, s40
                                        ; implicit-def: $vgpr6
; %bb.1459:                             ;   in Loop: Header=BB30_1321 Depth=3
	s_andn2_saveexec_b64 s[38:39], s[24:25]
; %bb.1460:                             ;   in Loop: Header=BB30_1321 Depth=3
	v_or_b32_e32 v7, 0x10000, v6
	v_cmp_eq_u32_sdwa s[24:25], v6, v3 src0_sel:WORD_0 src1_sel:DWORD
	s_nop 1
	v_cndmask_b32_e64 v100, v7, v6, s[24:25]
; %bb.1461:                             ;   in Loop: Header=BB30_1321 Depth=3
	s_or_b64 exec, exec, s[38:39]
	v_lshlrev_b32_e32 v6, 16, v101
	v_lshlrev_b32_e32 v7, 16, v113
	v_max_f32_e32 v7, v7, v7
	v_max_f32_e32 v6, v6, v6
	v_min_f32_e32 v30, v6, v7
	v_max_f32_e32 v6, v6, v7
	v_cndmask_b32_e32 v6, v6, v30, vcc
	v_and_b32_e32 v7, 0x7f800000, v6
	v_cmp_ne_u32_e64 s[24:25], s43, v7
                                        ; implicit-def: $vgpr112
	s_and_saveexec_b64 s[8:9], s[24:25]
	s_xor_b64 s[24:25], exec, s[8:9]
; %bb.1462:                             ;   in Loop: Header=BB30_1321 Depth=3
	v_bfe_u32 v7, v6, 16, 1
	v_add3_u32 v112, v6, v7, s40
                                        ; implicit-def: $vgpr6
; %bb.1463:                             ;   in Loop: Header=BB30_1321 Depth=3
	s_andn2_saveexec_b64 s[38:39], s[24:25]
; %bb.1464:                             ;   in Loop: Header=BB30_1321 Depth=3
	v_or_b32_e32 v7, 0x10000, v6
	v_cmp_eq_u32_sdwa s[24:25], v6, v3 src0_sel:WORD_0 src1_sel:DWORD
	s_nop 1
	v_cndmask_b32_e64 v112, v7, v6, s[24:25]
; %bb.1465:                             ;   in Loop: Header=BB30_1321 Depth=3
	s_or_b64 exec, exec, s[38:39]
	v_and_b32_e32 v6, 0xffff0000, v101
	v_and_b32_e32 v7, 0xffff0000, v113
	v_max_f32_e32 v7, v7, v7
	v_max_f32_e32 v6, v6, v6
	v_min_f32_e32 v30, v6, v7
	v_max_f32_e32 v6, v6, v7
	v_cndmask_b32_e32 v6, v6, v30, vcc
	v_and_b32_e32 v7, 0x7f800000, v6
	v_cmp_ne_u32_e64 s[24:25], s43, v7
                                        ; implicit-def: $vgpr101
	s_and_saveexec_b64 s[8:9], s[24:25]
	s_xor_b64 s[24:25], exec, s[8:9]
; %bb.1466:                             ;   in Loop: Header=BB30_1321 Depth=3
	v_bfe_u32 v7, v6, 16, 1
	v_add3_u32 v101, v6, v7, s40
                                        ; implicit-def: $vgpr6
; %bb.1467:                             ;   in Loop: Header=BB30_1321 Depth=3
	s_andn2_saveexec_b64 s[38:39], s[24:25]
; %bb.1468:                             ;   in Loop: Header=BB30_1321 Depth=3
	v_or_b32_e32 v7, 0x10000, v6
	v_cmp_eq_u32_sdwa s[24:25], v6, v3 src0_sel:WORD_0 src1_sel:DWORD
	s_nop 1
	v_cndmask_b32_e64 v101, v7, v6, s[24:25]
; %bb.1469:                             ;   in Loop: Header=BB30_1321 Depth=3
	s_or_b64 exec, exec, s[38:39]
	v_lshlrev_b32_e32 v6, 16, v102
	v_lshlrev_b32_e32 v7, 16, v114
	v_max_f32_e32 v7, v7, v7
	v_max_f32_e32 v6, v6, v6
	v_min_f32_e32 v30, v6, v7
	v_max_f32_e32 v6, v6, v7
	v_cndmask_b32_e32 v6, v6, v30, vcc
	v_and_b32_e32 v7, 0x7f800000, v6
	v_cmp_ne_u32_e64 s[24:25], s43, v7
                                        ; implicit-def: $vgpr113
	s_and_saveexec_b64 s[8:9], s[24:25]
	s_xor_b64 s[24:25], exec, s[8:9]
; %bb.1470:                             ;   in Loop: Header=BB30_1321 Depth=3
	v_bfe_u32 v7, v6, 16, 1
	v_add3_u32 v113, v6, v7, s40
                                        ; implicit-def: $vgpr6
; %bb.1471:                             ;   in Loop: Header=BB30_1321 Depth=3
	s_andn2_saveexec_b64 s[38:39], s[24:25]
; %bb.1472:                             ;   in Loop: Header=BB30_1321 Depth=3
	v_or_b32_e32 v7, 0x10000, v6
	v_cmp_eq_u32_sdwa s[24:25], v6, v3 src0_sel:WORD_0 src1_sel:DWORD
	s_nop 1
	v_cndmask_b32_e64 v113, v7, v6, s[24:25]
; %bb.1473:                             ;   in Loop: Header=BB30_1321 Depth=3
	s_or_b64 exec, exec, s[38:39]
	v_and_b32_e32 v6, 0xffff0000, v102
	v_and_b32_e32 v7, 0xffff0000, v114
	v_max_f32_e32 v7, v7, v7
	v_max_f32_e32 v6, v6, v6
	v_min_f32_e32 v30, v6, v7
	v_max_f32_e32 v6, v6, v7
	v_cndmask_b32_e32 v6, v6, v30, vcc
	v_and_b32_e32 v7, 0x7f800000, v6
	v_cmp_ne_u32_e64 s[24:25], s43, v7
                                        ; implicit-def: $vgpr102
	s_and_saveexec_b64 s[8:9], s[24:25]
	s_xor_b64 s[24:25], exec, s[8:9]
; %bb.1474:                             ;   in Loop: Header=BB30_1321 Depth=3
	v_bfe_u32 v7, v6, 16, 1
	v_add3_u32 v102, v6, v7, s40
                                        ; implicit-def: $vgpr6
; %bb.1475:                             ;   in Loop: Header=BB30_1321 Depth=3
	s_andn2_saveexec_b64 s[38:39], s[24:25]
; %bb.1476:                             ;   in Loop: Header=BB30_1321 Depth=3
	v_or_b32_e32 v7, 0x10000, v6
	v_cmp_eq_u32_sdwa s[24:25], v6, v3 src0_sel:WORD_0 src1_sel:DWORD
	s_nop 1
	v_cndmask_b32_e64 v102, v7, v6, s[24:25]
; %bb.1477:                             ;   in Loop: Header=BB30_1321 Depth=3
	s_or_b64 exec, exec, s[38:39]
	v_lshlrev_b32_e32 v6, 16, v103
	v_lshlrev_b32_e32 v7, 16, v115
	v_max_f32_e32 v7, v7, v7
	v_max_f32_e32 v6, v6, v6
	v_min_f32_e32 v30, v6, v7
	v_max_f32_e32 v6, v6, v7
	v_cndmask_b32_e32 v6, v6, v30, vcc
	v_and_b32_e32 v7, 0x7f800000, v6
	v_cmp_ne_u32_e64 s[24:25], s43, v7
                                        ; implicit-def: $vgpr114
	s_and_saveexec_b64 s[8:9], s[24:25]
	s_xor_b64 s[24:25], exec, s[8:9]
; %bb.1478:                             ;   in Loop: Header=BB30_1321 Depth=3
	v_bfe_u32 v7, v6, 16, 1
	v_add3_u32 v114, v6, v7, s40
                                        ; implicit-def: $vgpr6
; %bb.1479:                             ;   in Loop: Header=BB30_1321 Depth=3
	s_andn2_saveexec_b64 s[38:39], s[24:25]
; %bb.1480:                             ;   in Loop: Header=BB30_1321 Depth=3
	v_or_b32_e32 v7, 0x10000, v6
	v_cmp_eq_u32_sdwa s[24:25], v6, v3 src0_sel:WORD_0 src1_sel:DWORD
	s_nop 1
	v_cndmask_b32_e64 v114, v7, v6, s[24:25]
; %bb.1481:                             ;   in Loop: Header=BB30_1321 Depth=3
	s_or_b64 exec, exec, s[38:39]
	v_and_b32_e32 v6, 0xffff0000, v103
	v_and_b32_e32 v7, 0xffff0000, v115
	v_max_f32_e32 v7, v7, v7
	v_max_f32_e32 v6, v6, v6
	v_min_f32_e32 v30, v6, v7
	v_max_f32_e32 v6, v6, v7
	v_cndmask_b32_e32 v6, v6, v30, vcc
	v_and_b32_e32 v7, 0x7f800000, v6
	v_cmp_ne_u32_e64 s[24:25], s43, v7
                                        ; implicit-def: $vgpr103
	s_and_saveexec_b64 s[8:9], s[24:25]
	s_xor_b64 s[24:25], exec, s[8:9]
; %bb.1482:                             ;   in Loop: Header=BB30_1321 Depth=3
	v_bfe_u32 v7, v6, 16, 1
	v_add3_u32 v103, v6, v7, s40
                                        ; implicit-def: $vgpr6
; %bb.1483:                             ;   in Loop: Header=BB30_1321 Depth=3
	s_andn2_saveexec_b64 s[38:39], s[24:25]
; %bb.1484:                             ;   in Loop: Header=BB30_1321 Depth=3
	v_or_b32_e32 v7, 0x10000, v6
	v_cmp_eq_u32_sdwa s[24:25], v6, v3 src0_sel:WORD_0 src1_sel:DWORD
	s_nop 1
	v_cndmask_b32_e64 v103, v7, v6, s[24:25]
; %bb.1485:                             ;   in Loop: Header=BB30_1321 Depth=3
	s_or_b64 exec, exec, s[38:39]
	v_lshlrev_b32_e32 v6, 16, v84
	s_waitcnt vmcnt(2)
	v_lshlrev_b32_e32 v7, 16, v96
	v_max_f32_e32 v7, v7, v7
	v_max_f32_e32 v6, v6, v6
	v_min_f32_e32 v30, v6, v7
	v_max_f32_e32 v6, v6, v7
	v_cndmask_b32_e32 v6, v6, v30, vcc
	v_and_b32_e32 v7, 0x7f800000, v6
	v_cmp_ne_u32_e64 s[24:25], s43, v7
                                        ; implicit-def: $vgpr115
	s_and_saveexec_b64 s[8:9], s[24:25]
	s_xor_b64 s[24:25], exec, s[8:9]
; %bb.1486:                             ;   in Loop: Header=BB30_1321 Depth=3
	v_bfe_u32 v7, v6, 16, 1
	v_add3_u32 v115, v6, v7, s40
                                        ; implicit-def: $vgpr6
; %bb.1487:                             ;   in Loop: Header=BB30_1321 Depth=3
	s_andn2_saveexec_b64 s[38:39], s[24:25]
; %bb.1488:                             ;   in Loop: Header=BB30_1321 Depth=3
	v_or_b32_e32 v7, 0x10000, v6
	v_cmp_eq_u32_sdwa s[24:25], v6, v3 src0_sel:WORD_0 src1_sel:DWORD
	s_nop 1
	v_cndmask_b32_e64 v115, v7, v6, s[24:25]
; %bb.1489:                             ;   in Loop: Header=BB30_1321 Depth=3
	s_or_b64 exec, exec, s[38:39]
	v_and_b32_e32 v6, 0xffff0000, v84
	v_and_b32_e32 v7, 0xffff0000, v96
	v_max_f32_e32 v7, v7, v7
	v_max_f32_e32 v6, v6, v6
	v_min_f32_e32 v30, v6, v7
	v_max_f32_e32 v6, v6, v7
	v_cndmask_b32_e32 v6, v6, v30, vcc
	v_and_b32_e32 v7, 0x7f800000, v6
	v_cmp_ne_u32_e64 s[24:25], s43, v7
                                        ; implicit-def: $vgpr84
	s_and_saveexec_b64 s[8:9], s[24:25]
	s_xor_b64 s[24:25], exec, s[8:9]
; %bb.1490:                             ;   in Loop: Header=BB30_1321 Depth=3
	v_bfe_u32 v7, v6, 16, 1
	v_add3_u32 v84, v6, v7, s40
                                        ; implicit-def: $vgpr6
; %bb.1491:                             ;   in Loop: Header=BB30_1321 Depth=3
	s_andn2_saveexec_b64 s[38:39], s[24:25]
; %bb.1492:                             ;   in Loop: Header=BB30_1321 Depth=3
	v_or_b32_e32 v7, 0x10000, v6
	v_cmp_eq_u32_sdwa s[24:25], v6, v3 src0_sel:WORD_0 src1_sel:DWORD
	s_nop 1
	v_cndmask_b32_e64 v84, v7, v6, s[24:25]
; %bb.1493:                             ;   in Loop: Header=BB30_1321 Depth=3
	s_or_b64 exec, exec, s[38:39]
	v_lshlrev_b32_e32 v6, 16, v85
	v_lshlrev_b32_e32 v7, 16, v97
	v_max_f32_e32 v7, v7, v7
	v_max_f32_e32 v6, v6, v6
	v_min_f32_e32 v30, v6, v7
	v_max_f32_e32 v6, v6, v7
	v_cndmask_b32_e32 v6, v6, v30, vcc
	v_and_b32_e32 v7, 0x7f800000, v6
	v_cmp_ne_u32_e64 s[24:25], s43, v7
                                        ; implicit-def: $vgpr96
	s_and_saveexec_b64 s[8:9], s[24:25]
	s_xor_b64 s[24:25], exec, s[8:9]
; %bb.1494:                             ;   in Loop: Header=BB30_1321 Depth=3
	v_bfe_u32 v7, v6, 16, 1
	v_add3_u32 v96, v6, v7, s40
                                        ; implicit-def: $vgpr6
; %bb.1495:                             ;   in Loop: Header=BB30_1321 Depth=3
	s_andn2_saveexec_b64 s[38:39], s[24:25]
; %bb.1496:                             ;   in Loop: Header=BB30_1321 Depth=3
	v_or_b32_e32 v7, 0x10000, v6
	v_cmp_eq_u32_sdwa s[24:25], v6, v3 src0_sel:WORD_0 src1_sel:DWORD
	s_nop 1
	v_cndmask_b32_e64 v96, v7, v6, s[24:25]
; %bb.1497:                             ;   in Loop: Header=BB30_1321 Depth=3
	s_or_b64 exec, exec, s[38:39]
	v_and_b32_e32 v6, 0xffff0000, v85
	v_and_b32_e32 v7, 0xffff0000, v97
	v_max_f32_e32 v7, v7, v7
	v_max_f32_e32 v6, v6, v6
	v_min_f32_e32 v30, v6, v7
	v_max_f32_e32 v6, v6, v7
	v_cndmask_b32_e32 v6, v6, v30, vcc
	v_and_b32_e32 v7, 0x7f800000, v6
	v_cmp_ne_u32_e64 s[24:25], s43, v7
                                        ; implicit-def: $vgpr85
	s_and_saveexec_b64 s[8:9], s[24:25]
	s_xor_b64 s[24:25], exec, s[8:9]
; %bb.1498:                             ;   in Loop: Header=BB30_1321 Depth=3
	v_bfe_u32 v7, v6, 16, 1
	v_add3_u32 v85, v6, v7, s40
                                        ; implicit-def: $vgpr6
; %bb.1499:                             ;   in Loop: Header=BB30_1321 Depth=3
	s_andn2_saveexec_b64 s[38:39], s[24:25]
; %bb.1500:                             ;   in Loop: Header=BB30_1321 Depth=3
	v_or_b32_e32 v7, 0x10000, v6
	v_cmp_eq_u32_sdwa s[24:25], v6, v3 src0_sel:WORD_0 src1_sel:DWORD
	s_nop 1
	v_cndmask_b32_e64 v85, v7, v6, s[24:25]
; %bb.1501:                             ;   in Loop: Header=BB30_1321 Depth=3
	s_or_b64 exec, exec, s[38:39]
	v_lshlrev_b32_e32 v6, 16, v86
	v_lshlrev_b32_e32 v7, 16, v98
	v_max_f32_e32 v7, v7, v7
	v_max_f32_e32 v6, v6, v6
	v_min_f32_e32 v30, v6, v7
	v_max_f32_e32 v6, v6, v7
	v_cndmask_b32_e32 v7, v6, v30, vcc
	v_and_b32_e32 v6, 0x7f800000, v7
	v_cmp_ne_u32_e64 s[24:25], s43, v6
                                        ; implicit-def: $vgpr6
	s_and_saveexec_b64 s[8:9], s[24:25]
	s_xor_b64 s[24:25], exec, s[8:9]
; %bb.1502:                             ;   in Loop: Header=BB30_1321 Depth=3
	v_bfe_u32 v6, v7, 16, 1
	v_add3_u32 v6, v7, v6, s40
                                        ; implicit-def: $vgpr7
; %bb.1503:                             ;   in Loop: Header=BB30_1321 Depth=3
	s_andn2_saveexec_b64 s[38:39], s[24:25]
; %bb.1504:                             ;   in Loop: Header=BB30_1321 Depth=3
	v_or_b32_e32 v6, 0x10000, v7
	v_cmp_eq_u32_sdwa s[24:25], v7, v3 src0_sel:WORD_0 src1_sel:DWORD
	s_nop 1
	v_cndmask_b32_e64 v6, v6, v7, s[24:25]
; %bb.1505:                             ;   in Loop: Header=BB30_1321 Depth=3
	s_or_b64 exec, exec, s[38:39]
	v_and_b32_e32 v7, 0xffff0000, v86
	v_and_b32_e32 v30, 0xffff0000, v98
	v_max_f32_e32 v30, v30, v30
	v_max_f32_e32 v7, v7, v7
	v_min_f32_e32 v86, v7, v30
	v_max_f32_e32 v7, v7, v30
	v_cndmask_b32_e32 v30, v7, v86, vcc
	v_and_b32_e32 v7, 0x7f800000, v30
	v_cmp_ne_u32_e64 s[24:25], s43, v7
                                        ; implicit-def: $vgpr7
	s_and_saveexec_b64 s[8:9], s[24:25]
	s_xor_b64 s[24:25], exec, s[8:9]
; %bb.1506:                             ;   in Loop: Header=BB30_1321 Depth=3
	v_bfe_u32 v7, v30, 16, 1
	v_add3_u32 v7, v30, v7, s40
                                        ; implicit-def: $vgpr30
; %bb.1507:                             ;   in Loop: Header=BB30_1321 Depth=3
	s_andn2_saveexec_b64 s[38:39], s[24:25]
; %bb.1508:                             ;   in Loop: Header=BB30_1321 Depth=3
	v_or_b32_e32 v7, 0x10000, v30
	v_cmp_eq_u32_sdwa s[24:25], v30, v3 src0_sel:WORD_0 src1_sel:DWORD
	s_nop 1
	v_cndmask_b32_e64 v7, v7, v30, s[24:25]
; %bb.1509:                             ;   in Loop: Header=BB30_1321 Depth=3
	s_or_b64 exec, exec, s[38:39]
	v_lshlrev_b32_e32 v30, 16, v87
	v_lshlrev_b32_e32 v86, 16, v99
	v_max_f32_e32 v86, v86, v86
	v_max_f32_e32 v30, v30, v30
	v_min_f32_e32 v97, v30, v86
	v_max_f32_e32 v30, v30, v86
	v_cndmask_b32_e32 v86, v30, v97, vcc
	v_and_b32_e32 v30, 0x7f800000, v86
	v_cmp_ne_u32_e64 s[24:25], s43, v30
                                        ; implicit-def: $vgpr30
	s_and_saveexec_b64 s[8:9], s[24:25]
	s_xor_b64 s[24:25], exec, s[8:9]
; %bb.1510:                             ;   in Loop: Header=BB30_1321 Depth=3
	v_bfe_u32 v30, v86, 16, 1
	v_add3_u32 v30, v86, v30, s40
                                        ; implicit-def: $vgpr86
; %bb.1511:                             ;   in Loop: Header=BB30_1321 Depth=3
	s_andn2_saveexec_b64 s[38:39], s[24:25]
; %bb.1512:                             ;   in Loop: Header=BB30_1321 Depth=3
	v_or_b32_e32 v30, 0x10000, v86
	v_cmp_eq_u32_sdwa s[24:25], v86, v3 src0_sel:WORD_0 src1_sel:DWORD
	s_nop 1
	v_cndmask_b32_e64 v30, v30, v86, s[24:25]
; %bb.1513:                             ;   in Loop: Header=BB30_1321 Depth=3
	s_or_b64 exec, exec, s[38:39]
	v_and_b32_e32 v86, 0xffff0000, v87
	v_and_b32_e32 v87, 0xffff0000, v99
	v_max_f32_e32 v87, v87, v87
	v_max_f32_e32 v86, v86, v86
	v_min_f32_e32 v97, v86, v87
	v_max_f32_e32 v86, v86, v87
	v_cndmask_b32_e32 v87, v86, v97, vcc
	v_and_b32_e32 v86, 0x7f800000, v87
	v_cmp_ne_u32_e64 s[24:25], s43, v86
                                        ; implicit-def: $vgpr86
	s_and_saveexec_b64 s[8:9], s[24:25]
	s_xor_b64 s[24:25], exec, s[8:9]
; %bb.1514:                             ;   in Loop: Header=BB30_1321 Depth=3
	v_bfe_u32 v86, v87, 16, 1
	v_add3_u32 v86, v87, v86, s40
                                        ; implicit-def: $vgpr87
; %bb.1515:                             ;   in Loop: Header=BB30_1321 Depth=3
	s_andn2_saveexec_b64 s[38:39], s[24:25]
; %bb.1516:                             ;   in Loop: Header=BB30_1321 Depth=3
	v_or_b32_e32 v86, 0x10000, v87
	v_cmp_eq_u32_sdwa s[24:25], v87, v3 src0_sel:WORD_0 src1_sel:DWORD
	s_nop 1
	v_cndmask_b32_e64 v86, v86, v87, s[24:25]
; %bb.1517:                             ;   in Loop: Header=BB30_1321 Depth=3
	s_or_b64 exec, exec, s[38:39]
	v_lshlrev_b32_e32 v87, 16, v64
	s_waitcnt vmcnt(1)
	v_lshlrev_b32_e32 v97, 16, v68
	v_max_f32_e32 v97, v97, v97
	v_max_f32_e32 v87, v87, v87
	v_min_f32_e32 v98, v87, v97
	v_max_f32_e32 v87, v87, v97
	v_cndmask_b32_e32 v97, v87, v98, vcc
	v_and_b32_e32 v87, 0x7f800000, v97
	v_cmp_ne_u32_e64 s[24:25], s43, v87
                                        ; implicit-def: $vgpr87
	s_and_saveexec_b64 s[8:9], s[24:25]
	s_xor_b64 s[24:25], exec, s[8:9]
; %bb.1518:                             ;   in Loop: Header=BB30_1321 Depth=3
	v_bfe_u32 v87, v97, 16, 1
	v_add3_u32 v87, v97, v87, s40
                                        ; implicit-def: $vgpr97
; %bb.1519:                             ;   in Loop: Header=BB30_1321 Depth=3
	s_andn2_saveexec_b64 s[38:39], s[24:25]
; %bb.1520:                             ;   in Loop: Header=BB30_1321 Depth=3
	v_or_b32_e32 v87, 0x10000, v97
	v_cmp_eq_u32_sdwa s[24:25], v97, v3 src0_sel:WORD_0 src1_sel:DWORD
	s_nop 1
	v_cndmask_b32_e64 v87, v87, v97, s[24:25]
; %bb.1521:                             ;   in Loop: Header=BB30_1321 Depth=3
	s_or_b64 exec, exec, s[38:39]
	v_and_b32_e32 v64, 0xffff0000, v64
	v_and_b32_e32 v68, 0xffff0000, v68
	v_max_f32_e32 v68, v68, v68
	v_max_f32_e32 v64, v64, v64
	v_min_f32_e32 v97, v64, v68
	v_max_f32_e32 v64, v64, v68
	v_cndmask_b32_e32 v68, v64, v97, vcc
	v_and_b32_e32 v64, 0x7f800000, v68
	v_cmp_ne_u32_e64 s[24:25], s43, v64
                                        ; implicit-def: $vgpr64
	s_and_saveexec_b64 s[8:9], s[24:25]
	s_xor_b64 s[24:25], exec, s[8:9]
; %bb.1522:                             ;   in Loop: Header=BB30_1321 Depth=3
	v_bfe_u32 v64, v68, 16, 1
	v_add3_u32 v64, v68, v64, s40
                                        ; implicit-def: $vgpr68
; %bb.1523:                             ;   in Loop: Header=BB30_1321 Depth=3
	s_andn2_saveexec_b64 s[38:39], s[24:25]
; %bb.1524:                             ;   in Loop: Header=BB30_1321 Depth=3
	v_or_b32_e32 v64, 0x10000, v68
	v_cmp_eq_u32_sdwa s[24:25], v68, v3 src0_sel:WORD_0 src1_sel:DWORD
	s_nop 1
	v_cndmask_b32_e64 v64, v64, v68, s[24:25]
; %bb.1525:                             ;   in Loop: Header=BB30_1321 Depth=3
	s_or_b64 exec, exec, s[38:39]
	v_lshlrev_b32_e32 v68, 16, v65
	v_lshlrev_b32_e32 v97, 16, v69
	v_max_f32_e32 v97, v97, v97
	v_max_f32_e32 v68, v68, v68
	v_min_f32_e32 v98, v68, v97
	v_max_f32_e32 v68, v68, v97
	v_cndmask_b32_e32 v97, v68, v98, vcc
	v_and_b32_e32 v68, 0x7f800000, v97
	v_cmp_ne_u32_e64 s[24:25], s43, v68
                                        ; implicit-def: $vgpr68
	s_and_saveexec_b64 s[8:9], s[24:25]
	s_xor_b64 s[24:25], exec, s[8:9]
; %bb.1526:                             ;   in Loop: Header=BB30_1321 Depth=3
	v_bfe_u32 v68, v97, 16, 1
	v_add3_u32 v68, v97, v68, s40
                                        ; implicit-def: $vgpr97
; %bb.1527:                             ;   in Loop: Header=BB30_1321 Depth=3
	s_andn2_saveexec_b64 s[38:39], s[24:25]
; %bb.1528:                             ;   in Loop: Header=BB30_1321 Depth=3
	v_or_b32_e32 v68, 0x10000, v97
	v_cmp_eq_u32_sdwa s[24:25], v97, v3 src0_sel:WORD_0 src1_sel:DWORD
	s_nop 1
	v_cndmask_b32_e64 v68, v68, v97, s[24:25]
; %bb.1529:                             ;   in Loop: Header=BB30_1321 Depth=3
	s_or_b64 exec, exec, s[38:39]
	v_and_b32_e32 v65, 0xffff0000, v65
	v_and_b32_e32 v69, 0xffff0000, v69
	v_max_f32_e32 v69, v69, v69
	v_max_f32_e32 v65, v65, v65
	v_min_f32_e32 v97, v65, v69
	v_max_f32_e32 v65, v65, v69
	v_cndmask_b32_e32 v69, v65, v97, vcc
	v_and_b32_e32 v65, 0x7f800000, v69
	v_cmp_ne_u32_e64 s[24:25], s43, v65
                                        ; implicit-def: $vgpr65
	s_and_saveexec_b64 s[8:9], s[24:25]
	s_xor_b64 s[24:25], exec, s[8:9]
; %bb.1530:                             ;   in Loop: Header=BB30_1321 Depth=3
	v_bfe_u32 v65, v69, 16, 1
	v_add3_u32 v65, v69, v65, s40
                                        ; implicit-def: $vgpr69
; %bb.1531:                             ;   in Loop: Header=BB30_1321 Depth=3
	s_andn2_saveexec_b64 s[38:39], s[24:25]
; %bb.1532:                             ;   in Loop: Header=BB30_1321 Depth=3
	v_or_b32_e32 v65, 0x10000, v69
	v_cmp_eq_u32_sdwa s[24:25], v69, v3 src0_sel:WORD_0 src1_sel:DWORD
	s_nop 1
	v_cndmask_b32_e64 v65, v65, v69, s[24:25]
; %bb.1533:                             ;   in Loop: Header=BB30_1321 Depth=3
	s_or_b64 exec, exec, s[38:39]
	v_lshlrev_b32_e32 v69, 16, v66
	v_lshlrev_b32_e32 v97, 16, v70
	v_max_f32_e32 v97, v97, v97
	v_max_f32_e32 v69, v69, v69
	v_min_f32_e32 v98, v69, v97
	v_max_f32_e32 v69, v69, v97
	v_cndmask_b32_e32 v97, v69, v98, vcc
	v_and_b32_e32 v69, 0x7f800000, v97
	v_cmp_ne_u32_e64 s[24:25], s43, v69
                                        ; implicit-def: $vgpr69
	s_and_saveexec_b64 s[8:9], s[24:25]
	s_xor_b64 s[24:25], exec, s[8:9]
; %bb.1534:                             ;   in Loop: Header=BB30_1321 Depth=3
	v_bfe_u32 v69, v97, 16, 1
	v_add3_u32 v69, v97, v69, s40
                                        ; implicit-def: $vgpr97
; %bb.1535:                             ;   in Loop: Header=BB30_1321 Depth=3
	s_andn2_saveexec_b64 s[38:39], s[24:25]
; %bb.1536:                             ;   in Loop: Header=BB30_1321 Depth=3
	v_or_b32_e32 v69, 0x10000, v97
	v_cmp_eq_u32_sdwa s[24:25], v97, v3 src0_sel:WORD_0 src1_sel:DWORD
	s_nop 1
	v_cndmask_b32_e64 v69, v69, v97, s[24:25]
; %bb.1537:                             ;   in Loop: Header=BB30_1321 Depth=3
	s_or_b64 exec, exec, s[38:39]
	v_and_b32_e32 v66, 0xffff0000, v66
	v_and_b32_e32 v70, 0xffff0000, v70
	v_max_f32_e32 v70, v70, v70
	v_max_f32_e32 v66, v66, v66
	v_min_f32_e32 v97, v66, v70
	v_max_f32_e32 v66, v66, v70
	v_cndmask_b32_e32 v70, v66, v97, vcc
	v_and_b32_e32 v66, 0x7f800000, v70
	v_cmp_ne_u32_e64 s[24:25], s43, v66
                                        ; implicit-def: $vgpr66
	s_and_saveexec_b64 s[8:9], s[24:25]
	s_xor_b64 s[24:25], exec, s[8:9]
; %bb.1538:                             ;   in Loop: Header=BB30_1321 Depth=3
	v_bfe_u32 v66, v70, 16, 1
	v_add3_u32 v66, v70, v66, s40
                                        ; implicit-def: $vgpr70
; %bb.1539:                             ;   in Loop: Header=BB30_1321 Depth=3
	s_andn2_saveexec_b64 s[38:39], s[24:25]
; %bb.1540:                             ;   in Loop: Header=BB30_1321 Depth=3
	v_or_b32_e32 v66, 0x10000, v70
	v_cmp_eq_u32_sdwa s[24:25], v70, v3 src0_sel:WORD_0 src1_sel:DWORD
	s_nop 1
	v_cndmask_b32_e64 v66, v66, v70, s[24:25]
; %bb.1541:                             ;   in Loop: Header=BB30_1321 Depth=3
	s_or_b64 exec, exec, s[38:39]
	v_lshlrev_b32_e32 v70, 16, v67
	v_lshlrev_b32_e32 v97, 16, v71
	v_max_f32_e32 v97, v97, v97
	v_max_f32_e32 v70, v70, v70
	v_min_f32_e32 v98, v70, v97
	v_max_f32_e32 v70, v70, v97
	v_cndmask_b32_e32 v97, v70, v98, vcc
	v_and_b32_e32 v70, 0x7f800000, v97
	v_cmp_ne_u32_e64 s[24:25], s43, v70
                                        ; implicit-def: $vgpr70
	s_and_saveexec_b64 s[8:9], s[24:25]
	s_xor_b64 s[24:25], exec, s[8:9]
; %bb.1542:                             ;   in Loop: Header=BB30_1321 Depth=3
	v_bfe_u32 v70, v97, 16, 1
	v_add3_u32 v70, v97, v70, s40
                                        ; implicit-def: $vgpr97
; %bb.1543:                             ;   in Loop: Header=BB30_1321 Depth=3
	s_andn2_saveexec_b64 s[38:39], s[24:25]
; %bb.1544:                             ;   in Loop: Header=BB30_1321 Depth=3
	v_or_b32_e32 v70, 0x10000, v97
	v_cmp_eq_u32_sdwa s[24:25], v97, v3 src0_sel:WORD_0 src1_sel:DWORD
	s_nop 1
	v_cndmask_b32_e64 v70, v70, v97, s[24:25]
; %bb.1545:                             ;   in Loop: Header=BB30_1321 Depth=3
	s_or_b64 exec, exec, s[38:39]
	v_and_b32_e32 v67, 0xffff0000, v67
	v_and_b32_e32 v71, 0xffff0000, v71
	v_max_f32_e32 v71, v71, v71
	v_max_f32_e32 v67, v67, v67
	v_min_f32_e32 v97, v67, v71
	v_max_f32_e32 v67, v67, v71
	v_cndmask_b32_e32 v71, v67, v97, vcc
	v_and_b32_e32 v67, 0x7f800000, v71
	v_cmp_ne_u32_e64 s[24:25], s43, v67
                                        ; implicit-def: $vgpr67
	s_and_saveexec_b64 s[8:9], s[24:25]
	s_xor_b64 s[24:25], exec, s[8:9]
; %bb.1546:                             ;   in Loop: Header=BB30_1321 Depth=3
	v_bfe_u32 v67, v71, 16, 1
	v_add3_u32 v67, v71, v67, s40
                                        ; implicit-def: $vgpr71
; %bb.1547:                             ;   in Loop: Header=BB30_1321 Depth=3
	s_andn2_saveexec_b64 s[38:39], s[24:25]
; %bb.1548:                             ;   in Loop: Header=BB30_1321 Depth=3
	v_or_b32_e32 v67, 0x10000, v71
	v_cmp_eq_u32_sdwa s[24:25], v71, v3 src0_sel:WORD_0 src1_sel:DWORD
	s_nop 1
	v_cndmask_b32_e64 v67, v67, v71, s[24:25]
; %bb.1549:                             ;   in Loop: Header=BB30_1321 Depth=3
	s_or_b64 exec, exec, s[38:39]
	v_lshlrev_b32_e32 v71, 16, v48
	s_waitcnt vmcnt(0)
	v_lshlrev_b32_e32 v97, 16, v52
	v_max_f32_e32 v97, v97, v97
	v_max_f32_e32 v71, v71, v71
	v_min_f32_e32 v98, v71, v97
	v_max_f32_e32 v71, v71, v97
	v_cndmask_b32_e32 v97, v71, v98, vcc
	v_and_b32_e32 v71, 0x7f800000, v97
	v_cmp_ne_u32_e64 s[24:25], s43, v71
                                        ; implicit-def: $vgpr71
	s_and_saveexec_b64 s[8:9], s[24:25]
	s_xor_b64 s[24:25], exec, s[8:9]
; %bb.1550:                             ;   in Loop: Header=BB30_1321 Depth=3
	v_bfe_u32 v71, v97, 16, 1
	v_add3_u32 v71, v97, v71, s40
                                        ; implicit-def: $vgpr97
; %bb.1551:                             ;   in Loop: Header=BB30_1321 Depth=3
	s_andn2_saveexec_b64 s[38:39], s[24:25]
; %bb.1552:                             ;   in Loop: Header=BB30_1321 Depth=3
	v_or_b32_e32 v71, 0x10000, v97
	v_cmp_eq_u32_sdwa s[24:25], v97, v3 src0_sel:WORD_0 src1_sel:DWORD
	s_nop 1
	v_cndmask_b32_e64 v71, v71, v97, s[24:25]
; %bb.1553:                             ;   in Loop: Header=BB30_1321 Depth=3
	s_or_b64 exec, exec, s[38:39]
	v_and_b32_e32 v48, 0xffff0000, v48
	v_and_b32_e32 v52, 0xffff0000, v52
	v_max_f32_e32 v52, v52, v52
	v_max_f32_e32 v48, v48, v48
	v_min_f32_e32 v97, v48, v52
	v_max_f32_e32 v48, v48, v52
	v_cndmask_b32_e32 v52, v48, v97, vcc
	v_and_b32_e32 v48, 0x7f800000, v52
	v_cmp_ne_u32_e64 s[24:25], s43, v48
                                        ; implicit-def: $vgpr48
	s_and_saveexec_b64 s[8:9], s[24:25]
	s_xor_b64 s[24:25], exec, s[8:9]
; %bb.1554:                             ;   in Loop: Header=BB30_1321 Depth=3
	v_bfe_u32 v48, v52, 16, 1
	v_add3_u32 v48, v52, v48, s40
                                        ; implicit-def: $vgpr52
; %bb.1555:                             ;   in Loop: Header=BB30_1321 Depth=3
	s_andn2_saveexec_b64 s[38:39], s[24:25]
; %bb.1556:                             ;   in Loop: Header=BB30_1321 Depth=3
	v_or_b32_e32 v48, 0x10000, v52
	v_cmp_eq_u32_sdwa s[24:25], v52, v3 src0_sel:WORD_0 src1_sel:DWORD
	s_nop 1
	v_cndmask_b32_e64 v48, v48, v52, s[24:25]
; %bb.1557:                             ;   in Loop: Header=BB30_1321 Depth=3
	s_or_b64 exec, exec, s[38:39]
	v_lshlrev_b32_e32 v52, 16, v49
	v_lshlrev_b32_e32 v97, 16, v53
	v_max_f32_e32 v97, v97, v97
	v_max_f32_e32 v52, v52, v52
	v_min_f32_e32 v98, v52, v97
	v_max_f32_e32 v52, v52, v97
	v_cndmask_b32_e32 v97, v52, v98, vcc
	v_and_b32_e32 v52, 0x7f800000, v97
	v_cmp_ne_u32_e64 s[24:25], s43, v52
                                        ; implicit-def: $vgpr52
	s_and_saveexec_b64 s[8:9], s[24:25]
	s_xor_b64 s[24:25], exec, s[8:9]
; %bb.1558:                             ;   in Loop: Header=BB30_1321 Depth=3
	v_bfe_u32 v52, v97, 16, 1
	v_add3_u32 v52, v97, v52, s40
                                        ; implicit-def: $vgpr97
; %bb.1559:                             ;   in Loop: Header=BB30_1321 Depth=3
	s_andn2_saveexec_b64 s[38:39], s[24:25]
; %bb.1560:                             ;   in Loop: Header=BB30_1321 Depth=3
	v_or_b32_e32 v52, 0x10000, v97
	v_cmp_eq_u32_sdwa s[24:25], v97, v3 src0_sel:WORD_0 src1_sel:DWORD
	s_nop 1
	v_cndmask_b32_e64 v52, v52, v97, s[24:25]
; %bb.1561:                             ;   in Loop: Header=BB30_1321 Depth=3
	s_or_b64 exec, exec, s[38:39]
	v_and_b32_e32 v49, 0xffff0000, v49
	v_and_b32_e32 v53, 0xffff0000, v53
	v_max_f32_e32 v53, v53, v53
	v_max_f32_e32 v49, v49, v49
	v_min_f32_e32 v97, v49, v53
	v_max_f32_e32 v49, v49, v53
	v_cndmask_b32_e32 v53, v49, v97, vcc
	v_and_b32_e32 v49, 0x7f800000, v53
	v_cmp_ne_u32_e64 s[24:25], s43, v49
                                        ; implicit-def: $vgpr49
	s_and_saveexec_b64 s[8:9], s[24:25]
	s_xor_b64 s[24:25], exec, s[8:9]
; %bb.1562:                             ;   in Loop: Header=BB30_1321 Depth=3
	v_bfe_u32 v49, v53, 16, 1
	v_add3_u32 v49, v53, v49, s40
                                        ; implicit-def: $vgpr53
; %bb.1563:                             ;   in Loop: Header=BB30_1321 Depth=3
	s_andn2_saveexec_b64 s[38:39], s[24:25]
; %bb.1564:                             ;   in Loop: Header=BB30_1321 Depth=3
	v_or_b32_e32 v49, 0x10000, v53
	v_cmp_eq_u32_sdwa s[24:25], v53, v3 src0_sel:WORD_0 src1_sel:DWORD
	s_nop 1
	v_cndmask_b32_e64 v49, v49, v53, s[24:25]
; %bb.1565:                             ;   in Loop: Header=BB30_1321 Depth=3
	s_or_b64 exec, exec, s[38:39]
	v_lshlrev_b32_e32 v53, 16, v50
	v_lshlrev_b32_e32 v97, 16, v54
	v_max_f32_e32 v97, v97, v97
	v_max_f32_e32 v53, v53, v53
	v_min_f32_e32 v98, v53, v97
	v_max_f32_e32 v53, v53, v97
	v_cndmask_b32_e32 v97, v53, v98, vcc
	v_and_b32_e32 v53, 0x7f800000, v97
	v_cmp_ne_u32_e64 s[24:25], s43, v53
                                        ; implicit-def: $vgpr53
	s_and_saveexec_b64 s[8:9], s[24:25]
	s_xor_b64 s[24:25], exec, s[8:9]
; %bb.1566:                             ;   in Loop: Header=BB30_1321 Depth=3
	v_bfe_u32 v53, v97, 16, 1
	v_add3_u32 v53, v97, v53, s40
                                        ; implicit-def: $vgpr97
; %bb.1567:                             ;   in Loop: Header=BB30_1321 Depth=3
	s_andn2_saveexec_b64 s[38:39], s[24:25]
; %bb.1568:                             ;   in Loop: Header=BB30_1321 Depth=3
	v_or_b32_e32 v53, 0x10000, v97
	v_cmp_eq_u32_sdwa s[24:25], v97, v3 src0_sel:WORD_0 src1_sel:DWORD
	s_nop 1
	v_cndmask_b32_e64 v53, v53, v97, s[24:25]
; %bb.1569:                             ;   in Loop: Header=BB30_1321 Depth=3
	s_or_b64 exec, exec, s[38:39]
	v_and_b32_e32 v50, 0xffff0000, v50
	v_and_b32_e32 v54, 0xffff0000, v54
	v_max_f32_e32 v54, v54, v54
	v_max_f32_e32 v50, v50, v50
	v_min_f32_e32 v97, v50, v54
	v_max_f32_e32 v50, v50, v54
	v_cndmask_b32_e32 v54, v50, v97, vcc
	v_and_b32_e32 v50, 0x7f800000, v54
	v_cmp_ne_u32_e64 s[24:25], s43, v50
                                        ; implicit-def: $vgpr50
	s_and_saveexec_b64 s[8:9], s[24:25]
	s_xor_b64 s[24:25], exec, s[8:9]
; %bb.1570:                             ;   in Loop: Header=BB30_1321 Depth=3
	v_bfe_u32 v50, v54, 16, 1
	v_add3_u32 v50, v54, v50, s40
                                        ; implicit-def: $vgpr54
; %bb.1571:                             ;   in Loop: Header=BB30_1321 Depth=3
	s_andn2_saveexec_b64 s[38:39], s[24:25]
; %bb.1572:                             ;   in Loop: Header=BB30_1321 Depth=3
	v_or_b32_e32 v50, 0x10000, v54
	v_cmp_eq_u32_sdwa s[24:25], v54, v3 src0_sel:WORD_0 src1_sel:DWORD
	s_nop 1
	v_cndmask_b32_e64 v50, v50, v54, s[24:25]
; %bb.1573:                             ;   in Loop: Header=BB30_1321 Depth=3
	s_or_b64 exec, exec, s[38:39]
	v_lshlrev_b32_e32 v54, 16, v51
	v_lshlrev_b32_e32 v97, 16, v55
	v_max_f32_e32 v97, v97, v97
	v_max_f32_e32 v54, v54, v54
	v_min_f32_e32 v98, v54, v97
	v_max_f32_e32 v54, v54, v97
	v_cndmask_b32_e32 v97, v54, v98, vcc
	v_and_b32_e32 v54, 0x7f800000, v97
	v_cmp_ne_u32_e64 s[24:25], s43, v54
                                        ; implicit-def: $vgpr54
	s_and_saveexec_b64 s[8:9], s[24:25]
	s_xor_b64 s[24:25], exec, s[8:9]
; %bb.1574:                             ;   in Loop: Header=BB30_1321 Depth=3
	v_bfe_u32 v54, v97, 16, 1
	v_add3_u32 v54, v97, v54, s40
                                        ; implicit-def: $vgpr97
; %bb.1575:                             ;   in Loop: Header=BB30_1321 Depth=3
	s_andn2_saveexec_b64 s[38:39], s[24:25]
; %bb.1576:                             ;   in Loop: Header=BB30_1321 Depth=3
	v_or_b32_e32 v54, 0x10000, v97
	v_cmp_eq_u32_sdwa s[24:25], v97, v3 src0_sel:WORD_0 src1_sel:DWORD
	s_nop 1
	v_cndmask_b32_e64 v54, v54, v97, s[24:25]
; %bb.1577:                             ;   in Loop: Header=BB30_1321 Depth=3
	s_or_b64 exec, exec, s[38:39]
	v_and_b32_e32 v51, 0xffff0000, v51
	v_and_b32_e32 v55, 0xffff0000, v55
	v_max_f32_e32 v55, v55, v55
	v_max_f32_e32 v51, v51, v51
	v_min_f32_e32 v97, v51, v55
	v_max_f32_e32 v51, v51, v55
	v_cndmask_b32_e32 v55, v51, v97, vcc
	v_and_b32_e32 v51, 0x7f800000, v55
	v_cmp_ne_u32_e64 s[24:25], s43, v51
                                        ; implicit-def: $vgpr51
	s_and_saveexec_b64 s[8:9], s[24:25]
	s_xor_b64 s[24:25], exec, s[8:9]
; %bb.1578:                             ;   in Loop: Header=BB30_1321 Depth=3
	v_bfe_u32 v51, v55, 16, 1
	v_add3_u32 v51, v55, v51, s40
                                        ; implicit-def: $vgpr55
; %bb.1579:                             ;   in Loop: Header=BB30_1321 Depth=3
	s_andn2_saveexec_b64 s[38:39], s[24:25]
; %bb.1580:                             ;   in Loop: Header=BB30_1321 Depth=3
	v_or_b32_e32 v51, 0x10000, v55
	v_cmp_eq_u32_sdwa s[24:25], v55, v3 src0_sel:WORD_0 src1_sel:DWORD
	s_nop 1
	v_cndmask_b32_e64 v51, v51, v55, s[24:25]
; %bb.1581:                             ;   in Loop: Header=BB30_1321 Depth=3
	s_or_b64 exec, exec, s[38:39]
	v_lshrrev_b32_e32 v55, 16, v68
	v_and_or_b32 v65, v65, s41, v55
	v_lshrrev_b32_e32 v55, 16, v87
	v_and_or_b32 v64, v64, s41, v55
	v_lshrrev_b32_e32 v55, 16, v69
	v_lshrrev_b32_e32 v6, 16, v6
	v_and_or_b32 v66, v66, s41, v55
	v_lshrrev_b32_e32 v55, 16, v70
	v_and_or_b32 v98, v7, s41, v6
	;; [unrolled: 2-line block ×7, first 2 shown]
	v_and_or_b32 v84, v100, s41, v6
	v_lshrrev_b32_e32 v6, 16, v113
	v_and_or_b32 v86, v102, s41, v6
	v_lshrrev_b32_e32 v6, 16, v114
	;; [unrolled: 2-line block ×6, first 2 shown]
	v_and_or_b32 v51, v51, s41, v6
	global_store_dwordx4 v[116:117], v[84:87], off
	global_store_dwordx4 v[116:117], v[96:99], off offset:1024
	global_store_dwordx4 v[116:117], v[64:67], off offset:2048
	;; [unrolled: 1-line block ×3, first 2 shown]
	v_lshl_add_u64 v[116:117], v[116:117], 0, s[72:73]
	global_store_dwordx4 v[72:73], v[84:87], off
	global_store_dwordx4 v[72:73], v[96:99], off offset:1024
	global_store_dwordx4 v[72:73], v[64:67], off offset:2048
	;; [unrolled: 1-line block ×3, first 2 shown]
	v_lshl_add_u64 v[72:73], v[72:73], 0, s[72:73]
	s_and_saveexec_b64 s[24:25], s[36:37]
	s_cbranch_execz .LBB30_1320
; %bb.1582:                             ;   in Loop: Header=BB30_1321 Depth=3
	v_lshl_add_u64 v[116:117], v[116:117], 0, v[88:89]
	v_lshl_add_u64 v[72:73], v[72:73], 0, v[88:89]
	v_lshl_add_u64 v[120:121], v[120:121], 0, v[88:89]
	v_lshl_add_u64 v[4:5], v[4:5], 0, v[88:89]
	v_sub_u32_e32 v0, v0, v60
	s_branch .LBB30_1320
.LBB30_1583:                            ;   in Loop: Header=BB30_1243 Depth=2
	s_mov_b64 s[24:25], 0
	s_and_saveexec_b64 s[26:27], s[4:5]
	s_cbranch_execnz .LBB30_2823
	s_branch .LBB30_2841
.LBB30_1584:                            ;   in Loop: Header=BB30_1243 Depth=2
	s_mov_b64 s[30:31], 0
                                        ; implicit-def: $sgpr64
	s_andn2_b64 vcc, exec, s[26:27]
	v_mov_b32_e32 v1, 0
	s_cbranch_vccz .LBB30_1318
.LBB30_1585:                            ;   in Loop: Header=BB30_1243 Depth=2
	scratch_load_dword v0, off, s33 offset:312 ; 4-byte Folded Reload
	v_mov_b32_e32 v14, v29
	s_waitcnt vmcnt(0)
	v_mov_b32_e32 v4, v0
	v_and_b32_e32 v15, 63, v0
	s_and_saveexec_b64 s[34:35], s[30:31]
	s_cbranch_execnz .LBB30_1838
	s_branch .LBB30_2074
.LBB30_1586:                            ;   in Loop: Header=BB30_1243 Depth=2
	s_or_b64 exec, exec, s[28:29]
	scratch_load_dwordx2 v[120:121], off, s33 offset:420 ; 8-byte Folded Reload
	s_and_b64 s[24:25], s[34:35], exec
.LBB30_1587:                            ;   in Loop: Header=BB30_1243 Depth=2
	s_or_b64 exec, exec, s[26:27]
	s_and_saveexec_b64 s[26:27], s[24:25]
	s_cbranch_execz .LBB30_1717
; %bb.1588:                             ;   in Loop: Header=BB30_1243 Depth=2
	s_and_b32 s8, 0xffff, s64
	v_lshlrev_b32_e32 v4, 16, v80
	v_lshlrev_b32_e32 v5, 16, v32
	s_cmp_eq_u32 s8, 0
	v_max_f32_e32 v5, v5, v5
	v_max_f32_e32 v4, v4, v4
	v_min_f32_e32 v6, v4, v5
	v_max_f32_e32 v4, v4, v5
	s_cselect_b64 vcc, -1, 0
	v_cndmask_b32_e32 v5, v4, v6, vcc
	v_and_b32_e32 v4, 0x7f800000, v5
	v_cmp_ne_u32_e64 s[24:25], s43, v4
                                        ; implicit-def: $vgpr4
	s_and_saveexec_b64 s[8:9], s[24:25]
	s_xor_b64 s[24:25], exec, s[8:9]
; %bb.1589:                             ;   in Loop: Header=BB30_1243 Depth=2
	v_bfe_u32 v4, v5, 16, 1
	v_add3_u32 v4, v5, v4, s40
                                        ; implicit-def: $vgpr5
; %bb.1590:                             ;   in Loop: Header=BB30_1243 Depth=2
	s_andn2_saveexec_b64 s[28:29], s[24:25]
; %bb.1591:                             ;   in Loop: Header=BB30_1243 Depth=2
	v_or_b32_e32 v4, 0x10000, v5
	v_cmp_eq_u32_sdwa s[24:25], v5, v3 src0_sel:WORD_0 src1_sel:DWORD
	s_nop 1
	v_cndmask_b32_e64 v4, v4, v5, s[24:25]
; %bb.1592:                             ;   in Loop: Header=BB30_1243 Depth=2
	s_or_b64 exec, exec, s[28:29]
	v_and_b32_e32 v5, 0xffff0000, v80
	v_and_b32_e32 v6, 0xffff0000, v32
	v_max_f32_e32 v6, v6, v6
	v_max_f32_e32 v5, v5, v5
	v_min_f32_e32 v7, v5, v6
	v_max_f32_e32 v5, v5, v6
	v_cndmask_b32_e32 v6, v5, v7, vcc
	v_and_b32_e32 v5, 0x7f800000, v6
	v_cmp_ne_u32_e64 s[24:25], s43, v5
                                        ; implicit-def: $vgpr5
	s_and_saveexec_b64 s[8:9], s[24:25]
	s_xor_b64 s[24:25], exec, s[8:9]
; %bb.1593:                             ;   in Loop: Header=BB30_1243 Depth=2
	v_bfe_u32 v5, v6, 16, 1
	v_add3_u32 v5, v6, v5, s40
                                        ; implicit-def: $vgpr6
; %bb.1594:                             ;   in Loop: Header=BB30_1243 Depth=2
	s_andn2_saveexec_b64 s[28:29], s[24:25]
; %bb.1595:                             ;   in Loop: Header=BB30_1243 Depth=2
	v_or_b32_e32 v5, 0x10000, v6
	v_cmp_eq_u32_sdwa s[24:25], v6, v3 src0_sel:WORD_0 src1_sel:DWORD
	s_nop 1
	v_cndmask_b32_e64 v5, v5, v6, s[24:25]
; %bb.1596:                             ;   in Loop: Header=BB30_1243 Depth=2
	s_or_b64 exec, exec, s[28:29]
	v_lshlrev_b32_e32 v6, 16, v81
	v_lshlrev_b32_e32 v7, 16, v33
	v_max_f32_e32 v7, v7, v7
	v_max_f32_e32 v6, v6, v6
	v_min_f32_e32 v30, v6, v7
	v_max_f32_e32 v6, v6, v7
	v_cndmask_b32_e32 v6, v6, v30, vcc
	v_and_b32_e32 v7, 0x7f800000, v6
	v_cmp_ne_u32_e64 s[24:25], s43, v7
                                        ; implicit-def: $vgpr32
	s_and_saveexec_b64 s[8:9], s[24:25]
	s_xor_b64 s[24:25], exec, s[8:9]
; %bb.1597:                             ;   in Loop: Header=BB30_1243 Depth=2
	v_bfe_u32 v7, v6, 16, 1
	v_add3_u32 v32, v6, v7, s40
                                        ; implicit-def: $vgpr6
; %bb.1598:                             ;   in Loop: Header=BB30_1243 Depth=2
	s_andn2_saveexec_b64 s[28:29], s[24:25]
; %bb.1599:                             ;   in Loop: Header=BB30_1243 Depth=2
	v_or_b32_e32 v7, 0x10000, v6
	v_cmp_eq_u32_sdwa s[24:25], v6, v3 src0_sel:WORD_0 src1_sel:DWORD
	s_nop 1
	v_cndmask_b32_e64 v32, v7, v6, s[24:25]
; %bb.1600:                             ;   in Loop: Header=BB30_1243 Depth=2
	s_or_b64 exec, exec, s[28:29]
	v_and_b32_e32 v6, 0xffff0000, v81
	v_and_b32_e32 v7, 0xffff0000, v33
	v_max_f32_e32 v7, v7, v7
	v_max_f32_e32 v6, v6, v6
	v_min_f32_e32 v30, v6, v7
	v_max_f32_e32 v6, v6, v7
	v_cndmask_b32_e32 v6, v6, v30, vcc
	v_and_b32_e32 v7, 0x7f800000, v6
	v_cmp_ne_u32_e64 s[24:25], s43, v7
                                        ; implicit-def: $vgpr33
	s_and_saveexec_b64 s[8:9], s[24:25]
	s_xor_b64 s[24:25], exec, s[8:9]
; %bb.1601:                             ;   in Loop: Header=BB30_1243 Depth=2
	v_bfe_u32 v7, v6, 16, 1
	v_add3_u32 v33, v6, v7, s40
                                        ; implicit-def: $vgpr6
; %bb.1602:                             ;   in Loop: Header=BB30_1243 Depth=2
	s_andn2_saveexec_b64 s[28:29], s[24:25]
; %bb.1603:                             ;   in Loop: Header=BB30_1243 Depth=2
	v_or_b32_e32 v7, 0x10000, v6
	v_cmp_eq_u32_sdwa s[24:25], v6, v3 src0_sel:WORD_0 src1_sel:DWORD
	s_nop 1
	v_cndmask_b32_e64 v33, v7, v6, s[24:25]
; %bb.1604:                             ;   in Loop: Header=BB30_1243 Depth=2
	s_or_b64 exec, exec, s[28:29]
	v_lshlrev_b32_e32 v6, 16, v82
	v_lshlrev_b32_e32 v7, 16, v34
	v_max_f32_e32 v7, v7, v7
	v_max_f32_e32 v6, v6, v6
	v_min_f32_e32 v30, v6, v7
	v_max_f32_e32 v6, v6, v7
	v_cndmask_b32_e32 v6, v6, v30, vcc
	v_and_b32_e32 v7, 0x7f800000, v6
	v_cmp_ne_u32_e64 s[24:25], s43, v7
                                        ; implicit-def: $vgpr48
	s_and_saveexec_b64 s[8:9], s[24:25]
	s_xor_b64 s[24:25], exec, s[8:9]
; %bb.1605:                             ;   in Loop: Header=BB30_1243 Depth=2
	v_bfe_u32 v7, v6, 16, 1
	v_add3_u32 v48, v6, v7, s40
                                        ; implicit-def: $vgpr6
; %bb.1606:                             ;   in Loop: Header=BB30_1243 Depth=2
	s_andn2_saveexec_b64 s[28:29], s[24:25]
; %bb.1607:                             ;   in Loop: Header=BB30_1243 Depth=2
	v_or_b32_e32 v7, 0x10000, v6
	v_cmp_eq_u32_sdwa s[24:25], v6, v3 src0_sel:WORD_0 src1_sel:DWORD
	s_nop 1
	v_cndmask_b32_e64 v48, v7, v6, s[24:25]
; %bb.1608:                             ;   in Loop: Header=BB30_1243 Depth=2
	s_or_b64 exec, exec, s[28:29]
	v_and_b32_e32 v6, 0xffff0000, v82
	v_and_b32_e32 v7, 0xffff0000, v34
	v_max_f32_e32 v7, v7, v7
	v_max_f32_e32 v6, v6, v6
	v_min_f32_e32 v30, v6, v7
	v_max_f32_e32 v6, v6, v7
	v_cndmask_b32_e32 v6, v6, v30, vcc
	v_and_b32_e32 v7, 0x7f800000, v6
	v_cmp_ne_u32_e64 s[24:25], s43, v7
                                        ; implicit-def: $vgpr34
	s_and_saveexec_b64 s[8:9], s[24:25]
	s_xor_b64 s[24:25], exec, s[8:9]
; %bb.1609:                             ;   in Loop: Header=BB30_1243 Depth=2
	v_bfe_u32 v7, v6, 16, 1
	v_add3_u32 v34, v6, v7, s40
                                        ; implicit-def: $vgpr6
; %bb.1610:                             ;   in Loop: Header=BB30_1243 Depth=2
	s_andn2_saveexec_b64 s[28:29], s[24:25]
; %bb.1611:                             ;   in Loop: Header=BB30_1243 Depth=2
	v_or_b32_e32 v7, 0x10000, v6
	v_cmp_eq_u32_sdwa s[24:25], v6, v3 src0_sel:WORD_0 src1_sel:DWORD
	s_nop 1
	v_cndmask_b32_e64 v34, v7, v6, s[24:25]
; %bb.1612:                             ;   in Loop: Header=BB30_1243 Depth=2
	s_or_b64 exec, exec, s[28:29]
	v_lshlrev_b32_e32 v6, 16, v83
	v_lshlrev_b32_e32 v7, 16, v35
	v_max_f32_e32 v7, v7, v7
	v_max_f32_e32 v6, v6, v6
	v_min_f32_e32 v30, v6, v7
	v_max_f32_e32 v6, v6, v7
	v_cndmask_b32_e32 v6, v6, v30, vcc
	v_and_b32_e32 v7, 0x7f800000, v6
	v_cmp_ne_u32_e64 s[24:25], s43, v7
                                        ; implicit-def: $vgpr49
	s_and_saveexec_b64 s[8:9], s[24:25]
	s_xor_b64 s[24:25], exec, s[8:9]
; %bb.1613:                             ;   in Loop: Header=BB30_1243 Depth=2
	v_bfe_u32 v7, v6, 16, 1
	v_add3_u32 v49, v6, v7, s40
                                        ; implicit-def: $vgpr6
; %bb.1614:                             ;   in Loop: Header=BB30_1243 Depth=2
	s_andn2_saveexec_b64 s[28:29], s[24:25]
; %bb.1615:                             ;   in Loop: Header=BB30_1243 Depth=2
	v_or_b32_e32 v7, 0x10000, v6
	v_cmp_eq_u32_sdwa s[24:25], v6, v3 src0_sel:WORD_0 src1_sel:DWORD
	s_nop 1
	v_cndmask_b32_e64 v49, v7, v6, s[24:25]
; %bb.1616:                             ;   in Loop: Header=BB30_1243 Depth=2
	s_or_b64 exec, exec, s[28:29]
	v_and_b32_e32 v6, 0xffff0000, v83
	v_and_b32_e32 v7, 0xffff0000, v35
	v_max_f32_e32 v7, v7, v7
	v_max_f32_e32 v6, v6, v6
	v_min_f32_e32 v30, v6, v7
	v_max_f32_e32 v6, v6, v7
	v_cndmask_b32_e32 v6, v6, v30, vcc
	v_and_b32_e32 v7, 0x7f800000, v6
	v_cmp_ne_u32_e64 s[24:25], s43, v7
                                        ; implicit-def: $vgpr35
	s_and_saveexec_b64 s[8:9], s[24:25]
	s_xor_b64 s[24:25], exec, s[8:9]
; %bb.1617:                             ;   in Loop: Header=BB30_1243 Depth=2
	v_bfe_u32 v7, v6, 16, 1
	v_add3_u32 v35, v6, v7, s40
                                        ; implicit-def: $vgpr6
; %bb.1618:                             ;   in Loop: Header=BB30_1243 Depth=2
	s_andn2_saveexec_b64 s[28:29], s[24:25]
; %bb.1619:                             ;   in Loop: Header=BB30_1243 Depth=2
	v_or_b32_e32 v7, 0x10000, v6
	v_cmp_eq_u32_sdwa s[24:25], v6, v3 src0_sel:WORD_0 src1_sel:DWORD
	s_nop 1
	v_cndmask_b32_e64 v35, v7, v6, s[24:25]
; %bb.1620:                             ;   in Loop: Header=BB30_1243 Depth=2
	s_or_b64 exec, exec, s[28:29]
	v_lshlrev_b32_e32 v6, 16, v36
	v_lshlrev_b32_e32 v7, 16, v20
	v_max_f32_e32 v7, v7, v7
	v_max_f32_e32 v6, v6, v6
	v_min_f32_e32 v30, v6, v7
	v_max_f32_e32 v6, v6, v7
	v_cndmask_b32_e32 v6, v6, v30, vcc
	v_and_b32_e32 v7, 0x7f800000, v6
	v_cmp_ne_u32_e64 s[24:25], s43, v7
                                        ; implicit-def: $vgpr50
	s_and_saveexec_b64 s[8:9], s[24:25]
	s_xor_b64 s[24:25], exec, s[8:9]
; %bb.1621:                             ;   in Loop: Header=BB30_1243 Depth=2
	v_bfe_u32 v7, v6, 16, 1
	v_add3_u32 v50, v6, v7, s40
                                        ; implicit-def: $vgpr6
; %bb.1622:                             ;   in Loop: Header=BB30_1243 Depth=2
	s_andn2_saveexec_b64 s[28:29], s[24:25]
; %bb.1623:                             ;   in Loop: Header=BB30_1243 Depth=2
	v_or_b32_e32 v7, 0x10000, v6
	v_cmp_eq_u32_sdwa s[24:25], v6, v3 src0_sel:WORD_0 src1_sel:DWORD
	s_nop 1
	v_cndmask_b32_e64 v50, v7, v6, s[24:25]
; %bb.1624:                             ;   in Loop: Header=BB30_1243 Depth=2
	s_or_b64 exec, exec, s[28:29]
	v_and_b32_e32 v6, 0xffff0000, v36
	v_and_b32_e32 v7, 0xffff0000, v20
	v_max_f32_e32 v7, v7, v7
	v_max_f32_e32 v6, v6, v6
	v_min_f32_e32 v20, v6, v7
	v_max_f32_e32 v6, v6, v7
	v_cndmask_b32_e32 v6, v6, v20, vcc
	v_and_b32_e32 v7, 0x7f800000, v6
	v_cmp_ne_u32_e64 s[24:25], s43, v7
                                        ; implicit-def: $vgpr20
	s_and_saveexec_b64 s[8:9], s[24:25]
	s_xor_b64 s[24:25], exec, s[8:9]
; %bb.1625:                             ;   in Loop: Header=BB30_1243 Depth=2
	v_bfe_u32 v7, v6, 16, 1
	v_add3_u32 v20, v6, v7, s40
                                        ; implicit-def: $vgpr6
; %bb.1626:                             ;   in Loop: Header=BB30_1243 Depth=2
	s_andn2_saveexec_b64 s[28:29], s[24:25]
; %bb.1627:                             ;   in Loop: Header=BB30_1243 Depth=2
	v_or_b32_e32 v7, 0x10000, v6
	v_cmp_eq_u32_sdwa s[24:25], v6, v3 src0_sel:WORD_0 src1_sel:DWORD
	s_nop 1
	v_cndmask_b32_e64 v20, v7, v6, s[24:25]
; %bb.1628:                             ;   in Loop: Header=BB30_1243 Depth=2
	s_or_b64 exec, exec, s[28:29]
	v_lshlrev_b32_e32 v6, 16, v37
	v_lshlrev_b32_e32 v7, 16, v21
	v_max_f32_e32 v7, v7, v7
	v_max_f32_e32 v6, v6, v6
	v_min_f32_e32 v30, v6, v7
	v_max_f32_e32 v6, v6, v7
	v_cndmask_b32_e32 v6, v6, v30, vcc
	v_and_b32_e32 v7, 0x7f800000, v6
	v_cmp_ne_u32_e64 s[24:25], s43, v7
                                        ; implicit-def: $vgpr36
	s_and_saveexec_b64 s[8:9], s[24:25]
	s_xor_b64 s[24:25], exec, s[8:9]
; %bb.1629:                             ;   in Loop: Header=BB30_1243 Depth=2
	v_bfe_u32 v7, v6, 16, 1
	v_add3_u32 v36, v6, v7, s40
                                        ; implicit-def: $vgpr6
; %bb.1630:                             ;   in Loop: Header=BB30_1243 Depth=2
	s_andn2_saveexec_b64 s[28:29], s[24:25]
; %bb.1631:                             ;   in Loop: Header=BB30_1243 Depth=2
	v_or_b32_e32 v7, 0x10000, v6
	v_cmp_eq_u32_sdwa s[24:25], v6, v3 src0_sel:WORD_0 src1_sel:DWORD
	s_nop 1
	v_cndmask_b32_e64 v36, v7, v6, s[24:25]
; %bb.1632:                             ;   in Loop: Header=BB30_1243 Depth=2
	s_or_b64 exec, exec, s[28:29]
	v_and_b32_e32 v6, 0xffff0000, v37
	v_and_b32_e32 v7, 0xffff0000, v21
	v_max_f32_e32 v7, v7, v7
	v_max_f32_e32 v6, v6, v6
	v_min_f32_e32 v21, v6, v7
	v_max_f32_e32 v6, v6, v7
	v_cndmask_b32_e32 v6, v6, v21, vcc
	v_and_b32_e32 v7, 0x7f800000, v6
	v_cmp_ne_u32_e64 s[24:25], s43, v7
                                        ; implicit-def: $vgpr21
	s_and_saveexec_b64 s[8:9], s[24:25]
	s_xor_b64 s[24:25], exec, s[8:9]
; %bb.1633:                             ;   in Loop: Header=BB30_1243 Depth=2
	v_bfe_u32 v7, v6, 16, 1
	v_add3_u32 v21, v6, v7, s40
                                        ; implicit-def: $vgpr6
; %bb.1634:                             ;   in Loop: Header=BB30_1243 Depth=2
	s_andn2_saveexec_b64 s[28:29], s[24:25]
; %bb.1635:                             ;   in Loop: Header=BB30_1243 Depth=2
	v_or_b32_e32 v7, 0x10000, v6
	v_cmp_eq_u32_sdwa s[24:25], v6, v3 src0_sel:WORD_0 src1_sel:DWORD
	s_nop 1
	v_cndmask_b32_e64 v21, v7, v6, s[24:25]
; %bb.1636:                             ;   in Loop: Header=BB30_1243 Depth=2
	s_or_b64 exec, exec, s[28:29]
	v_lshlrev_b32_e32 v6, 16, v38
	v_lshlrev_b32_e32 v7, 16, v22
	v_max_f32_e32 v7, v7, v7
	v_max_f32_e32 v6, v6, v6
	v_min_f32_e32 v30, v6, v7
	v_max_f32_e32 v6, v6, v7
	v_cndmask_b32_e32 v7, v6, v30, vcc
	v_and_b32_e32 v6, 0x7f800000, v7
	v_cmp_ne_u32_e64 s[24:25], s43, v6
                                        ; implicit-def: $vgpr6
	s_and_saveexec_b64 s[8:9], s[24:25]
	s_xor_b64 s[24:25], exec, s[8:9]
; %bb.1637:                             ;   in Loop: Header=BB30_1243 Depth=2
	v_bfe_u32 v6, v7, 16, 1
	v_add3_u32 v6, v7, v6, s40
                                        ; implicit-def: $vgpr7
; %bb.1638:                             ;   in Loop: Header=BB30_1243 Depth=2
	s_andn2_saveexec_b64 s[28:29], s[24:25]
; %bb.1639:                             ;   in Loop: Header=BB30_1243 Depth=2
	v_or_b32_e32 v6, 0x10000, v7
	v_cmp_eq_u32_sdwa s[24:25], v7, v3 src0_sel:WORD_0 src1_sel:DWORD
	s_nop 1
	v_cndmask_b32_e64 v6, v6, v7, s[24:25]
; %bb.1640:                             ;   in Loop: Header=BB30_1243 Depth=2
	s_or_b64 exec, exec, s[28:29]
	v_and_b32_e32 v7, 0xffff0000, v38
	v_and_b32_e32 v22, 0xffff0000, v22
	v_max_f32_e32 v22, v22, v22
	v_max_f32_e32 v7, v7, v7
	v_min_f32_e32 v30, v7, v22
	v_max_f32_e32 v7, v7, v22
	v_cndmask_b32_e32 v22, v7, v30, vcc
	v_and_b32_e32 v7, 0x7f800000, v22
	v_cmp_ne_u32_e64 s[24:25], s43, v7
                                        ; implicit-def: $vgpr7
	s_and_saveexec_b64 s[8:9], s[24:25]
	s_xor_b64 s[24:25], exec, s[8:9]
; %bb.1641:                             ;   in Loop: Header=BB30_1243 Depth=2
	v_bfe_u32 v7, v22, 16, 1
	v_add3_u32 v7, v22, v7, s40
                                        ; implicit-def: $vgpr22
; %bb.1642:                             ;   in Loop: Header=BB30_1243 Depth=2
	s_andn2_saveexec_b64 s[28:29], s[24:25]
; %bb.1643:                             ;   in Loop: Header=BB30_1243 Depth=2
	v_or_b32_e32 v7, 0x10000, v22
	v_cmp_eq_u32_sdwa s[24:25], v22, v3 src0_sel:WORD_0 src1_sel:DWORD
	s_nop 1
	v_cndmask_b32_e64 v7, v7, v22, s[24:25]
; %bb.1644:                             ;   in Loop: Header=BB30_1243 Depth=2
	s_or_b64 exec, exec, s[28:29]
	v_lshlrev_b32_e32 v22, 16, v39
	v_lshlrev_b32_e32 v30, 16, v23
	v_max_f32_e32 v30, v30, v30
	v_max_f32_e32 v22, v22, v22
	v_min_f32_e32 v37, v22, v30
	v_max_f32_e32 v22, v22, v30
	v_cndmask_b32_e32 v30, v22, v37, vcc
	v_and_b32_e32 v22, 0x7f800000, v30
	v_cmp_ne_u32_e64 s[24:25], s43, v22
                                        ; implicit-def: $vgpr22
	s_and_saveexec_b64 s[8:9], s[24:25]
	s_xor_b64 s[24:25], exec, s[8:9]
; %bb.1645:                             ;   in Loop: Header=BB30_1243 Depth=2
	v_bfe_u32 v22, v30, 16, 1
	v_add3_u32 v22, v30, v22, s40
                                        ; implicit-def: $vgpr30
; %bb.1646:                             ;   in Loop: Header=BB30_1243 Depth=2
	s_andn2_saveexec_b64 s[28:29], s[24:25]
; %bb.1647:                             ;   in Loop: Header=BB30_1243 Depth=2
	v_or_b32_e32 v22, 0x10000, v30
	v_cmp_eq_u32_sdwa s[24:25], v30, v3 src0_sel:WORD_0 src1_sel:DWORD
	s_nop 1
	v_cndmask_b32_e64 v22, v22, v30, s[24:25]
; %bb.1648:                             ;   in Loop: Header=BB30_1243 Depth=2
	s_or_b64 exec, exec, s[28:29]
	v_and_b32_e32 v30, 0xffff0000, v39
	v_and_b32_e32 v23, 0xffff0000, v23
	v_max_f32_e32 v23, v23, v23
	v_max_f32_e32 v30, v30, v30
	v_min_f32_e32 v37, v30, v23
	v_max_f32_e32 v23, v30, v23
	v_cndmask_b32_e32 v30, v23, v37, vcc
	v_and_b32_e32 v23, 0x7f800000, v30
	v_cmp_ne_u32_e64 s[24:25], s43, v23
                                        ; implicit-def: $vgpr23
	s_and_saveexec_b64 s[8:9], s[24:25]
	s_xor_b64 s[24:25], exec, s[8:9]
; %bb.1649:                             ;   in Loop: Header=BB30_1243 Depth=2
	v_bfe_u32 v23, v30, 16, 1
	v_add3_u32 v23, v30, v23, s40
                                        ; implicit-def: $vgpr30
; %bb.1650:                             ;   in Loop: Header=BB30_1243 Depth=2
	s_andn2_saveexec_b64 s[28:29], s[24:25]
; %bb.1651:                             ;   in Loop: Header=BB30_1243 Depth=2
	v_or_b32_e32 v23, 0x10000, v30
	v_cmp_eq_u32_sdwa s[24:25], v30, v3 src0_sel:WORD_0 src1_sel:DWORD
	s_nop 1
	v_cndmask_b32_e64 v23, v23, v30, s[24:25]
; %bb.1652:                             ;   in Loop: Header=BB30_1243 Depth=2
	s_or_b64 exec, exec, s[28:29]
	v_lshlrev_b32_e32 v30, 16, v24
	v_lshlrev_b32_e32 v37, 16, v16
	v_max_f32_e32 v37, v37, v37
	v_max_f32_e32 v30, v30, v30
	v_min_f32_e32 v38, v30, v37
	v_max_f32_e32 v30, v30, v37
	v_cndmask_b32_e32 v37, v30, v38, vcc
	v_and_b32_e32 v30, 0x7f800000, v37
	v_cmp_ne_u32_e64 s[24:25], s43, v30
                                        ; implicit-def: $vgpr30
	s_and_saveexec_b64 s[8:9], s[24:25]
	s_xor_b64 s[24:25], exec, s[8:9]
; %bb.1653:                             ;   in Loop: Header=BB30_1243 Depth=2
	v_bfe_u32 v30, v37, 16, 1
	v_add3_u32 v30, v37, v30, s40
                                        ; implicit-def: $vgpr37
; %bb.1654:                             ;   in Loop: Header=BB30_1243 Depth=2
	s_andn2_saveexec_b64 s[28:29], s[24:25]
; %bb.1655:                             ;   in Loop: Header=BB30_1243 Depth=2
	v_or_b32_e32 v30, 0x10000, v37
	v_cmp_eq_u32_sdwa s[24:25], v37, v3 src0_sel:WORD_0 src1_sel:DWORD
	s_nop 1
	v_cndmask_b32_e64 v30, v30, v37, s[24:25]
; %bb.1656:                             ;   in Loop: Header=BB30_1243 Depth=2
	s_or_b64 exec, exec, s[28:29]
	v_and_b32_e32 v24, 0xffff0000, v24
	v_and_b32_e32 v16, 0xffff0000, v16
	v_max_f32_e32 v16, v16, v16
	v_max_f32_e32 v24, v24, v24
	v_min_f32_e32 v37, v24, v16
	v_max_f32_e32 v16, v24, v16
	v_cndmask_b32_e32 v24, v16, v37, vcc
	v_and_b32_e32 v16, 0x7f800000, v24
	v_cmp_ne_u32_e64 s[24:25], s43, v16
                                        ; implicit-def: $vgpr16
	s_and_saveexec_b64 s[8:9], s[24:25]
	s_xor_b64 s[24:25], exec, s[8:9]
; %bb.1657:                             ;   in Loop: Header=BB30_1243 Depth=2
	v_bfe_u32 v16, v24, 16, 1
	v_add3_u32 v16, v24, v16, s40
                                        ; implicit-def: $vgpr24
; %bb.1658:                             ;   in Loop: Header=BB30_1243 Depth=2
	s_andn2_saveexec_b64 s[28:29], s[24:25]
; %bb.1659:                             ;   in Loop: Header=BB30_1243 Depth=2
	v_or_b32_e32 v16, 0x10000, v24
	v_cmp_eq_u32_sdwa s[24:25], v24, v3 src0_sel:WORD_0 src1_sel:DWORD
	s_nop 1
	v_cndmask_b32_e64 v16, v16, v24, s[24:25]
; %bb.1660:                             ;   in Loop: Header=BB30_1243 Depth=2
	s_or_b64 exec, exec, s[28:29]
	v_lshlrev_b32_e32 v24, 16, v25
	v_lshlrev_b32_e32 v37, 16, v17
	v_max_f32_e32 v37, v37, v37
	v_max_f32_e32 v24, v24, v24
	v_min_f32_e32 v38, v24, v37
	v_max_f32_e32 v24, v24, v37
	v_cndmask_b32_e32 v37, v24, v38, vcc
	v_and_b32_e32 v24, 0x7f800000, v37
	v_cmp_ne_u32_e64 s[24:25], s43, v24
                                        ; implicit-def: $vgpr24
	s_and_saveexec_b64 s[8:9], s[24:25]
	s_xor_b64 s[24:25], exec, s[8:9]
; %bb.1661:                             ;   in Loop: Header=BB30_1243 Depth=2
	v_bfe_u32 v24, v37, 16, 1
	v_add3_u32 v24, v37, v24, s40
                                        ; implicit-def: $vgpr37
; %bb.1662:                             ;   in Loop: Header=BB30_1243 Depth=2
	s_andn2_saveexec_b64 s[28:29], s[24:25]
; %bb.1663:                             ;   in Loop: Header=BB30_1243 Depth=2
	v_or_b32_e32 v24, 0x10000, v37
	v_cmp_eq_u32_sdwa s[24:25], v37, v3 src0_sel:WORD_0 src1_sel:DWORD
	s_nop 1
	v_cndmask_b32_e64 v24, v24, v37, s[24:25]
; %bb.1664:                             ;   in Loop: Header=BB30_1243 Depth=2
	s_or_b64 exec, exec, s[28:29]
	v_and_b32_e32 v25, 0xffff0000, v25
	v_and_b32_e32 v17, 0xffff0000, v17
	v_max_f32_e32 v17, v17, v17
	v_max_f32_e32 v25, v25, v25
	v_min_f32_e32 v37, v25, v17
	v_max_f32_e32 v17, v25, v17
	v_cndmask_b32_e32 v25, v17, v37, vcc
	v_and_b32_e32 v17, 0x7f800000, v25
	v_cmp_ne_u32_e64 s[24:25], s43, v17
                                        ; implicit-def: $vgpr17
	s_and_saveexec_b64 s[8:9], s[24:25]
	s_xor_b64 s[24:25], exec, s[8:9]
; %bb.1665:                             ;   in Loop: Header=BB30_1243 Depth=2
	v_bfe_u32 v17, v25, 16, 1
	v_add3_u32 v17, v25, v17, s40
                                        ; implicit-def: $vgpr25
; %bb.1666:                             ;   in Loop: Header=BB30_1243 Depth=2
	s_andn2_saveexec_b64 s[28:29], s[24:25]
; %bb.1667:                             ;   in Loop: Header=BB30_1243 Depth=2
	v_or_b32_e32 v17, 0x10000, v25
	v_cmp_eq_u32_sdwa s[24:25], v25, v3 src0_sel:WORD_0 src1_sel:DWORD
	s_nop 1
	v_cndmask_b32_e64 v17, v17, v25, s[24:25]
; %bb.1668:                             ;   in Loop: Header=BB30_1243 Depth=2
	s_or_b64 exec, exec, s[28:29]
	v_lshlrev_b32_e32 v25, 16, v26
	v_lshlrev_b32_e32 v37, 16, v18
	v_max_f32_e32 v37, v37, v37
	v_max_f32_e32 v25, v25, v25
	v_min_f32_e32 v38, v25, v37
	v_max_f32_e32 v25, v25, v37
	v_cndmask_b32_e32 v37, v25, v38, vcc
	v_and_b32_e32 v25, 0x7f800000, v37
	v_cmp_ne_u32_e64 s[24:25], s43, v25
                                        ; implicit-def: $vgpr25
	s_and_saveexec_b64 s[8:9], s[24:25]
	s_xor_b64 s[24:25], exec, s[8:9]
; %bb.1669:                             ;   in Loop: Header=BB30_1243 Depth=2
	v_bfe_u32 v25, v37, 16, 1
	v_add3_u32 v25, v37, v25, s40
                                        ; implicit-def: $vgpr37
; %bb.1670:                             ;   in Loop: Header=BB30_1243 Depth=2
	s_andn2_saveexec_b64 s[28:29], s[24:25]
; %bb.1671:                             ;   in Loop: Header=BB30_1243 Depth=2
	v_or_b32_e32 v25, 0x10000, v37
	v_cmp_eq_u32_sdwa s[24:25], v37, v3 src0_sel:WORD_0 src1_sel:DWORD
	s_nop 1
	v_cndmask_b32_e64 v25, v25, v37, s[24:25]
; %bb.1672:                             ;   in Loop: Header=BB30_1243 Depth=2
	s_or_b64 exec, exec, s[28:29]
	v_and_b32_e32 v26, 0xffff0000, v26
	v_and_b32_e32 v18, 0xffff0000, v18
	v_max_f32_e32 v18, v18, v18
	v_max_f32_e32 v26, v26, v26
	v_min_f32_e32 v37, v26, v18
	v_max_f32_e32 v18, v26, v18
	v_cndmask_b32_e32 v26, v18, v37, vcc
	v_and_b32_e32 v18, 0x7f800000, v26
	v_cmp_ne_u32_e64 s[24:25], s43, v18
                                        ; implicit-def: $vgpr18
	s_and_saveexec_b64 s[8:9], s[24:25]
	s_xor_b64 s[24:25], exec, s[8:9]
; %bb.1673:                             ;   in Loop: Header=BB30_1243 Depth=2
	v_bfe_u32 v18, v26, 16, 1
	v_add3_u32 v18, v26, v18, s40
                                        ; implicit-def: $vgpr26
; %bb.1674:                             ;   in Loop: Header=BB30_1243 Depth=2
	s_andn2_saveexec_b64 s[28:29], s[24:25]
; %bb.1675:                             ;   in Loop: Header=BB30_1243 Depth=2
	v_or_b32_e32 v18, 0x10000, v26
	v_cmp_eq_u32_sdwa s[24:25], v26, v3 src0_sel:WORD_0 src1_sel:DWORD
	s_nop 1
	v_cndmask_b32_e64 v18, v18, v26, s[24:25]
; %bb.1676:                             ;   in Loop: Header=BB30_1243 Depth=2
	s_or_b64 exec, exec, s[28:29]
	v_lshlrev_b32_e32 v26, 16, v27
	v_lshlrev_b32_e32 v37, 16, v19
	v_max_f32_e32 v37, v37, v37
	v_max_f32_e32 v26, v26, v26
	v_min_f32_e32 v38, v26, v37
	v_max_f32_e32 v26, v26, v37
	v_cndmask_b32_e32 v37, v26, v38, vcc
	v_and_b32_e32 v26, 0x7f800000, v37
	v_cmp_ne_u32_e64 s[24:25], s43, v26
                                        ; implicit-def: $vgpr26
	s_and_saveexec_b64 s[8:9], s[24:25]
	s_xor_b64 s[24:25], exec, s[8:9]
; %bb.1677:                             ;   in Loop: Header=BB30_1243 Depth=2
	v_bfe_u32 v26, v37, 16, 1
	v_add3_u32 v26, v37, v26, s40
                                        ; implicit-def: $vgpr37
; %bb.1678:                             ;   in Loop: Header=BB30_1243 Depth=2
	s_andn2_saveexec_b64 s[28:29], s[24:25]
; %bb.1679:                             ;   in Loop: Header=BB30_1243 Depth=2
	v_or_b32_e32 v26, 0x10000, v37
	v_cmp_eq_u32_sdwa s[24:25], v37, v3 src0_sel:WORD_0 src1_sel:DWORD
	s_nop 1
	v_cndmask_b32_e64 v26, v26, v37, s[24:25]
; %bb.1680:                             ;   in Loop: Header=BB30_1243 Depth=2
	s_or_b64 exec, exec, s[28:29]
	v_and_b32_e32 v27, 0xffff0000, v27
	v_and_b32_e32 v19, 0xffff0000, v19
	v_max_f32_e32 v19, v19, v19
	v_max_f32_e32 v27, v27, v27
	v_min_f32_e32 v37, v27, v19
	v_max_f32_e32 v19, v27, v19
	v_cndmask_b32_e32 v27, v19, v37, vcc
	v_and_b32_e32 v19, 0x7f800000, v27
	v_cmp_ne_u32_e64 s[24:25], s43, v19
                                        ; implicit-def: $vgpr19
	s_and_saveexec_b64 s[8:9], s[24:25]
	s_xor_b64 s[24:25], exec, s[8:9]
; %bb.1681:                             ;   in Loop: Header=BB30_1243 Depth=2
	v_bfe_u32 v19, v27, 16, 1
	v_add3_u32 v19, v27, v19, s40
                                        ; implicit-def: $vgpr27
; %bb.1682:                             ;   in Loop: Header=BB30_1243 Depth=2
	s_andn2_saveexec_b64 s[28:29], s[24:25]
; %bb.1683:                             ;   in Loop: Header=BB30_1243 Depth=2
	v_or_b32_e32 v19, 0x10000, v27
	v_cmp_eq_u32_sdwa s[24:25], v27, v3 src0_sel:WORD_0 src1_sel:DWORD
	s_nop 1
	v_cndmask_b32_e64 v19, v19, v27, s[24:25]
; %bb.1684:                             ;   in Loop: Header=BB30_1243 Depth=2
	s_or_b64 exec, exec, s[28:29]
	v_lshlrev_b32_e32 v27, 16, v12
	v_lshlrev_b32_e32 v37, 16, v8
	v_max_f32_e32 v37, v37, v37
	v_max_f32_e32 v27, v27, v27
	v_min_f32_e32 v38, v27, v37
	v_max_f32_e32 v27, v27, v37
	v_cndmask_b32_e32 v37, v27, v38, vcc
	v_and_b32_e32 v27, 0x7f800000, v37
	v_cmp_ne_u32_e64 s[24:25], s43, v27
                                        ; implicit-def: $vgpr27
	s_and_saveexec_b64 s[8:9], s[24:25]
	s_xor_b64 s[24:25], exec, s[8:9]
; %bb.1685:                             ;   in Loop: Header=BB30_1243 Depth=2
	v_bfe_u32 v27, v37, 16, 1
	v_add3_u32 v27, v37, v27, s40
                                        ; implicit-def: $vgpr37
; %bb.1686:                             ;   in Loop: Header=BB30_1243 Depth=2
	s_andn2_saveexec_b64 s[28:29], s[24:25]
; %bb.1687:                             ;   in Loop: Header=BB30_1243 Depth=2
	v_or_b32_e32 v27, 0x10000, v37
	v_cmp_eq_u32_sdwa s[24:25], v37, v3 src0_sel:WORD_0 src1_sel:DWORD
	s_nop 1
	v_cndmask_b32_e64 v27, v27, v37, s[24:25]
; %bb.1688:                             ;   in Loop: Header=BB30_1243 Depth=2
	s_or_b64 exec, exec, s[28:29]
	v_and_b32_e32 v12, 0xffff0000, v12
	v_and_b32_e32 v8, 0xffff0000, v8
	v_max_f32_e32 v8, v8, v8
	v_max_f32_e32 v12, v12, v12
	v_min_f32_e32 v37, v12, v8
	v_max_f32_e32 v8, v12, v8
	v_cndmask_b32_e32 v12, v8, v37, vcc
	v_and_b32_e32 v8, 0x7f800000, v12
	v_cmp_ne_u32_e64 s[24:25], s43, v8
                                        ; implicit-def: $vgpr8
	s_and_saveexec_b64 s[8:9], s[24:25]
	s_xor_b64 s[24:25], exec, s[8:9]
; %bb.1689:                             ;   in Loop: Header=BB30_1243 Depth=2
	v_bfe_u32 v8, v12, 16, 1
	v_add3_u32 v8, v12, v8, s40
                                        ; implicit-def: $vgpr12
; %bb.1690:                             ;   in Loop: Header=BB30_1243 Depth=2
	s_andn2_saveexec_b64 s[28:29], s[24:25]
; %bb.1691:                             ;   in Loop: Header=BB30_1243 Depth=2
	v_or_b32_e32 v8, 0x10000, v12
	v_cmp_eq_u32_sdwa s[24:25], v12, v3 src0_sel:WORD_0 src1_sel:DWORD
	s_nop 1
	v_cndmask_b32_e64 v8, v8, v12, s[24:25]
; %bb.1692:                             ;   in Loop: Header=BB30_1243 Depth=2
	s_or_b64 exec, exec, s[28:29]
	v_lshlrev_b32_e32 v12, 16, v13
	v_lshlrev_b32_e32 v37, 16, v9
	v_max_f32_e32 v37, v37, v37
	v_max_f32_e32 v12, v12, v12
	v_min_f32_e32 v38, v12, v37
	v_max_f32_e32 v12, v12, v37
	v_cndmask_b32_e32 v37, v12, v38, vcc
	v_and_b32_e32 v12, 0x7f800000, v37
	v_cmp_ne_u32_e64 s[24:25], s43, v12
                                        ; implicit-def: $vgpr12
	s_and_saveexec_b64 s[8:9], s[24:25]
	s_xor_b64 s[24:25], exec, s[8:9]
; %bb.1693:                             ;   in Loop: Header=BB30_1243 Depth=2
	v_bfe_u32 v12, v37, 16, 1
	v_add3_u32 v12, v37, v12, s40
                                        ; implicit-def: $vgpr37
; %bb.1694:                             ;   in Loop: Header=BB30_1243 Depth=2
	s_andn2_saveexec_b64 s[28:29], s[24:25]
; %bb.1695:                             ;   in Loop: Header=BB30_1243 Depth=2
	v_or_b32_e32 v12, 0x10000, v37
	v_cmp_eq_u32_sdwa s[24:25], v37, v3 src0_sel:WORD_0 src1_sel:DWORD
	s_nop 1
	v_cndmask_b32_e64 v12, v12, v37, s[24:25]
; %bb.1696:                             ;   in Loop: Header=BB30_1243 Depth=2
	s_or_b64 exec, exec, s[28:29]
	v_and_b32_e32 v13, 0xffff0000, v13
	v_and_b32_e32 v9, 0xffff0000, v9
	v_max_f32_e32 v9, v9, v9
	v_max_f32_e32 v13, v13, v13
	v_min_f32_e32 v37, v13, v9
	v_max_f32_e32 v9, v13, v9
	v_cndmask_b32_e32 v13, v9, v37, vcc
	v_and_b32_e32 v9, 0x7f800000, v13
	v_cmp_ne_u32_e64 s[24:25], s43, v9
                                        ; implicit-def: $vgpr9
	s_and_saveexec_b64 s[8:9], s[24:25]
	s_xor_b64 s[24:25], exec, s[8:9]
; %bb.1697:                             ;   in Loop: Header=BB30_1243 Depth=2
	v_bfe_u32 v9, v13, 16, 1
	v_add3_u32 v9, v13, v9, s40
                                        ; implicit-def: $vgpr13
; %bb.1698:                             ;   in Loop: Header=BB30_1243 Depth=2
	s_andn2_saveexec_b64 s[28:29], s[24:25]
; %bb.1699:                             ;   in Loop: Header=BB30_1243 Depth=2
	v_or_b32_e32 v9, 0x10000, v13
	v_cmp_eq_u32_sdwa s[24:25], v13, v3 src0_sel:WORD_0 src1_sel:DWORD
	s_nop 1
	v_cndmask_b32_e64 v9, v9, v13, s[24:25]
; %bb.1700:                             ;   in Loop: Header=BB30_1243 Depth=2
	s_or_b64 exec, exec, s[28:29]
	v_lshlrev_b32_e32 v13, 16, v14
	v_lshlrev_b32_e32 v37, 16, v10
	v_max_f32_e32 v37, v37, v37
	v_max_f32_e32 v13, v13, v13
	v_min_f32_e32 v38, v13, v37
	v_max_f32_e32 v13, v13, v37
	v_cndmask_b32_e32 v37, v13, v38, vcc
	v_and_b32_e32 v13, 0x7f800000, v37
	v_cmp_ne_u32_e64 s[24:25], s43, v13
                                        ; implicit-def: $vgpr13
	s_and_saveexec_b64 s[8:9], s[24:25]
	s_xor_b64 s[24:25], exec, s[8:9]
; %bb.1701:                             ;   in Loop: Header=BB30_1243 Depth=2
	v_bfe_u32 v13, v37, 16, 1
	v_add3_u32 v13, v37, v13, s40
                                        ; implicit-def: $vgpr37
; %bb.1702:                             ;   in Loop: Header=BB30_1243 Depth=2
	s_andn2_saveexec_b64 s[28:29], s[24:25]
; %bb.1703:                             ;   in Loop: Header=BB30_1243 Depth=2
	v_or_b32_e32 v13, 0x10000, v37
	v_cmp_eq_u32_sdwa s[24:25], v37, v3 src0_sel:WORD_0 src1_sel:DWORD
	s_nop 1
	v_cndmask_b32_e64 v13, v13, v37, s[24:25]
; %bb.1704:                             ;   in Loop: Header=BB30_1243 Depth=2
	s_or_b64 exec, exec, s[28:29]
	v_and_b32_e32 v14, 0xffff0000, v14
	v_and_b32_e32 v10, 0xffff0000, v10
	v_max_f32_e32 v10, v10, v10
	v_max_f32_e32 v14, v14, v14
	v_min_f32_e32 v37, v14, v10
	v_max_f32_e32 v10, v14, v10
	v_cndmask_b32_e32 v14, v10, v37, vcc
	v_and_b32_e32 v10, 0x7f800000, v14
	v_cmp_ne_u32_e64 s[24:25], s43, v10
                                        ; implicit-def: $vgpr10
	s_and_saveexec_b64 s[8:9], s[24:25]
	s_xor_b64 s[24:25], exec, s[8:9]
; %bb.1705:                             ;   in Loop: Header=BB30_1243 Depth=2
	v_bfe_u32 v10, v14, 16, 1
	v_add3_u32 v10, v14, v10, s40
                                        ; implicit-def: $vgpr14
; %bb.1706:                             ;   in Loop: Header=BB30_1243 Depth=2
	s_andn2_saveexec_b64 s[28:29], s[24:25]
; %bb.1707:                             ;   in Loop: Header=BB30_1243 Depth=2
	v_or_b32_e32 v10, 0x10000, v14
	v_cmp_eq_u32_sdwa s[24:25], v14, v3 src0_sel:WORD_0 src1_sel:DWORD
	s_nop 1
	v_cndmask_b32_e64 v10, v10, v14, s[24:25]
; %bb.1708:                             ;   in Loop: Header=BB30_1243 Depth=2
	s_or_b64 exec, exec, s[28:29]
	v_lshlrev_b32_e32 v14, 16, v15
	v_lshlrev_b32_e32 v37, 16, v11
	v_max_f32_e32 v37, v37, v37
	v_max_f32_e32 v14, v14, v14
	v_min_f32_e32 v38, v14, v37
	v_max_f32_e32 v14, v14, v37
	v_cndmask_b32_e32 v37, v14, v38, vcc
	v_and_b32_e32 v14, 0x7f800000, v37
	v_cmp_ne_u32_e64 s[24:25], s43, v14
                                        ; implicit-def: $vgpr14
	s_and_saveexec_b64 s[8:9], s[24:25]
	s_xor_b64 s[24:25], exec, s[8:9]
; %bb.1709:                             ;   in Loop: Header=BB30_1243 Depth=2
	v_bfe_u32 v14, v37, 16, 1
	v_add3_u32 v14, v37, v14, s40
                                        ; implicit-def: $vgpr37
; %bb.1710:                             ;   in Loop: Header=BB30_1243 Depth=2
	s_andn2_saveexec_b64 s[28:29], s[24:25]
; %bb.1711:                             ;   in Loop: Header=BB30_1243 Depth=2
	v_or_b32_e32 v14, 0x10000, v37
	v_cmp_eq_u32_sdwa s[24:25], v37, v3 src0_sel:WORD_0 src1_sel:DWORD
	s_nop 1
	v_cndmask_b32_e64 v14, v14, v37, s[24:25]
; %bb.1712:                             ;   in Loop: Header=BB30_1243 Depth=2
	s_or_b64 exec, exec, s[28:29]
	v_and_b32_e32 v15, 0xffff0000, v15
	v_and_b32_e32 v11, 0xffff0000, v11
	v_max_f32_e32 v11, v11, v11
	v_max_f32_e32 v15, v15, v15
	v_min_f32_e32 v37, v15, v11
	v_max_f32_e32 v11, v15, v11
	v_cndmask_b32_e32 v15, v11, v37, vcc
	v_and_b32_e32 v11, 0x7f800000, v15
	v_cmp_ne_u32_e32 vcc, s43, v11
                                        ; implicit-def: $vgpr11
	s_and_saveexec_b64 s[8:9], vcc
	s_xor_b64 s[24:25], exec, s[8:9]
; %bb.1713:                             ;   in Loop: Header=BB30_1243 Depth=2
	v_bfe_u32 v11, v15, 16, 1
	v_add3_u32 v11, v15, v11, s40
                                        ; implicit-def: $vgpr15
; %bb.1714:                             ;   in Loop: Header=BB30_1243 Depth=2
	s_andn2_saveexec_b64 s[24:25], s[24:25]
; %bb.1715:                             ;   in Loop: Header=BB30_1243 Depth=2
	v_or_b32_e32 v11, 0x10000, v15
	v_cmp_eq_u32_sdwa vcc, v15, v3 src0_sel:WORD_0 src1_sel:DWORD
	s_nop 1
	v_cndmask_b32_e32 v11, v11, v15, vcc
; %bb.1716:                             ;   in Loop: Header=BB30_1243 Depth=2
	s_or_b64 exec, exec, s[24:25]
	v_lshrrev_b32_e32 v15, 16, v24
	v_and_or_b32 v17, v17, s41, v15
	v_lshrrev_b32_e32 v15, 16, v30
	v_and_or_b32 v16, v16, s41, v15
	v_lshrrev_b32_e32 v15, 16, v25
	v_and_or_b32 v18, v18, s41, v15
	v_lshrrev_b32_e32 v15, 16, v26
	v_and_or_b32 v19, v19, s41, v15
	v_lshrrev_b32_e32 v15, 16, v36
	v_and_or_b32 v37, v21, s41, v15
	v_lshrrev_b32_e32 v15, 16, v50
	v_lshrrev_b32_e32 v4, 16, v4
	v_and_or_b32 v36, v20, s41, v15
	v_lshrrev_b32_e32 v6, 16, v6
	v_and_or_b32 v20, v5, s41, v4
	;; [unrolled: 2-line block ×7, first 2 shown]
	v_and_or_b32 v5, v9, s41, v4
	v_lshrrev_b32_e32 v4, 16, v27
	v_lshrrev_b32_e32 v6, 16, v13
	;; [unrolled: 1-line block ×3, first 2 shown]
	v_and_or_b32 v4, v8, s41, v4
	v_and_or_b32 v6, v10, s41, v6
	;; [unrolled: 1-line block ×3, first 2 shown]
	global_store_dwordx4 v[116:117], v[20:23], off
	global_store_dwordx4 v[116:117], v[36:39], off offset:1024
	global_store_dwordx4 v[116:117], v[16:19], off offset:2048
	;; [unrolled: 1-line block ×3, first 2 shown]
	global_store_dwordx4 v[72:73], v[20:23], off
	global_store_dwordx4 v[72:73], v[36:39], off offset:1024
	global_store_dwordx4 v[72:73], v[16:19], off offset:2048
	global_store_dwordx4 v[72:73], v[4:7], off offset:3072
.LBB30_1717:                            ;   in Loop: Header=BB30_1243 Depth=2
	s_or_b64 exec, exec, s[26:27]
	v_lshlrev_b32_e32 v22, 12, v1
	v_cmp_ne_u32_e32 vcc, v29, v22
                                        ; implicit-def: $vgpr14
                                        ; implicit-def: $vgpr1
                                        ; implicit-def: $vgpr4
                                        ; implicit-def: $vgpr15
	s_mov_b64 s[34:35], exec
	scratch_load_dwordx2 v[32:33], off, s33 offset:364 ; 8-byte Folded Reload
	scratch_load_dwordx2 v[34:35], off, s33 offset:412 ; 8-byte Folded Reload
	s_and_b64 s[8:9], s[34:35], vcc
	s_mov_b64 exec, s[8:9]
	s_cbranch_execz .LBB30_1837
; %bb.1718:                             ;   in Loop: Header=BB30_1243 Depth=2
	scratch_load_dword v1, off, s33 offset:312 ; 4-byte Folded Reload
	v_lshlrev_b32_e32 v0, 6, v0
	v_sub_u32_e32 v4, v29, v22
	v_ashrrev_i32_e32 v6, 31, v4
	v_lshrrev_b32_e32 v6, 22, v6
	v_add_u32_e32 v6, v4, v6
	v_and_b32_e32 v23, 0xfffffc00, v6
	v_sub_u32_e32 v24, v4, v23
	v_ashrrev_i32_e32 v7, 10, v6
	v_cmp_lt_i32_e64 s[24:25], 15, v24
	s_mov_b64 s[26:27], 0
	s_waitcnt vmcnt(0)
	v_and_b32_e32 v1, 63, v1
	v_sub_u32_e32 v0, v1, v0
	v_ashrrev_i32_e32 v1, 31, v0
	v_lshrrev_b32_e32 v1, 26, v1
	v_add_u32_e32 v1, v0, v1
	v_ashrrev_i32_e32 v5, 6, v1
	v_and_b32_e32 v1, 0xffffffc0, v1
	v_sub_u32_e32 v0, v0, v1
	v_lshlrev_b32_e32 v1, 4, v0
	v_lshl_add_u32 v1, v5, 10, v1
	v_add_u32_e32 v8, v1, v22
	v_sub_u32_e32 v1, v4, v1
	v_addc_co_u32_e64 v4, vcc, 0, v7, s[24:25]
	v_ashrrev_i32_e32 v9, 31, v8
	v_sub_u32_e32 v25, v4, v5
	v_lshl_add_u64 v[4:5], v[8:9], 0, v[32:33]
	v_lshl_add_u64 v[16:17], v[8:9], 0, v[34:35]
	v_cmp_lt_i32_e32 vcc, 15, v1
	s_and_saveexec_b64 s[36:37], vcc
	s_cbranch_execz .LBB30_1799
; %bb.1719:                             ;   in Loop: Header=BB30_1243 Depth=2
	s_trap 2
	ds_read_b64 v[6:7], v0
	s_and_b32 s8, 0xffff, s64
	s_cmp_eq_u32 s8, 0
	v_lshl_add_u64 v[18:19], v[8:9], 0, v[120:121]
	s_mov_b64 s[50:51], 0
	s_waitcnt lgkmcnt(0)
	v_lshl_add_u64 v[20:21], v[6:7], 0, v[8:9]
	s_mov_b64 s[38:39], 0
	s_cselect_b64 s[26:27], -1, 0
                                        ; implicit-def: $sgpr48_sgpr49
	s_branch .LBB30_1721
.LBB30_1720:                            ;   in Loop: Header=BB30_1721 Depth=3
	s_or_b64 exec, exec, s[28:29]
	v_cmp_gt_i32_e32 vcc, 16, v1
	s_or_b64 s[38:39], vcc, s[38:39]
	s_andn2_b64 s[8:9], s[48:49], exec
	s_and_b64 s[28:29], s[50:51], exec
	s_or_b64 s[48:49], s[8:9], s[28:29]
	s_andn2_b64 exec, exec, s[38:39]
	s_cbranch_execz .LBB30_1798
.LBB30_1721:                            ;   Parent Loop BB30_47 Depth=1
                                        ;     Parent Loop BB30_1243 Depth=2
                                        ; =>    This Loop Header: Depth=3
                                        ;         Child Loop BB30_1722 Depth 4
                                        ;         Child Loop BB30_1757 Depth 4
	;; [unrolled: 1-line block ×4, first 2 shown]
	s_add_i32 s9, s33, 0xc0
	s_mov_b32 s8, s9
	s_mov_b64 s[52:53], -1
	s_mov_b64 s[28:29], 0
.LBB30_1722:                            ;   Parent Loop BB30_47 Depth=1
                                        ;     Parent Loop BB30_1243 Depth=2
                                        ;       Parent Loop BB30_1721 Depth=3
                                        ; =>      This Inner Loop Header: Depth=4
	s_cmp_eq_u32 s28, 1
	s_cselect_b64 vcc, -1, 0
	v_cndmask_b32_e32 v11, v19, v21, vcc
	v_cndmask_b32_e32 v10, v18, v20, vcc
	global_load_dwordx4 v[6:9], v[10:11], off nt
	s_cmp_eq_u32 s28, 0
	s_cselect_b64 s[28:29], -1, 0
	s_waitcnt vmcnt(0)
	scratch_store_dwordx4 off, v[6:9], s8
	s_nop 1
	v_lshl_add_u64 v[6:7], v[10:11], 0, s[56:57]
	v_cndmask_b32_e64 v19, v19, v7, s[28:29]
	v_cndmask_b32_e64 v18, v18, v6, s[28:29]
	v_cndmask_b32_e32 v21, v21, v7, vcc
	v_cndmask_b32_e32 v20, v20, v6, vcc
	s_mov_b64 s[28:29], 1
	s_and_b64 vcc, exec, s[52:53]
	s_mov_b64 s[52:53], 0
	s_mov_b32 s8, s83
	s_cbranch_vccnz .LBB30_1722
; %bb.1723:                             ;   in Loop: Header=BB30_1721 Depth=3
	s_and_saveexec_b64 s[28:29], s[50:51]
	s_cbranch_execz .LBB30_1759
; %bb.1724:                             ;   in Loop: Header=BB30_1721 Depth=3
	scratch_load_dwordx4 v[8:11], off, s33 offset:224
	scratch_load_dwordx4 v[12:15], off, s33 offset:240
	s_waitcnt vmcnt(1)
	v_lshlrev_b32_e32 v6, 16, v8
	s_waitcnt vmcnt(0)
	v_lshlrev_b32_e32 v7, 16, v12
	v_max_f32_e32 v7, v7, v7
	v_max_f32_e32 v6, v6, v6
	v_min_f32_e32 v26, v6, v7
	v_max_f32_e32 v6, v6, v7
	v_cndmask_b32_e64 v7, v6, v26, s[26:27]
	v_and_b32_e32 v6, 0x7f800000, v7
	v_cmp_ne_u32_e32 vcc, s43, v6
                                        ; implicit-def: $vgpr6
	s_and_saveexec_b64 s[8:9], vcc
	s_xor_b64 vcc, exec, s[8:9]
; %bb.1725:                             ;   in Loop: Header=BB30_1721 Depth=3
	v_bfe_u32 v6, v7, 16, 1
	v_add3_u32 v6, v7, v6, s40
                                        ; implicit-def: $vgpr7
; %bb.1726:                             ;   in Loop: Header=BB30_1721 Depth=3
	s_andn2_saveexec_b64 s[50:51], vcc
; %bb.1727:                             ;   in Loop: Header=BB30_1721 Depth=3
	v_or_b32_e32 v6, 0x10000, v7
	v_cmp_eq_u32_sdwa vcc, v7, v3 src0_sel:WORD_0 src1_sel:DWORD
	s_nop 1
	v_cndmask_b32_e32 v6, v6, v7, vcc
; %bb.1728:                             ;   in Loop: Header=BB30_1721 Depth=3
	s_or_b64 exec, exec, s[50:51]
	v_and_b32_e32 v7, 0xffff0000, v8
	v_and_b32_e32 v8, 0xffff0000, v12
	v_max_f32_e32 v8, v8, v8
	v_max_f32_e32 v7, v7, v7
	v_min_f32_e32 v12, v7, v8
	v_max_f32_e32 v7, v7, v8
	v_cndmask_b32_e64 v8, v7, v12, s[26:27]
	v_and_b32_e32 v7, 0x7f800000, v8
	v_cmp_ne_u32_e32 vcc, s43, v7
                                        ; implicit-def: $vgpr7
	s_and_saveexec_b64 s[8:9], vcc
	s_xor_b64 vcc, exec, s[8:9]
; %bb.1729:                             ;   in Loop: Header=BB30_1721 Depth=3
	v_bfe_u32 v7, v8, 16, 1
	v_add3_u32 v7, v8, v7, s40
                                        ; implicit-def: $vgpr8
; %bb.1730:                             ;   in Loop: Header=BB30_1721 Depth=3
	s_andn2_saveexec_b64 s[50:51], vcc
; %bb.1731:                             ;   in Loop: Header=BB30_1721 Depth=3
	v_or_b32_e32 v7, 0x10000, v8
	v_cmp_eq_u32_sdwa vcc, v8, v3 src0_sel:WORD_0 src1_sel:DWORD
	s_nop 1
	v_cndmask_b32_e32 v7, v7, v8, vcc
; %bb.1732:                             ;   in Loop: Header=BB30_1721 Depth=3
	s_or_b64 exec, exec, s[50:51]
	v_lshlrev_b32_e32 v8, 16, v9
	v_lshlrev_b32_e32 v12, 16, v13
	v_max_f32_e32 v12, v12, v12
	v_max_f32_e32 v8, v8, v8
	v_min_f32_e32 v26, v8, v12
	v_max_f32_e32 v8, v8, v12
	v_cndmask_b32_e64 v12, v8, v26, s[26:27]
	v_and_b32_e32 v8, 0x7f800000, v12
	v_cmp_ne_u32_e32 vcc, s43, v8
                                        ; implicit-def: $vgpr8
	s_and_saveexec_b64 s[8:9], vcc
	s_xor_b64 vcc, exec, s[8:9]
; %bb.1733:                             ;   in Loop: Header=BB30_1721 Depth=3
	v_bfe_u32 v8, v12, 16, 1
	v_add3_u32 v8, v12, v8, s40
                                        ; implicit-def: $vgpr12
; %bb.1734:                             ;   in Loop: Header=BB30_1721 Depth=3
	s_andn2_saveexec_b64 s[50:51], vcc
; %bb.1735:                             ;   in Loop: Header=BB30_1721 Depth=3
	v_or_b32_e32 v8, 0x10000, v12
	v_cmp_eq_u32_sdwa vcc, v12, v3 src0_sel:WORD_0 src1_sel:DWORD
	s_nop 1
	v_cndmask_b32_e32 v8, v8, v12, vcc
; %bb.1736:                             ;   in Loop: Header=BB30_1721 Depth=3
	s_or_b64 exec, exec, s[50:51]
	v_and_b32_e32 v9, 0xffff0000, v9
	v_and_b32_e32 v12, 0xffff0000, v13
	v_max_f32_e32 v12, v12, v12
	v_max_f32_e32 v9, v9, v9
	v_min_f32_e32 v13, v9, v12
	v_max_f32_e32 v9, v9, v12
	v_cndmask_b32_e64 v12, v9, v13, s[26:27]
	v_and_b32_e32 v9, 0x7f800000, v12
	v_cmp_ne_u32_e32 vcc, s43, v9
                                        ; implicit-def: $vgpr9
	s_and_saveexec_b64 s[8:9], vcc
	s_xor_b64 vcc, exec, s[8:9]
; %bb.1737:                             ;   in Loop: Header=BB30_1721 Depth=3
	v_bfe_u32 v9, v12, 16, 1
	v_add3_u32 v9, v12, v9, s40
                                        ; implicit-def: $vgpr12
; %bb.1738:                             ;   in Loop: Header=BB30_1721 Depth=3
	s_andn2_saveexec_b64 s[50:51], vcc
; %bb.1739:                             ;   in Loop: Header=BB30_1721 Depth=3
	v_or_b32_e32 v9, 0x10000, v12
	v_cmp_eq_u32_sdwa vcc, v12, v3 src0_sel:WORD_0 src1_sel:DWORD
	s_nop 1
	v_cndmask_b32_e32 v9, v9, v12, vcc
; %bb.1740:                             ;   in Loop: Header=BB30_1721 Depth=3
	s_or_b64 exec, exec, s[50:51]
	v_lshlrev_b32_e32 v12, 16, v10
	v_lshlrev_b32_e32 v13, 16, v14
	v_max_f32_e32 v13, v13, v13
	v_max_f32_e32 v12, v12, v12
	v_min_f32_e32 v26, v12, v13
	v_max_f32_e32 v12, v12, v13
	v_cndmask_b32_e64 v13, v12, v26, s[26:27]
	v_and_b32_e32 v12, 0x7f800000, v13
	v_cmp_ne_u32_e32 vcc, s43, v12
                                        ; implicit-def: $vgpr12
	s_and_saveexec_b64 s[8:9], vcc
	s_xor_b64 vcc, exec, s[8:9]
; %bb.1741:                             ;   in Loop: Header=BB30_1721 Depth=3
	v_bfe_u32 v12, v13, 16, 1
	v_add3_u32 v12, v13, v12, s40
                                        ; implicit-def: $vgpr13
; %bb.1742:                             ;   in Loop: Header=BB30_1721 Depth=3
	s_andn2_saveexec_b64 s[50:51], vcc
; %bb.1743:                             ;   in Loop: Header=BB30_1721 Depth=3
	v_or_b32_e32 v12, 0x10000, v13
	v_cmp_eq_u32_sdwa vcc, v13, v3 src0_sel:WORD_0 src1_sel:DWORD
	s_nop 1
	v_cndmask_b32_e32 v12, v12, v13, vcc
; %bb.1744:                             ;   in Loop: Header=BB30_1721 Depth=3
	s_or_b64 exec, exec, s[50:51]
	v_and_b32_e32 v10, 0xffff0000, v10
	v_and_b32_e32 v13, 0xffff0000, v14
	v_max_f32_e32 v13, v13, v13
	v_max_f32_e32 v10, v10, v10
	v_min_f32_e32 v14, v10, v13
	v_max_f32_e32 v10, v10, v13
	v_cndmask_b32_e64 v13, v10, v14, s[26:27]
	v_and_b32_e32 v10, 0x7f800000, v13
	v_cmp_ne_u32_e32 vcc, s43, v10
                                        ; implicit-def: $vgpr10
	s_and_saveexec_b64 s[8:9], vcc
	s_xor_b64 vcc, exec, s[8:9]
; %bb.1745:                             ;   in Loop: Header=BB30_1721 Depth=3
	v_bfe_u32 v10, v13, 16, 1
	v_add3_u32 v10, v13, v10, s40
                                        ; implicit-def: $vgpr13
; %bb.1746:                             ;   in Loop: Header=BB30_1721 Depth=3
	s_andn2_saveexec_b64 s[50:51], vcc
; %bb.1747:                             ;   in Loop: Header=BB30_1721 Depth=3
	v_or_b32_e32 v10, 0x10000, v13
	v_cmp_eq_u32_sdwa vcc, v13, v3 src0_sel:WORD_0 src1_sel:DWORD
	s_nop 1
	v_cndmask_b32_e32 v10, v10, v13, vcc
; %bb.1748:                             ;   in Loop: Header=BB30_1721 Depth=3
	s_or_b64 exec, exec, s[50:51]
	v_lshlrev_b32_e32 v13, 16, v11
	v_lshlrev_b32_e32 v14, 16, v15
	v_max_f32_e32 v14, v14, v14
	v_max_f32_e32 v13, v13, v13
	v_min_f32_e32 v26, v13, v14
	v_max_f32_e32 v13, v13, v14
	v_cndmask_b32_e64 v14, v13, v26, s[26:27]
	v_and_b32_e32 v13, 0x7f800000, v14
	v_cmp_ne_u32_e32 vcc, s43, v13
                                        ; implicit-def: $vgpr13
	s_and_saveexec_b64 s[8:9], vcc
	s_xor_b64 vcc, exec, s[8:9]
; %bb.1749:                             ;   in Loop: Header=BB30_1721 Depth=3
	v_bfe_u32 v13, v14, 16, 1
	v_add3_u32 v13, v14, v13, s40
                                        ; implicit-def: $vgpr14
; %bb.1750:                             ;   in Loop: Header=BB30_1721 Depth=3
	s_andn2_saveexec_b64 s[50:51], vcc
; %bb.1751:                             ;   in Loop: Header=BB30_1721 Depth=3
	v_or_b32_e32 v13, 0x10000, v14
	v_cmp_eq_u32_sdwa vcc, v14, v3 src0_sel:WORD_0 src1_sel:DWORD
	s_nop 1
	v_cndmask_b32_e32 v13, v13, v14, vcc
; %bb.1752:                             ;   in Loop: Header=BB30_1721 Depth=3
	s_or_b64 exec, exec, s[50:51]
	v_and_b32_e32 v11, 0xffff0000, v11
	v_and_b32_e32 v14, 0xffff0000, v15
	v_max_f32_e32 v14, v14, v14
	v_max_f32_e32 v11, v11, v11
	v_min_f32_e32 v15, v11, v14
	v_max_f32_e32 v11, v11, v14
	v_cndmask_b32_e64 v14, v11, v15, s[26:27]
	v_and_b32_e32 v11, 0x7f800000, v14
	v_cmp_ne_u32_e32 vcc, s43, v11
                                        ; implicit-def: $vgpr11
	s_and_saveexec_b64 s[8:9], vcc
	s_xor_b64 vcc, exec, s[8:9]
; %bb.1753:                             ;   in Loop: Header=BB30_1721 Depth=3
	v_bfe_u32 v11, v14, 16, 1
	v_add3_u32 v11, v14, v11, s40
                                        ; implicit-def: $vgpr14
; %bb.1754:                             ;   in Loop: Header=BB30_1721 Depth=3
	s_andn2_saveexec_b64 s[50:51], vcc
; %bb.1755:                             ;   in Loop: Header=BB30_1721 Depth=3
	v_or_b32_e32 v11, 0x10000, v14
	v_cmp_eq_u32_sdwa vcc, v14, v3 src0_sel:WORD_0 src1_sel:DWORD
	s_nop 1
	v_cndmask_b32_e32 v11, v11, v14, vcc
; %bb.1756:                             ;   in Loop: Header=BB30_1721 Depth=3
	s_or_b64 exec, exec, s[50:51]
	v_lshrrev_b32_e32 v8, 16, v8
	v_lshrrev_b32_e32 v6, 16, v6
	v_and_or_b32 v9, v9, s41, v8
	v_and_or_b32 v8, v7, s41, v6
	v_lshrrev_b32_e32 v6, 16, v12
	v_and_or_b32 v10, v10, s41, v6
	v_lshrrev_b32_e32 v6, 16, v13
	v_and_or_b32 v11, v11, s41, v6
	s_mov_b64 s[50:51], -1
	scratch_store_dwordx4 off, v[8:11], s33 offset:224
.LBB30_1757:                            ;   Parent Loop BB30_47 Depth=1
                                        ;     Parent Loop BB30_1243 Depth=2
                                        ;       Parent Loop BB30_1721 Depth=3
                                        ; =>      This Inner Loop Header: Depth=4
	s_cmp_eq_u32 s52, 1
	s_cselect_b64 vcc, -1, 0
	v_cndmask_b32_e32 v7, v5, v17, vcc
	v_cndmask_b32_e32 v6, v4, v16, vcc
	global_store_dwordx4 v[6:7], v[8:11], off
	v_lshl_add_u64 v[6:7], v[6:7], 0, s[56:57]
	s_cmp_eq_u32 s52, 0
	v_cndmask_b32_e32 v17, v17, v7, vcc
	v_cndmask_b32_e32 v16, v16, v6, vcc
	s_cselect_b64 vcc, -1, 0
	v_cndmask_b32_e32 v5, v5, v7, vcc
	v_cndmask_b32_e32 v4, v4, v6, vcc
	s_mov_b64 s[52:53], 1
	s_and_b64 vcc, exec, s[50:51]
	s_mov_b64 s[50:51], 0
	s_cbranch_vccnz .LBB30_1757
; %bb.1758:                             ;   in Loop: Header=BB30_1721 Depth=3
	v_lshl_add_u64 v[4:5], v[4:5], 0, v[90:91]
	v_lshl_add_u64 v[16:17], v[16:17], 0, v[90:91]
.LBB30_1759:                            ;   in Loop: Header=BB30_1721 Depth=3
	s_or_b64 exec, exec, s[28:29]
	v_sub_u32_e32 v1, v1, v111
	v_lshl_add_u64 v[18:19], v[18:19], 0, v[90:91]
	v_lshl_add_u64 v[20:21], v[20:21], 0, v[90:91]
	v_cmp_lt_i32_e64 s[50:51], 15, v1
	s_and_saveexec_b64 s[52:53], s[50:51]
	s_cbranch_execz .LBB30_1762
; %bb.1760:                             ;   in Loop: Header=BB30_1721 Depth=3
	s_add_i32 s9, s33, 0xe0
	s_mov_b32 s8, s9
	s_mov_b64 s[28:29], 0
	s_mov_b64 s[54:55], -1
.LBB30_1761:                            ;   Parent Loop BB30_47 Depth=1
                                        ;     Parent Loop BB30_1243 Depth=2
                                        ;       Parent Loop BB30_1721 Depth=3
                                        ; =>      This Inner Loop Header: Depth=4
	s_cmp_eq_u32 s28, 1
	s_cselect_b64 vcc, -1, 0
	v_cndmask_b32_e32 v11, v19, v21, vcc
	v_cndmask_b32_e32 v10, v18, v20, vcc
	global_load_dwordx4 v[6:9], v[10:11], off nt
	s_cmp_eq_u32 s28, 0
	s_cselect_b64 s[28:29], -1, 0
	s_waitcnt vmcnt(0)
	scratch_store_dwordx4 off, v[6:9], s8
	s_nop 1
	v_lshl_add_u64 v[6:7], v[10:11], 0, s[56:57]
	v_cndmask_b32_e64 v19, v19, v7, s[28:29]
	v_cndmask_b32_e64 v18, v18, v6, s[28:29]
	v_cndmask_b32_e32 v21, v21, v7, vcc
	v_cndmask_b32_e32 v20, v20, v6, vcc
	s_mov_b64 s[28:29], 1
	s_and_b64 vcc, exec, s[54:55]
	s_mov_b64 s[54:55], 0
	s_mov_b32 s8, s82
	s_cbranch_vccnz .LBB30_1761
.LBB30_1762:                            ;   in Loop: Header=BB30_1721 Depth=3
	s_or_b64 exec, exec, s[52:53]
	scratch_load_dwordx4 v[8:11], off, s33 offset:192
	scratch_load_dwordx4 v[12:15], off, s33 offset:208
	s_waitcnt vmcnt(1)
	v_lshlrev_b32_e32 v6, 16, v8
	s_waitcnt vmcnt(0)
	v_lshlrev_b32_e32 v7, 16, v12
	v_max_f32_e32 v7, v7, v7
	v_max_f32_e32 v6, v6, v6
	v_min_f32_e32 v26, v6, v7
	v_max_f32_e32 v6, v6, v7
	v_cndmask_b32_e64 v7, v6, v26, s[26:27]
	v_and_b32_e32 v6, 0x7f800000, v7
	v_cmp_ne_u32_e32 vcc, s43, v6
                                        ; implicit-def: $vgpr6
	s_and_saveexec_b64 s[8:9], vcc
	s_xor_b64 s[28:29], exec, s[8:9]
; %bb.1763:                             ;   in Loop: Header=BB30_1721 Depth=3
	v_bfe_u32 v6, v7, 16, 1
	v_add3_u32 v6, v7, v6, s40
                                        ; implicit-def: $vgpr7
; %bb.1764:                             ;   in Loop: Header=BB30_1721 Depth=3
	s_andn2_saveexec_b64 s[28:29], s[28:29]
; %bb.1765:                             ;   in Loop: Header=BB30_1721 Depth=3
	v_or_b32_e32 v6, 0x10000, v7
	v_cmp_eq_u32_sdwa vcc, v7, v3 src0_sel:WORD_0 src1_sel:DWORD
	s_nop 1
	v_cndmask_b32_e32 v6, v6, v7, vcc
; %bb.1766:                             ;   in Loop: Header=BB30_1721 Depth=3
	s_or_b64 exec, exec, s[28:29]
	v_and_b32_e32 v7, 0xffff0000, v8
	v_and_b32_e32 v8, 0xffff0000, v12
	v_max_f32_e32 v8, v8, v8
	v_max_f32_e32 v7, v7, v7
	v_min_f32_e32 v12, v7, v8
	v_max_f32_e32 v7, v7, v8
	v_cndmask_b32_e64 v8, v7, v12, s[26:27]
	v_and_b32_e32 v7, 0x7f800000, v8
	v_cmp_ne_u32_e32 vcc, s43, v7
                                        ; implicit-def: $vgpr7
	s_and_saveexec_b64 s[8:9], vcc
	s_xor_b64 s[28:29], exec, s[8:9]
; %bb.1767:                             ;   in Loop: Header=BB30_1721 Depth=3
	v_bfe_u32 v7, v8, 16, 1
	v_add3_u32 v7, v8, v7, s40
                                        ; implicit-def: $vgpr8
; %bb.1768:                             ;   in Loop: Header=BB30_1721 Depth=3
	s_andn2_saveexec_b64 s[28:29], s[28:29]
; %bb.1769:                             ;   in Loop: Header=BB30_1721 Depth=3
	v_or_b32_e32 v7, 0x10000, v8
	v_cmp_eq_u32_sdwa vcc, v8, v3 src0_sel:WORD_0 src1_sel:DWORD
	s_nop 1
	v_cndmask_b32_e32 v7, v7, v8, vcc
; %bb.1770:                             ;   in Loop: Header=BB30_1721 Depth=3
	s_or_b64 exec, exec, s[28:29]
	v_lshlrev_b32_e32 v8, 16, v9
	v_lshlrev_b32_e32 v12, 16, v13
	v_max_f32_e32 v12, v12, v12
	v_max_f32_e32 v8, v8, v8
	v_min_f32_e32 v26, v8, v12
	v_max_f32_e32 v8, v8, v12
	v_cndmask_b32_e64 v12, v8, v26, s[26:27]
	v_and_b32_e32 v8, 0x7f800000, v12
	v_cmp_ne_u32_e32 vcc, s43, v8
                                        ; implicit-def: $vgpr8
	s_and_saveexec_b64 s[8:9], vcc
	s_xor_b64 s[28:29], exec, s[8:9]
; %bb.1771:                             ;   in Loop: Header=BB30_1721 Depth=3
	v_bfe_u32 v8, v12, 16, 1
	v_add3_u32 v8, v12, v8, s40
                                        ; implicit-def: $vgpr12
; %bb.1772:                             ;   in Loop: Header=BB30_1721 Depth=3
	s_andn2_saveexec_b64 s[28:29], s[28:29]
; %bb.1773:                             ;   in Loop: Header=BB30_1721 Depth=3
	v_or_b32_e32 v8, 0x10000, v12
	v_cmp_eq_u32_sdwa vcc, v12, v3 src0_sel:WORD_0 src1_sel:DWORD
	s_nop 1
	v_cndmask_b32_e32 v8, v8, v12, vcc
; %bb.1774:                             ;   in Loop: Header=BB30_1721 Depth=3
	s_or_b64 exec, exec, s[28:29]
	v_and_b32_e32 v9, 0xffff0000, v9
	v_and_b32_e32 v12, 0xffff0000, v13
	v_max_f32_e32 v12, v12, v12
	v_max_f32_e32 v9, v9, v9
	v_min_f32_e32 v13, v9, v12
	v_max_f32_e32 v9, v9, v12
	v_cndmask_b32_e64 v12, v9, v13, s[26:27]
	v_and_b32_e32 v9, 0x7f800000, v12
	v_cmp_ne_u32_e32 vcc, s43, v9
                                        ; implicit-def: $vgpr9
	s_and_saveexec_b64 s[8:9], vcc
	s_xor_b64 s[28:29], exec, s[8:9]
; %bb.1775:                             ;   in Loop: Header=BB30_1721 Depth=3
	v_bfe_u32 v9, v12, 16, 1
	v_add3_u32 v9, v12, v9, s40
                                        ; implicit-def: $vgpr12
; %bb.1776:                             ;   in Loop: Header=BB30_1721 Depth=3
	s_andn2_saveexec_b64 s[28:29], s[28:29]
; %bb.1777:                             ;   in Loop: Header=BB30_1721 Depth=3
	v_or_b32_e32 v9, 0x10000, v12
	v_cmp_eq_u32_sdwa vcc, v12, v3 src0_sel:WORD_0 src1_sel:DWORD
	s_nop 1
	v_cndmask_b32_e32 v9, v9, v12, vcc
; %bb.1778:                             ;   in Loop: Header=BB30_1721 Depth=3
	s_or_b64 exec, exec, s[28:29]
	v_lshlrev_b32_e32 v12, 16, v10
	v_lshlrev_b32_e32 v13, 16, v14
	v_max_f32_e32 v13, v13, v13
	v_max_f32_e32 v12, v12, v12
	v_min_f32_e32 v26, v12, v13
	v_max_f32_e32 v12, v12, v13
	v_cndmask_b32_e64 v13, v12, v26, s[26:27]
	v_and_b32_e32 v12, 0x7f800000, v13
	v_cmp_ne_u32_e32 vcc, s43, v12
                                        ; implicit-def: $vgpr12
	s_and_saveexec_b64 s[8:9], vcc
	s_xor_b64 s[28:29], exec, s[8:9]
; %bb.1779:                             ;   in Loop: Header=BB30_1721 Depth=3
	v_bfe_u32 v12, v13, 16, 1
	v_add3_u32 v12, v13, v12, s40
                                        ; implicit-def: $vgpr13
; %bb.1780:                             ;   in Loop: Header=BB30_1721 Depth=3
	s_andn2_saveexec_b64 s[28:29], s[28:29]
; %bb.1781:                             ;   in Loop: Header=BB30_1721 Depth=3
	v_or_b32_e32 v12, 0x10000, v13
	v_cmp_eq_u32_sdwa vcc, v13, v3 src0_sel:WORD_0 src1_sel:DWORD
	s_nop 1
	v_cndmask_b32_e32 v12, v12, v13, vcc
; %bb.1782:                             ;   in Loop: Header=BB30_1721 Depth=3
	s_or_b64 exec, exec, s[28:29]
	v_and_b32_e32 v10, 0xffff0000, v10
	v_and_b32_e32 v13, 0xffff0000, v14
	v_max_f32_e32 v13, v13, v13
	v_max_f32_e32 v10, v10, v10
	v_min_f32_e32 v14, v10, v13
	v_max_f32_e32 v10, v10, v13
	v_cndmask_b32_e64 v13, v10, v14, s[26:27]
	v_and_b32_e32 v10, 0x7f800000, v13
	v_cmp_ne_u32_e32 vcc, s43, v10
                                        ; implicit-def: $vgpr10
	s_and_saveexec_b64 s[8:9], vcc
	s_xor_b64 s[28:29], exec, s[8:9]
; %bb.1783:                             ;   in Loop: Header=BB30_1721 Depth=3
	v_bfe_u32 v10, v13, 16, 1
	v_add3_u32 v10, v13, v10, s40
                                        ; implicit-def: $vgpr13
; %bb.1784:                             ;   in Loop: Header=BB30_1721 Depth=3
	s_andn2_saveexec_b64 s[28:29], s[28:29]
; %bb.1785:                             ;   in Loop: Header=BB30_1721 Depth=3
	v_or_b32_e32 v10, 0x10000, v13
	v_cmp_eq_u32_sdwa vcc, v13, v3 src0_sel:WORD_0 src1_sel:DWORD
	s_nop 1
	v_cndmask_b32_e32 v10, v10, v13, vcc
; %bb.1786:                             ;   in Loop: Header=BB30_1721 Depth=3
	s_or_b64 exec, exec, s[28:29]
	v_lshlrev_b32_e32 v13, 16, v11
	v_lshlrev_b32_e32 v14, 16, v15
	v_max_f32_e32 v14, v14, v14
	v_max_f32_e32 v13, v13, v13
	v_min_f32_e32 v26, v13, v14
	v_max_f32_e32 v13, v13, v14
	v_cndmask_b32_e64 v14, v13, v26, s[26:27]
	v_and_b32_e32 v13, 0x7f800000, v14
	v_cmp_ne_u32_e32 vcc, s43, v13
                                        ; implicit-def: $vgpr13
	s_and_saveexec_b64 s[8:9], vcc
	s_xor_b64 s[28:29], exec, s[8:9]
; %bb.1787:                             ;   in Loop: Header=BB30_1721 Depth=3
	v_bfe_u32 v13, v14, 16, 1
	v_add3_u32 v13, v14, v13, s40
                                        ; implicit-def: $vgpr14
; %bb.1788:                             ;   in Loop: Header=BB30_1721 Depth=3
	s_andn2_saveexec_b64 s[28:29], s[28:29]
; %bb.1789:                             ;   in Loop: Header=BB30_1721 Depth=3
	v_or_b32_e32 v13, 0x10000, v14
	v_cmp_eq_u32_sdwa vcc, v14, v3 src0_sel:WORD_0 src1_sel:DWORD
	s_nop 1
	v_cndmask_b32_e32 v13, v13, v14, vcc
; %bb.1790:                             ;   in Loop: Header=BB30_1721 Depth=3
	s_or_b64 exec, exec, s[28:29]
	v_and_b32_e32 v11, 0xffff0000, v11
	v_and_b32_e32 v14, 0xffff0000, v15
	v_max_f32_e32 v14, v14, v14
	v_max_f32_e32 v11, v11, v11
	v_min_f32_e32 v15, v11, v14
	v_max_f32_e32 v11, v11, v14
	v_cndmask_b32_e64 v14, v11, v15, s[26:27]
	v_and_b32_e32 v11, 0x7f800000, v14
	v_cmp_ne_u32_e32 vcc, s43, v11
                                        ; implicit-def: $vgpr11
	s_and_saveexec_b64 s[8:9], vcc
	s_xor_b64 s[28:29], exec, s[8:9]
; %bb.1791:                             ;   in Loop: Header=BB30_1721 Depth=3
	v_bfe_u32 v11, v14, 16, 1
	v_add3_u32 v11, v14, v11, s40
                                        ; implicit-def: $vgpr14
; %bb.1792:                             ;   in Loop: Header=BB30_1721 Depth=3
	s_andn2_saveexec_b64 s[28:29], s[28:29]
; %bb.1793:                             ;   in Loop: Header=BB30_1721 Depth=3
	v_or_b32_e32 v11, 0x10000, v14
	v_cmp_eq_u32_sdwa vcc, v14, v3 src0_sel:WORD_0 src1_sel:DWORD
	s_nop 1
	v_cndmask_b32_e32 v11, v11, v14, vcc
; %bb.1794:                             ;   in Loop: Header=BB30_1721 Depth=3
	s_or_b64 exec, exec, s[28:29]
	v_lshrrev_b32_e32 v8, 16, v8
	v_lshrrev_b32_e32 v6, 16, v6
	v_and_or_b32 v9, v9, s41, v8
	v_and_or_b32 v8, v7, s41, v6
	v_lshrrev_b32_e32 v6, 16, v12
	v_and_or_b32 v10, v10, s41, v6
	v_lshrrev_b32_e32 v6, 16, v13
	v_and_or_b32 v11, v11, s41, v6
	s_mov_b64 s[52:53], 0
	s_mov_b64 s[28:29], -1
	scratch_store_dwordx4 off, v[8:11], s33 offset:192
.LBB30_1795:                            ;   Parent Loop BB30_47 Depth=1
                                        ;     Parent Loop BB30_1243 Depth=2
                                        ;       Parent Loop BB30_1721 Depth=3
                                        ; =>      This Inner Loop Header: Depth=4
	s_cmp_eq_u32 s52, 1
	s_cselect_b64 vcc, -1, 0
	v_cndmask_b32_e32 v7, v5, v17, vcc
	v_cndmask_b32_e32 v6, v4, v16, vcc
	global_store_dwordx4 v[6:7], v[8:11], off
	v_lshl_add_u64 v[6:7], v[6:7], 0, s[56:57]
	s_cmp_eq_u32 s52, 0
	v_cndmask_b32_e32 v17, v17, v7, vcc
	v_cndmask_b32_e32 v16, v16, v6, vcc
	s_cselect_b64 vcc, -1, 0
	v_cndmask_b32_e32 v5, v5, v7, vcc
	v_cndmask_b32_e32 v4, v4, v6, vcc
	s_mov_b64 s[52:53], 1
	s_and_b64 vcc, exec, s[28:29]
	s_mov_b64 s[28:29], 0
	s_cbranch_vccnz .LBB30_1795
; %bb.1796:                             ;   in Loop: Header=BB30_1721 Depth=3
	v_sub_u32_e32 v25, v25, v60
	s_and_saveexec_b64 s[28:29], s[50:51]
	s_cbranch_execz .LBB30_1720
; %bb.1797:                             ;   in Loop: Header=BB30_1721 Depth=3
	v_lshl_add_u64 v[4:5], v[4:5], 0, v[90:91]
	v_lshl_add_u64 v[16:17], v[16:17], 0, v[90:91]
	;; [unrolled: 1-line block ×4, first 2 shown]
	v_sub_u32_e32 v1, v1, v111
	v_sub_u32_e32 v25, v25, v60
	s_branch .LBB30_1720
.LBB30_1798:                            ;   in Loop: Header=BB30_1243 Depth=2
	s_or_b64 exec, exec, s[38:39]
	s_and_b64 s[26:27], s[48:49], exec
.LBB30_1799:                            ;   in Loop: Header=BB30_1243 Depth=2
	s_or_b64 exec, exec, s[36:37]
	s_and_saveexec_b64 s[36:37], s[26:27]
	s_cbranch_execz .LBB30_1834
; %bb.1800:                             ;   in Loop: Header=BB30_1243 Depth=2
	scratch_load_dwordx4 v[8:11], off, s33 offset:224
	scratch_load_dwordx4 v[12:15], off, s33 offset:240
	s_and_b32 s8, 0xffff, s64
	s_cmp_eq_u32 s8, 0
	s_cselect_b64 vcc, -1, 0
	s_waitcnt vmcnt(1)
	v_lshlrev_b32_e32 v1, 16, v8
	s_waitcnt vmcnt(0)
	v_lshlrev_b32_e32 v6, 16, v12
	v_max_f32_e32 v6, v6, v6
	v_max_f32_e32 v1, v1, v1
	v_min_f32_e32 v7, v1, v6
	v_max_f32_e32 v1, v1, v6
	v_cndmask_b32_e32 v6, v1, v7, vcc
	v_and_b32_e32 v1, 0x7f800000, v6
	v_cmp_ne_u32_e64 s[26:27], s43, v1
                                        ; implicit-def: $vgpr1
	s_and_saveexec_b64 s[8:9], s[26:27]
	s_xor_b64 s[26:27], exec, s[8:9]
; %bb.1801:                             ;   in Loop: Header=BB30_1243 Depth=2
	v_bfe_u32 v1, v6, 16, 1
	v_add3_u32 v1, v6, v1, s40
                                        ; implicit-def: $vgpr6
; %bb.1802:                             ;   in Loop: Header=BB30_1243 Depth=2
	s_andn2_saveexec_b64 s[28:29], s[26:27]
; %bb.1803:                             ;   in Loop: Header=BB30_1243 Depth=2
	v_or_b32_e32 v1, 0x10000, v6
	v_cmp_eq_u32_sdwa s[26:27], v6, v3 src0_sel:WORD_0 src1_sel:DWORD
	s_nop 1
	v_cndmask_b32_e64 v1, v1, v6, s[26:27]
; %bb.1804:                             ;   in Loop: Header=BB30_1243 Depth=2
	s_or_b64 exec, exec, s[28:29]
	v_and_b32_e32 v6, 0xffff0000, v8
	v_and_b32_e32 v7, 0xffff0000, v12
	v_max_f32_e32 v7, v7, v7
	v_max_f32_e32 v6, v6, v6
	v_min_f32_e32 v8, v6, v7
	v_max_f32_e32 v6, v6, v7
	v_cndmask_b32_e32 v7, v6, v8, vcc
	v_and_b32_e32 v6, 0x7f800000, v7
	v_cmp_ne_u32_e64 s[26:27], s43, v6
                                        ; implicit-def: $vgpr6
	s_and_saveexec_b64 s[8:9], s[26:27]
	s_xor_b64 s[26:27], exec, s[8:9]
; %bb.1805:                             ;   in Loop: Header=BB30_1243 Depth=2
	v_bfe_u32 v6, v7, 16, 1
	v_add3_u32 v6, v7, v6, s40
                                        ; implicit-def: $vgpr7
; %bb.1806:                             ;   in Loop: Header=BB30_1243 Depth=2
	s_andn2_saveexec_b64 s[28:29], s[26:27]
; %bb.1807:                             ;   in Loop: Header=BB30_1243 Depth=2
	v_or_b32_e32 v6, 0x10000, v7
	v_cmp_eq_u32_sdwa s[26:27], v7, v3 src0_sel:WORD_0 src1_sel:DWORD
	s_nop 1
	v_cndmask_b32_e64 v6, v6, v7, s[26:27]
; %bb.1808:                             ;   in Loop: Header=BB30_1243 Depth=2
	s_or_b64 exec, exec, s[28:29]
	v_lshlrev_b32_e32 v7, 16, v9
	v_lshlrev_b32_e32 v8, 16, v13
	v_max_f32_e32 v8, v8, v8
	v_max_f32_e32 v7, v7, v7
	v_min_f32_e32 v12, v7, v8
	v_max_f32_e32 v7, v7, v8
	v_cndmask_b32_e32 v8, v7, v12, vcc
	v_and_b32_e32 v7, 0x7f800000, v8
	v_cmp_ne_u32_e64 s[26:27], s43, v7
                                        ; implicit-def: $vgpr7
	s_and_saveexec_b64 s[8:9], s[26:27]
	s_xor_b64 s[26:27], exec, s[8:9]
; %bb.1809:                             ;   in Loop: Header=BB30_1243 Depth=2
	v_bfe_u32 v7, v8, 16, 1
	v_add3_u32 v7, v8, v7, s40
                                        ; implicit-def: $vgpr8
; %bb.1810:                             ;   in Loop: Header=BB30_1243 Depth=2
	s_andn2_saveexec_b64 s[28:29], s[26:27]
; %bb.1811:                             ;   in Loop: Header=BB30_1243 Depth=2
	v_or_b32_e32 v7, 0x10000, v8
	v_cmp_eq_u32_sdwa s[26:27], v8, v3 src0_sel:WORD_0 src1_sel:DWORD
	s_nop 1
	v_cndmask_b32_e64 v7, v7, v8, s[26:27]
; %bb.1812:                             ;   in Loop: Header=BB30_1243 Depth=2
	s_or_b64 exec, exec, s[28:29]
	v_and_b32_e32 v8, 0xffff0000, v9
	v_and_b32_e32 v9, 0xffff0000, v13
	v_max_f32_e32 v9, v9, v9
	v_max_f32_e32 v8, v8, v8
	v_min_f32_e32 v12, v8, v9
	v_max_f32_e32 v8, v8, v9
	v_cndmask_b32_e32 v9, v8, v12, vcc
	v_and_b32_e32 v8, 0x7f800000, v9
	v_cmp_ne_u32_e64 s[26:27], s43, v8
                                        ; implicit-def: $vgpr8
	s_and_saveexec_b64 s[8:9], s[26:27]
	s_xor_b64 s[26:27], exec, s[8:9]
; %bb.1813:                             ;   in Loop: Header=BB30_1243 Depth=2
	v_bfe_u32 v8, v9, 16, 1
	v_add3_u32 v8, v9, v8, s40
                                        ; implicit-def: $vgpr9
; %bb.1814:                             ;   in Loop: Header=BB30_1243 Depth=2
	s_andn2_saveexec_b64 s[28:29], s[26:27]
; %bb.1815:                             ;   in Loop: Header=BB30_1243 Depth=2
	v_or_b32_e32 v8, 0x10000, v9
	v_cmp_eq_u32_sdwa s[26:27], v9, v3 src0_sel:WORD_0 src1_sel:DWORD
	s_nop 1
	v_cndmask_b32_e64 v8, v8, v9, s[26:27]
; %bb.1816:                             ;   in Loop: Header=BB30_1243 Depth=2
	s_or_b64 exec, exec, s[28:29]
	v_lshlrev_b32_e32 v9, 16, v10
	v_lshlrev_b32_e32 v12, 16, v14
	v_max_f32_e32 v12, v12, v12
	v_max_f32_e32 v9, v9, v9
	v_min_f32_e32 v13, v9, v12
	v_max_f32_e32 v9, v9, v12
	v_cndmask_b32_e32 v9, v9, v13, vcc
	v_and_b32_e32 v12, 0x7f800000, v9
	v_cmp_ne_u32_e64 s[26:27], s43, v12
                                        ; implicit-def: $vgpr12
	s_and_saveexec_b64 s[8:9], s[26:27]
	s_xor_b64 s[26:27], exec, s[8:9]
; %bb.1817:                             ;   in Loop: Header=BB30_1243 Depth=2
	v_bfe_u32 v12, v9, 16, 1
	v_add3_u32 v12, v9, v12, s40
                                        ; implicit-def: $vgpr9
; %bb.1818:                             ;   in Loop: Header=BB30_1243 Depth=2
	s_andn2_saveexec_b64 s[28:29], s[26:27]
; %bb.1819:                             ;   in Loop: Header=BB30_1243 Depth=2
	v_or_b32_e32 v12, 0x10000, v9
	v_cmp_eq_u32_sdwa s[26:27], v9, v3 src0_sel:WORD_0 src1_sel:DWORD
	s_nop 1
	v_cndmask_b32_e64 v12, v12, v9, s[26:27]
; %bb.1820:                             ;   in Loop: Header=BB30_1243 Depth=2
	s_or_b64 exec, exec, s[28:29]
	v_and_b32_e32 v9, 0xffff0000, v10
	v_and_b32_e32 v10, 0xffff0000, v14
	v_max_f32_e32 v10, v10, v10
	v_max_f32_e32 v9, v9, v9
	v_min_f32_e32 v13, v9, v10
	v_max_f32_e32 v9, v9, v10
	v_cndmask_b32_e32 v9, v9, v13, vcc
	v_and_b32_e32 v10, 0x7f800000, v9
	v_cmp_ne_u32_e64 s[26:27], s43, v10
                                        ; implicit-def: $vgpr10
	s_and_saveexec_b64 s[8:9], s[26:27]
	s_xor_b64 s[26:27], exec, s[8:9]
; %bb.1821:                             ;   in Loop: Header=BB30_1243 Depth=2
	v_bfe_u32 v10, v9, 16, 1
	v_add3_u32 v10, v9, v10, s40
                                        ; implicit-def: $vgpr9
; %bb.1822:                             ;   in Loop: Header=BB30_1243 Depth=2
	s_andn2_saveexec_b64 s[28:29], s[26:27]
; %bb.1823:                             ;   in Loop: Header=BB30_1243 Depth=2
	v_or_b32_e32 v10, 0x10000, v9
	v_cmp_eq_u32_sdwa s[26:27], v9, v3 src0_sel:WORD_0 src1_sel:DWORD
	s_nop 1
	v_cndmask_b32_e64 v10, v10, v9, s[26:27]
; %bb.1824:                             ;   in Loop: Header=BB30_1243 Depth=2
	s_or_b64 exec, exec, s[28:29]
	v_lshlrev_b32_e32 v9, 16, v11
	v_lshlrev_b32_e32 v13, 16, v15
	v_max_f32_e32 v13, v13, v13
	v_max_f32_e32 v9, v9, v9
	v_min_f32_e32 v14, v9, v13
	v_max_f32_e32 v9, v9, v13
	v_cndmask_b32_e32 v9, v9, v14, vcc
	v_and_b32_e32 v13, 0x7f800000, v9
	v_cmp_ne_u32_e64 s[26:27], s43, v13
                                        ; implicit-def: $vgpr13
	s_and_saveexec_b64 s[8:9], s[26:27]
	s_xor_b64 s[26:27], exec, s[8:9]
; %bb.1825:                             ;   in Loop: Header=BB30_1243 Depth=2
	v_bfe_u32 v13, v9, 16, 1
	v_add3_u32 v13, v9, v13, s40
                                        ; implicit-def: $vgpr9
; %bb.1826:                             ;   in Loop: Header=BB30_1243 Depth=2
	s_andn2_saveexec_b64 s[28:29], s[26:27]
; %bb.1827:                             ;   in Loop: Header=BB30_1243 Depth=2
	v_or_b32_e32 v13, 0x10000, v9
	v_cmp_eq_u32_sdwa s[26:27], v9, v3 src0_sel:WORD_0 src1_sel:DWORD
	s_nop 1
	v_cndmask_b32_e64 v13, v13, v9, s[26:27]
; %bb.1828:                             ;   in Loop: Header=BB30_1243 Depth=2
	s_or_b64 exec, exec, s[28:29]
	v_and_b32_e32 v9, 0xffff0000, v11
	v_and_b32_e32 v11, 0xffff0000, v15
	v_max_f32_e32 v11, v11, v11
	v_max_f32_e32 v9, v9, v9
	v_min_f32_e32 v14, v9, v11
	v_max_f32_e32 v9, v9, v11
	v_cndmask_b32_e32 v9, v9, v14, vcc
	v_and_b32_e32 v11, 0x7f800000, v9
	v_cmp_ne_u32_e32 vcc, s43, v11
                                        ; implicit-def: $vgpr11
	s_and_saveexec_b64 s[8:9], vcc
	s_xor_b64 s[26:27], exec, s[8:9]
; %bb.1829:                             ;   in Loop: Header=BB30_1243 Depth=2
	v_bfe_u32 v11, v9, 16, 1
	v_add3_u32 v11, v9, v11, s40
                                        ; implicit-def: $vgpr9
; %bb.1830:                             ;   in Loop: Header=BB30_1243 Depth=2
	s_andn2_saveexec_b64 s[26:27], s[26:27]
; %bb.1831:                             ;   in Loop: Header=BB30_1243 Depth=2
	v_or_b32_e32 v11, 0x10000, v9
	v_cmp_eq_u32_sdwa vcc, v9, v3 src0_sel:WORD_0 src1_sel:DWORD
	s_nop 1
	v_cndmask_b32_e32 v11, v11, v9, vcc
; %bb.1832:                             ;   in Loop: Header=BB30_1243 Depth=2
	s_or_b64 exec, exec, s[26:27]
	v_lshrrev_b32_e32 v7, 16, v7
	v_lshrrev_b32_e32 v1, 16, v1
	v_and_or_b32 v9, v8, s41, v7
	v_and_or_b32 v8, v6, s41, v1
	v_lshrrev_b32_e32 v1, 16, v12
	v_and_or_b32 v10, v10, s41, v1
	v_lshrrev_b32_e32 v1, 16, v13
	v_and_or_b32 v11, v11, s41, v1
	s_mov_b64 s[48:49], 0
	s_mov_b64 s[38:39], -1
.LBB30_1833:                            ;   Parent Loop BB30_47 Depth=1
                                        ;     Parent Loop BB30_1243 Depth=2
                                        ; =>    This Inner Loop Header: Depth=3
	s_cmp_eq_u32 s48, 1
	s_cselect_b64 vcc, -1, 0
	v_cndmask_b32_e32 v7, v5, v17, vcc
	s_cmp_eq_u32 s48, 0
	v_cndmask_b32_e32 v6, v4, v16, vcc
	global_store_dwordx4 v[6:7], v[8:11], off
	v_lshl_add_u64 v[6:7], v[6:7], 0, s[56:57]
	s_cselect_b64 s[26:27], -1, 0
	s_and_b64 s[28:29], exec, s[38:39]
	s_mov_b64 s[48:49], 1
	s_mov_b64 s[38:39], 0
	v_cndmask_b32_e32 v17, v17, v7, vcc
	v_cndmask_b32_e32 v16, v16, v6, vcc
	v_cndmask_b32_e64 v5, v5, v7, s[26:27]
	v_cndmask_b32_e64 v4, v4, v6, s[26:27]
	s_mov_b64 vcc, s[28:29]
	s_cbranch_vccnz .LBB30_1833
.LBB30_1834:                            ;   in Loop: Header=BB30_1243 Depth=2
	s_or_b64 exec, exec, s[36:37]
	v_and_b32_e32 v5, 14, v29
	v_cndmask_b32_e64 v14, v24, v5, s[24:25]
	v_cmp_ne_u32_e32 vcc, 0, v14
	s_mov_b64 s[26:27], s[30:31]
                                        ; implicit-def: $vgpr1
                                        ; implicit-def: $vgpr4
                                        ; implicit-def: $vgpr15
	s_and_saveexec_b64 s[28:29], vcc
	s_cbranch_execz .LBB30_1836
; %bb.1835:                             ;   in Loop: Header=BB30_1243 Depth=2
	v_cmp_lt_i32_e32 vcc, 0, v25
	v_sub_u32_e32 v1, v24, v5
	v_cndmask_b32_e64 v1, 0, v1, s[24:25]
	v_cndmask_b32_e32 v4, 0, v60, vcc
	v_sub_u32_e32 v4, v4, v25
	v_lshl_add_u32 v4, v4, 6, v0
	v_ashrrev_i32_e32 v0, 31, v4
	v_lshrrev_b32_e32 v0, 26, v0
	v_add_u32_e32 v0, v4, v0
	v_and_b32_e32 v0, 0xffffffc0, v0
	v_add3_u32 v1, v23, v22, v1
	v_sub_u32_e32 v15, v4, v0
	s_or_b64 s[26:27], s[30:31], exec
.LBB30_1836:                            ;   in Loop: Header=BB30_1243 Depth=2
	s_or_b64 exec, exec, s[28:29]
	s_andn2_b64 s[8:9], s[30:31], exec
	s_and_b64 s[24:25], s[26:27], exec
	s_or_b64 s[30:31], s[8:9], s[24:25]
.LBB30_1837:                            ;   in Loop: Header=BB30_1243 Depth=2
	s_or_b64 exec, exec, s[34:35]
	s_and_saveexec_b64 s[34:35], s[30:31]
	s_cbranch_execz .LBB30_2074
.LBB30_1838:                            ;   in Loop: Header=BB30_1243 Depth=2
	v_ashrrev_i32_e32 v0, 31, v4
	v_lshrrev_b32_e32 v0, 26, v0
	v_add_u32_e32 v0, v4, v0
	v_ashrrev_i32_e32 v0, 6, v0
	v_lshlrev_b32_e32 v4, 11, v0
	v_lshlrev_b32_e32 v5, 1, v15
	v_add3_u32 v12, v1, v5, v4
	v_ashrrev_i32_e32 v4, 31, v14
	v_lshrrev_b32_e32 v4, 21, v4
	v_add_u32_e32 v4, v14, v4
	v_ashrrev_i32_e32 v16, 11, v4
	v_ashrrev_i32_e32 v13, 31, v12
	v_sub_u32_e32 v0, v16, v0
	s_waitcnt vmcnt(1)
	v_mov_b64_e32 v[72:73], v[32:33]
	v_lshl_add_u64 v[8:9], v[32:33], 0, v[12:13]
	s_waitcnt vmcnt(0)
	v_mov_b64_e32 v[74:75], v[34:35]
	v_lshl_add_u64 v[4:5], v[34:35], 0, v[12:13]
	v_cmp_lt_i32_e32 vcc, 0, v0
	v_mov_b32_e32 v100, 0
	s_mov_b64 s[24:25], 0
	v_mov_b32_e32 v97, 0
	v_mov_b32_e32 v86, 0
	;; [unrolled: 1-line block ×31, first 2 shown]
	s_and_saveexec_b64 s[26:27], vcc
	s_cbranch_execz .LBB30_1976
; %bb.1839:                             ;   in Loop: Header=BB30_1243 Depth=2
	s_trap 2
	ds_read_b64 v[6:7], v0
	s_and_b32 s8, s64, 0xff
	s_cmp_eq_u32 s8, 0
	v_lshl_add_u64 v[10:11], v[12:13], 0, v[120:121]
	s_mov_b64 s[36:37], 0
	s_waitcnt lgkmcnt(0)
	v_lshl_add_u64 v[12:13], v[6:7], 0, v[12:13]
	s_mov_b64 s[30:31], 0
	s_cselect_b64 vcc, -1, 0
                                        ; implicit-def: $sgpr28_sgpr29
                                        ; implicit-def: $vgpr114
                                        ; implicit-def: $vgpr103
                                        ; implicit-def: $vgpr99
                                        ; implicit-def: $vgpr96
                                        ; implicit-def: $vgpr85
                                        ; implicit-def: $vgpr82
                                        ; implicit-def: $vgpr71
                                        ; implicit-def: $vgpr67
                                        ; implicit-def: $vgpr64
                                        ; implicit-def: $vgpr53
                                        ; implicit-def: $vgpr50
                                        ; implicit-def: $vgpr49
                                        ; implicit-def: $vgpr48
                                        ; implicit-def: $vgpr39
                                        ; implicit-def: $vgpr38
                                        ; implicit-def: $vgpr37
                                        ; implicit-def: $vgpr17
                                        ; implicit-def: $vgpr18
                                        ; implicit-def: $vgpr19
                                        ; implicit-def: $vgpr20
                                        ; implicit-def: $vgpr21
                                        ; implicit-def: $vgpr22
                                        ; implicit-def: $vgpr23
                                        ; implicit-def: $vgpr24
                                        ; implicit-def: $vgpr25
                                        ; implicit-def: $vgpr26
                                        ; implicit-def: $vgpr27
                                        ; implicit-def: $vgpr32
                                        ; implicit-def: $vgpr33
                                        ; implicit-def: $vgpr34
                                        ; implicit-def: $vgpr35
                                        ; implicit-def: $vgpr36
	s_branch .LBB30_1841
.LBB30_1840:                            ;   in Loop: Header=BB30_1841 Depth=3
	s_or_b64 exec, exec, s[24:25]
	v_cmp_gt_i32_e64 s[24:25], 1, v0
	s_or_b64 s[30:31], s[24:25], s[30:31]
	s_andn2_b64 s[8:9], s[28:29], exec
	s_and_b64 s[24:25], s[36:37], exec
	s_or_b64 s[28:29], s[8:9], s[24:25]
	s_andn2_b64 exec, exec, s[30:31]
	s_cbranch_execz .LBB30_1975
.LBB30_1841:                            ;   Parent Loop BB30_47 Depth=1
                                        ;     Parent Loop BB30_1243 Depth=2
                                        ; =>    This Inner Loop Header: Depth=3
	flat_load_ushort v44, v[10:11] nt
	flat_load_ushort v59, v[10:11] offset:128 nt
	flat_load_ushort v119, v[10:11] offset:256 nt
	;; [unrolled: 1-line block ×15, first 2 shown]
	flat_load_ushort v45, v[12:13] nt
	flat_load_ushort v63, v[12:13] offset:128 nt
	flat_load_ushort v58, v[12:13] offset:256 nt
	;; [unrolled: 1-line block ×15, first 2 shown]
	s_and_saveexec_b64 s[38:39], s[36:37]
	s_cbranch_execz .LBB30_1907
; %bb.1842:                             ;   in Loop: Header=BB30_1841 Depth=3
	v_lshlrev_b32_e32 v6, 16, v114
	v_lshlrev_b32_e32 v7, 16, v17
	v_max_f32_e32 v7, v7, v7
	v_max_f32_e32 v6, v6, v6
	v_min_f32_e32 v30, v6, v7
	v_max_f32_e32 v6, v6, v7
	v_cndmask_b32_e32 v7, v6, v30, vcc
	v_and_b32_e32 v6, 0x7f800000, v7
	v_cmp_ne_u32_e64 s[24:25], s43, v6
                                        ; implicit-def: $vgpr6
	s_and_saveexec_b64 s[8:9], s[24:25]
	s_xor_b64 s[24:25], exec, s[8:9]
; %bb.1843:                             ;   in Loop: Header=BB30_1841 Depth=3
	v_bfe_u32 v6, v7, 16, 1
	v_add3_u32 v6, v7, v6, s40
                                        ; implicit-def: $vgpr7
; %bb.1844:                             ;   in Loop: Header=BB30_1841 Depth=3
	s_andn2_saveexec_b64 s[36:37], s[24:25]
; %bb.1845:                             ;   in Loop: Header=BB30_1841 Depth=3
	v_or_b32_e32 v6, 0x10000, v7
	v_cmp_eq_u32_sdwa s[24:25], v7, v3 src0_sel:WORD_0 src1_sel:DWORD
	s_nop 1
	v_cndmask_b32_e64 v6, v6, v7, s[24:25]
; %bb.1846:                             ;   in Loop: Header=BB30_1841 Depth=3
	s_or_b64 exec, exec, s[36:37]
	v_lshlrev_b32_e32 v7, 16, v103
	v_lshlrev_b32_e32 v30, 16, v18
	v_max_f32_e32 v30, v30, v30
	v_max_f32_e32 v7, v7, v7
	v_min_f32_e32 v103, v7, v30
	v_max_f32_e32 v7, v7, v30
	v_cndmask_b32_e32 v30, v7, v103, vcc
	v_and_b32_e32 v7, 0x7f800000, v30
	v_cmp_ne_u32_e64 s[24:25], s43, v7
                                        ; implicit-def: $vgpr7
	s_and_saveexec_b64 s[8:9], s[24:25]
	s_xor_b64 s[24:25], exec, s[8:9]
; %bb.1847:                             ;   in Loop: Header=BB30_1841 Depth=3
	v_bfe_u32 v7, v30, 16, 1
	v_add3_u32 v7, v30, v7, s40
                                        ; implicit-def: $vgpr30
; %bb.1848:                             ;   in Loop: Header=BB30_1841 Depth=3
	s_andn2_saveexec_b64 s[36:37], s[24:25]
; %bb.1849:                             ;   in Loop: Header=BB30_1841 Depth=3
	v_or_b32_e32 v7, 0x10000, v30
	v_cmp_eq_u32_sdwa s[24:25], v30, v3 src0_sel:WORD_0 src1_sel:DWORD
	s_nop 1
	v_cndmask_b32_e64 v7, v7, v30, s[24:25]
; %bb.1850:                             ;   in Loop: Header=BB30_1841 Depth=3
	s_or_b64 exec, exec, s[36:37]
	v_lshlrev_b32_e32 v30, 16, v99
	v_lshlrev_b32_e32 v99, 16, v19
	v_max_f32_e32 v99, v99, v99
	v_max_f32_e32 v30, v30, v30
	v_min_f32_e32 v103, v30, v99
	v_max_f32_e32 v30, v30, v99
	v_cndmask_b32_e32 v99, v30, v103, vcc
	v_and_b32_e32 v30, 0x7f800000, v99
	v_cmp_ne_u32_e64 s[24:25], s43, v30
                                        ; implicit-def: $vgpr30
	s_and_saveexec_b64 s[8:9], s[24:25]
	s_xor_b64 s[24:25], exec, s[8:9]
; %bb.1851:                             ;   in Loop: Header=BB30_1841 Depth=3
	v_bfe_u32 v30, v99, 16, 1
	v_add3_u32 v30, v99, v30, s40
                                        ; implicit-def: $vgpr99
; %bb.1852:                             ;   in Loop: Header=BB30_1841 Depth=3
	s_andn2_saveexec_b64 s[36:37], s[24:25]
; %bb.1853:                             ;   in Loop: Header=BB30_1841 Depth=3
	v_or_b32_e32 v30, 0x10000, v99
	v_cmp_eq_u32_sdwa s[24:25], v99, v3 src0_sel:WORD_0 src1_sel:DWORD
	s_nop 1
	v_cndmask_b32_e64 v30, v30, v99, s[24:25]
; %bb.1854:                             ;   in Loop: Header=BB30_1841 Depth=3
	s_or_b64 exec, exec, s[36:37]
	v_lshlrev_b32_e32 v96, 16, v96
	v_lshlrev_b32_e32 v99, 16, v20
	v_max_f32_e32 v99, v99, v99
	v_max_f32_e32 v96, v96, v96
	v_min_f32_e32 v103, v96, v99
	v_max_f32_e32 v96, v96, v99
	v_cndmask_b32_e32 v99, v96, v103, vcc
	v_and_b32_e32 v96, 0x7f800000, v99
	v_cmp_ne_u32_e64 s[24:25], s43, v96
                                        ; implicit-def: $vgpr96
	s_and_saveexec_b64 s[8:9], s[24:25]
	s_xor_b64 s[24:25], exec, s[8:9]
; %bb.1855:                             ;   in Loop: Header=BB30_1841 Depth=3
	v_bfe_u32 v96, v99, 16, 1
	v_add3_u32 v96, v99, v96, s40
                                        ; implicit-def: $vgpr99
; %bb.1856:                             ;   in Loop: Header=BB30_1841 Depth=3
	s_andn2_saveexec_b64 s[36:37], s[24:25]
; %bb.1857:                             ;   in Loop: Header=BB30_1841 Depth=3
	v_or_b32_e32 v96, 0x10000, v99
	v_cmp_eq_u32_sdwa s[24:25], v99, v3 src0_sel:WORD_0 src1_sel:DWORD
	s_nop 1
	v_cndmask_b32_e64 v96, v96, v99, s[24:25]
; %bb.1858:                             ;   in Loop: Header=BB30_1841 Depth=3
	s_or_b64 exec, exec, s[36:37]
	v_lshlrev_b32_e32 v85, 16, v85
	v_lshlrev_b32_e32 v99, 16, v21
	v_max_f32_e32 v99, v99, v99
	v_max_f32_e32 v85, v85, v85
	v_min_f32_e32 v103, v85, v99
	v_max_f32_e32 v85, v85, v99
	v_cndmask_b32_e32 v99, v85, v103, vcc
	v_and_b32_e32 v85, 0x7f800000, v99
	v_cmp_ne_u32_e64 s[24:25], s43, v85
                                        ; implicit-def: $vgpr85
	s_and_saveexec_b64 s[8:9], s[24:25]
	s_xor_b64 s[24:25], exec, s[8:9]
; %bb.1859:                             ;   in Loop: Header=BB30_1841 Depth=3
	v_bfe_u32 v85, v99, 16, 1
	v_add3_u32 v85, v99, v85, s40
                                        ; implicit-def: $vgpr99
; %bb.1860:                             ;   in Loop: Header=BB30_1841 Depth=3
	s_andn2_saveexec_b64 s[36:37], s[24:25]
; %bb.1861:                             ;   in Loop: Header=BB30_1841 Depth=3
	v_or_b32_e32 v85, 0x10000, v99
	v_cmp_eq_u32_sdwa s[24:25], v99, v3 src0_sel:WORD_0 src1_sel:DWORD
	s_nop 1
	v_cndmask_b32_e64 v85, v85, v99, s[24:25]
; %bb.1862:                             ;   in Loop: Header=BB30_1841 Depth=3
	s_or_b64 exec, exec, s[36:37]
	v_lshlrev_b32_e32 v82, 16, v82
	v_lshlrev_b32_e32 v99, 16, v22
	v_max_f32_e32 v99, v99, v99
	v_max_f32_e32 v82, v82, v82
	v_min_f32_e32 v103, v82, v99
	v_max_f32_e32 v82, v82, v99
	v_cndmask_b32_e32 v99, v82, v103, vcc
	v_and_b32_e32 v82, 0x7f800000, v99
	v_cmp_ne_u32_e64 s[24:25], s43, v82
                                        ; implicit-def: $vgpr82
	s_and_saveexec_b64 s[8:9], s[24:25]
	s_xor_b64 s[24:25], exec, s[8:9]
; %bb.1863:                             ;   in Loop: Header=BB30_1841 Depth=3
	v_bfe_u32 v82, v99, 16, 1
	v_add3_u32 v82, v99, v82, s40
                                        ; implicit-def: $vgpr99
; %bb.1864:                             ;   in Loop: Header=BB30_1841 Depth=3
	s_andn2_saveexec_b64 s[36:37], s[24:25]
; %bb.1865:                             ;   in Loop: Header=BB30_1841 Depth=3
	v_or_b32_e32 v82, 0x10000, v99
	v_cmp_eq_u32_sdwa s[24:25], v99, v3 src0_sel:WORD_0 src1_sel:DWORD
	s_nop 1
	v_cndmask_b32_e64 v82, v82, v99, s[24:25]
; %bb.1866:                             ;   in Loop: Header=BB30_1841 Depth=3
	s_or_b64 exec, exec, s[36:37]
	v_lshlrev_b32_e32 v71, 16, v71
	v_lshlrev_b32_e32 v99, 16, v23
	v_max_f32_e32 v99, v99, v99
	v_max_f32_e32 v71, v71, v71
	v_min_f32_e32 v103, v71, v99
	v_max_f32_e32 v71, v71, v99
	v_cndmask_b32_e32 v99, v71, v103, vcc
	v_and_b32_e32 v71, 0x7f800000, v99
	v_cmp_ne_u32_e64 s[24:25], s43, v71
                                        ; implicit-def: $vgpr71
	s_and_saveexec_b64 s[8:9], s[24:25]
	s_xor_b64 s[24:25], exec, s[8:9]
; %bb.1867:                             ;   in Loop: Header=BB30_1841 Depth=3
	v_bfe_u32 v71, v99, 16, 1
	v_add3_u32 v71, v99, v71, s40
                                        ; implicit-def: $vgpr99
; %bb.1868:                             ;   in Loop: Header=BB30_1841 Depth=3
	s_andn2_saveexec_b64 s[36:37], s[24:25]
; %bb.1869:                             ;   in Loop: Header=BB30_1841 Depth=3
	v_or_b32_e32 v71, 0x10000, v99
	v_cmp_eq_u32_sdwa s[24:25], v99, v3 src0_sel:WORD_0 src1_sel:DWORD
	s_nop 1
	v_cndmask_b32_e64 v71, v71, v99, s[24:25]
; %bb.1870:                             ;   in Loop: Header=BB30_1841 Depth=3
	s_or_b64 exec, exec, s[36:37]
	v_lshlrev_b32_e32 v67, 16, v67
	v_lshlrev_b32_e32 v99, 16, v24
	v_max_f32_e32 v99, v99, v99
	v_max_f32_e32 v67, v67, v67
	v_min_f32_e32 v103, v67, v99
	v_max_f32_e32 v67, v67, v99
	v_cndmask_b32_e32 v99, v67, v103, vcc
	v_and_b32_e32 v67, 0x7f800000, v99
	v_cmp_ne_u32_e64 s[24:25], s43, v67
                                        ; implicit-def: $vgpr67
	s_and_saveexec_b64 s[8:9], s[24:25]
	s_xor_b64 s[24:25], exec, s[8:9]
; %bb.1871:                             ;   in Loop: Header=BB30_1841 Depth=3
	v_bfe_u32 v67, v99, 16, 1
	v_add3_u32 v67, v99, v67, s40
                                        ; implicit-def: $vgpr99
; %bb.1872:                             ;   in Loop: Header=BB30_1841 Depth=3
	s_andn2_saveexec_b64 s[36:37], s[24:25]
; %bb.1873:                             ;   in Loop: Header=BB30_1841 Depth=3
	v_or_b32_e32 v67, 0x10000, v99
	v_cmp_eq_u32_sdwa s[24:25], v99, v3 src0_sel:WORD_0 src1_sel:DWORD
	s_nop 1
	v_cndmask_b32_e64 v67, v67, v99, s[24:25]
; %bb.1874:                             ;   in Loop: Header=BB30_1841 Depth=3
	s_or_b64 exec, exec, s[36:37]
	v_lshlrev_b32_e32 v64, 16, v64
	v_lshlrev_b32_e32 v99, 16, v25
	v_max_f32_e32 v99, v99, v99
	v_max_f32_e32 v64, v64, v64
	v_min_f32_e32 v103, v64, v99
	v_max_f32_e32 v64, v64, v99
	v_cndmask_b32_e32 v99, v64, v103, vcc
	v_and_b32_e32 v64, 0x7f800000, v99
	v_cmp_ne_u32_e64 s[24:25], s43, v64
                                        ; implicit-def: $vgpr64
	s_and_saveexec_b64 s[8:9], s[24:25]
	s_xor_b64 s[24:25], exec, s[8:9]
; %bb.1875:                             ;   in Loop: Header=BB30_1841 Depth=3
	v_bfe_u32 v64, v99, 16, 1
	v_add3_u32 v64, v99, v64, s40
                                        ; implicit-def: $vgpr99
; %bb.1876:                             ;   in Loop: Header=BB30_1841 Depth=3
	s_andn2_saveexec_b64 s[36:37], s[24:25]
; %bb.1877:                             ;   in Loop: Header=BB30_1841 Depth=3
	v_or_b32_e32 v64, 0x10000, v99
	v_cmp_eq_u32_sdwa s[24:25], v99, v3 src0_sel:WORD_0 src1_sel:DWORD
	s_nop 1
	v_cndmask_b32_e64 v64, v64, v99, s[24:25]
; %bb.1878:                             ;   in Loop: Header=BB30_1841 Depth=3
	s_or_b64 exec, exec, s[36:37]
	v_lshlrev_b32_e32 v53, 16, v53
	v_lshlrev_b32_e32 v99, 16, v26
	v_max_f32_e32 v99, v99, v99
	v_max_f32_e32 v53, v53, v53
	v_min_f32_e32 v103, v53, v99
	v_max_f32_e32 v53, v53, v99
	v_cndmask_b32_e32 v99, v53, v103, vcc
	v_and_b32_e32 v53, 0x7f800000, v99
	v_cmp_ne_u32_e64 s[24:25], s43, v53
                                        ; implicit-def: $vgpr53
	s_and_saveexec_b64 s[8:9], s[24:25]
	s_xor_b64 s[24:25], exec, s[8:9]
; %bb.1879:                             ;   in Loop: Header=BB30_1841 Depth=3
	v_bfe_u32 v53, v99, 16, 1
	v_add3_u32 v53, v99, v53, s40
                                        ; implicit-def: $vgpr99
; %bb.1880:                             ;   in Loop: Header=BB30_1841 Depth=3
	s_andn2_saveexec_b64 s[36:37], s[24:25]
; %bb.1881:                             ;   in Loop: Header=BB30_1841 Depth=3
	v_or_b32_e32 v53, 0x10000, v99
	v_cmp_eq_u32_sdwa s[24:25], v99, v3 src0_sel:WORD_0 src1_sel:DWORD
	s_nop 1
	v_cndmask_b32_e64 v53, v53, v99, s[24:25]
; %bb.1882:                             ;   in Loop: Header=BB30_1841 Depth=3
	s_or_b64 exec, exec, s[36:37]
	v_lshlrev_b32_e32 v50, 16, v50
	v_lshlrev_b32_e32 v99, 16, v27
	v_max_f32_e32 v99, v99, v99
	v_max_f32_e32 v50, v50, v50
	v_min_f32_e32 v103, v50, v99
	v_max_f32_e32 v50, v50, v99
	v_cndmask_b32_e32 v99, v50, v103, vcc
	v_and_b32_e32 v50, 0x7f800000, v99
	v_cmp_ne_u32_e64 s[24:25], s43, v50
                                        ; implicit-def: $vgpr50
	s_and_saveexec_b64 s[8:9], s[24:25]
	s_xor_b64 s[24:25], exec, s[8:9]
; %bb.1883:                             ;   in Loop: Header=BB30_1841 Depth=3
	v_bfe_u32 v50, v99, 16, 1
	v_add3_u32 v50, v99, v50, s40
                                        ; implicit-def: $vgpr99
; %bb.1884:                             ;   in Loop: Header=BB30_1841 Depth=3
	s_andn2_saveexec_b64 s[36:37], s[24:25]
; %bb.1885:                             ;   in Loop: Header=BB30_1841 Depth=3
	v_or_b32_e32 v50, 0x10000, v99
	v_cmp_eq_u32_sdwa s[24:25], v99, v3 src0_sel:WORD_0 src1_sel:DWORD
	s_nop 1
	v_cndmask_b32_e64 v50, v50, v99, s[24:25]
; %bb.1886:                             ;   in Loop: Header=BB30_1841 Depth=3
	s_or_b64 exec, exec, s[36:37]
	v_lshlrev_b32_e32 v49, 16, v49
	v_lshlrev_b32_e32 v99, 16, v32
	v_max_f32_e32 v99, v99, v99
	v_max_f32_e32 v49, v49, v49
	v_min_f32_e32 v103, v49, v99
	v_max_f32_e32 v49, v49, v99
	v_cndmask_b32_e32 v99, v49, v103, vcc
	v_and_b32_e32 v49, 0x7f800000, v99
	v_cmp_ne_u32_e64 s[24:25], s43, v49
                                        ; implicit-def: $vgpr49
	s_and_saveexec_b64 s[8:9], s[24:25]
	s_xor_b64 s[24:25], exec, s[8:9]
; %bb.1887:                             ;   in Loop: Header=BB30_1841 Depth=3
	v_bfe_u32 v49, v99, 16, 1
	v_add3_u32 v49, v99, v49, s40
                                        ; implicit-def: $vgpr99
; %bb.1888:                             ;   in Loop: Header=BB30_1841 Depth=3
	s_andn2_saveexec_b64 s[36:37], s[24:25]
; %bb.1889:                             ;   in Loop: Header=BB30_1841 Depth=3
	v_or_b32_e32 v49, 0x10000, v99
	v_cmp_eq_u32_sdwa s[24:25], v99, v3 src0_sel:WORD_0 src1_sel:DWORD
	s_nop 1
	v_cndmask_b32_e64 v49, v49, v99, s[24:25]
; %bb.1890:                             ;   in Loop: Header=BB30_1841 Depth=3
	s_or_b64 exec, exec, s[36:37]
	v_lshlrev_b32_e32 v48, 16, v48
	v_lshlrev_b32_e32 v99, 16, v33
	v_max_f32_e32 v99, v99, v99
	v_max_f32_e32 v48, v48, v48
	v_min_f32_e32 v103, v48, v99
	v_max_f32_e32 v48, v48, v99
	v_cndmask_b32_e32 v99, v48, v103, vcc
	v_and_b32_e32 v48, 0x7f800000, v99
	v_cmp_ne_u32_e64 s[24:25], s43, v48
                                        ; implicit-def: $vgpr48
	s_and_saveexec_b64 s[8:9], s[24:25]
	s_xor_b64 s[24:25], exec, s[8:9]
; %bb.1891:                             ;   in Loop: Header=BB30_1841 Depth=3
	v_bfe_u32 v48, v99, 16, 1
	v_add3_u32 v48, v99, v48, s40
                                        ; implicit-def: $vgpr99
; %bb.1892:                             ;   in Loop: Header=BB30_1841 Depth=3
	s_andn2_saveexec_b64 s[36:37], s[24:25]
; %bb.1893:                             ;   in Loop: Header=BB30_1841 Depth=3
	v_or_b32_e32 v48, 0x10000, v99
	v_cmp_eq_u32_sdwa s[24:25], v99, v3 src0_sel:WORD_0 src1_sel:DWORD
	s_nop 1
	v_cndmask_b32_e64 v48, v48, v99, s[24:25]
; %bb.1894:                             ;   in Loop: Header=BB30_1841 Depth=3
	s_or_b64 exec, exec, s[36:37]
	v_lshlrev_b32_e32 v39, 16, v39
	v_lshlrev_b32_e32 v99, 16, v34
	v_max_f32_e32 v99, v99, v99
	v_max_f32_e32 v39, v39, v39
	v_min_f32_e32 v103, v39, v99
	v_max_f32_e32 v39, v39, v99
	v_cndmask_b32_e32 v99, v39, v103, vcc
	v_and_b32_e32 v39, 0x7f800000, v99
	v_cmp_ne_u32_e64 s[24:25], s43, v39
                                        ; implicit-def: $vgpr39
	s_and_saveexec_b64 s[8:9], s[24:25]
	s_xor_b64 s[24:25], exec, s[8:9]
; %bb.1895:                             ;   in Loop: Header=BB30_1841 Depth=3
	v_bfe_u32 v39, v99, 16, 1
	v_add3_u32 v39, v99, v39, s40
                                        ; implicit-def: $vgpr99
; %bb.1896:                             ;   in Loop: Header=BB30_1841 Depth=3
	s_andn2_saveexec_b64 s[36:37], s[24:25]
; %bb.1897:                             ;   in Loop: Header=BB30_1841 Depth=3
	v_or_b32_e32 v39, 0x10000, v99
	v_cmp_eq_u32_sdwa s[24:25], v99, v3 src0_sel:WORD_0 src1_sel:DWORD
	s_nop 1
	v_cndmask_b32_e64 v39, v39, v99, s[24:25]
; %bb.1898:                             ;   in Loop: Header=BB30_1841 Depth=3
	s_or_b64 exec, exec, s[36:37]
	v_lshlrev_b32_e32 v38, 16, v38
	v_lshlrev_b32_e32 v99, 16, v35
	v_max_f32_e32 v99, v99, v99
	v_max_f32_e32 v38, v38, v38
	v_min_f32_e32 v103, v38, v99
	v_max_f32_e32 v38, v38, v99
	v_cndmask_b32_e32 v99, v38, v103, vcc
	v_and_b32_e32 v38, 0x7f800000, v99
	v_cmp_ne_u32_e64 s[24:25], s43, v38
                                        ; implicit-def: $vgpr38
	s_and_saveexec_b64 s[8:9], s[24:25]
	s_xor_b64 s[24:25], exec, s[8:9]
; %bb.1899:                             ;   in Loop: Header=BB30_1841 Depth=3
	v_bfe_u32 v38, v99, 16, 1
	v_add3_u32 v38, v99, v38, s40
                                        ; implicit-def: $vgpr99
; %bb.1900:                             ;   in Loop: Header=BB30_1841 Depth=3
	s_andn2_saveexec_b64 s[36:37], s[24:25]
; %bb.1901:                             ;   in Loop: Header=BB30_1841 Depth=3
	v_or_b32_e32 v38, 0x10000, v99
	v_cmp_eq_u32_sdwa s[24:25], v99, v3 src0_sel:WORD_0 src1_sel:DWORD
	s_nop 1
	v_cndmask_b32_e64 v38, v38, v99, s[24:25]
; %bb.1902:                             ;   in Loop: Header=BB30_1841 Depth=3
	s_or_b64 exec, exec, s[36:37]
	v_lshlrev_b32_e32 v37, 16, v37
	v_lshlrev_b32_e32 v99, 16, v36
	v_max_f32_e32 v99, v99, v99
	v_max_f32_e32 v37, v37, v37
	v_min_f32_e32 v103, v37, v99
	v_max_f32_e32 v37, v37, v99
	v_cndmask_b32_e32 v99, v37, v103, vcc
	v_and_b32_e32 v37, 0x7f800000, v99
	v_cmp_ne_u32_e64 s[24:25], s43, v37
                                        ; implicit-def: $vgpr37
	s_and_saveexec_b64 s[8:9], s[24:25]
	s_xor_b64 s[24:25], exec, s[8:9]
; %bb.1903:                             ;   in Loop: Header=BB30_1841 Depth=3
	v_bfe_u32 v37, v99, 16, 1
	v_add3_u32 v37, v99, v37, s40
                                        ; implicit-def: $vgpr99
; %bb.1904:                             ;   in Loop: Header=BB30_1841 Depth=3
	s_andn2_saveexec_b64 s[36:37], s[24:25]
; %bb.1905:                             ;   in Loop: Header=BB30_1841 Depth=3
	v_or_b32_e32 v37, 0x10000, v99
	v_cmp_eq_u32_sdwa s[24:25], v99, v3 src0_sel:WORD_0 src1_sel:DWORD
	s_nop 1
	v_cndmask_b32_e64 v37, v37, v99, s[24:25]
; %bb.1906:                             ;   in Loop: Header=BB30_1841 Depth=3
	s_or_b64 exec, exec, s[36:37]
	v_lshrrev_b32_e32 v114, 16, v6
	v_lshrrev_b32_e32 v38, 16, v38
	;; [unrolled: 1-line block ×16, first 2 shown]
	flat_store_short v[8:9], v114 nt
	flat_store_short v[8:9], v103 offset:128 nt
	flat_store_short v[8:9], v99 offset:256 nt
	;; [unrolled: 1-line block ×15, first 2 shown]
	flat_store_short v[4:5], v114 nt
	flat_store_short v[4:5], v103 offset:128 nt
	flat_store_short v[4:5], v99 offset:256 nt
	;; [unrolled: 1-line block ×15, first 2 shown]
	v_lshl_add_u64 v[8:9], v[8:9], 0, v[104:105]
	v_lshl_add_u64 v[4:5], v[4:5], 0, v[104:105]
.LBB30_1907:                            ;   in Loop: Header=BB30_1841 Depth=3
	s_or_b64 exec, exec, s[38:39]
	v_sub_u32_e32 v0, v0, v60
	v_lshl_add_u64 v[10:11], v[10:11], 0, v[104:105]
	v_lshl_add_u64 v[12:13], v[12:13], 0, v[104:105]
	v_cmp_lt_i32_e64 s[36:37], 0, v0
	s_and_saveexec_b64 s[24:25], s[36:37]
	s_cbranch_execz .LBB30_1909
; %bb.1908:                             ;   in Loop: Header=BB30_1841 Depth=3
	flat_load_ushort v114, v[10:11] nt
	flat_load_ushort v103, v[10:11] offset:128 nt
	flat_load_ushort v99, v[10:11] offset:256 nt
	;; [unrolled: 1-line block ×15, first 2 shown]
	flat_load_ushort v17, v[12:13] nt
	flat_load_ushort v18, v[12:13] offset:128 nt
	flat_load_ushort v19, v[12:13] offset:256 nt
	;; [unrolled: 1-line block ×15, first 2 shown]
	v_lshl_add_u64 v[10:11], v[10:11], 0, s[58:59]
	v_lshl_add_u64 v[12:13], v[12:13], 0, s[58:59]
.LBB30_1909:                            ;   in Loop: Header=BB30_1841 Depth=3
	s_or_b64 exec, exec, s[24:25]
	s_waitcnt vmcnt(0) lgkmcnt(0)
	v_lshlrev_b32_e32 v6, 16, v44
	v_lshlrev_b32_e32 v7, 16, v45
	v_max_f32_e32 v7, v7, v7
	v_max_f32_e32 v6, v6, v6
	v_min_f32_e32 v30, v6, v7
	v_max_f32_e32 v6, v6, v7
	v_cndmask_b32_e32 v7, v6, v30, vcc
	v_and_b32_e32 v6, 0x7f800000, v7
	v_cmp_ne_u32_e64 s[24:25], s43, v6
                                        ; implicit-def: $vgpr6
	s_and_saveexec_b64 s[8:9], s[24:25]
	s_xor_b64 s[24:25], exec, s[8:9]
; %bb.1910:                             ;   in Loop: Header=BB30_1841 Depth=3
	v_bfe_u32 v6, v7, 16, 1
	v_add3_u32 v6, v7, v6, s40
                                        ; implicit-def: $vgpr7
; %bb.1911:                             ;   in Loop: Header=BB30_1841 Depth=3
	s_andn2_saveexec_b64 s[38:39], s[24:25]
; %bb.1912:                             ;   in Loop: Header=BB30_1841 Depth=3
	v_or_b32_e32 v6, 0x10000, v7
	v_cmp_eq_u32_sdwa s[24:25], v7, v3 src0_sel:WORD_0 src1_sel:DWORD
	s_nop 1
	v_cndmask_b32_e64 v6, v6, v7, s[24:25]
; %bb.1913:                             ;   in Loop: Header=BB30_1841 Depth=3
	s_or_b64 exec, exec, s[38:39]
	v_lshlrev_b32_e32 v7, 16, v59
	v_lshlrev_b32_e32 v30, 16, v63
	v_max_f32_e32 v30, v30, v30
	v_max_f32_e32 v7, v7, v7
	v_min_f32_e32 v42, v7, v30
	v_max_f32_e32 v7, v7, v30
	v_cndmask_b32_e32 v30, v7, v42, vcc
	v_and_b32_e32 v7, 0x7f800000, v30
	v_cmp_ne_u32_e64 s[24:25], s43, v7
                                        ; implicit-def: $vgpr7
	s_and_saveexec_b64 s[8:9], s[24:25]
	s_xor_b64 s[24:25], exec, s[8:9]
; %bb.1914:                             ;   in Loop: Header=BB30_1841 Depth=3
	v_bfe_u32 v7, v30, 16, 1
	v_add3_u32 v7, v30, v7, s40
                                        ; implicit-def: $vgpr30
; %bb.1915:                             ;   in Loop: Header=BB30_1841 Depth=3
	s_andn2_saveexec_b64 s[38:39], s[24:25]
; %bb.1916:                             ;   in Loop: Header=BB30_1841 Depth=3
	v_or_b32_e32 v7, 0x10000, v30
	v_cmp_eq_u32_sdwa s[24:25], v30, v3 src0_sel:WORD_0 src1_sel:DWORD
	s_nop 1
	v_cndmask_b32_e64 v7, v7, v30, s[24:25]
; %bb.1917:                             ;   in Loop: Header=BB30_1841 Depth=3
	s_or_b64 exec, exec, s[38:39]
	v_lshlrev_b32_e32 v30, 16, v119
	v_lshlrev_b32_e32 v119, 16, v58
	v_max_f32_e32 v119, v119, v119
	v_max_f32_e32 v30, v30, v30
	v_min_f32_e32 v42, v30, v119
	v_max_f32_e32 v30, v30, v119
	v_cndmask_b32_e32 v119, v30, v42, vcc
	v_and_b32_e32 v30, 0x7f800000, v119
	v_cmp_ne_u32_e64 s[24:25], s43, v30
                                        ; implicit-def: $vgpr30
	s_and_saveexec_b64 s[8:9], s[24:25]
	s_xor_b64 s[24:25], exec, s[8:9]
; %bb.1918:                             ;   in Loop: Header=BB30_1841 Depth=3
	v_bfe_u32 v30, v119, 16, 1
	v_add3_u32 v30, v119, v30, s40
                                        ; implicit-def: $vgpr119
; %bb.1919:                             ;   in Loop: Header=BB30_1841 Depth=3
	s_andn2_saveexec_b64 s[38:39], s[24:25]
; %bb.1920:                             ;   in Loop: Header=BB30_1841 Depth=3
	v_or_b32_e32 v30, 0x10000, v119
	v_cmp_eq_u32_sdwa s[24:25], v119, v3 src0_sel:WORD_0 src1_sel:DWORD
	s_nop 1
	v_cndmask_b32_e64 v30, v30, v119, s[24:25]
; %bb.1921:                             ;   in Loop: Header=BB30_1841 Depth=3
	s_or_b64 exec, exec, s[38:39]
	v_lshlrev_b32_e32 v117, 16, v117
	v_lshlrev_b32_e32 v118, 16, v118
	v_max_f32_e32 v118, v118, v118
	v_max_f32_e32 v117, v117, v117
	v_min_f32_e32 v119, v117, v118
	v_max_f32_e32 v117, v117, v118
	v_cndmask_b32_e32 v118, v117, v119, vcc
	v_and_b32_e32 v117, 0x7f800000, v118
	v_cmp_ne_u32_e64 s[24:25], s43, v117
                                        ; implicit-def: $vgpr117
	s_and_saveexec_b64 s[8:9], s[24:25]
	s_xor_b64 s[24:25], exec, s[8:9]
; %bb.1922:                             ;   in Loop: Header=BB30_1841 Depth=3
	v_bfe_u32 v117, v118, 16, 1
	v_add3_u32 v117, v118, v117, s40
                                        ; implicit-def: $vgpr118
; %bb.1923:                             ;   in Loop: Header=BB30_1841 Depth=3
	s_andn2_saveexec_b64 s[38:39], s[24:25]
; %bb.1924:                             ;   in Loop: Header=BB30_1841 Depth=3
	v_or_b32_e32 v117, 0x10000, v118
	v_cmp_eq_u32_sdwa s[24:25], v118, v3 src0_sel:WORD_0 src1_sel:DWORD
	s_nop 1
	v_cndmask_b32_e64 v117, v117, v118, s[24:25]
; %bb.1925:                             ;   in Loop: Header=BB30_1841 Depth=3
	s_or_b64 exec, exec, s[38:39]
	v_lshlrev_b32_e32 v115, 16, v115
	v_lshlrev_b32_e32 v116, 16, v116
	v_max_f32_e32 v116, v116, v116
	v_max_f32_e32 v115, v115, v115
	v_min_f32_e32 v118, v115, v116
	v_max_f32_e32 v115, v115, v116
	v_cndmask_b32_e32 v116, v115, v118, vcc
	v_and_b32_e32 v115, 0x7f800000, v116
	v_cmp_ne_u32_e64 s[24:25], s43, v115
                                        ; implicit-def: $vgpr115
	s_and_saveexec_b64 s[8:9], s[24:25]
	s_xor_b64 s[24:25], exec, s[8:9]
; %bb.1926:                             ;   in Loop: Header=BB30_1841 Depth=3
	v_bfe_u32 v115, v116, 16, 1
	v_add3_u32 v115, v116, v115, s40
                                        ; implicit-def: $vgpr116
; %bb.1927:                             ;   in Loop: Header=BB30_1841 Depth=3
	s_andn2_saveexec_b64 s[38:39], s[24:25]
; %bb.1928:                             ;   in Loop: Header=BB30_1841 Depth=3
	v_or_b32_e32 v115, 0x10000, v116
	v_cmp_eq_u32_sdwa s[24:25], v116, v3 src0_sel:WORD_0 src1_sel:DWORD
	s_nop 1
	v_cndmask_b32_e64 v115, v115, v116, s[24:25]
; %bb.1929:                             ;   in Loop: Header=BB30_1841 Depth=3
	s_or_b64 exec, exec, s[38:39]
	v_lshlrev_b32_e32 v112, 16, v112
	v_lshlrev_b32_e32 v113, 16, v113
	v_max_f32_e32 v113, v113, v113
	v_max_f32_e32 v112, v112, v112
	v_min_f32_e32 v116, v112, v113
	v_max_f32_e32 v112, v112, v113
	v_cndmask_b32_e32 v113, v112, v116, vcc
	v_and_b32_e32 v112, 0x7f800000, v113
	v_cmp_ne_u32_e64 s[24:25], s43, v112
                                        ; implicit-def: $vgpr112
	s_and_saveexec_b64 s[8:9], s[24:25]
	s_xor_b64 s[24:25], exec, s[8:9]
; %bb.1930:                             ;   in Loop: Header=BB30_1841 Depth=3
	v_bfe_u32 v112, v113, 16, 1
	v_add3_u32 v112, v113, v112, s40
                                        ; implicit-def: $vgpr113
; %bb.1931:                             ;   in Loop: Header=BB30_1841 Depth=3
	s_andn2_saveexec_b64 s[38:39], s[24:25]
; %bb.1932:                             ;   in Loop: Header=BB30_1841 Depth=3
	v_or_b32_e32 v112, 0x10000, v113
	v_cmp_eq_u32_sdwa s[24:25], v113, v3 src0_sel:WORD_0 src1_sel:DWORD
	s_nop 1
	v_cndmask_b32_e64 v112, v112, v113, s[24:25]
; %bb.1933:                             ;   in Loop: Header=BB30_1841 Depth=3
	s_or_b64 exec, exec, s[38:39]
	v_lshlrev_b32_e32 v101, 16, v101
	v_lshlrev_b32_e32 v102, 16, v102
	v_max_f32_e32 v102, v102, v102
	v_max_f32_e32 v101, v101, v101
	v_min_f32_e32 v113, v101, v102
	v_max_f32_e32 v101, v101, v102
	v_cndmask_b32_e32 v102, v101, v113, vcc
	v_and_b32_e32 v101, 0x7f800000, v102
	v_cmp_ne_u32_e64 s[24:25], s43, v101
                                        ; implicit-def: $vgpr101
	s_and_saveexec_b64 s[8:9], s[24:25]
	s_xor_b64 s[24:25], exec, s[8:9]
; %bb.1934:                             ;   in Loop: Header=BB30_1841 Depth=3
	v_bfe_u32 v101, v102, 16, 1
	v_add3_u32 v101, v102, v101, s40
                                        ; implicit-def: $vgpr102
; %bb.1935:                             ;   in Loop: Header=BB30_1841 Depth=3
	s_andn2_saveexec_b64 s[38:39], s[24:25]
; %bb.1936:                             ;   in Loop: Header=BB30_1841 Depth=3
	v_or_b32_e32 v101, 0x10000, v102
	v_cmp_eq_u32_sdwa s[24:25], v102, v3 src0_sel:WORD_0 src1_sel:DWORD
	s_nop 1
	v_cndmask_b32_e64 v101, v101, v102, s[24:25]
; %bb.1937:                             ;   in Loop: Header=BB30_1841 Depth=3
	s_or_b64 exec, exec, s[38:39]
	v_lshlrev_b32_e32 v98, 16, v98
	v_lshlrev_b32_e32 v100, 16, v100
	v_max_f32_e32 v100, v100, v100
	v_max_f32_e32 v98, v98, v98
	v_min_f32_e32 v102, v98, v100
	v_max_f32_e32 v98, v98, v100
	v_cndmask_b32_e32 v100, v98, v102, vcc
	v_and_b32_e32 v98, 0x7f800000, v100
	v_cmp_ne_u32_e64 s[24:25], s43, v98
                                        ; implicit-def: $vgpr98
	s_and_saveexec_b64 s[8:9], s[24:25]
	s_xor_b64 s[24:25], exec, s[8:9]
; %bb.1938:                             ;   in Loop: Header=BB30_1841 Depth=3
	v_bfe_u32 v98, v100, 16, 1
	v_add3_u32 v98, v100, v98, s40
                                        ; implicit-def: $vgpr100
; %bb.1939:                             ;   in Loop: Header=BB30_1841 Depth=3
	s_andn2_saveexec_b64 s[38:39], s[24:25]
; %bb.1940:                             ;   in Loop: Header=BB30_1841 Depth=3
	v_or_b32_e32 v98, 0x10000, v100
	v_cmp_eq_u32_sdwa s[24:25], v100, v3 src0_sel:WORD_0 src1_sel:DWORD
	s_nop 1
	v_cndmask_b32_e64 v98, v98, v100, s[24:25]
; %bb.1941:                             ;   in Loop: Header=BB30_1841 Depth=3
	s_or_b64 exec, exec, s[38:39]
	v_lshlrev_b32_e32 v87, 16, v87
	v_lshlrev_b32_e32 v97, 16, v97
	v_max_f32_e32 v97, v97, v97
	v_max_f32_e32 v87, v87, v87
	v_min_f32_e32 v100, v87, v97
	v_max_f32_e32 v87, v87, v97
	v_cndmask_b32_e32 v97, v87, v100, vcc
	v_and_b32_e32 v87, 0x7f800000, v97
	v_cmp_ne_u32_e64 s[24:25], s43, v87
                                        ; implicit-def: $vgpr87
	s_and_saveexec_b64 s[8:9], s[24:25]
	s_xor_b64 s[24:25], exec, s[8:9]
; %bb.1942:                             ;   in Loop: Header=BB30_1841 Depth=3
	v_bfe_u32 v87, v97, 16, 1
	v_add3_u32 v87, v97, v87, s40
                                        ; implicit-def: $vgpr97
; %bb.1943:                             ;   in Loop: Header=BB30_1841 Depth=3
	s_andn2_saveexec_b64 s[38:39], s[24:25]
; %bb.1944:                             ;   in Loop: Header=BB30_1841 Depth=3
	v_or_b32_e32 v87, 0x10000, v97
	v_cmp_eq_u32_sdwa s[24:25], v97, v3 src0_sel:WORD_0 src1_sel:DWORD
	s_nop 1
	v_cndmask_b32_e64 v87, v87, v97, s[24:25]
; %bb.1945:                             ;   in Loop: Header=BB30_1841 Depth=3
	s_or_b64 exec, exec, s[38:39]
	v_lshlrev_b32_e32 v84, 16, v84
	v_lshlrev_b32_e32 v86, 16, v86
	v_max_f32_e32 v86, v86, v86
	v_max_f32_e32 v84, v84, v84
	v_min_f32_e32 v97, v84, v86
	v_max_f32_e32 v84, v84, v86
	v_cndmask_b32_e32 v86, v84, v97, vcc
	v_and_b32_e32 v84, 0x7f800000, v86
	v_cmp_ne_u32_e64 s[24:25], s43, v84
                                        ; implicit-def: $vgpr84
	s_and_saveexec_b64 s[8:9], s[24:25]
	s_xor_b64 s[24:25], exec, s[8:9]
; %bb.1946:                             ;   in Loop: Header=BB30_1841 Depth=3
	v_bfe_u32 v84, v86, 16, 1
	v_add3_u32 v84, v86, v84, s40
                                        ; implicit-def: $vgpr86
; %bb.1947:                             ;   in Loop: Header=BB30_1841 Depth=3
	s_andn2_saveexec_b64 s[38:39], s[24:25]
; %bb.1948:                             ;   in Loop: Header=BB30_1841 Depth=3
	v_or_b32_e32 v84, 0x10000, v86
	v_cmp_eq_u32_sdwa s[24:25], v86, v3 src0_sel:WORD_0 src1_sel:DWORD
	s_nop 1
	v_cndmask_b32_e64 v84, v84, v86, s[24:25]
; %bb.1949:                             ;   in Loop: Header=BB30_1841 Depth=3
	s_or_b64 exec, exec, s[38:39]
	v_lshlrev_b32_e32 v81, 16, v81
	v_lshlrev_b32_e32 v83, 16, v83
	v_max_f32_e32 v83, v83, v83
	v_max_f32_e32 v81, v81, v81
	v_min_f32_e32 v86, v81, v83
	v_max_f32_e32 v81, v81, v83
	v_cndmask_b32_e32 v83, v81, v86, vcc
	v_and_b32_e32 v81, 0x7f800000, v83
	v_cmp_ne_u32_e64 s[24:25], s43, v81
                                        ; implicit-def: $vgpr81
	s_and_saveexec_b64 s[8:9], s[24:25]
	s_xor_b64 s[24:25], exec, s[8:9]
; %bb.1950:                             ;   in Loop: Header=BB30_1841 Depth=3
	v_bfe_u32 v81, v83, 16, 1
	v_add3_u32 v81, v83, v81, s40
                                        ; implicit-def: $vgpr83
; %bb.1951:                             ;   in Loop: Header=BB30_1841 Depth=3
	s_andn2_saveexec_b64 s[38:39], s[24:25]
; %bb.1952:                             ;   in Loop: Header=BB30_1841 Depth=3
	v_or_b32_e32 v81, 0x10000, v83
	v_cmp_eq_u32_sdwa s[24:25], v83, v3 src0_sel:WORD_0 src1_sel:DWORD
	s_nop 1
	v_cndmask_b32_e64 v81, v81, v83, s[24:25]
; %bb.1953:                             ;   in Loop: Header=BB30_1841 Depth=3
	s_or_b64 exec, exec, s[38:39]
	v_lshlrev_b32_e32 v70, 16, v70
	v_lshlrev_b32_e32 v80, 16, v80
	v_max_f32_e32 v80, v80, v80
	v_max_f32_e32 v70, v70, v70
	v_min_f32_e32 v83, v70, v80
	v_max_f32_e32 v70, v70, v80
	v_cndmask_b32_e32 v80, v70, v83, vcc
	v_and_b32_e32 v70, 0x7f800000, v80
	v_cmp_ne_u32_e64 s[24:25], s43, v70
                                        ; implicit-def: $vgpr70
	s_and_saveexec_b64 s[8:9], s[24:25]
	s_xor_b64 s[24:25], exec, s[8:9]
; %bb.1954:                             ;   in Loop: Header=BB30_1841 Depth=3
	v_bfe_u32 v70, v80, 16, 1
	v_add3_u32 v70, v80, v70, s40
                                        ; implicit-def: $vgpr80
; %bb.1955:                             ;   in Loop: Header=BB30_1841 Depth=3
	s_andn2_saveexec_b64 s[38:39], s[24:25]
; %bb.1956:                             ;   in Loop: Header=BB30_1841 Depth=3
	v_or_b32_e32 v70, 0x10000, v80
	v_cmp_eq_u32_sdwa s[24:25], v80, v3 src0_sel:WORD_0 src1_sel:DWORD
	s_nop 1
	v_cndmask_b32_e64 v70, v70, v80, s[24:25]
; %bb.1957:                             ;   in Loop: Header=BB30_1841 Depth=3
	s_or_b64 exec, exec, s[38:39]
	v_lshlrev_b32_e32 v68, 16, v68
	v_lshlrev_b32_e32 v69, 16, v69
	v_max_f32_e32 v69, v69, v69
	v_max_f32_e32 v68, v68, v68
	v_min_f32_e32 v80, v68, v69
	v_max_f32_e32 v68, v68, v69
	v_cndmask_b32_e32 v69, v68, v80, vcc
	v_and_b32_e32 v68, 0x7f800000, v69
	v_cmp_ne_u32_e64 s[24:25], s43, v68
                                        ; implicit-def: $vgpr68
	s_and_saveexec_b64 s[8:9], s[24:25]
	s_xor_b64 s[24:25], exec, s[8:9]
; %bb.1958:                             ;   in Loop: Header=BB30_1841 Depth=3
	v_bfe_u32 v68, v69, 16, 1
	v_add3_u32 v68, v69, v68, s40
                                        ; implicit-def: $vgpr69
; %bb.1959:                             ;   in Loop: Header=BB30_1841 Depth=3
	s_andn2_saveexec_b64 s[38:39], s[24:25]
; %bb.1960:                             ;   in Loop: Header=BB30_1841 Depth=3
	v_or_b32_e32 v68, 0x10000, v69
	v_cmp_eq_u32_sdwa s[24:25], v69, v3 src0_sel:WORD_0 src1_sel:DWORD
	s_nop 1
	v_cndmask_b32_e64 v68, v68, v69, s[24:25]
; %bb.1961:                             ;   in Loop: Header=BB30_1841 Depth=3
	s_or_b64 exec, exec, s[38:39]
	v_lshlrev_b32_e32 v65, 16, v65
	v_lshlrev_b32_e32 v66, 16, v66
	v_max_f32_e32 v66, v66, v66
	v_max_f32_e32 v65, v65, v65
	v_min_f32_e32 v69, v65, v66
	v_max_f32_e32 v65, v65, v66
	v_cndmask_b32_e32 v66, v65, v69, vcc
	v_and_b32_e32 v65, 0x7f800000, v66
	v_cmp_ne_u32_e64 s[24:25], s43, v65
                                        ; implicit-def: $vgpr65
	s_and_saveexec_b64 s[8:9], s[24:25]
	s_xor_b64 s[24:25], exec, s[8:9]
; %bb.1962:                             ;   in Loop: Header=BB30_1841 Depth=3
	v_bfe_u32 v65, v66, 16, 1
	v_add3_u32 v65, v66, v65, s40
                                        ; implicit-def: $vgpr66
; %bb.1963:                             ;   in Loop: Header=BB30_1841 Depth=3
	s_andn2_saveexec_b64 s[38:39], s[24:25]
; %bb.1964:                             ;   in Loop: Header=BB30_1841 Depth=3
	v_or_b32_e32 v65, 0x10000, v66
	v_cmp_eq_u32_sdwa s[24:25], v66, v3 src0_sel:WORD_0 src1_sel:DWORD
	s_nop 1
	v_cndmask_b32_e64 v65, v65, v66, s[24:25]
; %bb.1965:                             ;   in Loop: Header=BB30_1841 Depth=3
	s_or_b64 exec, exec, s[38:39]
	v_lshlrev_b32_e32 v54, 16, v54
	v_lshlrev_b32_e32 v55, 16, v55
	v_max_f32_e32 v55, v55, v55
	v_max_f32_e32 v54, v54, v54
	v_min_f32_e32 v66, v54, v55
	v_max_f32_e32 v54, v54, v55
	v_cndmask_b32_e32 v55, v54, v66, vcc
	v_and_b32_e32 v54, 0x7f800000, v55
	v_cmp_ne_u32_e64 s[24:25], s43, v54
                                        ; implicit-def: $vgpr54
	s_and_saveexec_b64 s[8:9], s[24:25]
	s_xor_b64 s[24:25], exec, s[8:9]
; %bb.1966:                             ;   in Loop: Header=BB30_1841 Depth=3
	v_bfe_u32 v54, v55, 16, 1
	v_add3_u32 v54, v55, v54, s40
                                        ; implicit-def: $vgpr55
; %bb.1967:                             ;   in Loop: Header=BB30_1841 Depth=3
	s_andn2_saveexec_b64 s[38:39], s[24:25]
; %bb.1968:                             ;   in Loop: Header=BB30_1841 Depth=3
	v_or_b32_e32 v54, 0x10000, v55
	v_cmp_eq_u32_sdwa s[24:25], v55, v3 src0_sel:WORD_0 src1_sel:DWORD
	s_nop 1
	v_cndmask_b32_e64 v54, v54, v55, s[24:25]
; %bb.1969:                             ;   in Loop: Header=BB30_1841 Depth=3
	s_or_b64 exec, exec, s[38:39]
	v_lshlrev_b32_e32 v51, 16, v51
	v_lshlrev_b32_e32 v52, 16, v52
	v_max_f32_e32 v52, v52, v52
	v_max_f32_e32 v51, v51, v51
	v_min_f32_e32 v55, v51, v52
	v_max_f32_e32 v51, v51, v52
	v_cndmask_b32_e32 v52, v51, v55, vcc
	v_and_b32_e32 v51, 0x7f800000, v52
	v_cmp_ne_u32_e64 s[24:25], s43, v51
                                        ; implicit-def: $vgpr51
	s_and_saveexec_b64 s[8:9], s[24:25]
	s_xor_b64 s[24:25], exec, s[8:9]
; %bb.1970:                             ;   in Loop: Header=BB30_1841 Depth=3
	v_bfe_u32 v51, v52, 16, 1
	v_add3_u32 v51, v52, v51, s40
                                        ; implicit-def: $vgpr52
; %bb.1971:                             ;   in Loop: Header=BB30_1841 Depth=3
	s_andn2_saveexec_b64 s[38:39], s[24:25]
; %bb.1972:                             ;   in Loop: Header=BB30_1841 Depth=3
	v_or_b32_e32 v51, 0x10000, v52
	v_cmp_eq_u32_sdwa s[24:25], v52, v3 src0_sel:WORD_0 src1_sel:DWORD
	s_nop 1
	v_cndmask_b32_e64 v51, v51, v52, s[24:25]
; %bb.1973:                             ;   in Loop: Header=BB30_1841 Depth=3
	s_or_b64 exec, exec, s[38:39]
	v_lshrrev_b32_e32 v6, 16, v6
	v_lshrrev_b32_e32 v52, 16, v54
	;; [unrolled: 1-line block ×16, first 2 shown]
	flat_store_short v[8:9], v6 nt
	flat_store_short v[8:9], v7 offset:128 nt
	flat_store_short v[8:9], v30 offset:256 nt
	;; [unrolled: 1-line block ×15, first 2 shown]
	v_lshl_add_u64 v[8:9], v[8:9], 0, s[58:59]
	flat_store_short v[4:5], v6 nt
	flat_store_short v[4:5], v7 offset:128 nt
	flat_store_short v[4:5], v30 offset:256 nt
	;; [unrolled: 1-line block ×15, first 2 shown]
	v_lshl_add_u64 v[4:5], v[4:5], 0, s[58:59]
	s_and_saveexec_b64 s[24:25], s[36:37]
	s_cbranch_execz .LBB30_1840
; %bb.1974:                             ;   in Loop: Header=BB30_1841 Depth=3
	v_lshl_add_u64 v[8:9], v[8:9], 0, v[76:77]
	v_lshl_add_u64 v[4:5], v[4:5], 0, v[76:77]
	;; [unrolled: 1-line block ×4, first 2 shown]
	v_sub_u32_e32 v0, v0, v60
	s_branch .LBB30_1840
.LBB30_1975:                            ;   in Loop: Header=BB30_1243 Depth=2
	s_or_b64 exec, exec, s[30:31]
	v_lshlrev_b32_e32 v100, 16, v114
	v_lshlrev_b32_e32 v101, 16, v17
	;; [unrolled: 1-line block ×32, first 2 shown]
	s_and_b64 s[24:25], s[28:29], exec
.LBB30_1976:                            ;   in Loop: Header=BB30_1243 Depth=2
	s_or_b64 exec, exec, s[26:27]
	s_and_saveexec_b64 s[26:27], s[24:25]
	s_cbranch_execz .LBB30_2042
; %bb.1977:                             ;   in Loop: Header=BB30_1243 Depth=2
	s_and_b32 s8, s64, 0xff
	s_cmp_eq_u32 s8, 0
	v_max_f32_e32 v12, v101, v101
	v_max_f32_e32 v13, v100, v100
	v_min_f32_e32 v22, v13, v12
	v_max_f32_e32 v12, v13, v12
	s_cselect_b64 vcc, -1, 0
	v_cndmask_b32_e32 v13, v12, v22, vcc
	v_and_b32_e32 v12, 0x7f800000, v13
	v_cmp_ne_u32_e64 s[24:25], s43, v12
                                        ; implicit-def: $vgpr12
	s_and_saveexec_b64 s[8:9], s[24:25]
	s_xor_b64 s[24:25], exec, s[8:9]
; %bb.1978:                             ;   in Loop: Header=BB30_1243 Depth=2
	v_bfe_u32 v12, v13, 16, 1
	v_add3_u32 v12, v13, v12, s40
                                        ; implicit-def: $vgpr13
; %bb.1979:                             ;   in Loop: Header=BB30_1243 Depth=2
	s_andn2_saveexec_b64 s[28:29], s[24:25]
; %bb.1980:                             ;   in Loop: Header=BB30_1243 Depth=2
	v_or_b32_e32 v12, 0x10000, v13
	v_cmp_eq_u32_sdwa s[24:25], v13, v3 src0_sel:WORD_0 src1_sel:DWORD
	s_nop 1
	v_cndmask_b32_e64 v12, v12, v13, s[24:25]
; %bb.1981:                             ;   in Loop: Header=BB30_1243 Depth=2
	s_or_b64 exec, exec, s[28:29]
	v_max_f32_e32 v13, v98, v98
	v_max_f32_e32 v22, v97, v97
	v_min_f32_e32 v26, v22, v13
	v_max_f32_e32 v13, v22, v13
	v_cndmask_b32_e32 v22, v13, v26, vcc
	v_and_b32_e32 v13, 0x7f800000, v22
	v_cmp_ne_u32_e64 s[24:25], s43, v13
                                        ; implicit-def: $vgpr13
	s_and_saveexec_b64 s[8:9], s[24:25]
	s_xor_b64 s[24:25], exec, s[8:9]
; %bb.1982:                             ;   in Loop: Header=BB30_1243 Depth=2
	v_bfe_u32 v13, v22, 16, 1
	v_add3_u32 v13, v22, v13, s40
                                        ; implicit-def: $vgpr22
; %bb.1983:                             ;   in Loop: Header=BB30_1243 Depth=2
	s_andn2_saveexec_b64 s[28:29], s[24:25]
; %bb.1984:                             ;   in Loop: Header=BB30_1243 Depth=2
	v_or_b32_e32 v13, 0x10000, v22
	v_cmp_eq_u32_sdwa s[24:25], v22, v3 src0_sel:WORD_0 src1_sel:DWORD
	s_nop 1
	v_cndmask_b32_e64 v13, v13, v22, s[24:25]
; %bb.1985:                             ;   in Loop: Header=BB30_1243 Depth=2
	s_or_b64 exec, exec, s[28:29]
	v_max_f32_e32 v22, v87, v87
	v_max_f32_e32 v26, v86, v86
	v_min_f32_e32 v27, v26, v22
	v_max_f32_e32 v22, v26, v22
	v_cndmask_b32_e32 v26, v22, v27, vcc
	v_and_b32_e32 v22, 0x7f800000, v26
	v_cmp_ne_u32_e64 s[24:25], s43, v22
                                        ; implicit-def: $vgpr22
	s_and_saveexec_b64 s[8:9], s[24:25]
	s_xor_b64 s[24:25], exec, s[8:9]
; %bb.1986:                             ;   in Loop: Header=BB30_1243 Depth=2
	v_bfe_u32 v22, v26, 16, 1
	v_add3_u32 v22, v26, v22, s40
                                        ; implicit-def: $vgpr26
; %bb.1987:                             ;   in Loop: Header=BB30_1243 Depth=2
	s_andn2_saveexec_b64 s[28:29], s[24:25]
; %bb.1988:                             ;   in Loop: Header=BB30_1243 Depth=2
	v_or_b32_e32 v22, 0x10000, v26
	v_cmp_eq_u32_sdwa s[24:25], v26, v3 src0_sel:WORD_0 src1_sel:DWORD
	s_nop 1
	v_cndmask_b32_e64 v22, v22, v26, s[24:25]
; %bb.1989:                             ;   in Loop: Header=BB30_1243 Depth=2
	s_or_b64 exec, exec, s[28:29]
	v_max_f32_e32 v26, v84, v84
	v_max_f32_e32 v27, v83, v83
	v_min_f32_e32 v32, v27, v26
	v_max_f32_e32 v26, v27, v26
	v_cndmask_b32_e32 v27, v26, v32, vcc
	v_and_b32_e32 v26, 0x7f800000, v27
	v_cmp_ne_u32_e64 s[24:25], s43, v26
                                        ; implicit-def: $vgpr26
	s_and_saveexec_b64 s[8:9], s[24:25]
	s_xor_b64 s[24:25], exec, s[8:9]
; %bb.1990:                             ;   in Loop: Header=BB30_1243 Depth=2
	v_bfe_u32 v26, v27, 16, 1
	v_add3_u32 v26, v27, v26, s40
                                        ; implicit-def: $vgpr27
; %bb.1991:                             ;   in Loop: Header=BB30_1243 Depth=2
	s_andn2_saveexec_b64 s[28:29], s[24:25]
; %bb.1992:                             ;   in Loop: Header=BB30_1243 Depth=2
	v_or_b32_e32 v26, 0x10000, v27
	v_cmp_eq_u32_sdwa s[24:25], v27, v3 src0_sel:WORD_0 src1_sel:DWORD
	s_nop 1
	v_cndmask_b32_e64 v26, v26, v27, s[24:25]
; %bb.1993:                             ;   in Loop: Header=BB30_1243 Depth=2
	s_or_b64 exec, exec, s[28:29]
	v_max_f32_e32 v27, v81, v81
	v_max_f32_e32 v32, v80, v80
	v_min_f32_e32 v33, v32, v27
	v_max_f32_e32 v27, v32, v27
	v_cndmask_b32_e32 v32, v27, v33, vcc
	v_and_b32_e32 v27, 0x7f800000, v32
	v_cmp_ne_u32_e64 s[24:25], s43, v27
                                        ; implicit-def: $vgpr27
	s_and_saveexec_b64 s[8:9], s[24:25]
	s_xor_b64 s[24:25], exec, s[8:9]
; %bb.1994:                             ;   in Loop: Header=BB30_1243 Depth=2
	v_bfe_u32 v27, v32, 16, 1
	v_add3_u32 v27, v32, v27, s40
                                        ; implicit-def: $vgpr32
; %bb.1995:                             ;   in Loop: Header=BB30_1243 Depth=2
	s_andn2_saveexec_b64 s[28:29], s[24:25]
; %bb.1996:                             ;   in Loop: Header=BB30_1243 Depth=2
	v_or_b32_e32 v27, 0x10000, v32
	v_cmp_eq_u32_sdwa s[24:25], v32, v3 src0_sel:WORD_0 src1_sel:DWORD
	s_nop 1
	v_cndmask_b32_e64 v27, v27, v32, s[24:25]
; %bb.1997:                             ;   in Loop: Header=BB30_1243 Depth=2
	s_or_b64 exec, exec, s[28:29]
	v_max_f32_e32 v32, v70, v70
	v_max_f32_e32 v33, v69, v69
	v_min_f32_e32 v34, v33, v32
	v_max_f32_e32 v32, v33, v32
	v_cndmask_b32_e32 v33, v32, v34, vcc
	v_and_b32_e32 v32, 0x7f800000, v33
	v_cmp_ne_u32_e64 s[24:25], s43, v32
                                        ; implicit-def: $vgpr32
	s_and_saveexec_b64 s[8:9], s[24:25]
	s_xor_b64 s[24:25], exec, s[8:9]
; %bb.1998:                             ;   in Loop: Header=BB30_1243 Depth=2
	v_bfe_u32 v32, v33, 16, 1
	v_add3_u32 v32, v33, v32, s40
                                        ; implicit-def: $vgpr33
; %bb.1999:                             ;   in Loop: Header=BB30_1243 Depth=2
	s_andn2_saveexec_b64 s[28:29], s[24:25]
; %bb.2000:                             ;   in Loop: Header=BB30_1243 Depth=2
	v_or_b32_e32 v32, 0x10000, v33
	v_cmp_eq_u32_sdwa s[24:25], v33, v3 src0_sel:WORD_0 src1_sel:DWORD
	s_nop 1
	v_cndmask_b32_e64 v32, v32, v33, s[24:25]
; %bb.2001:                             ;   in Loop: Header=BB30_1243 Depth=2
	s_or_b64 exec, exec, s[28:29]
	v_max_f32_e32 v33, v68, v68
	v_max_f32_e32 v34, v66, v66
	v_min_f32_e32 v35, v34, v33
	v_max_f32_e32 v33, v34, v33
	v_cndmask_b32_e32 v34, v33, v35, vcc
	v_and_b32_e32 v33, 0x7f800000, v34
	v_cmp_ne_u32_e64 s[24:25], s43, v33
                                        ; implicit-def: $vgpr33
	s_and_saveexec_b64 s[8:9], s[24:25]
	s_xor_b64 s[24:25], exec, s[8:9]
; %bb.2002:                             ;   in Loop: Header=BB30_1243 Depth=2
	v_bfe_u32 v33, v34, 16, 1
	v_add3_u32 v33, v34, v33, s40
                                        ; implicit-def: $vgpr34
; %bb.2003:                             ;   in Loop: Header=BB30_1243 Depth=2
	s_andn2_saveexec_b64 s[28:29], s[24:25]
; %bb.2004:                             ;   in Loop: Header=BB30_1243 Depth=2
	v_or_b32_e32 v33, 0x10000, v34
	v_cmp_eq_u32_sdwa s[24:25], v34, v3 src0_sel:WORD_0 src1_sel:DWORD
	s_nop 1
	v_cndmask_b32_e64 v33, v33, v34, s[24:25]
; %bb.2005:                             ;   in Loop: Header=BB30_1243 Depth=2
	s_or_b64 exec, exec, s[28:29]
	v_max_f32_e32 v34, v65, v65
	v_max_f32_e32 v35, v55, v55
	v_min_f32_e32 v36, v35, v34
	v_max_f32_e32 v34, v35, v34
	v_cndmask_b32_e32 v35, v34, v36, vcc
	v_and_b32_e32 v34, 0x7f800000, v35
	v_cmp_ne_u32_e64 s[24:25], s43, v34
                                        ; implicit-def: $vgpr34
	s_and_saveexec_b64 s[8:9], s[24:25]
	s_xor_b64 s[24:25], exec, s[8:9]
; %bb.2006:                             ;   in Loop: Header=BB30_1243 Depth=2
	v_bfe_u32 v34, v35, 16, 1
	v_add3_u32 v34, v35, v34, s40
                                        ; implicit-def: $vgpr35
; %bb.2007:                             ;   in Loop: Header=BB30_1243 Depth=2
	s_andn2_saveexec_b64 s[28:29], s[24:25]
; %bb.2008:                             ;   in Loop: Header=BB30_1243 Depth=2
	v_or_b32_e32 v34, 0x10000, v35
	v_cmp_eq_u32_sdwa s[24:25], v35, v3 src0_sel:WORD_0 src1_sel:DWORD
	s_nop 1
	v_cndmask_b32_e64 v34, v34, v35, s[24:25]
; %bb.2009:                             ;   in Loop: Header=BB30_1243 Depth=2
	s_or_b64 exec, exec, s[28:29]
	v_max_f32_e32 v35, v54, v54
	v_max_f32_e32 v36, v52, v52
	v_min_f32_e32 v37, v36, v35
	v_max_f32_e32 v35, v36, v35
	v_cndmask_b32_e32 v36, v35, v37, vcc
	v_and_b32_e32 v35, 0x7f800000, v36
	v_cmp_ne_u32_e64 s[24:25], s43, v35
                                        ; implicit-def: $vgpr35
	s_and_saveexec_b64 s[8:9], s[24:25]
	s_xor_b64 s[24:25], exec, s[8:9]
; %bb.2010:                             ;   in Loop: Header=BB30_1243 Depth=2
	v_bfe_u32 v35, v36, 16, 1
	v_add3_u32 v35, v36, v35, s40
                                        ; implicit-def: $vgpr36
; %bb.2011:                             ;   in Loop: Header=BB30_1243 Depth=2
	s_andn2_saveexec_b64 s[28:29], s[24:25]
; %bb.2012:                             ;   in Loop: Header=BB30_1243 Depth=2
	v_or_b32_e32 v35, 0x10000, v36
	v_cmp_eq_u32_sdwa s[24:25], v36, v3 src0_sel:WORD_0 src1_sel:DWORD
	s_nop 1
	v_cndmask_b32_e64 v35, v35, v36, s[24:25]
; %bb.2013:                             ;   in Loop: Header=BB30_1243 Depth=2
	s_or_b64 exec, exec, s[28:29]
	v_max_f32_e32 v36, v51, v51
	v_max_f32_e32 v30, v30, v30
	v_min_f32_e32 v37, v30, v36
	v_max_f32_e32 v30, v30, v36
	v_cndmask_b32_e32 v36, v30, v37, vcc
	v_and_b32_e32 v30, 0x7f800000, v36
	v_cmp_ne_u32_e64 s[24:25], s43, v30
                                        ; implicit-def: $vgpr30
	s_and_saveexec_b64 s[8:9], s[24:25]
	s_xor_b64 s[24:25], exec, s[8:9]
; %bb.2014:                             ;   in Loop: Header=BB30_1243 Depth=2
	v_bfe_u32 v30, v36, 16, 1
	v_add3_u32 v30, v36, v30, s40
                                        ; implicit-def: $vgpr36
; %bb.2015:                             ;   in Loop: Header=BB30_1243 Depth=2
	s_andn2_saveexec_b64 s[28:29], s[24:25]
; %bb.2016:                             ;   in Loop: Header=BB30_1243 Depth=2
	v_or_b32_e32 v30, 0x10000, v36
	v_cmp_eq_u32_sdwa s[24:25], v36, v3 src0_sel:WORD_0 src1_sel:DWORD
	s_nop 1
	v_cndmask_b32_e64 v30, v30, v36, s[24:25]
; %bb.2017:                             ;   in Loop: Header=BB30_1243 Depth=2
	s_or_b64 exec, exec, s[28:29]
	v_max_f32_e32 v25, v25, v25
	v_max_f32_e32 v24, v24, v24
	v_min_f32_e32 v36, v24, v25
	v_max_f32_e32 v24, v24, v25
	v_cndmask_b32_e32 v25, v24, v36, vcc
	v_and_b32_e32 v24, 0x7f800000, v25
	v_cmp_ne_u32_e64 s[24:25], s43, v24
                                        ; implicit-def: $vgpr24
	s_and_saveexec_b64 s[8:9], s[24:25]
	s_xor_b64 s[24:25], exec, s[8:9]
; %bb.2018:                             ;   in Loop: Header=BB30_1243 Depth=2
	v_bfe_u32 v24, v25, 16, 1
	v_add3_u32 v24, v25, v24, s40
                                        ; implicit-def: $vgpr25
; %bb.2019:                             ;   in Loop: Header=BB30_1243 Depth=2
	s_andn2_saveexec_b64 s[28:29], s[24:25]
; %bb.2020:                             ;   in Loop: Header=BB30_1243 Depth=2
	v_or_b32_e32 v24, 0x10000, v25
	v_cmp_eq_u32_sdwa s[24:25], v25, v3 src0_sel:WORD_0 src1_sel:DWORD
	s_nop 1
	v_cndmask_b32_e64 v24, v24, v25, s[24:25]
; %bb.2021:                             ;   in Loop: Header=BB30_1243 Depth=2
	s_or_b64 exec, exec, s[28:29]
	v_max_f32_e32 v23, v23, v23
	v_max_f32_e32 v21, v21, v21
	v_min_f32_e32 v25, v21, v23
	v_max_f32_e32 v21, v21, v23
	v_cndmask_b32_e32 v23, v21, v25, vcc
	v_and_b32_e32 v21, 0x7f800000, v23
	v_cmp_ne_u32_e64 s[24:25], s43, v21
                                        ; implicit-def: $vgpr21
	s_and_saveexec_b64 s[8:9], s[24:25]
	s_xor_b64 s[24:25], exec, s[8:9]
; %bb.2022:                             ;   in Loop: Header=BB30_1243 Depth=2
	v_bfe_u32 v21, v23, 16, 1
	v_add3_u32 v21, v23, v21, s40
                                        ; implicit-def: $vgpr23
; %bb.2023:                             ;   in Loop: Header=BB30_1243 Depth=2
	s_andn2_saveexec_b64 s[28:29], s[24:25]
; %bb.2024:                             ;   in Loop: Header=BB30_1243 Depth=2
	v_or_b32_e32 v21, 0x10000, v23
	v_cmp_eq_u32_sdwa s[24:25], v23, v3 src0_sel:WORD_0 src1_sel:DWORD
	s_nop 1
	v_cndmask_b32_e64 v21, v21, v23, s[24:25]
; %bb.2025:                             ;   in Loop: Header=BB30_1243 Depth=2
	s_or_b64 exec, exec, s[28:29]
	v_max_f32_e32 v20, v20, v20
	v_max_f32_e32 v19, v19, v19
	v_min_f32_e32 v23, v19, v20
	v_max_f32_e32 v19, v19, v20
	v_cndmask_b32_e32 v20, v19, v23, vcc
	v_and_b32_e32 v19, 0x7f800000, v20
	v_cmp_ne_u32_e64 s[24:25], s43, v19
                                        ; implicit-def: $vgpr19
	s_and_saveexec_b64 s[8:9], s[24:25]
	s_xor_b64 s[24:25], exec, s[8:9]
; %bb.2026:                             ;   in Loop: Header=BB30_1243 Depth=2
	v_bfe_u32 v19, v20, 16, 1
	v_add3_u32 v19, v20, v19, s40
                                        ; implicit-def: $vgpr20
; %bb.2027:                             ;   in Loop: Header=BB30_1243 Depth=2
	s_andn2_saveexec_b64 s[28:29], s[24:25]
; %bb.2028:                             ;   in Loop: Header=BB30_1243 Depth=2
	v_or_b32_e32 v19, 0x10000, v20
	v_cmp_eq_u32_sdwa s[24:25], v20, v3 src0_sel:WORD_0 src1_sel:DWORD
	s_nop 1
	v_cndmask_b32_e64 v19, v19, v20, s[24:25]
; %bb.2029:                             ;   in Loop: Header=BB30_1243 Depth=2
	s_or_b64 exec, exec, s[28:29]
	v_max_f32_e32 v18, v18, v18
	v_max_f32_e32 v17, v17, v17
	v_min_f32_e32 v20, v17, v18
	v_max_f32_e32 v17, v17, v18
	v_cndmask_b32_e32 v18, v17, v20, vcc
	v_and_b32_e32 v17, 0x7f800000, v18
	v_cmp_ne_u32_e64 s[24:25], s43, v17
                                        ; implicit-def: $vgpr17
	s_and_saveexec_b64 s[8:9], s[24:25]
	s_xor_b64 s[24:25], exec, s[8:9]
; %bb.2030:                             ;   in Loop: Header=BB30_1243 Depth=2
	v_bfe_u32 v17, v18, 16, 1
	v_add3_u32 v17, v18, v17, s40
                                        ; implicit-def: $vgpr18
; %bb.2031:                             ;   in Loop: Header=BB30_1243 Depth=2
	s_andn2_saveexec_b64 s[28:29], s[24:25]
; %bb.2032:                             ;   in Loop: Header=BB30_1243 Depth=2
	v_or_b32_e32 v17, 0x10000, v18
	v_cmp_eq_u32_sdwa s[24:25], v18, v3 src0_sel:WORD_0 src1_sel:DWORD
	s_nop 1
	v_cndmask_b32_e64 v17, v17, v18, s[24:25]
; %bb.2033:                             ;   in Loop: Header=BB30_1243 Depth=2
	s_or_b64 exec, exec, s[28:29]
	v_max_f32_e32 v11, v11, v11
	v_max_f32_e32 v10, v10, v10
	v_min_f32_e32 v18, v10, v11
	v_max_f32_e32 v10, v10, v11
	v_cndmask_b32_e32 v11, v10, v18, vcc
	v_and_b32_e32 v10, 0x7f800000, v11
	v_cmp_ne_u32_e64 s[24:25], s43, v10
                                        ; implicit-def: $vgpr10
	s_and_saveexec_b64 s[8:9], s[24:25]
	s_xor_b64 s[24:25], exec, s[8:9]
; %bb.2034:                             ;   in Loop: Header=BB30_1243 Depth=2
	v_bfe_u32 v10, v11, 16, 1
	v_add3_u32 v10, v11, v10, s40
                                        ; implicit-def: $vgpr11
; %bb.2035:                             ;   in Loop: Header=BB30_1243 Depth=2
	s_andn2_saveexec_b64 s[28:29], s[24:25]
; %bb.2036:                             ;   in Loop: Header=BB30_1243 Depth=2
	v_or_b32_e32 v10, 0x10000, v11
	v_cmp_eq_u32_sdwa s[24:25], v11, v3 src0_sel:WORD_0 src1_sel:DWORD
	s_nop 1
	v_cndmask_b32_e64 v10, v10, v11, s[24:25]
; %bb.2037:                             ;   in Loop: Header=BB30_1243 Depth=2
	s_or_b64 exec, exec, s[28:29]
	v_max_f32_e32 v7, v7, v7
	v_max_f32_e32 v6, v6, v6
	v_min_f32_e32 v11, v6, v7
	v_max_f32_e32 v6, v6, v7
	v_cndmask_b32_e32 v7, v6, v11, vcc
	v_and_b32_e32 v6, 0x7f800000, v7
	v_cmp_ne_u32_e32 vcc, s43, v6
                                        ; implicit-def: $vgpr6
	s_and_saveexec_b64 s[8:9], vcc
	s_xor_b64 s[24:25], exec, s[8:9]
; %bb.2038:                             ;   in Loop: Header=BB30_1243 Depth=2
	v_bfe_u32 v6, v7, 16, 1
	v_add3_u32 v6, v7, v6, s40
                                        ; implicit-def: $vgpr7
; %bb.2039:                             ;   in Loop: Header=BB30_1243 Depth=2
	s_andn2_saveexec_b64 s[24:25], s[24:25]
; %bb.2040:                             ;   in Loop: Header=BB30_1243 Depth=2
	v_or_b32_e32 v6, 0x10000, v7
	v_cmp_eq_u32_sdwa vcc, v7, v3 src0_sel:WORD_0 src1_sel:DWORD
	s_nop 1
	v_cndmask_b32_e32 v6, v6, v7, vcc
; %bb.2041:                             ;   in Loop: Header=BB30_1243 Depth=2
	s_or_b64 exec, exec, s[24:25]
	v_lshrrev_b32_e32 v12, 16, v12
	v_lshrrev_b32_e32 v7, 16, v10
	;; [unrolled: 1-line block ×16, first 2 shown]
	flat_store_short v[8:9], v12 nt
	flat_store_short v[8:9], v13 offset:128 nt
	flat_store_short v[8:9], v22 offset:256 nt
	;; [unrolled: 1-line block ×15, first 2 shown]
	flat_store_short v[4:5], v12 nt
	flat_store_short v[4:5], v13 offset:128 nt
	flat_store_short v[4:5], v22 offset:256 nt
	;; [unrolled: 1-line block ×15, first 2 shown]
.LBB30_2042:                            ;   in Loop: Header=BB30_1243 Depth=2
	s_or_b64 exec, exec, s[26:27]
	v_lshlrev_b32_e32 v4, 11, v16
	v_cmp_ne_u32_e32 vcc, v14, v4
	s_and_b64 s[8:9], exec, vcc
	v_mov_b64_e32 v[32:33], v[72:73]
	v_mov_b64_e32 v[8:9], v[74:75]
	s_mov_b64 exec, s[8:9]
	s_cbranch_execz .LBB30_2074
; %bb.2043:                             ;   in Loop: Header=BB30_1243 Depth=2
	v_lshlrev_b32_e32 v0, 6, v0
	v_sub_u32_e32 v0, v15, v0
	v_ashrrev_i32_e32 v5, 31, v0
	v_lshrrev_b32_e32 v5, 26, v5
	v_add_u32_e32 v5, v0, v5
	v_and_b32_e32 v6, 0x7fffffc0, v5
	v_sub_u32_e32 v0, v0, v6
	v_lshlrev_b32_e32 v5, 1, v5
	v_and_b32_e32 v5, 0xffffff80, v5
	v_lshlrev_b32_e32 v0, 1, v0
	v_add3_u32 v4, v5, v0, v4
	v_sub_u32_e32 v0, v14, v4
	v_cmp_lt_i32_e32 vcc, 1, v0
	s_and_b64 exec, exec, vcc
	s_cbranch_execz .LBB30_2074
; %bb.2044:                             ;   in Loop: Header=BB30_1243 Depth=2
	s_trap 2
	ds_read_b128 v[10:13], v0
	v_add_u32_e32 v6, v4, v1
	s_and_b32 s8, s64, 0xff
	v_ashrrev_i32_e32 v7, 31, v6
	s_cmp_eq_u32 s8, 0
	v_lshl_add_u64 v[4:5], v[32:33], 0, v[6:7]
	v_lshl_add_u64 v[8:9], v[8:9], 0, v[6:7]
	s_waitcnt lgkmcnt(0)
	v_lshl_add_u64 v[10:11], v[10:11], 0, v[6:7]
	v_lshl_add_u64 v[12:13], v[12:13], 0, v[6:7]
	s_mov_b64 s[38:39], 0
	s_mov_b64 s[30:31], 0
	s_cselect_b64 s[24:25], -1, 0
                                        ; implicit-def: $sgpr36_sgpr37
	s_branch .LBB30_2046
.LBB30_2045:                            ;   in Loop: Header=BB30_2046 Depth=3
	s_or_b64 exec, exec, s[26:27]
	v_cmp_gt_i32_e32 vcc, 2, v0
	s_or_b64 s[30:31], vcc, s[30:31]
	s_andn2_b64 s[8:9], s[36:37], exec
	s_and_b64 s[26:27], s[38:39], exec
	s_or_b64 s[36:37], s[8:9], s[26:27]
	s_andn2_b64 exec, exec, s[30:31]
	s_cbranch_execz .LBB30_2067
.LBB30_2046:                            ;   Parent Loop BB30_47 Depth=1
                                        ;     Parent Loop BB30_1243 Depth=2
                                        ; =>    This Loop Header: Depth=3
                                        ;         Child Loop BB30_2047 Depth 4
                                        ;         Child Loop BB30_2054 Depth 4
	;; [unrolled: 1-line block ×4, first 2 shown]
	s_add_i32 s9, s33, 0xc0
	s_mov_b32 s8, s9
	s_mov_b64 s[48:49], -1
	s_mov_b64 s[50:51], 0
.LBB30_2047:                            ;   Parent Loop BB30_47 Depth=1
                                        ;     Parent Loop BB30_1243 Depth=2
                                        ;       Parent Loop BB30_2046 Depth=3
                                        ; =>      This Inner Loop Header: Depth=4
	s_cmp_eq_u32 s50, 1
	s_cselect_b64 vcc, -1, 0
	v_cndmask_b32_e32 v7, v11, v13, vcc
	v_cndmask_b32_e32 v6, v10, v12, vcc
	flat_load_ushort v1, v[6:7] nt
	s_cmp_eq_u32 s50, 0
	s_cselect_b64 s[26:27], -1, 0
	s_and_b64 s[28:29], exec, s[48:49]
	v_lshl_add_u64 v[6:7], v[6:7], 0, s[60:61]
	s_add_i32 s9, s33, 0xe0
	s_mov_b64 s[50:51], 1
	s_mov_b64 s[48:49], 0
	v_cndmask_b32_e64 v11, v11, v7, s[26:27]
	v_cndmask_b32_e64 v10, v10, v6, s[26:27]
	v_cndmask_b32_e32 v13, v13, v7, vcc
	v_cndmask_b32_e32 v12, v12, v6, vcc
	s_mov_b64 vcc, s[28:29]
	s_waitcnt vmcnt(0) lgkmcnt(0)
	scratch_store_short off, v1, s8
	s_mov_b32 s8, s9
	s_cbranch_vccnz .LBB30_2047
; %bb.2048:                             ;   in Loop: Header=BB30_2046 Depth=3
	s_and_saveexec_b64 s[48:49], s[38:39]
	s_cbranch_execz .LBB30_2056
; %bb.2049:                             ;   in Loop: Header=BB30_2046 Depth=3
	scratch_load_ushort v1, off, s33 offset:184
	scratch_load_ushort v6, off, s33 offset:186
	s_waitcnt vmcnt(1)
	v_lshlrev_b32_e32 v1, 16, v1
	s_waitcnt vmcnt(0)
	v_lshlrev_b32_e32 v6, 16, v6
	v_max_f32_e32 v6, v6, v6
	v_max_f32_e32 v1, v1, v1
	v_min_f32_e32 v7, v1, v6
	v_max_f32_e32 v1, v1, v6
	v_cndmask_b32_e64 v1, v1, v7, s[24:25]
	v_and_b32_e32 v6, 0x7f800000, v1
	v_cmp_ne_u32_e32 vcc, s43, v6
                                        ; implicit-def: $vgpr6
	s_and_saveexec_b64 s[8:9], vcc
	s_xor_b64 s[26:27], exec, s[8:9]
; %bb.2050:                             ;   in Loop: Header=BB30_2046 Depth=3
	v_bfe_u32 v6, v1, 16, 1
	v_add3_u32 v6, v1, v6, s40
                                        ; implicit-def: $vgpr1
; %bb.2051:                             ;   in Loop: Header=BB30_2046 Depth=3
	s_andn2_saveexec_b64 s[26:27], s[26:27]
; %bb.2052:                             ;   in Loop: Header=BB30_2046 Depth=3
	v_or_b32_e32 v6, 0x10000, v1
	v_cmp_eq_u32_sdwa vcc, v1, v3 src0_sel:WORD_0 src1_sel:DWORD
	s_nop 1
	v_cndmask_b32_e32 v6, v6, v1, vcc
; %bb.2053:                             ;   in Loop: Header=BB30_2046 Depth=3
	s_or_b64 exec, exec, s[26:27]
	v_lshrrev_b32_e32 v1, 16, v6
	s_mov_b64 s[50:51], 0
	s_mov_b64 s[38:39], -1
	scratch_store_short off, v1, s33 offset:184
.LBB30_2054:                            ;   Parent Loop BB30_47 Depth=1
                                        ;     Parent Loop BB30_1243 Depth=2
                                        ;       Parent Loop BB30_2046 Depth=3
                                        ; =>      This Inner Loop Header: Depth=4
	s_cmp_eq_u32 s50, 1
	s_cselect_b64 vcc, -1, 0
	v_cndmask_b32_e32 v7, v5, v9, vcc
	s_cmp_eq_u32 s50, 0
	v_cndmask_b32_e32 v6, v4, v8, vcc
	flat_store_short v[6:7], v1 nt
	v_lshl_add_u64 v[6:7], v[6:7], 0, s[60:61]
	s_cselect_b64 s[26:27], -1, 0
	s_and_b64 s[28:29], exec, s[38:39]
	s_mov_b64 s[50:51], 1
	s_mov_b64 s[38:39], 0
	v_cndmask_b32_e32 v9, v9, v7, vcc
	v_cndmask_b32_e32 v8, v8, v6, vcc
	v_cndmask_b32_e64 v5, v5, v7, s[26:27]
	v_cndmask_b32_e64 v4, v4, v6, s[26:27]
	s_mov_b64 vcc, s[28:29]
	s_cbranch_vccnz .LBB30_2054
; %bb.2055:                             ;   in Loop: Header=BB30_2046 Depth=3
	v_lshl_add_u64 v[4:5], v[4:5], 0, v[92:93]
	v_lshl_add_u64 v[8:9], v[8:9], 0, v[92:93]
.LBB30_2056:                            ;   in Loop: Header=BB30_2046 Depth=3
	s_or_b64 exec, exec, s[48:49]
	v_sub_u32_e32 v0, v0, v31
	v_lshl_add_u64 v[10:11], v[10:11], 0, v[92:93]
	v_lshl_add_u64 v[12:13], v[12:13], 0, v[92:93]
	v_cmp_lt_i32_e64 s[38:39], 1, v0
	s_and_saveexec_b64 s[48:49], s[38:39]
	s_cbranch_execz .LBB30_2059
; %bb.2057:                             ;   in Loop: Header=BB30_2046 Depth=3
	s_add_i32 s9, s33, 0xb8
	s_mov_b32 s8, s9
	s_mov_b64 s[52:53], 0
	s_mov_b64 s[50:51], -1
.LBB30_2058:                            ;   Parent Loop BB30_47 Depth=1
                                        ;     Parent Loop BB30_1243 Depth=2
                                        ;       Parent Loop BB30_2046 Depth=3
                                        ; =>      This Inner Loop Header: Depth=4
	s_cmp_eq_u32 s52, 1
	s_cselect_b64 vcc, -1, 0
	v_cndmask_b32_e32 v7, v11, v13, vcc
	v_cndmask_b32_e32 v6, v10, v12, vcc
	flat_load_ushort v1, v[6:7] nt
	s_cmp_eq_u32 s52, 0
	s_cselect_b64 s[26:27], -1, 0
	s_and_b64 s[28:29], exec, s[50:51]
	v_lshl_add_u64 v[6:7], v[6:7], 0, s[60:61]
	s_add_i32 s9, s33, 0xba
	s_mov_b64 s[52:53], 1
	s_mov_b64 s[50:51], 0
	v_cndmask_b32_e64 v11, v11, v7, s[26:27]
	v_cndmask_b32_e64 v10, v10, v6, s[26:27]
	v_cndmask_b32_e32 v13, v13, v7, vcc
	v_cndmask_b32_e32 v12, v12, v6, vcc
	s_mov_b64 vcc, s[28:29]
	s_waitcnt vmcnt(0) lgkmcnt(0)
	scratch_store_short off, v1, s8
	s_mov_b32 s8, s9
	s_cbranch_vccnz .LBB30_2058
.LBB30_2059:                            ;   in Loop: Header=BB30_2046 Depth=3
	s_or_b64 exec, exec, s[48:49]
	scratch_load_ushort v1, off, s33 offset:192
	scratch_load_ushort v6, off, s33 offset:224
	s_waitcnt vmcnt(0)
	v_lshlrev_b32_e32 v1, 16, v1
	v_lshlrev_b32_e32 v6, 16, v6
	v_max_f32_e32 v6, v6, v6
	v_max_f32_e32 v1, v1, v1
	v_min_f32_e32 v7, v1, v6
	v_max_f32_e32 v1, v1, v6
	v_cndmask_b32_e64 v1, v1, v7, s[24:25]
	v_and_b32_e32 v6, 0x7f800000, v1
	v_cmp_ne_u32_e32 vcc, s43, v6
                                        ; implicit-def: $vgpr6
	s_and_saveexec_b64 s[8:9], vcc
	s_xor_b64 s[26:27], exec, s[8:9]
; %bb.2060:                             ;   in Loop: Header=BB30_2046 Depth=3
	v_bfe_u32 v6, v1, 16, 1
	v_add3_u32 v6, v1, v6, s40
                                        ; implicit-def: $vgpr1
; %bb.2061:                             ;   in Loop: Header=BB30_2046 Depth=3
	s_andn2_saveexec_b64 s[26:27], s[26:27]
; %bb.2062:                             ;   in Loop: Header=BB30_2046 Depth=3
	v_or_b32_e32 v6, 0x10000, v1
	v_cmp_eq_u32_sdwa vcc, v1, v3 src0_sel:WORD_0 src1_sel:DWORD
	s_nop 1
	v_cndmask_b32_e32 v6, v6, v1, vcc
; %bb.2063:                             ;   in Loop: Header=BB30_2046 Depth=3
	s_or_b64 exec, exec, s[26:27]
	v_lshrrev_b32_e32 v1, 16, v6
	s_mov_b64 s[50:51], 0
	s_mov_b64 s[48:49], -1
	scratch_store_short off, v1, s33 offset:192
.LBB30_2064:                            ;   Parent Loop BB30_47 Depth=1
                                        ;     Parent Loop BB30_1243 Depth=2
                                        ;       Parent Loop BB30_2046 Depth=3
                                        ; =>      This Inner Loop Header: Depth=4
	s_cmp_eq_u32 s50, 1
	s_cselect_b64 vcc, -1, 0
	v_cndmask_b32_e32 v7, v5, v9, vcc
	s_cmp_eq_u32 s50, 0
	v_cndmask_b32_e32 v6, v4, v8, vcc
	flat_store_short v[6:7], v1 nt
	v_lshl_add_u64 v[6:7], v[6:7], 0, s[60:61]
	s_cselect_b64 s[26:27], -1, 0
	s_and_b64 s[28:29], exec, s[48:49]
	s_mov_b64 s[50:51], 1
	s_mov_b64 s[48:49], 0
	v_cndmask_b32_e32 v9, v9, v7, vcc
	v_cndmask_b32_e32 v8, v8, v6, vcc
	v_cndmask_b32_e64 v5, v5, v7, s[26:27]
	v_cndmask_b32_e64 v4, v4, v6, s[26:27]
	s_mov_b64 vcc, s[28:29]
	s_cbranch_vccnz .LBB30_2064
; %bb.2065:                             ;   in Loop: Header=BB30_2046 Depth=3
	s_and_saveexec_b64 s[26:27], s[38:39]
	s_cbranch_execz .LBB30_2045
; %bb.2066:                             ;   in Loop: Header=BB30_2046 Depth=3
	v_lshl_add_u64 v[4:5], v[4:5], 0, v[92:93]
	v_lshl_add_u64 v[8:9], v[8:9], 0, v[92:93]
	;; [unrolled: 1-line block ×4, first 2 shown]
	v_sub_u32_e32 v0, v0, v31
	s_branch .LBB30_2045
.LBB30_2067:                            ;   in Loop: Header=BB30_1243 Depth=2
	s_or_b64 exec, exec, s[30:31]
	s_and_b64 exec, exec, s[36:37]
	s_cbranch_execz .LBB30_2074
; %bb.2068:                             ;   in Loop: Header=BB30_1243 Depth=2
	scratch_load_ushort v0, off, s33 offset:184
	scratch_load_ushort v1, off, s33 offset:186
	s_waitcnt vmcnt(0)
	v_lshlrev_b32_e32 v0, 16, v0
	v_lshlrev_b32_e32 v1, 16, v1
	v_max_f32_e32 v1, v1, v1
	v_max_f32_e32 v0, v0, v0
	v_min_f32_e32 v6, v0, v1
	v_max_f32_e32 v0, v0, v1
	v_cndmask_b32_e64 v0, v0, v6, s[24:25]
	v_and_b32_e32 v1, 0x7f800000, v0
	v_cmp_ne_u32_e32 vcc, s43, v1
                                        ; implicit-def: $vgpr1
	s_and_saveexec_b64 s[8:9], vcc
	s_xor_b64 s[24:25], exec, s[8:9]
; %bb.2069:                             ;   in Loop: Header=BB30_1243 Depth=2
	v_bfe_u32 v1, v0, 16, 1
	v_add3_u32 v1, v0, v1, s40
                                        ; implicit-def: $vgpr0
; %bb.2070:                             ;   in Loop: Header=BB30_1243 Depth=2
	s_andn2_saveexec_b64 s[24:25], s[24:25]
; %bb.2071:                             ;   in Loop: Header=BB30_1243 Depth=2
	v_or_b32_e32 v1, 0x10000, v0
	v_cmp_eq_u32_sdwa vcc, v0, v3 src0_sel:WORD_0 src1_sel:DWORD
	s_nop 1
	v_cndmask_b32_e32 v1, v1, v0, vcc
; %bb.2072:                             ;   in Loop: Header=BB30_1243 Depth=2
	s_or_b64 exec, exec, s[24:25]
	v_lshrrev_b32_e32 v0, 16, v1
	s_mov_b64 s[30:31], 0
	s_mov_b64 s[28:29], -1
.LBB30_2073:                            ;   Parent Loop BB30_47 Depth=1
                                        ;     Parent Loop BB30_1243 Depth=2
                                        ; =>    This Inner Loop Header: Depth=3
	s_cmp_eq_u32 s30, 1
	s_cselect_b64 vcc, -1, 0
	v_cndmask_b32_e32 v7, v5, v9, vcc
	s_cmp_eq_u32 s30, 0
	v_cndmask_b32_e32 v6, v4, v8, vcc
	flat_store_short v[6:7], v0 nt
	v_lshl_add_u64 v[6:7], v[6:7], 0, s[60:61]
	s_cselect_b64 s[24:25], -1, 0
	s_and_b64 s[26:27], exec, s[28:29]
	s_mov_b64 s[30:31], 1
	s_mov_b64 s[28:29], 0
	v_cndmask_b32_e32 v9, v9, v7, vcc
	v_cndmask_b32_e32 v8, v8, v6, vcc
	v_cndmask_b32_e64 v5, v5, v7, s[24:25]
	v_cndmask_b32_e64 v4, v4, v6, s[24:25]
	s_mov_b64 vcc, s[26:27]
	s_cbranch_vccnz .LBB30_2073
.LBB30_2074:                            ;   in Loop: Header=BB30_1243 Depth=2
	s_or_b64 exec, exec, s[34:35]
	s_mov_b64 s[24:25], 0
.LBB30_2075:                            ;   in Loop: Header=BB30_1243 Depth=2
	s_and_b64 vcc, exec, s[24:25]
	s_cbranch_vccz .LBB30_2345
; %bb.2076:                             ;   in Loop: Header=BB30_1243 Depth=2
	s_mov_b64 s[24:25], -1
	s_and_saveexec_b64 s[26:27], s[18:19]
	s_cbranch_execz .LBB30_2078
; %bb.2077:                             ;   in Loop: Header=BB30_1243 Depth=2
	ds_read_b32 v0, v0 offset:720
	s_waitcnt lgkmcnt(0)
	v_and_b32_e32 v0, 15, v0
	v_cmp_eq_u32_e32 vcc, 0, v0
	s_orn2_b64 s[24:25], vcc, exec
.LBB30_2078:                            ;   in Loop: Header=BB30_1243 Depth=2
	s_or_b64 exec, exec, s[26:27]
	s_and_saveexec_b64 s[26:27], s[14:15]
	s_cbranch_execz .LBB30_2080
; %bb.2079:                             ;   in Loop: Header=BB30_1243 Depth=2
	ds_read_b32 v0, v0 offset:784
	s_waitcnt lgkmcnt(0)
	v_and_b32_e32 v0, 15, v0
	v_cmp_eq_u32_e32 vcc, 0, v0
	s_and_b64 s[8:9], s[24:25], vcc
	s_andn2_b64 s[24:25], s[24:25], exec
	s_and_b64 s[8:9], s[8:9], exec
	s_or_b64 s[24:25], s[24:25], s[8:9]
.LBB30_2080:                            ;   in Loop: Header=BB30_1243 Depth=2
	s_or_b64 exec, exec, s[26:27]
	s_xor_b64 s[8:9], s[24:25], -1
	v_cndmask_b32_e64 v0, 0, 1, s[8:9]
	s_mov_b64 s[26:27], -1
	v_cmp_ne_u32_e32 vcc, 0, v0
	s_cbranch_vccz .LBB30_2346
; %bb.2081:                             ;   in Loop: Header=BB30_1243 Depth=2
	s_and_b32 s64, s75, 1
	s_mov_b64 s[30:31], -1
	v_mov_b32_e32 v0, 0
	s_cbranch_execnz .LBB30_2347
.LBB30_2082:                            ;   in Loop: Header=BB30_1243 Depth=2
	scratch_load_dword v1, off, s33 offset:312 ; 4-byte Folded Reload
	scratch_load_dwordx2 v[4:5], off, s33 offset:356 ; 8-byte Folded Reload
	v_ashrrev_i32_e32 v0, 31, v29
	v_lshrrev_b32_e32 v0, 20, v0
	v_add_u32_e32 v0, v29, v0
	v_ashrrev_i32_e32 v0, 12, v0
	s_and_b32 s64, s75, 1
	s_mov_b64 s[24:25], 0
	s_waitcnt vmcnt(0)
	scratch_store_dwordx2 off, v[32:33], s33 offset:364 ; 8-byte Folded Spill
                                        ; implicit-def: $vgpr80_vgpr81
                                        ; implicit-def: $vgpr36_vgpr37
                                        ; implicit-def: $vgpr24_vgpr25
                                        ; implicit-def: $vgpr12_vgpr13
                                        ; implicit-def: $vgpr20_vgpr21
                                        ; implicit-def: $vgpr16_vgpr17
                                        ; implicit-def: $vgpr8_vgpr9
	v_lshrrev_b32_e32 v1, 6, v1
	v_sub_u32_e32 v1, v0, v1
	v_lshl_add_u64 v[4:5], v[32:33], 0, v[4:5]
	v_cmp_lt_i32_e32 vcc, 0, v1
                                        ; implicit-def: $vgpr32_vgpr33
	s_and_saveexec_b64 s[26:27], vcc
	s_cbranch_execz .LBB30_2349
; %bb.2083:                             ;   in Loop: Header=BB30_1243 Depth=2
	s_trap 2
	scratch_load_dwordx2 v[8:9], off, s33 offset:356 ; 8-byte Folded Reload
	ds_read_b64 v[6:7], v0
	s_and_b32 s8, 0xffff, s64
	s_cmp_eq_u32 s8, 0
	s_mov_b64 s[36:37], 0
	s_mov_b64 s[28:29], 0
	s_cselect_b64 vcc, -1, 0
                                        ; implicit-def: $sgpr34_sgpr35
                                        ; implicit-def: $vgpr80_vgpr81
                                        ; implicit-def: $vgpr36_vgpr37
                                        ; implicit-def: $vgpr24_vgpr25
                                        ; implicit-def: $vgpr12_vgpr13
                                        ; implicit-def: $vgpr32_vgpr33
                                        ; implicit-def: $vgpr20_vgpr21
                                        ; implicit-def: $vgpr16_vgpr17
	s_waitcnt vmcnt(0)
	v_lshl_add_u64 v[116:117], v[120:121], 0, v[8:9]
	s_waitcnt lgkmcnt(0)
	v_lshl_add_u64 v[58:59], v[6:7], 0, v[8:9]
                                        ; implicit-def: $vgpr8_vgpr9
	s_branch .LBB30_2085
.LBB30_2084:                            ;   in Loop: Header=BB30_2085 Depth=3
	s_or_b64 exec, exec, s[38:39]
	v_lshrrev_b32_e32 v55, 16, v68
	v_and_or_b32 v65, v65, s41, v55
	v_lshrrev_b32_e32 v55, 16, v87
	v_and_or_b32 v64, v64, s41, v55
	v_lshrrev_b32_e32 v55, 16, v69
	v_lshrrev_b32_e32 v6, 16, v6
	v_and_or_b32 v66, v66, s41, v55
	v_lshrrev_b32_e32 v55, 16, v70
	v_and_or_b32 v98, v7, s41, v6
	;; [unrolled: 2-line block ×7, first 2 shown]
	v_and_or_b32 v84, v100, s41, v6
	v_lshrrev_b32_e32 v6, 16, v113
	v_and_or_b32 v86, v102, s41, v6
	v_lshrrev_b32_e32 v6, 16, v114
	;; [unrolled: 2-line block ×6, first 2 shown]
	v_and_or_b32 v51, v51, s41, v6
	v_lshl_add_u64 v[6:7], v[116:117], 0, v[88:89]
	v_cndmask_b32_e64 v116, v116, v6, s[36:37]
	v_cndmask_b32_e64 v6, 0, v60, s[36:37]
	v_sub_u32_e32 v1, v1, v6
	v_cmp_gt_i32_e64 s[24:25], 1, v1
	v_mov_b32_e32 v30, 0x1000
	s_or_b64 s[28:29], s[24:25], s[28:29]
	global_store_dwordx4 v[4:5], v[84:87], off
	global_store_dwordx4 v[4:5], v[96:99], off offset:1024
	global_store_dwordx4 v[4:5], v[64:67], off offset:2048
	;; [unrolled: 1-line block ×3, first 2 shown]
	s_andn2_b64 s[8:9], s[34:35], exec
	s_and_b64 s[24:25], s[36:37], exec
	v_lshl_add_u64 v[48:49], v[118:119], 0, v[88:89]
	v_cndmask_b32_e64 v51, 0, v107, s[36:37]
	v_cndmask_b32_e64 v50, v30, v106, s[36:37]
	v_lshl_add_u64 v[4:5], v[4:5], 0, v[50:51]
	v_cndmask_b32_e64 v117, v117, v7, s[36:37]
	v_cndmask_b32_e64 v59, v119, v49, s[36:37]
	;; [unrolled: 1-line block ×3, first 2 shown]
	s_or_b64 s[34:35], s[8:9], s[24:25]
	s_andn2_b64 exec, exec, s[28:29]
	s_cbranch_execz .LBB30_2348
.LBB30_2085:                            ;   Parent Loop BB30_47 Depth=1
                                        ;     Parent Loop BB30_1243 Depth=2
                                        ; =>    This Inner Loop Header: Depth=3
	global_load_dwordx4 v[100:103], v[116:117], off nt
	global_load_dwordx4 v[84:87], v[116:117], off offset:1024 nt
	global_load_dwordx4 v[64:67], v[116:117], off offset:2048 nt
	global_load_dwordx4 v[48:51], v[116:117], off offset:3072 nt
	global_load_dwordx4 v[112:115], v[58:59], off nt
	global_load_dwordx4 v[96:99], v[58:59], off offset:1024 nt
	global_load_dwordx4 v[68:71], v[58:59], off offset:2048 nt
	;; [unrolled: 1-line block ×3, first 2 shown]
	s_and_saveexec_b64 s[38:39], s[36:37]
	s_cbranch_execz .LBB30_2215
; %bb.2086:                             ;   in Loop: Header=BB30_2085 Depth=3
	v_lshlrev_b32_e32 v6, 16, v80
	v_lshlrev_b32_e32 v7, 16, v32
	v_max_f32_e32 v7, v7, v7
	v_max_f32_e32 v6, v6, v6
	v_min_f32_e32 v30, v6, v7
	v_max_f32_e32 v6, v6, v7
	v_cndmask_b32_e32 v6, v6, v30, vcc
	v_and_b32_e32 v7, 0x7f800000, v6
	v_cmp_ne_u32_e64 s[24:25], s43, v7
                                        ; implicit-def: $vgpr118
	s_and_saveexec_b64 s[8:9], s[24:25]
	s_xor_b64 s[24:25], exec, s[8:9]
; %bb.2087:                             ;   in Loop: Header=BB30_2085 Depth=3
	v_bfe_u32 v7, v6, 16, 1
	v_add3_u32 v118, v6, v7, s40
                                        ; implicit-def: $vgpr6
; %bb.2088:                             ;   in Loop: Header=BB30_2085 Depth=3
	s_andn2_saveexec_b64 s[36:37], s[24:25]
; %bb.2089:                             ;   in Loop: Header=BB30_2085 Depth=3
	v_or_b32_e32 v7, 0x10000, v6
	v_cmp_eq_u32_sdwa s[24:25], v6, v3 src0_sel:WORD_0 src1_sel:DWORD
	s_nop 1
	v_cndmask_b32_e64 v118, v7, v6, s[24:25]
; %bb.2090:                             ;   in Loop: Header=BB30_2085 Depth=3
	s_or_b64 exec, exec, s[36:37]
	v_and_b32_e32 v6, 0xffff0000, v80
	v_and_b32_e32 v7, 0xffff0000, v32
	v_max_f32_e32 v7, v7, v7
	v_max_f32_e32 v6, v6, v6
	v_min_f32_e32 v30, v6, v7
	v_max_f32_e32 v6, v6, v7
	v_cndmask_b32_e32 v6, v6, v30, vcc
	v_and_b32_e32 v7, 0x7f800000, v6
	v_cmp_ne_u32_e64 s[24:25], s43, v7
                                        ; implicit-def: $vgpr80
	s_and_saveexec_b64 s[8:9], s[24:25]
	s_xor_b64 s[24:25], exec, s[8:9]
; %bb.2091:                             ;   in Loop: Header=BB30_2085 Depth=3
	v_bfe_u32 v7, v6, 16, 1
	v_add3_u32 v80, v6, v7, s40
                                        ; implicit-def: $vgpr6
; %bb.2092:                             ;   in Loop: Header=BB30_2085 Depth=3
	s_andn2_saveexec_b64 s[36:37], s[24:25]
; %bb.2093:                             ;   in Loop: Header=BB30_2085 Depth=3
	v_or_b32_e32 v7, 0x10000, v6
	v_cmp_eq_u32_sdwa s[24:25], v6, v3 src0_sel:WORD_0 src1_sel:DWORD
	s_nop 1
	v_cndmask_b32_e64 v80, v7, v6, s[24:25]
; %bb.2094:                             ;   in Loop: Header=BB30_2085 Depth=3
	s_or_b64 exec, exec, s[36:37]
	v_lshlrev_b32_e32 v6, 16, v81
	v_lshlrev_b32_e32 v7, 16, v33
	v_max_f32_e32 v7, v7, v7
	v_max_f32_e32 v6, v6, v6
	v_min_f32_e32 v30, v6, v7
	v_max_f32_e32 v6, v6, v7
	v_cndmask_b32_e32 v6, v6, v30, vcc
	v_and_b32_e32 v7, 0x7f800000, v6
	v_cmp_ne_u32_e64 s[24:25], s43, v7
                                        ; implicit-def: $vgpr119
	s_and_saveexec_b64 s[8:9], s[24:25]
	s_xor_b64 s[24:25], exec, s[8:9]
; %bb.2095:                             ;   in Loop: Header=BB30_2085 Depth=3
	v_bfe_u32 v7, v6, 16, 1
	v_add3_u32 v119, v6, v7, s40
                                        ; implicit-def: $vgpr6
; %bb.2096:                             ;   in Loop: Header=BB30_2085 Depth=3
	s_andn2_saveexec_b64 s[36:37], s[24:25]
; %bb.2097:                             ;   in Loop: Header=BB30_2085 Depth=3
	v_or_b32_e32 v7, 0x10000, v6
	v_cmp_eq_u32_sdwa s[24:25], v6, v3 src0_sel:WORD_0 src1_sel:DWORD
	s_nop 1
	v_cndmask_b32_e64 v119, v7, v6, s[24:25]
; %bb.2098:                             ;   in Loop: Header=BB30_2085 Depth=3
	s_or_b64 exec, exec, s[36:37]
	v_and_b32_e32 v6, 0xffff0000, v81
	v_and_b32_e32 v7, 0xffff0000, v33
	v_max_f32_e32 v7, v7, v7
	v_max_f32_e32 v6, v6, v6
	v_min_f32_e32 v30, v6, v7
	v_max_f32_e32 v6, v6, v7
	v_cndmask_b32_e32 v6, v6, v30, vcc
	v_and_b32_e32 v7, 0x7f800000, v6
	v_cmp_ne_u32_e64 s[24:25], s43, v7
                                        ; implicit-def: $vgpr81
	s_and_saveexec_b64 s[8:9], s[24:25]
	s_xor_b64 s[24:25], exec, s[8:9]
; %bb.2099:                             ;   in Loop: Header=BB30_2085 Depth=3
	v_bfe_u32 v7, v6, 16, 1
	v_add3_u32 v81, v6, v7, s40
                                        ; implicit-def: $vgpr6
; %bb.2100:                             ;   in Loop: Header=BB30_2085 Depth=3
	s_andn2_saveexec_b64 s[36:37], s[24:25]
; %bb.2101:                             ;   in Loop: Header=BB30_2085 Depth=3
	v_or_b32_e32 v7, 0x10000, v6
	v_cmp_eq_u32_sdwa s[24:25], v6, v3 src0_sel:WORD_0 src1_sel:DWORD
	s_nop 1
	v_cndmask_b32_e64 v81, v7, v6, s[24:25]
; %bb.2102:                             ;   in Loop: Header=BB30_2085 Depth=3
	s_or_b64 exec, exec, s[36:37]
	v_lshlrev_b32_e32 v6, 16, v82
	v_lshlrev_b32_e32 v7, 16, v34
	v_max_f32_e32 v7, v7, v7
	v_max_f32_e32 v6, v6, v6
	v_min_f32_e32 v30, v6, v7
	v_max_f32_e32 v6, v6, v7
	v_cndmask_b32_e32 v6, v6, v30, vcc
	v_and_b32_e32 v7, 0x7f800000, v6
	v_cmp_ne_u32_e64 s[24:25], s43, v7
                                        ; implicit-def: $vgpr63
	s_and_saveexec_b64 s[8:9], s[24:25]
	s_xor_b64 s[24:25], exec, s[8:9]
; %bb.2103:                             ;   in Loop: Header=BB30_2085 Depth=3
	v_bfe_u32 v7, v6, 16, 1
	v_add3_u32 v63, v6, v7, s40
                                        ; implicit-def: $vgpr6
; %bb.2104:                             ;   in Loop: Header=BB30_2085 Depth=3
	s_andn2_saveexec_b64 s[36:37], s[24:25]
; %bb.2105:                             ;   in Loop: Header=BB30_2085 Depth=3
	v_or_b32_e32 v7, 0x10000, v6
	v_cmp_eq_u32_sdwa s[24:25], v6, v3 src0_sel:WORD_0 src1_sel:DWORD
	s_nop 1
	v_cndmask_b32_e64 v63, v7, v6, s[24:25]
; %bb.2106:                             ;   in Loop: Header=BB30_2085 Depth=3
	s_or_b64 exec, exec, s[36:37]
	v_and_b32_e32 v6, 0xffff0000, v82
	v_and_b32_e32 v7, 0xffff0000, v34
	v_max_f32_e32 v7, v7, v7
	v_max_f32_e32 v6, v6, v6
	v_min_f32_e32 v30, v6, v7
	v_max_f32_e32 v6, v6, v7
	v_cndmask_b32_e32 v6, v6, v30, vcc
	v_and_b32_e32 v7, 0x7f800000, v6
	v_cmp_ne_u32_e64 s[24:25], s43, v7
                                        ; implicit-def: $vgpr82
	s_and_saveexec_b64 s[8:9], s[24:25]
	s_xor_b64 s[24:25], exec, s[8:9]
; %bb.2107:                             ;   in Loop: Header=BB30_2085 Depth=3
	v_bfe_u32 v7, v6, 16, 1
	v_add3_u32 v82, v6, v7, s40
                                        ; implicit-def: $vgpr6
; %bb.2108:                             ;   in Loop: Header=BB30_2085 Depth=3
	s_andn2_saveexec_b64 s[36:37], s[24:25]
; %bb.2109:                             ;   in Loop: Header=BB30_2085 Depth=3
	v_or_b32_e32 v7, 0x10000, v6
	v_cmp_eq_u32_sdwa s[24:25], v6, v3 src0_sel:WORD_0 src1_sel:DWORD
	s_nop 1
	v_cndmask_b32_e64 v82, v7, v6, s[24:25]
; %bb.2110:                             ;   in Loop: Header=BB30_2085 Depth=3
	s_or_b64 exec, exec, s[36:37]
	v_lshlrev_b32_e32 v6, 16, v83
	v_lshlrev_b32_e32 v7, 16, v35
	v_max_f32_e32 v7, v7, v7
	v_max_f32_e32 v6, v6, v6
	v_min_f32_e32 v30, v6, v7
	v_max_f32_e32 v6, v6, v7
	v_cndmask_b32_e32 v6, v6, v30, vcc
	v_and_b32_e32 v7, 0x7f800000, v6
	v_cmp_ne_u32_e64 s[24:25], s43, v7
                                        ; implicit-def: $vgpr72
	s_and_saveexec_b64 s[8:9], s[24:25]
	s_xor_b64 s[24:25], exec, s[8:9]
; %bb.2111:                             ;   in Loop: Header=BB30_2085 Depth=3
	v_bfe_u32 v7, v6, 16, 1
	v_add3_u32 v72, v6, v7, s40
                                        ; implicit-def: $vgpr6
; %bb.2112:                             ;   in Loop: Header=BB30_2085 Depth=3
	s_andn2_saveexec_b64 s[36:37], s[24:25]
; %bb.2113:                             ;   in Loop: Header=BB30_2085 Depth=3
	v_or_b32_e32 v7, 0x10000, v6
	v_cmp_eq_u32_sdwa s[24:25], v6, v3 src0_sel:WORD_0 src1_sel:DWORD
	s_nop 1
	v_cndmask_b32_e64 v72, v7, v6, s[24:25]
; %bb.2114:                             ;   in Loop: Header=BB30_2085 Depth=3
	s_or_b64 exec, exec, s[36:37]
	v_and_b32_e32 v6, 0xffff0000, v83
	v_and_b32_e32 v7, 0xffff0000, v35
	v_max_f32_e32 v7, v7, v7
	v_max_f32_e32 v6, v6, v6
	v_min_f32_e32 v30, v6, v7
	v_max_f32_e32 v6, v6, v7
	v_cndmask_b32_e32 v6, v6, v30, vcc
	v_and_b32_e32 v7, 0x7f800000, v6
	v_cmp_ne_u32_e64 s[24:25], s43, v7
                                        ; implicit-def: $vgpr83
	s_and_saveexec_b64 s[8:9], s[24:25]
	s_xor_b64 s[24:25], exec, s[8:9]
; %bb.2115:                             ;   in Loop: Header=BB30_2085 Depth=3
	v_bfe_u32 v7, v6, 16, 1
	v_add3_u32 v83, v6, v7, s40
                                        ; implicit-def: $vgpr6
; %bb.2116:                             ;   in Loop: Header=BB30_2085 Depth=3
	s_andn2_saveexec_b64 s[36:37], s[24:25]
; %bb.2117:                             ;   in Loop: Header=BB30_2085 Depth=3
	v_or_b32_e32 v7, 0x10000, v6
	v_cmp_eq_u32_sdwa s[24:25], v6, v3 src0_sel:WORD_0 src1_sel:DWORD
	s_nop 1
	v_cndmask_b32_e64 v83, v7, v6, s[24:25]
; %bb.2118:                             ;   in Loop: Header=BB30_2085 Depth=3
	s_or_b64 exec, exec, s[36:37]
	v_lshlrev_b32_e32 v6, 16, v36
	v_lshlrev_b32_e32 v7, 16, v20
	v_max_f32_e32 v7, v7, v7
	v_max_f32_e32 v6, v6, v6
	v_min_f32_e32 v30, v6, v7
	v_max_f32_e32 v6, v6, v7
	v_cndmask_b32_e32 v6, v6, v30, vcc
	v_and_b32_e32 v7, 0x7f800000, v6
	v_cmp_ne_u32_e64 s[24:25], s43, v7
                                        ; implicit-def: $vgpr73
	s_and_saveexec_b64 s[8:9], s[24:25]
	s_xor_b64 s[24:25], exec, s[8:9]
; %bb.2119:                             ;   in Loop: Header=BB30_2085 Depth=3
	v_bfe_u32 v7, v6, 16, 1
	v_add3_u32 v73, v6, v7, s40
                                        ; implicit-def: $vgpr6
; %bb.2120:                             ;   in Loop: Header=BB30_2085 Depth=3
	s_andn2_saveexec_b64 s[36:37], s[24:25]
; %bb.2121:                             ;   in Loop: Header=BB30_2085 Depth=3
	v_or_b32_e32 v7, 0x10000, v6
	v_cmp_eq_u32_sdwa s[24:25], v6, v3 src0_sel:WORD_0 src1_sel:DWORD
	s_nop 1
	v_cndmask_b32_e64 v73, v7, v6, s[24:25]
; %bb.2122:                             ;   in Loop: Header=BB30_2085 Depth=3
	s_or_b64 exec, exec, s[36:37]
	v_and_b32_e32 v6, 0xffff0000, v36
	v_and_b32_e32 v7, 0xffff0000, v20
	v_max_f32_e32 v7, v7, v7
	v_max_f32_e32 v6, v6, v6
	v_min_f32_e32 v30, v6, v7
	v_max_f32_e32 v6, v6, v7
	v_cndmask_b32_e32 v6, v6, v30, vcc
	v_and_b32_e32 v7, 0x7f800000, v6
	v_cmp_ne_u32_e64 s[24:25], s43, v7
                                        ; implicit-def: $vgpr36
	s_and_saveexec_b64 s[8:9], s[24:25]
	s_xor_b64 s[24:25], exec, s[8:9]
; %bb.2123:                             ;   in Loop: Header=BB30_2085 Depth=3
	v_bfe_u32 v7, v6, 16, 1
	v_add3_u32 v36, v6, v7, s40
                                        ; implicit-def: $vgpr6
; %bb.2124:                             ;   in Loop: Header=BB30_2085 Depth=3
	s_andn2_saveexec_b64 s[36:37], s[24:25]
; %bb.2125:                             ;   in Loop: Header=BB30_2085 Depth=3
	v_or_b32_e32 v7, 0x10000, v6
	v_cmp_eq_u32_sdwa s[24:25], v6, v3 src0_sel:WORD_0 src1_sel:DWORD
	s_nop 1
	v_cndmask_b32_e64 v36, v7, v6, s[24:25]
; %bb.2126:                             ;   in Loop: Header=BB30_2085 Depth=3
	s_or_b64 exec, exec, s[36:37]
	v_lshlrev_b32_e32 v6, 16, v37
	v_lshlrev_b32_e32 v7, 16, v21
	v_max_f32_e32 v7, v7, v7
	v_max_f32_e32 v6, v6, v6
	v_min_f32_e32 v30, v6, v7
	v_max_f32_e32 v6, v6, v7
	v_cndmask_b32_e32 v6, v6, v30, vcc
	v_and_b32_e32 v7, 0x7f800000, v6
	v_cmp_ne_u32_e64 s[24:25], s43, v7
                                        ; implicit-def: $vgpr44
	s_and_saveexec_b64 s[8:9], s[24:25]
	s_xor_b64 s[24:25], exec, s[8:9]
; %bb.2127:                             ;   in Loop: Header=BB30_2085 Depth=3
	v_bfe_u32 v7, v6, 16, 1
	v_add3_u32 v44, v6, v7, s40
                                        ; implicit-def: $vgpr6
; %bb.2128:                             ;   in Loop: Header=BB30_2085 Depth=3
	s_andn2_saveexec_b64 s[36:37], s[24:25]
; %bb.2129:                             ;   in Loop: Header=BB30_2085 Depth=3
	v_or_b32_e32 v7, 0x10000, v6
	v_cmp_eq_u32_sdwa s[24:25], v6, v3 src0_sel:WORD_0 src1_sel:DWORD
	s_nop 1
	v_cndmask_b32_e64 v44, v7, v6, s[24:25]
; %bb.2130:                             ;   in Loop: Header=BB30_2085 Depth=3
	s_or_b64 exec, exec, s[36:37]
	v_and_b32_e32 v6, 0xffff0000, v37
	v_and_b32_e32 v7, 0xffff0000, v21
	v_max_f32_e32 v7, v7, v7
	v_max_f32_e32 v6, v6, v6
	v_min_f32_e32 v30, v6, v7
	v_max_f32_e32 v6, v6, v7
	v_cndmask_b32_e32 v6, v6, v30, vcc
	v_and_b32_e32 v7, 0x7f800000, v6
	v_cmp_ne_u32_e64 s[24:25], s43, v7
                                        ; implicit-def: $vgpr37
	s_and_saveexec_b64 s[8:9], s[24:25]
	s_xor_b64 s[24:25], exec, s[8:9]
; %bb.2131:                             ;   in Loop: Header=BB30_2085 Depth=3
	v_bfe_u32 v7, v6, 16, 1
	v_add3_u32 v37, v6, v7, s40
                                        ; implicit-def: $vgpr6
; %bb.2132:                             ;   in Loop: Header=BB30_2085 Depth=3
	s_andn2_saveexec_b64 s[36:37], s[24:25]
; %bb.2133:                             ;   in Loop: Header=BB30_2085 Depth=3
	v_or_b32_e32 v7, 0x10000, v6
	v_cmp_eq_u32_sdwa s[24:25], v6, v3 src0_sel:WORD_0 src1_sel:DWORD
	s_nop 1
	v_cndmask_b32_e64 v37, v7, v6, s[24:25]
; %bb.2134:                             ;   in Loop: Header=BB30_2085 Depth=3
	s_or_b64 exec, exec, s[36:37]
	v_lshlrev_b32_e32 v6, 16, v38
	v_lshlrev_b32_e32 v7, 16, v22
	v_max_f32_e32 v7, v7, v7
	v_max_f32_e32 v6, v6, v6
	v_min_f32_e32 v30, v6, v7
	v_max_f32_e32 v6, v6, v7
	v_cndmask_b32_e32 v6, v6, v30, vcc
	v_and_b32_e32 v7, 0x7f800000, v6
	v_cmp_ne_u32_e64 s[24:25], s43, v7
                                        ; implicit-def: $vgpr45
	s_and_saveexec_b64 s[8:9], s[24:25]
	s_xor_b64 s[24:25], exec, s[8:9]
; %bb.2135:                             ;   in Loop: Header=BB30_2085 Depth=3
	v_bfe_u32 v7, v6, 16, 1
	v_add3_u32 v45, v6, v7, s40
                                        ; implicit-def: $vgpr6
; %bb.2136:                             ;   in Loop: Header=BB30_2085 Depth=3
	s_andn2_saveexec_b64 s[36:37], s[24:25]
; %bb.2137:                             ;   in Loop: Header=BB30_2085 Depth=3
	v_or_b32_e32 v7, 0x10000, v6
	v_cmp_eq_u32_sdwa s[24:25], v6, v3 src0_sel:WORD_0 src1_sel:DWORD
	s_nop 1
	v_cndmask_b32_e64 v45, v7, v6, s[24:25]
; %bb.2138:                             ;   in Loop: Header=BB30_2085 Depth=3
	s_or_b64 exec, exec, s[36:37]
	v_and_b32_e32 v6, 0xffff0000, v38
	v_and_b32_e32 v7, 0xffff0000, v22
	v_max_f32_e32 v7, v7, v7
	v_max_f32_e32 v6, v6, v6
	v_min_f32_e32 v30, v6, v7
	v_max_f32_e32 v6, v6, v7
	v_cndmask_b32_e32 v7, v6, v30, vcc
	v_and_b32_e32 v6, 0x7f800000, v7
	v_cmp_ne_u32_e64 s[24:25], s43, v6
                                        ; implicit-def: $vgpr6
	s_and_saveexec_b64 s[8:9], s[24:25]
	s_xor_b64 s[24:25], exec, s[8:9]
; %bb.2139:                             ;   in Loop: Header=BB30_2085 Depth=3
	v_bfe_u32 v6, v7, 16, 1
	v_add3_u32 v6, v7, v6, s40
                                        ; implicit-def: $vgpr7
; %bb.2140:                             ;   in Loop: Header=BB30_2085 Depth=3
	s_andn2_saveexec_b64 s[36:37], s[24:25]
; %bb.2141:                             ;   in Loop: Header=BB30_2085 Depth=3
	v_or_b32_e32 v6, 0x10000, v7
	v_cmp_eq_u32_sdwa s[24:25], v7, v3 src0_sel:WORD_0 src1_sel:DWORD
	s_nop 1
	v_cndmask_b32_e64 v6, v6, v7, s[24:25]
; %bb.2142:                             ;   in Loop: Header=BB30_2085 Depth=3
	s_or_b64 exec, exec, s[36:37]
	v_lshlrev_b32_e32 v7, 16, v39
	v_lshlrev_b32_e32 v30, 16, v23
	v_max_f32_e32 v30, v30, v30
	v_max_f32_e32 v7, v7, v7
	v_min_f32_e32 v38, v7, v30
	v_max_f32_e32 v7, v7, v30
	v_cndmask_b32_e32 v30, v7, v38, vcc
	v_and_b32_e32 v7, 0x7f800000, v30
	v_cmp_ne_u32_e64 s[24:25], s43, v7
                                        ; implicit-def: $vgpr7
	s_and_saveexec_b64 s[8:9], s[24:25]
	s_xor_b64 s[24:25], exec, s[8:9]
; %bb.2143:                             ;   in Loop: Header=BB30_2085 Depth=3
	v_bfe_u32 v7, v30, 16, 1
	v_add3_u32 v7, v30, v7, s40
                                        ; implicit-def: $vgpr30
; %bb.2144:                             ;   in Loop: Header=BB30_2085 Depth=3
	s_andn2_saveexec_b64 s[36:37], s[24:25]
; %bb.2145:                             ;   in Loop: Header=BB30_2085 Depth=3
	v_or_b32_e32 v7, 0x10000, v30
	v_cmp_eq_u32_sdwa s[24:25], v30, v3 src0_sel:WORD_0 src1_sel:DWORD
	s_nop 1
	v_cndmask_b32_e64 v7, v7, v30, s[24:25]
; %bb.2146:                             ;   in Loop: Header=BB30_2085 Depth=3
	s_or_b64 exec, exec, s[36:37]
	v_and_b32_e32 v30, 0xffff0000, v39
	v_and_b32_e32 v38, 0xffff0000, v23
	v_max_f32_e32 v38, v38, v38
	v_max_f32_e32 v30, v30, v30
	v_min_f32_e32 v39, v30, v38
	v_max_f32_e32 v30, v30, v38
	v_cndmask_b32_e32 v38, v30, v39, vcc
	v_and_b32_e32 v30, 0x7f800000, v38
	v_cmp_ne_u32_e64 s[24:25], s43, v30
                                        ; implicit-def: $vgpr30
	s_and_saveexec_b64 s[8:9], s[24:25]
	s_xor_b64 s[24:25], exec, s[8:9]
; %bb.2147:                             ;   in Loop: Header=BB30_2085 Depth=3
	v_bfe_u32 v30, v38, 16, 1
	v_add3_u32 v30, v38, v30, s40
                                        ; implicit-def: $vgpr38
; %bb.2148:                             ;   in Loop: Header=BB30_2085 Depth=3
	s_andn2_saveexec_b64 s[36:37], s[24:25]
; %bb.2149:                             ;   in Loop: Header=BB30_2085 Depth=3
	v_or_b32_e32 v30, 0x10000, v38
	v_cmp_eq_u32_sdwa s[24:25], v38, v3 src0_sel:WORD_0 src1_sel:DWORD
	s_nop 1
	v_cndmask_b32_e64 v30, v30, v38, s[24:25]
; %bb.2150:                             ;   in Loop: Header=BB30_2085 Depth=3
	s_or_b64 exec, exec, s[36:37]
	v_lshlrev_b32_e32 v38, 16, v24
	v_lshlrev_b32_e32 v39, 16, v16
	v_max_f32_e32 v39, v39, v39
	v_max_f32_e32 v38, v38, v38
	v_min_f32_e32 v42, v38, v39
	v_max_f32_e32 v38, v38, v39
	v_cndmask_b32_e32 v39, v38, v42, vcc
	v_and_b32_e32 v38, 0x7f800000, v39
	v_cmp_ne_u32_e64 s[24:25], s43, v38
                                        ; implicit-def: $vgpr38
	s_and_saveexec_b64 s[8:9], s[24:25]
	s_xor_b64 s[24:25], exec, s[8:9]
; %bb.2151:                             ;   in Loop: Header=BB30_2085 Depth=3
	v_bfe_u32 v38, v39, 16, 1
	v_add3_u32 v38, v39, v38, s40
                                        ; implicit-def: $vgpr39
; %bb.2152:                             ;   in Loop: Header=BB30_2085 Depth=3
	s_andn2_saveexec_b64 s[36:37], s[24:25]
; %bb.2153:                             ;   in Loop: Header=BB30_2085 Depth=3
	v_or_b32_e32 v38, 0x10000, v39
	v_cmp_eq_u32_sdwa s[24:25], v39, v3 src0_sel:WORD_0 src1_sel:DWORD
	s_nop 1
	v_cndmask_b32_e64 v38, v38, v39, s[24:25]
; %bb.2154:                             ;   in Loop: Header=BB30_2085 Depth=3
	s_or_b64 exec, exec, s[36:37]
	v_and_b32_e32 v24, 0xffff0000, v24
	v_and_b32_e32 v39, 0xffff0000, v16
	v_max_f32_e32 v39, v39, v39
	v_max_f32_e32 v24, v24, v24
	v_min_f32_e32 v42, v24, v39
	v_max_f32_e32 v24, v24, v39
	v_cndmask_b32_e32 v39, v24, v42, vcc
	v_and_b32_e32 v24, 0x7f800000, v39
	v_cmp_ne_u32_e64 s[24:25], s43, v24
                                        ; implicit-def: $vgpr24
	s_and_saveexec_b64 s[8:9], s[24:25]
	s_xor_b64 s[24:25], exec, s[8:9]
; %bb.2155:                             ;   in Loop: Header=BB30_2085 Depth=3
	v_bfe_u32 v24, v39, 16, 1
	v_add3_u32 v24, v39, v24, s40
                                        ; implicit-def: $vgpr39
; %bb.2156:                             ;   in Loop: Header=BB30_2085 Depth=3
	s_andn2_saveexec_b64 s[36:37], s[24:25]
; %bb.2157:                             ;   in Loop: Header=BB30_2085 Depth=3
	v_or_b32_e32 v24, 0x10000, v39
	v_cmp_eq_u32_sdwa s[24:25], v39, v3 src0_sel:WORD_0 src1_sel:DWORD
	s_nop 1
	v_cndmask_b32_e64 v24, v24, v39, s[24:25]
; %bb.2158:                             ;   in Loop: Header=BB30_2085 Depth=3
	s_or_b64 exec, exec, s[36:37]
	v_lshlrev_b32_e32 v39, 16, v25
	v_lshlrev_b32_e32 v42, 16, v17
	v_max_f32_e32 v42, v42, v42
	v_max_f32_e32 v39, v39, v39
	v_min_f32_e32 v43, v39, v42
	v_max_f32_e32 v39, v39, v42
	v_cndmask_b32_e32 v42, v39, v43, vcc
	v_and_b32_e32 v39, 0x7f800000, v42
	v_cmp_ne_u32_e64 s[24:25], s43, v39
                                        ; implicit-def: $vgpr39
	s_and_saveexec_b64 s[8:9], s[24:25]
	s_xor_b64 s[24:25], exec, s[8:9]
; %bb.2159:                             ;   in Loop: Header=BB30_2085 Depth=3
	v_bfe_u32 v39, v42, 16, 1
	v_add3_u32 v39, v42, v39, s40
                                        ; implicit-def: $vgpr42
; %bb.2160:                             ;   in Loop: Header=BB30_2085 Depth=3
	s_andn2_saveexec_b64 s[36:37], s[24:25]
; %bb.2161:                             ;   in Loop: Header=BB30_2085 Depth=3
	v_or_b32_e32 v39, 0x10000, v42
	v_cmp_eq_u32_sdwa s[24:25], v42, v3 src0_sel:WORD_0 src1_sel:DWORD
	s_nop 1
	v_cndmask_b32_e64 v39, v39, v42, s[24:25]
; %bb.2162:                             ;   in Loop: Header=BB30_2085 Depth=3
	s_or_b64 exec, exec, s[36:37]
	v_and_b32_e32 v25, 0xffff0000, v25
	v_and_b32_e32 v42, 0xffff0000, v17
	v_max_f32_e32 v42, v42, v42
	v_max_f32_e32 v25, v25, v25
	v_min_f32_e32 v43, v25, v42
	v_max_f32_e32 v25, v25, v42
	v_cndmask_b32_e32 v42, v25, v43, vcc
	v_and_b32_e32 v25, 0x7f800000, v42
	v_cmp_ne_u32_e64 s[24:25], s43, v25
                                        ; implicit-def: $vgpr25
	s_and_saveexec_b64 s[8:9], s[24:25]
	s_xor_b64 s[24:25], exec, s[8:9]
; %bb.2163:                             ;   in Loop: Header=BB30_2085 Depth=3
	v_bfe_u32 v25, v42, 16, 1
	v_add3_u32 v25, v42, v25, s40
                                        ; implicit-def: $vgpr42
; %bb.2164:                             ;   in Loop: Header=BB30_2085 Depth=3
	s_andn2_saveexec_b64 s[36:37], s[24:25]
; %bb.2165:                             ;   in Loop: Header=BB30_2085 Depth=3
	v_or_b32_e32 v25, 0x10000, v42
	v_cmp_eq_u32_sdwa s[24:25], v42, v3 src0_sel:WORD_0 src1_sel:DWORD
	s_nop 1
	v_cndmask_b32_e64 v25, v25, v42, s[24:25]
; %bb.2166:                             ;   in Loop: Header=BB30_2085 Depth=3
	s_or_b64 exec, exec, s[36:37]
	v_lshlrev_b32_e32 v42, 16, v26
	v_lshlrev_b32_e32 v43, 16, v18
	v_max_f32_e32 v43, v43, v43
	v_max_f32_e32 v42, v42, v42
	v_min_f32_e32 v74, v42, v43
	v_max_f32_e32 v42, v42, v43
	v_cndmask_b32_e32 v43, v42, v74, vcc
	v_and_b32_e32 v42, 0x7f800000, v43
	v_cmp_ne_u32_e64 s[24:25], s43, v42
                                        ; implicit-def: $vgpr42
	s_and_saveexec_b64 s[8:9], s[24:25]
	s_xor_b64 s[24:25], exec, s[8:9]
; %bb.2167:                             ;   in Loop: Header=BB30_2085 Depth=3
	v_bfe_u32 v42, v43, 16, 1
	v_add3_u32 v42, v43, v42, s40
                                        ; implicit-def: $vgpr43
; %bb.2168:                             ;   in Loop: Header=BB30_2085 Depth=3
	s_andn2_saveexec_b64 s[36:37], s[24:25]
; %bb.2169:                             ;   in Loop: Header=BB30_2085 Depth=3
	v_or_b32_e32 v42, 0x10000, v43
	v_cmp_eq_u32_sdwa s[24:25], v43, v3 src0_sel:WORD_0 src1_sel:DWORD
	s_nop 1
	v_cndmask_b32_e64 v42, v42, v43, s[24:25]
; %bb.2170:                             ;   in Loop: Header=BB30_2085 Depth=3
	s_or_b64 exec, exec, s[36:37]
	v_and_b32_e32 v26, 0xffff0000, v26
	v_and_b32_e32 v43, 0xffff0000, v18
	v_max_f32_e32 v43, v43, v43
	v_max_f32_e32 v26, v26, v26
	v_min_f32_e32 v74, v26, v43
	v_max_f32_e32 v26, v26, v43
	v_cndmask_b32_e32 v43, v26, v74, vcc
	v_and_b32_e32 v26, 0x7f800000, v43
	v_cmp_ne_u32_e64 s[24:25], s43, v26
                                        ; implicit-def: $vgpr26
	s_and_saveexec_b64 s[8:9], s[24:25]
	s_xor_b64 s[24:25], exec, s[8:9]
; %bb.2171:                             ;   in Loop: Header=BB30_2085 Depth=3
	v_bfe_u32 v26, v43, 16, 1
	v_add3_u32 v26, v43, v26, s40
                                        ; implicit-def: $vgpr43
; %bb.2172:                             ;   in Loop: Header=BB30_2085 Depth=3
	s_andn2_saveexec_b64 s[36:37], s[24:25]
; %bb.2173:                             ;   in Loop: Header=BB30_2085 Depth=3
	v_or_b32_e32 v26, 0x10000, v43
	v_cmp_eq_u32_sdwa s[24:25], v43, v3 src0_sel:WORD_0 src1_sel:DWORD
	s_nop 1
	v_cndmask_b32_e64 v26, v26, v43, s[24:25]
; %bb.2174:                             ;   in Loop: Header=BB30_2085 Depth=3
	s_or_b64 exec, exec, s[36:37]
	v_lshlrev_b32_e32 v43, 16, v27
	v_lshlrev_b32_e32 v74, 16, v19
	v_max_f32_e32 v74, v74, v74
	v_max_f32_e32 v43, v43, v43
	v_min_f32_e32 v75, v43, v74
	v_max_f32_e32 v43, v43, v74
	v_cndmask_b32_e32 v74, v43, v75, vcc
	v_and_b32_e32 v43, 0x7f800000, v74
	v_cmp_ne_u32_e64 s[24:25], s43, v43
                                        ; implicit-def: $vgpr43
	s_and_saveexec_b64 s[8:9], s[24:25]
	s_xor_b64 s[24:25], exec, s[8:9]
; %bb.2175:                             ;   in Loop: Header=BB30_2085 Depth=3
	v_bfe_u32 v43, v74, 16, 1
	v_add3_u32 v43, v74, v43, s40
                                        ; implicit-def: $vgpr74
; %bb.2176:                             ;   in Loop: Header=BB30_2085 Depth=3
	s_andn2_saveexec_b64 s[36:37], s[24:25]
; %bb.2177:                             ;   in Loop: Header=BB30_2085 Depth=3
	v_or_b32_e32 v43, 0x10000, v74
	v_cmp_eq_u32_sdwa s[24:25], v74, v3 src0_sel:WORD_0 src1_sel:DWORD
	s_nop 1
	v_cndmask_b32_e64 v43, v43, v74, s[24:25]
; %bb.2178:                             ;   in Loop: Header=BB30_2085 Depth=3
	s_or_b64 exec, exec, s[36:37]
	v_and_b32_e32 v27, 0xffff0000, v27
	v_and_b32_e32 v74, 0xffff0000, v19
	v_max_f32_e32 v74, v74, v74
	v_max_f32_e32 v27, v27, v27
	v_min_f32_e32 v75, v27, v74
	v_max_f32_e32 v27, v27, v74
	v_cndmask_b32_e32 v74, v27, v75, vcc
	v_and_b32_e32 v27, 0x7f800000, v74
	v_cmp_ne_u32_e64 s[24:25], s43, v27
                                        ; implicit-def: $vgpr27
	s_and_saveexec_b64 s[8:9], s[24:25]
	s_xor_b64 s[24:25], exec, s[8:9]
; %bb.2179:                             ;   in Loop: Header=BB30_2085 Depth=3
	v_bfe_u32 v27, v74, 16, 1
	v_add3_u32 v27, v74, v27, s40
                                        ; implicit-def: $vgpr74
; %bb.2180:                             ;   in Loop: Header=BB30_2085 Depth=3
	s_andn2_saveexec_b64 s[36:37], s[24:25]
; %bb.2181:                             ;   in Loop: Header=BB30_2085 Depth=3
	v_or_b32_e32 v27, 0x10000, v74
	v_cmp_eq_u32_sdwa s[24:25], v74, v3 src0_sel:WORD_0 src1_sel:DWORD
	s_nop 1
	v_cndmask_b32_e64 v27, v27, v74, s[24:25]
; %bb.2182:                             ;   in Loop: Header=BB30_2085 Depth=3
	s_or_b64 exec, exec, s[36:37]
	v_lshlrev_b32_e32 v74, 16, v12
	v_lshlrev_b32_e32 v75, 16, v8
	v_max_f32_e32 v75, v75, v75
	v_max_f32_e32 v74, v74, v74
	v_min_f32_e32 v78, v74, v75
	v_max_f32_e32 v74, v74, v75
	v_cndmask_b32_e32 v75, v74, v78, vcc
	v_and_b32_e32 v74, 0x7f800000, v75
	v_cmp_ne_u32_e64 s[24:25], s43, v74
                                        ; implicit-def: $vgpr74
	s_and_saveexec_b64 s[8:9], s[24:25]
	s_xor_b64 s[24:25], exec, s[8:9]
; %bb.2183:                             ;   in Loop: Header=BB30_2085 Depth=3
	v_bfe_u32 v74, v75, 16, 1
	v_add3_u32 v74, v75, v74, s40
                                        ; implicit-def: $vgpr75
; %bb.2184:                             ;   in Loop: Header=BB30_2085 Depth=3
	s_andn2_saveexec_b64 s[36:37], s[24:25]
; %bb.2185:                             ;   in Loop: Header=BB30_2085 Depth=3
	v_or_b32_e32 v74, 0x10000, v75
	v_cmp_eq_u32_sdwa s[24:25], v75, v3 src0_sel:WORD_0 src1_sel:DWORD
	s_nop 1
	v_cndmask_b32_e64 v74, v74, v75, s[24:25]
; %bb.2186:                             ;   in Loop: Header=BB30_2085 Depth=3
	s_or_b64 exec, exec, s[36:37]
	v_and_b32_e32 v12, 0xffff0000, v12
	v_and_b32_e32 v75, 0xffff0000, v8
	v_max_f32_e32 v75, v75, v75
	v_max_f32_e32 v12, v12, v12
	v_min_f32_e32 v78, v12, v75
	v_max_f32_e32 v12, v12, v75
	v_cndmask_b32_e32 v75, v12, v78, vcc
	v_and_b32_e32 v12, 0x7f800000, v75
	v_cmp_ne_u32_e64 s[24:25], s43, v12
                                        ; implicit-def: $vgpr12
	s_and_saveexec_b64 s[8:9], s[24:25]
	s_xor_b64 s[24:25], exec, s[8:9]
; %bb.2187:                             ;   in Loop: Header=BB30_2085 Depth=3
	v_bfe_u32 v12, v75, 16, 1
	v_add3_u32 v12, v75, v12, s40
                                        ; implicit-def: $vgpr75
; %bb.2188:                             ;   in Loop: Header=BB30_2085 Depth=3
	s_andn2_saveexec_b64 s[36:37], s[24:25]
; %bb.2189:                             ;   in Loop: Header=BB30_2085 Depth=3
	v_or_b32_e32 v12, 0x10000, v75
	v_cmp_eq_u32_sdwa s[24:25], v75, v3 src0_sel:WORD_0 src1_sel:DWORD
	s_nop 1
	v_cndmask_b32_e64 v12, v12, v75, s[24:25]
; %bb.2190:                             ;   in Loop: Header=BB30_2085 Depth=3
	s_or_b64 exec, exec, s[36:37]
	v_lshlrev_b32_e32 v75, 16, v13
	v_lshlrev_b32_e32 v78, 16, v9
	v_max_f32_e32 v78, v78, v78
	v_max_f32_e32 v75, v75, v75
	v_min_f32_e32 v79, v75, v78
	v_max_f32_e32 v75, v75, v78
	v_cndmask_b32_e32 v78, v75, v79, vcc
	v_and_b32_e32 v75, 0x7f800000, v78
	v_cmp_ne_u32_e64 s[24:25], s43, v75
                                        ; implicit-def: $vgpr75
	s_and_saveexec_b64 s[8:9], s[24:25]
	s_xor_b64 s[24:25], exec, s[8:9]
; %bb.2191:                             ;   in Loop: Header=BB30_2085 Depth=3
	v_bfe_u32 v75, v78, 16, 1
	v_add3_u32 v75, v78, v75, s40
                                        ; implicit-def: $vgpr78
; %bb.2192:                             ;   in Loop: Header=BB30_2085 Depth=3
	s_andn2_saveexec_b64 s[36:37], s[24:25]
; %bb.2193:                             ;   in Loop: Header=BB30_2085 Depth=3
	v_or_b32_e32 v75, 0x10000, v78
	v_cmp_eq_u32_sdwa s[24:25], v78, v3 src0_sel:WORD_0 src1_sel:DWORD
	s_nop 1
	v_cndmask_b32_e64 v75, v75, v78, s[24:25]
; %bb.2194:                             ;   in Loop: Header=BB30_2085 Depth=3
	s_or_b64 exec, exec, s[36:37]
	v_and_b32_e32 v13, 0xffff0000, v13
	v_and_b32_e32 v78, 0xffff0000, v9
	v_max_f32_e32 v78, v78, v78
	v_max_f32_e32 v13, v13, v13
	v_min_f32_e32 v79, v13, v78
	v_max_f32_e32 v13, v13, v78
	v_cndmask_b32_e32 v78, v13, v79, vcc
	v_and_b32_e32 v13, 0x7f800000, v78
	v_cmp_ne_u32_e64 s[24:25], s43, v13
                                        ; implicit-def: $vgpr13
	s_and_saveexec_b64 s[8:9], s[24:25]
	s_xor_b64 s[24:25], exec, s[8:9]
; %bb.2195:                             ;   in Loop: Header=BB30_2085 Depth=3
	v_bfe_u32 v13, v78, 16, 1
	v_add3_u32 v13, v78, v13, s40
                                        ; implicit-def: $vgpr78
; %bb.2196:                             ;   in Loop: Header=BB30_2085 Depth=3
	s_andn2_saveexec_b64 s[36:37], s[24:25]
; %bb.2197:                             ;   in Loop: Header=BB30_2085 Depth=3
	v_or_b32_e32 v13, 0x10000, v78
	v_cmp_eq_u32_sdwa s[24:25], v78, v3 src0_sel:WORD_0 src1_sel:DWORD
	s_nop 1
	v_cndmask_b32_e64 v13, v13, v78, s[24:25]
; %bb.2198:                             ;   in Loop: Header=BB30_2085 Depth=3
	s_or_b64 exec, exec, s[36:37]
	v_lshlrev_b32_e32 v78, 16, v14
	v_lshlrev_b32_e32 v79, 16, v10
	v_max_f32_e32 v79, v79, v79
	v_max_f32_e32 v78, v78, v78
	v_min_f32_e32 v94, v78, v79
	v_max_f32_e32 v78, v78, v79
	v_cndmask_b32_e32 v79, v78, v94, vcc
	v_and_b32_e32 v78, 0x7f800000, v79
	v_cmp_ne_u32_e64 s[24:25], s43, v78
                                        ; implicit-def: $vgpr78
	s_and_saveexec_b64 s[8:9], s[24:25]
	s_xor_b64 s[24:25], exec, s[8:9]
; %bb.2199:                             ;   in Loop: Header=BB30_2085 Depth=3
	v_bfe_u32 v78, v79, 16, 1
	v_add3_u32 v78, v79, v78, s40
                                        ; implicit-def: $vgpr79
; %bb.2200:                             ;   in Loop: Header=BB30_2085 Depth=3
	s_andn2_saveexec_b64 s[36:37], s[24:25]
; %bb.2201:                             ;   in Loop: Header=BB30_2085 Depth=3
	v_or_b32_e32 v78, 0x10000, v79
	v_cmp_eq_u32_sdwa s[24:25], v79, v3 src0_sel:WORD_0 src1_sel:DWORD
	s_nop 1
	v_cndmask_b32_e64 v78, v78, v79, s[24:25]
; %bb.2202:                             ;   in Loop: Header=BB30_2085 Depth=3
	s_or_b64 exec, exec, s[36:37]
	v_and_b32_e32 v14, 0xffff0000, v14
	v_and_b32_e32 v79, 0xffff0000, v10
	v_max_f32_e32 v79, v79, v79
	v_max_f32_e32 v14, v14, v14
	v_min_f32_e32 v94, v14, v79
	v_max_f32_e32 v14, v14, v79
	v_cndmask_b32_e32 v79, v14, v94, vcc
	v_and_b32_e32 v14, 0x7f800000, v79
	v_cmp_ne_u32_e64 s[24:25], s43, v14
                                        ; implicit-def: $vgpr14
	s_and_saveexec_b64 s[8:9], s[24:25]
	s_xor_b64 s[24:25], exec, s[8:9]
; %bb.2203:                             ;   in Loop: Header=BB30_2085 Depth=3
	v_bfe_u32 v14, v79, 16, 1
	v_add3_u32 v14, v79, v14, s40
                                        ; implicit-def: $vgpr79
; %bb.2204:                             ;   in Loop: Header=BB30_2085 Depth=3
	s_andn2_saveexec_b64 s[36:37], s[24:25]
; %bb.2205:                             ;   in Loop: Header=BB30_2085 Depth=3
	v_or_b32_e32 v14, 0x10000, v79
	v_cmp_eq_u32_sdwa s[24:25], v79, v3 src0_sel:WORD_0 src1_sel:DWORD
	s_nop 1
	v_cndmask_b32_e64 v14, v14, v79, s[24:25]
; %bb.2206:                             ;   in Loop: Header=BB30_2085 Depth=3
	s_or_b64 exec, exec, s[36:37]
	v_lshlrev_b32_e32 v79, 16, v15
	v_lshlrev_b32_e32 v94, 16, v11
	v_max_f32_e32 v94, v94, v94
	v_max_f32_e32 v79, v79, v79
	v_min_f32_e32 v95, v79, v94
	v_max_f32_e32 v79, v79, v94
	v_cndmask_b32_e32 v94, v79, v95, vcc
	v_and_b32_e32 v79, 0x7f800000, v94
	v_cmp_ne_u32_e64 s[24:25], s43, v79
                                        ; implicit-def: $vgpr79
	s_and_saveexec_b64 s[8:9], s[24:25]
	s_xor_b64 s[24:25], exec, s[8:9]
; %bb.2207:                             ;   in Loop: Header=BB30_2085 Depth=3
	v_bfe_u32 v79, v94, 16, 1
	v_add3_u32 v79, v94, v79, s40
                                        ; implicit-def: $vgpr94
; %bb.2208:                             ;   in Loop: Header=BB30_2085 Depth=3
	s_andn2_saveexec_b64 s[36:37], s[24:25]
; %bb.2209:                             ;   in Loop: Header=BB30_2085 Depth=3
	v_or_b32_e32 v79, 0x10000, v94
	v_cmp_eq_u32_sdwa s[24:25], v94, v3 src0_sel:WORD_0 src1_sel:DWORD
	s_nop 1
	v_cndmask_b32_e64 v79, v79, v94, s[24:25]
; %bb.2210:                             ;   in Loop: Header=BB30_2085 Depth=3
	s_or_b64 exec, exec, s[36:37]
	v_and_b32_e32 v15, 0xffff0000, v15
	v_and_b32_e32 v94, 0xffff0000, v11
	v_max_f32_e32 v94, v94, v94
	v_max_f32_e32 v15, v15, v15
	v_min_f32_e32 v95, v15, v94
	v_max_f32_e32 v15, v15, v94
	v_cndmask_b32_e32 v94, v15, v95, vcc
	v_and_b32_e32 v15, 0x7f800000, v94
	v_cmp_ne_u32_e64 s[24:25], s43, v15
                                        ; implicit-def: $vgpr15
	s_and_saveexec_b64 s[8:9], s[24:25]
	s_xor_b64 s[24:25], exec, s[8:9]
; %bb.2211:                             ;   in Loop: Header=BB30_2085 Depth=3
	v_bfe_u32 v15, v94, 16, 1
	v_add3_u32 v15, v94, v15, s40
                                        ; implicit-def: $vgpr94
; %bb.2212:                             ;   in Loop: Header=BB30_2085 Depth=3
	s_andn2_saveexec_b64 s[36:37], s[24:25]
; %bb.2213:                             ;   in Loop: Header=BB30_2085 Depth=3
	v_or_b32_e32 v15, 0x10000, v94
	v_cmp_eq_u32_sdwa s[24:25], v94, v3 src0_sel:WORD_0 src1_sel:DWORD
	s_nop 1
	v_cndmask_b32_e64 v15, v15, v94, s[24:25]
; %bb.2214:                             ;   in Loop: Header=BB30_2085 Depth=3
	s_or_b64 exec, exec, s[36:37]
	v_lshrrev_b32_e32 v38, 16, v38
	v_and_or_b32 v24, v24, s41, v38
	v_lshrrev_b32_e32 v38, 16, v42
	v_and_or_b32 v26, v26, s41, v38
	v_lshrrev_b32_e32 v38, 16, v43
	v_and_or_b32 v27, v27, s41, v38
	v_lshrrev_b32_e32 v38, 16, v44
	v_and_or_b32 v37, v37, s41, v38
	v_lshrrev_b32_e32 v38, 16, v73
	v_and_or_b32 v36, v36, s41, v38
	v_lshrrev_b32_e32 v38, 16, v45
	v_lshrrev_b32_e32 v39, 16, v39
	v_and_or_b32 v38, v6, s41, v38
	v_lshrrev_b32_e32 v6, 16, v7
	v_and_or_b32 v25, v25, s41, v39
	v_and_or_b32 v39, v30, s41, v6
	v_lshrrev_b32_e32 v6, 16, v119
	v_and_or_b32 v81, v81, s41, v6
	v_lshrrev_b32_e32 v6, 16, v118
	v_and_or_b32 v80, v80, s41, v6
	v_lshrrev_b32_e32 v6, 16, v63
	v_and_or_b32 v82, v82, s41, v6
	v_lshrrev_b32_e32 v6, 16, v72
	v_and_or_b32 v83, v83, s41, v6
	v_lshrrev_b32_e32 v6, 16, v75
	v_and_or_b32 v13, v13, s41, v6
	v_lshrrev_b32_e32 v6, 16, v74
	v_and_or_b32 v12, v12, s41, v6
	v_lshrrev_b32_e32 v6, 16, v78
	v_and_or_b32 v14, v14, s41, v6
	v_lshrrev_b32_e32 v6, 16, v79
	v_and_or_b32 v15, v15, s41, v6
	global_store_dwordx4 v[4:5], v[80:83], off
	global_store_dwordx4 v[4:5], v[36:39], off offset:1024
	global_store_dwordx4 v[4:5], v[24:27], off offset:2048
	;; [unrolled: 1-line block ×3, first 2 shown]
	v_lshl_add_u64 v[4:5], v[4:5], 0, v[106:107]
.LBB30_2215:                            ;   in Loop: Header=BB30_2085 Depth=3
	s_or_b64 exec, exec, s[38:39]
	v_sub_u32_e32 v1, v1, v60
	v_lshl_add_u64 v[116:117], v[116:117], 0, v[106:107]
	v_lshl_add_u64 v[118:119], v[58:59], 0, v[106:107]
	v_cmp_lt_i32_e64 s[36:37], 0, v1
	s_and_saveexec_b64 s[24:25], s[36:37]
	s_cbranch_execz .LBB30_2217
; %bb.2216:                             ;   in Loop: Header=BB30_2085 Depth=3
	global_load_dwordx4 v[80:83], v[116:117], off nt
	global_load_dwordx4 v[36:39], v[116:117], off offset:1024 nt
	global_load_dwordx4 v[24:27], v[116:117], off offset:2048 nt
	;; [unrolled: 1-line block ×3, first 2 shown]
	global_load_dwordx4 v[32:35], v[118:119], off nt
	global_load_dwordx4 v[20:23], v[118:119], off offset:1024 nt
	global_load_dwordx4 v[16:19], v[118:119], off offset:2048 nt
	;; [unrolled: 1-line block ×3, first 2 shown]
	v_lshl_add_u64 v[116:117], v[116:117], 0, s[72:73]
	v_lshl_add_u64 v[118:119], v[118:119], 0, s[72:73]
.LBB30_2217:                            ;   in Loop: Header=BB30_2085 Depth=3
	s_or_b64 exec, exec, s[24:25]
	s_waitcnt vmcnt(7)
	v_lshlrev_b32_e32 v6, 16, v100
	s_waitcnt vmcnt(3)
	v_lshlrev_b32_e32 v7, 16, v112
	v_max_f32_e32 v7, v7, v7
	v_max_f32_e32 v6, v6, v6
	v_min_f32_e32 v30, v6, v7
	v_max_f32_e32 v6, v6, v7
	v_cndmask_b32_e32 v6, v6, v30, vcc
	v_and_b32_e32 v7, 0x7f800000, v6
	v_cmp_ne_u32_e64 s[24:25], s43, v7
                                        ; implicit-def: $vgpr58
	s_and_saveexec_b64 s[8:9], s[24:25]
	s_xor_b64 s[24:25], exec, s[8:9]
; %bb.2218:                             ;   in Loop: Header=BB30_2085 Depth=3
	v_bfe_u32 v7, v6, 16, 1
	v_add3_u32 v58, v6, v7, s40
                                        ; implicit-def: $vgpr6
; %bb.2219:                             ;   in Loop: Header=BB30_2085 Depth=3
	s_andn2_saveexec_b64 s[38:39], s[24:25]
; %bb.2220:                             ;   in Loop: Header=BB30_2085 Depth=3
	v_or_b32_e32 v7, 0x10000, v6
	v_cmp_eq_u32_sdwa s[24:25], v6, v3 src0_sel:WORD_0 src1_sel:DWORD
	s_nop 1
	v_cndmask_b32_e64 v58, v7, v6, s[24:25]
; %bb.2221:                             ;   in Loop: Header=BB30_2085 Depth=3
	s_or_b64 exec, exec, s[38:39]
	v_and_b32_e32 v6, 0xffff0000, v100
	v_and_b32_e32 v7, 0xffff0000, v112
	v_max_f32_e32 v7, v7, v7
	v_max_f32_e32 v6, v6, v6
	v_min_f32_e32 v30, v6, v7
	v_max_f32_e32 v6, v6, v7
	v_cndmask_b32_e32 v6, v6, v30, vcc
	v_and_b32_e32 v7, 0x7f800000, v6
	v_cmp_ne_u32_e64 s[24:25], s43, v7
                                        ; implicit-def: $vgpr100
	s_and_saveexec_b64 s[8:9], s[24:25]
	s_xor_b64 s[24:25], exec, s[8:9]
; %bb.2222:                             ;   in Loop: Header=BB30_2085 Depth=3
	v_bfe_u32 v7, v6, 16, 1
	v_add3_u32 v100, v6, v7, s40
                                        ; implicit-def: $vgpr6
; %bb.2223:                             ;   in Loop: Header=BB30_2085 Depth=3
	s_andn2_saveexec_b64 s[38:39], s[24:25]
; %bb.2224:                             ;   in Loop: Header=BB30_2085 Depth=3
	v_or_b32_e32 v7, 0x10000, v6
	v_cmp_eq_u32_sdwa s[24:25], v6, v3 src0_sel:WORD_0 src1_sel:DWORD
	s_nop 1
	v_cndmask_b32_e64 v100, v7, v6, s[24:25]
; %bb.2225:                             ;   in Loop: Header=BB30_2085 Depth=3
	s_or_b64 exec, exec, s[38:39]
	v_lshlrev_b32_e32 v6, 16, v101
	v_lshlrev_b32_e32 v7, 16, v113
	v_max_f32_e32 v7, v7, v7
	v_max_f32_e32 v6, v6, v6
	v_min_f32_e32 v30, v6, v7
	v_max_f32_e32 v6, v6, v7
	v_cndmask_b32_e32 v6, v6, v30, vcc
	v_and_b32_e32 v7, 0x7f800000, v6
	v_cmp_ne_u32_e64 s[24:25], s43, v7
                                        ; implicit-def: $vgpr112
	s_and_saveexec_b64 s[8:9], s[24:25]
	s_xor_b64 s[24:25], exec, s[8:9]
; %bb.2226:                             ;   in Loop: Header=BB30_2085 Depth=3
	v_bfe_u32 v7, v6, 16, 1
	v_add3_u32 v112, v6, v7, s40
                                        ; implicit-def: $vgpr6
; %bb.2227:                             ;   in Loop: Header=BB30_2085 Depth=3
	s_andn2_saveexec_b64 s[38:39], s[24:25]
; %bb.2228:                             ;   in Loop: Header=BB30_2085 Depth=3
	v_or_b32_e32 v7, 0x10000, v6
	v_cmp_eq_u32_sdwa s[24:25], v6, v3 src0_sel:WORD_0 src1_sel:DWORD
	s_nop 1
	v_cndmask_b32_e64 v112, v7, v6, s[24:25]
; %bb.2229:                             ;   in Loop: Header=BB30_2085 Depth=3
	s_or_b64 exec, exec, s[38:39]
	v_and_b32_e32 v6, 0xffff0000, v101
	v_and_b32_e32 v7, 0xffff0000, v113
	v_max_f32_e32 v7, v7, v7
	v_max_f32_e32 v6, v6, v6
	v_min_f32_e32 v30, v6, v7
	v_max_f32_e32 v6, v6, v7
	v_cndmask_b32_e32 v6, v6, v30, vcc
	v_and_b32_e32 v7, 0x7f800000, v6
	v_cmp_ne_u32_e64 s[24:25], s43, v7
                                        ; implicit-def: $vgpr101
	s_and_saveexec_b64 s[8:9], s[24:25]
	s_xor_b64 s[24:25], exec, s[8:9]
; %bb.2230:                             ;   in Loop: Header=BB30_2085 Depth=3
	v_bfe_u32 v7, v6, 16, 1
	v_add3_u32 v101, v6, v7, s40
                                        ; implicit-def: $vgpr6
; %bb.2231:                             ;   in Loop: Header=BB30_2085 Depth=3
	s_andn2_saveexec_b64 s[38:39], s[24:25]
; %bb.2232:                             ;   in Loop: Header=BB30_2085 Depth=3
	v_or_b32_e32 v7, 0x10000, v6
	v_cmp_eq_u32_sdwa s[24:25], v6, v3 src0_sel:WORD_0 src1_sel:DWORD
	s_nop 1
	v_cndmask_b32_e64 v101, v7, v6, s[24:25]
; %bb.2233:                             ;   in Loop: Header=BB30_2085 Depth=3
	s_or_b64 exec, exec, s[38:39]
	v_lshlrev_b32_e32 v6, 16, v102
	v_lshlrev_b32_e32 v7, 16, v114
	v_max_f32_e32 v7, v7, v7
	v_max_f32_e32 v6, v6, v6
	v_min_f32_e32 v30, v6, v7
	v_max_f32_e32 v6, v6, v7
	v_cndmask_b32_e32 v6, v6, v30, vcc
	v_and_b32_e32 v7, 0x7f800000, v6
	v_cmp_ne_u32_e64 s[24:25], s43, v7
                                        ; implicit-def: $vgpr113
	s_and_saveexec_b64 s[8:9], s[24:25]
	s_xor_b64 s[24:25], exec, s[8:9]
; %bb.2234:                             ;   in Loop: Header=BB30_2085 Depth=3
	v_bfe_u32 v7, v6, 16, 1
	v_add3_u32 v113, v6, v7, s40
                                        ; implicit-def: $vgpr6
; %bb.2235:                             ;   in Loop: Header=BB30_2085 Depth=3
	s_andn2_saveexec_b64 s[38:39], s[24:25]
; %bb.2236:                             ;   in Loop: Header=BB30_2085 Depth=3
	v_or_b32_e32 v7, 0x10000, v6
	v_cmp_eq_u32_sdwa s[24:25], v6, v3 src0_sel:WORD_0 src1_sel:DWORD
	s_nop 1
	v_cndmask_b32_e64 v113, v7, v6, s[24:25]
; %bb.2237:                             ;   in Loop: Header=BB30_2085 Depth=3
	s_or_b64 exec, exec, s[38:39]
	v_and_b32_e32 v6, 0xffff0000, v102
	v_and_b32_e32 v7, 0xffff0000, v114
	v_max_f32_e32 v7, v7, v7
	v_max_f32_e32 v6, v6, v6
	v_min_f32_e32 v30, v6, v7
	v_max_f32_e32 v6, v6, v7
	v_cndmask_b32_e32 v6, v6, v30, vcc
	v_and_b32_e32 v7, 0x7f800000, v6
	v_cmp_ne_u32_e64 s[24:25], s43, v7
                                        ; implicit-def: $vgpr102
	s_and_saveexec_b64 s[8:9], s[24:25]
	s_xor_b64 s[24:25], exec, s[8:9]
; %bb.2238:                             ;   in Loop: Header=BB30_2085 Depth=3
	v_bfe_u32 v7, v6, 16, 1
	v_add3_u32 v102, v6, v7, s40
                                        ; implicit-def: $vgpr6
; %bb.2239:                             ;   in Loop: Header=BB30_2085 Depth=3
	s_andn2_saveexec_b64 s[38:39], s[24:25]
; %bb.2240:                             ;   in Loop: Header=BB30_2085 Depth=3
	v_or_b32_e32 v7, 0x10000, v6
	v_cmp_eq_u32_sdwa s[24:25], v6, v3 src0_sel:WORD_0 src1_sel:DWORD
	s_nop 1
	v_cndmask_b32_e64 v102, v7, v6, s[24:25]
; %bb.2241:                             ;   in Loop: Header=BB30_2085 Depth=3
	s_or_b64 exec, exec, s[38:39]
	v_lshlrev_b32_e32 v6, 16, v103
	v_lshlrev_b32_e32 v7, 16, v115
	v_max_f32_e32 v7, v7, v7
	v_max_f32_e32 v6, v6, v6
	v_min_f32_e32 v30, v6, v7
	v_max_f32_e32 v6, v6, v7
	v_cndmask_b32_e32 v6, v6, v30, vcc
	v_and_b32_e32 v7, 0x7f800000, v6
	v_cmp_ne_u32_e64 s[24:25], s43, v7
                                        ; implicit-def: $vgpr114
	s_and_saveexec_b64 s[8:9], s[24:25]
	s_xor_b64 s[24:25], exec, s[8:9]
; %bb.2242:                             ;   in Loop: Header=BB30_2085 Depth=3
	v_bfe_u32 v7, v6, 16, 1
	v_add3_u32 v114, v6, v7, s40
                                        ; implicit-def: $vgpr6
; %bb.2243:                             ;   in Loop: Header=BB30_2085 Depth=3
	s_andn2_saveexec_b64 s[38:39], s[24:25]
; %bb.2244:                             ;   in Loop: Header=BB30_2085 Depth=3
	v_or_b32_e32 v7, 0x10000, v6
	v_cmp_eq_u32_sdwa s[24:25], v6, v3 src0_sel:WORD_0 src1_sel:DWORD
	s_nop 1
	v_cndmask_b32_e64 v114, v7, v6, s[24:25]
; %bb.2245:                             ;   in Loop: Header=BB30_2085 Depth=3
	s_or_b64 exec, exec, s[38:39]
	v_and_b32_e32 v6, 0xffff0000, v103
	v_and_b32_e32 v7, 0xffff0000, v115
	v_max_f32_e32 v7, v7, v7
	v_max_f32_e32 v6, v6, v6
	v_min_f32_e32 v30, v6, v7
	v_max_f32_e32 v6, v6, v7
	v_cndmask_b32_e32 v6, v6, v30, vcc
	v_and_b32_e32 v7, 0x7f800000, v6
	v_cmp_ne_u32_e64 s[24:25], s43, v7
                                        ; implicit-def: $vgpr103
	s_and_saveexec_b64 s[8:9], s[24:25]
	s_xor_b64 s[24:25], exec, s[8:9]
; %bb.2246:                             ;   in Loop: Header=BB30_2085 Depth=3
	v_bfe_u32 v7, v6, 16, 1
	v_add3_u32 v103, v6, v7, s40
                                        ; implicit-def: $vgpr6
; %bb.2247:                             ;   in Loop: Header=BB30_2085 Depth=3
	s_andn2_saveexec_b64 s[38:39], s[24:25]
; %bb.2248:                             ;   in Loop: Header=BB30_2085 Depth=3
	v_or_b32_e32 v7, 0x10000, v6
	v_cmp_eq_u32_sdwa s[24:25], v6, v3 src0_sel:WORD_0 src1_sel:DWORD
	s_nop 1
	v_cndmask_b32_e64 v103, v7, v6, s[24:25]
; %bb.2249:                             ;   in Loop: Header=BB30_2085 Depth=3
	s_or_b64 exec, exec, s[38:39]
	v_lshlrev_b32_e32 v6, 16, v84
	s_waitcnt vmcnt(2)
	v_lshlrev_b32_e32 v7, 16, v96
	v_max_f32_e32 v7, v7, v7
	v_max_f32_e32 v6, v6, v6
	v_min_f32_e32 v30, v6, v7
	v_max_f32_e32 v6, v6, v7
	v_cndmask_b32_e32 v6, v6, v30, vcc
	v_and_b32_e32 v7, 0x7f800000, v6
	v_cmp_ne_u32_e64 s[24:25], s43, v7
                                        ; implicit-def: $vgpr115
	s_and_saveexec_b64 s[8:9], s[24:25]
	s_xor_b64 s[24:25], exec, s[8:9]
; %bb.2250:                             ;   in Loop: Header=BB30_2085 Depth=3
	v_bfe_u32 v7, v6, 16, 1
	v_add3_u32 v115, v6, v7, s40
                                        ; implicit-def: $vgpr6
; %bb.2251:                             ;   in Loop: Header=BB30_2085 Depth=3
	s_andn2_saveexec_b64 s[38:39], s[24:25]
; %bb.2252:                             ;   in Loop: Header=BB30_2085 Depth=3
	v_or_b32_e32 v7, 0x10000, v6
	v_cmp_eq_u32_sdwa s[24:25], v6, v3 src0_sel:WORD_0 src1_sel:DWORD
	s_nop 1
	v_cndmask_b32_e64 v115, v7, v6, s[24:25]
; %bb.2253:                             ;   in Loop: Header=BB30_2085 Depth=3
	s_or_b64 exec, exec, s[38:39]
	v_and_b32_e32 v6, 0xffff0000, v84
	v_and_b32_e32 v7, 0xffff0000, v96
	v_max_f32_e32 v7, v7, v7
	v_max_f32_e32 v6, v6, v6
	v_min_f32_e32 v30, v6, v7
	v_max_f32_e32 v6, v6, v7
	v_cndmask_b32_e32 v6, v6, v30, vcc
	v_and_b32_e32 v7, 0x7f800000, v6
	v_cmp_ne_u32_e64 s[24:25], s43, v7
                                        ; implicit-def: $vgpr84
	s_and_saveexec_b64 s[8:9], s[24:25]
	s_xor_b64 s[24:25], exec, s[8:9]
; %bb.2254:                             ;   in Loop: Header=BB30_2085 Depth=3
	v_bfe_u32 v7, v6, 16, 1
	v_add3_u32 v84, v6, v7, s40
                                        ; implicit-def: $vgpr6
; %bb.2255:                             ;   in Loop: Header=BB30_2085 Depth=3
	s_andn2_saveexec_b64 s[38:39], s[24:25]
; %bb.2256:                             ;   in Loop: Header=BB30_2085 Depth=3
	v_or_b32_e32 v7, 0x10000, v6
	v_cmp_eq_u32_sdwa s[24:25], v6, v3 src0_sel:WORD_0 src1_sel:DWORD
	s_nop 1
	v_cndmask_b32_e64 v84, v7, v6, s[24:25]
; %bb.2257:                             ;   in Loop: Header=BB30_2085 Depth=3
	s_or_b64 exec, exec, s[38:39]
	v_lshlrev_b32_e32 v6, 16, v85
	v_lshlrev_b32_e32 v7, 16, v97
	v_max_f32_e32 v7, v7, v7
	v_max_f32_e32 v6, v6, v6
	v_min_f32_e32 v30, v6, v7
	v_max_f32_e32 v6, v6, v7
	v_cndmask_b32_e32 v6, v6, v30, vcc
	v_and_b32_e32 v7, 0x7f800000, v6
	v_cmp_ne_u32_e64 s[24:25], s43, v7
                                        ; implicit-def: $vgpr96
	s_and_saveexec_b64 s[8:9], s[24:25]
	s_xor_b64 s[24:25], exec, s[8:9]
; %bb.2258:                             ;   in Loop: Header=BB30_2085 Depth=3
	v_bfe_u32 v7, v6, 16, 1
	v_add3_u32 v96, v6, v7, s40
                                        ; implicit-def: $vgpr6
; %bb.2259:                             ;   in Loop: Header=BB30_2085 Depth=3
	s_andn2_saveexec_b64 s[38:39], s[24:25]
; %bb.2260:                             ;   in Loop: Header=BB30_2085 Depth=3
	v_or_b32_e32 v7, 0x10000, v6
	v_cmp_eq_u32_sdwa s[24:25], v6, v3 src0_sel:WORD_0 src1_sel:DWORD
	s_nop 1
	v_cndmask_b32_e64 v96, v7, v6, s[24:25]
; %bb.2261:                             ;   in Loop: Header=BB30_2085 Depth=3
	s_or_b64 exec, exec, s[38:39]
	v_and_b32_e32 v6, 0xffff0000, v85
	v_and_b32_e32 v7, 0xffff0000, v97
	v_max_f32_e32 v7, v7, v7
	v_max_f32_e32 v6, v6, v6
	v_min_f32_e32 v30, v6, v7
	v_max_f32_e32 v6, v6, v7
	v_cndmask_b32_e32 v6, v6, v30, vcc
	v_and_b32_e32 v7, 0x7f800000, v6
	v_cmp_ne_u32_e64 s[24:25], s43, v7
                                        ; implicit-def: $vgpr85
	s_and_saveexec_b64 s[8:9], s[24:25]
	s_xor_b64 s[24:25], exec, s[8:9]
; %bb.2262:                             ;   in Loop: Header=BB30_2085 Depth=3
	v_bfe_u32 v7, v6, 16, 1
	v_add3_u32 v85, v6, v7, s40
                                        ; implicit-def: $vgpr6
; %bb.2263:                             ;   in Loop: Header=BB30_2085 Depth=3
	s_andn2_saveexec_b64 s[38:39], s[24:25]
; %bb.2264:                             ;   in Loop: Header=BB30_2085 Depth=3
	v_or_b32_e32 v7, 0x10000, v6
	v_cmp_eq_u32_sdwa s[24:25], v6, v3 src0_sel:WORD_0 src1_sel:DWORD
	s_nop 1
	v_cndmask_b32_e64 v85, v7, v6, s[24:25]
; %bb.2265:                             ;   in Loop: Header=BB30_2085 Depth=3
	s_or_b64 exec, exec, s[38:39]
	v_lshlrev_b32_e32 v6, 16, v86
	v_lshlrev_b32_e32 v7, 16, v98
	v_max_f32_e32 v7, v7, v7
	v_max_f32_e32 v6, v6, v6
	v_min_f32_e32 v30, v6, v7
	v_max_f32_e32 v6, v6, v7
	v_cndmask_b32_e32 v7, v6, v30, vcc
	v_and_b32_e32 v6, 0x7f800000, v7
	v_cmp_ne_u32_e64 s[24:25], s43, v6
                                        ; implicit-def: $vgpr6
	s_and_saveexec_b64 s[8:9], s[24:25]
	s_xor_b64 s[24:25], exec, s[8:9]
; %bb.2266:                             ;   in Loop: Header=BB30_2085 Depth=3
	v_bfe_u32 v6, v7, 16, 1
	v_add3_u32 v6, v7, v6, s40
                                        ; implicit-def: $vgpr7
; %bb.2267:                             ;   in Loop: Header=BB30_2085 Depth=3
	s_andn2_saveexec_b64 s[38:39], s[24:25]
; %bb.2268:                             ;   in Loop: Header=BB30_2085 Depth=3
	v_or_b32_e32 v6, 0x10000, v7
	v_cmp_eq_u32_sdwa s[24:25], v7, v3 src0_sel:WORD_0 src1_sel:DWORD
	s_nop 1
	v_cndmask_b32_e64 v6, v6, v7, s[24:25]
; %bb.2269:                             ;   in Loop: Header=BB30_2085 Depth=3
	s_or_b64 exec, exec, s[38:39]
	v_and_b32_e32 v7, 0xffff0000, v86
	v_and_b32_e32 v30, 0xffff0000, v98
	v_max_f32_e32 v30, v30, v30
	v_max_f32_e32 v7, v7, v7
	v_min_f32_e32 v86, v7, v30
	v_max_f32_e32 v7, v7, v30
	v_cndmask_b32_e32 v30, v7, v86, vcc
	v_and_b32_e32 v7, 0x7f800000, v30
	v_cmp_ne_u32_e64 s[24:25], s43, v7
                                        ; implicit-def: $vgpr7
	s_and_saveexec_b64 s[8:9], s[24:25]
	s_xor_b64 s[24:25], exec, s[8:9]
; %bb.2270:                             ;   in Loop: Header=BB30_2085 Depth=3
	v_bfe_u32 v7, v30, 16, 1
	v_add3_u32 v7, v30, v7, s40
                                        ; implicit-def: $vgpr30
; %bb.2271:                             ;   in Loop: Header=BB30_2085 Depth=3
	s_andn2_saveexec_b64 s[38:39], s[24:25]
; %bb.2272:                             ;   in Loop: Header=BB30_2085 Depth=3
	v_or_b32_e32 v7, 0x10000, v30
	v_cmp_eq_u32_sdwa s[24:25], v30, v3 src0_sel:WORD_0 src1_sel:DWORD
	s_nop 1
	v_cndmask_b32_e64 v7, v7, v30, s[24:25]
; %bb.2273:                             ;   in Loop: Header=BB30_2085 Depth=3
	s_or_b64 exec, exec, s[38:39]
	v_lshlrev_b32_e32 v30, 16, v87
	v_lshlrev_b32_e32 v86, 16, v99
	v_max_f32_e32 v86, v86, v86
	v_max_f32_e32 v30, v30, v30
	v_min_f32_e32 v97, v30, v86
	v_max_f32_e32 v30, v30, v86
	v_cndmask_b32_e32 v86, v30, v97, vcc
	v_and_b32_e32 v30, 0x7f800000, v86
	v_cmp_ne_u32_e64 s[24:25], s43, v30
                                        ; implicit-def: $vgpr30
	s_and_saveexec_b64 s[8:9], s[24:25]
	s_xor_b64 s[24:25], exec, s[8:9]
; %bb.2274:                             ;   in Loop: Header=BB30_2085 Depth=3
	v_bfe_u32 v30, v86, 16, 1
	v_add3_u32 v30, v86, v30, s40
                                        ; implicit-def: $vgpr86
; %bb.2275:                             ;   in Loop: Header=BB30_2085 Depth=3
	s_andn2_saveexec_b64 s[38:39], s[24:25]
; %bb.2276:                             ;   in Loop: Header=BB30_2085 Depth=3
	v_or_b32_e32 v30, 0x10000, v86
	v_cmp_eq_u32_sdwa s[24:25], v86, v3 src0_sel:WORD_0 src1_sel:DWORD
	s_nop 1
	v_cndmask_b32_e64 v30, v30, v86, s[24:25]
; %bb.2277:                             ;   in Loop: Header=BB30_2085 Depth=3
	s_or_b64 exec, exec, s[38:39]
	v_and_b32_e32 v86, 0xffff0000, v87
	v_and_b32_e32 v87, 0xffff0000, v99
	v_max_f32_e32 v87, v87, v87
	v_max_f32_e32 v86, v86, v86
	v_min_f32_e32 v97, v86, v87
	v_max_f32_e32 v86, v86, v87
	v_cndmask_b32_e32 v87, v86, v97, vcc
	v_and_b32_e32 v86, 0x7f800000, v87
	v_cmp_ne_u32_e64 s[24:25], s43, v86
                                        ; implicit-def: $vgpr86
	s_and_saveexec_b64 s[8:9], s[24:25]
	s_xor_b64 s[24:25], exec, s[8:9]
; %bb.2278:                             ;   in Loop: Header=BB30_2085 Depth=3
	v_bfe_u32 v86, v87, 16, 1
	v_add3_u32 v86, v87, v86, s40
                                        ; implicit-def: $vgpr87
; %bb.2279:                             ;   in Loop: Header=BB30_2085 Depth=3
	s_andn2_saveexec_b64 s[38:39], s[24:25]
; %bb.2280:                             ;   in Loop: Header=BB30_2085 Depth=3
	v_or_b32_e32 v86, 0x10000, v87
	v_cmp_eq_u32_sdwa s[24:25], v87, v3 src0_sel:WORD_0 src1_sel:DWORD
	s_nop 1
	v_cndmask_b32_e64 v86, v86, v87, s[24:25]
; %bb.2281:                             ;   in Loop: Header=BB30_2085 Depth=3
	s_or_b64 exec, exec, s[38:39]
	v_lshlrev_b32_e32 v87, 16, v64
	s_waitcnt vmcnt(1)
	v_lshlrev_b32_e32 v97, 16, v68
	v_max_f32_e32 v97, v97, v97
	v_max_f32_e32 v87, v87, v87
	v_min_f32_e32 v98, v87, v97
	v_max_f32_e32 v87, v87, v97
	v_cndmask_b32_e32 v97, v87, v98, vcc
	v_and_b32_e32 v87, 0x7f800000, v97
	v_cmp_ne_u32_e64 s[24:25], s43, v87
                                        ; implicit-def: $vgpr87
	s_and_saveexec_b64 s[8:9], s[24:25]
	s_xor_b64 s[24:25], exec, s[8:9]
; %bb.2282:                             ;   in Loop: Header=BB30_2085 Depth=3
	v_bfe_u32 v87, v97, 16, 1
	v_add3_u32 v87, v97, v87, s40
                                        ; implicit-def: $vgpr97
; %bb.2283:                             ;   in Loop: Header=BB30_2085 Depth=3
	s_andn2_saveexec_b64 s[38:39], s[24:25]
; %bb.2284:                             ;   in Loop: Header=BB30_2085 Depth=3
	v_or_b32_e32 v87, 0x10000, v97
	v_cmp_eq_u32_sdwa s[24:25], v97, v3 src0_sel:WORD_0 src1_sel:DWORD
	s_nop 1
	v_cndmask_b32_e64 v87, v87, v97, s[24:25]
; %bb.2285:                             ;   in Loop: Header=BB30_2085 Depth=3
	s_or_b64 exec, exec, s[38:39]
	v_and_b32_e32 v64, 0xffff0000, v64
	v_and_b32_e32 v68, 0xffff0000, v68
	v_max_f32_e32 v68, v68, v68
	v_max_f32_e32 v64, v64, v64
	v_min_f32_e32 v97, v64, v68
	v_max_f32_e32 v64, v64, v68
	v_cndmask_b32_e32 v68, v64, v97, vcc
	v_and_b32_e32 v64, 0x7f800000, v68
	v_cmp_ne_u32_e64 s[24:25], s43, v64
                                        ; implicit-def: $vgpr64
	s_and_saveexec_b64 s[8:9], s[24:25]
	s_xor_b64 s[24:25], exec, s[8:9]
; %bb.2286:                             ;   in Loop: Header=BB30_2085 Depth=3
	v_bfe_u32 v64, v68, 16, 1
	v_add3_u32 v64, v68, v64, s40
                                        ; implicit-def: $vgpr68
; %bb.2287:                             ;   in Loop: Header=BB30_2085 Depth=3
	s_andn2_saveexec_b64 s[38:39], s[24:25]
; %bb.2288:                             ;   in Loop: Header=BB30_2085 Depth=3
	v_or_b32_e32 v64, 0x10000, v68
	v_cmp_eq_u32_sdwa s[24:25], v68, v3 src0_sel:WORD_0 src1_sel:DWORD
	s_nop 1
	v_cndmask_b32_e64 v64, v64, v68, s[24:25]
; %bb.2289:                             ;   in Loop: Header=BB30_2085 Depth=3
	s_or_b64 exec, exec, s[38:39]
	v_lshlrev_b32_e32 v68, 16, v65
	v_lshlrev_b32_e32 v97, 16, v69
	v_max_f32_e32 v97, v97, v97
	v_max_f32_e32 v68, v68, v68
	v_min_f32_e32 v98, v68, v97
	v_max_f32_e32 v68, v68, v97
	v_cndmask_b32_e32 v97, v68, v98, vcc
	v_and_b32_e32 v68, 0x7f800000, v97
	v_cmp_ne_u32_e64 s[24:25], s43, v68
                                        ; implicit-def: $vgpr68
	s_and_saveexec_b64 s[8:9], s[24:25]
	s_xor_b64 s[24:25], exec, s[8:9]
; %bb.2290:                             ;   in Loop: Header=BB30_2085 Depth=3
	v_bfe_u32 v68, v97, 16, 1
	v_add3_u32 v68, v97, v68, s40
                                        ; implicit-def: $vgpr97
; %bb.2291:                             ;   in Loop: Header=BB30_2085 Depth=3
	s_andn2_saveexec_b64 s[38:39], s[24:25]
; %bb.2292:                             ;   in Loop: Header=BB30_2085 Depth=3
	v_or_b32_e32 v68, 0x10000, v97
	v_cmp_eq_u32_sdwa s[24:25], v97, v3 src0_sel:WORD_0 src1_sel:DWORD
	s_nop 1
	v_cndmask_b32_e64 v68, v68, v97, s[24:25]
; %bb.2293:                             ;   in Loop: Header=BB30_2085 Depth=3
	s_or_b64 exec, exec, s[38:39]
	v_and_b32_e32 v65, 0xffff0000, v65
	v_and_b32_e32 v69, 0xffff0000, v69
	v_max_f32_e32 v69, v69, v69
	v_max_f32_e32 v65, v65, v65
	v_min_f32_e32 v97, v65, v69
	v_max_f32_e32 v65, v65, v69
	v_cndmask_b32_e32 v69, v65, v97, vcc
	v_and_b32_e32 v65, 0x7f800000, v69
	v_cmp_ne_u32_e64 s[24:25], s43, v65
                                        ; implicit-def: $vgpr65
	s_and_saveexec_b64 s[8:9], s[24:25]
	s_xor_b64 s[24:25], exec, s[8:9]
; %bb.2294:                             ;   in Loop: Header=BB30_2085 Depth=3
	v_bfe_u32 v65, v69, 16, 1
	v_add3_u32 v65, v69, v65, s40
                                        ; implicit-def: $vgpr69
; %bb.2295:                             ;   in Loop: Header=BB30_2085 Depth=3
	s_andn2_saveexec_b64 s[38:39], s[24:25]
; %bb.2296:                             ;   in Loop: Header=BB30_2085 Depth=3
	v_or_b32_e32 v65, 0x10000, v69
	v_cmp_eq_u32_sdwa s[24:25], v69, v3 src0_sel:WORD_0 src1_sel:DWORD
	s_nop 1
	v_cndmask_b32_e64 v65, v65, v69, s[24:25]
; %bb.2297:                             ;   in Loop: Header=BB30_2085 Depth=3
	s_or_b64 exec, exec, s[38:39]
	v_lshlrev_b32_e32 v69, 16, v66
	v_lshlrev_b32_e32 v97, 16, v70
	v_max_f32_e32 v97, v97, v97
	v_max_f32_e32 v69, v69, v69
	v_min_f32_e32 v98, v69, v97
	v_max_f32_e32 v69, v69, v97
	v_cndmask_b32_e32 v97, v69, v98, vcc
	v_and_b32_e32 v69, 0x7f800000, v97
	v_cmp_ne_u32_e64 s[24:25], s43, v69
                                        ; implicit-def: $vgpr69
	s_and_saveexec_b64 s[8:9], s[24:25]
	s_xor_b64 s[24:25], exec, s[8:9]
; %bb.2298:                             ;   in Loop: Header=BB30_2085 Depth=3
	v_bfe_u32 v69, v97, 16, 1
	v_add3_u32 v69, v97, v69, s40
                                        ; implicit-def: $vgpr97
; %bb.2299:                             ;   in Loop: Header=BB30_2085 Depth=3
	s_andn2_saveexec_b64 s[38:39], s[24:25]
; %bb.2300:                             ;   in Loop: Header=BB30_2085 Depth=3
	v_or_b32_e32 v69, 0x10000, v97
	v_cmp_eq_u32_sdwa s[24:25], v97, v3 src0_sel:WORD_0 src1_sel:DWORD
	s_nop 1
	v_cndmask_b32_e64 v69, v69, v97, s[24:25]
; %bb.2301:                             ;   in Loop: Header=BB30_2085 Depth=3
	s_or_b64 exec, exec, s[38:39]
	v_and_b32_e32 v66, 0xffff0000, v66
	v_and_b32_e32 v70, 0xffff0000, v70
	v_max_f32_e32 v70, v70, v70
	v_max_f32_e32 v66, v66, v66
	v_min_f32_e32 v97, v66, v70
	v_max_f32_e32 v66, v66, v70
	v_cndmask_b32_e32 v70, v66, v97, vcc
	v_and_b32_e32 v66, 0x7f800000, v70
	v_cmp_ne_u32_e64 s[24:25], s43, v66
                                        ; implicit-def: $vgpr66
	s_and_saveexec_b64 s[8:9], s[24:25]
	s_xor_b64 s[24:25], exec, s[8:9]
; %bb.2302:                             ;   in Loop: Header=BB30_2085 Depth=3
	v_bfe_u32 v66, v70, 16, 1
	v_add3_u32 v66, v70, v66, s40
                                        ; implicit-def: $vgpr70
; %bb.2303:                             ;   in Loop: Header=BB30_2085 Depth=3
	s_andn2_saveexec_b64 s[38:39], s[24:25]
; %bb.2304:                             ;   in Loop: Header=BB30_2085 Depth=3
	v_or_b32_e32 v66, 0x10000, v70
	v_cmp_eq_u32_sdwa s[24:25], v70, v3 src0_sel:WORD_0 src1_sel:DWORD
	s_nop 1
	v_cndmask_b32_e64 v66, v66, v70, s[24:25]
; %bb.2305:                             ;   in Loop: Header=BB30_2085 Depth=3
	s_or_b64 exec, exec, s[38:39]
	v_lshlrev_b32_e32 v70, 16, v67
	v_lshlrev_b32_e32 v97, 16, v71
	v_max_f32_e32 v97, v97, v97
	v_max_f32_e32 v70, v70, v70
	v_min_f32_e32 v98, v70, v97
	v_max_f32_e32 v70, v70, v97
	v_cndmask_b32_e32 v97, v70, v98, vcc
	v_and_b32_e32 v70, 0x7f800000, v97
	v_cmp_ne_u32_e64 s[24:25], s43, v70
                                        ; implicit-def: $vgpr70
	s_and_saveexec_b64 s[8:9], s[24:25]
	s_xor_b64 s[24:25], exec, s[8:9]
; %bb.2306:                             ;   in Loop: Header=BB30_2085 Depth=3
	v_bfe_u32 v70, v97, 16, 1
	v_add3_u32 v70, v97, v70, s40
                                        ; implicit-def: $vgpr97
; %bb.2307:                             ;   in Loop: Header=BB30_2085 Depth=3
	s_andn2_saveexec_b64 s[38:39], s[24:25]
; %bb.2308:                             ;   in Loop: Header=BB30_2085 Depth=3
	v_or_b32_e32 v70, 0x10000, v97
	v_cmp_eq_u32_sdwa s[24:25], v97, v3 src0_sel:WORD_0 src1_sel:DWORD
	s_nop 1
	v_cndmask_b32_e64 v70, v70, v97, s[24:25]
; %bb.2309:                             ;   in Loop: Header=BB30_2085 Depth=3
	s_or_b64 exec, exec, s[38:39]
	v_and_b32_e32 v67, 0xffff0000, v67
	v_and_b32_e32 v71, 0xffff0000, v71
	v_max_f32_e32 v71, v71, v71
	v_max_f32_e32 v67, v67, v67
	v_min_f32_e32 v97, v67, v71
	v_max_f32_e32 v67, v67, v71
	v_cndmask_b32_e32 v71, v67, v97, vcc
	v_and_b32_e32 v67, 0x7f800000, v71
	v_cmp_ne_u32_e64 s[24:25], s43, v67
                                        ; implicit-def: $vgpr67
	s_and_saveexec_b64 s[8:9], s[24:25]
	s_xor_b64 s[24:25], exec, s[8:9]
; %bb.2310:                             ;   in Loop: Header=BB30_2085 Depth=3
	v_bfe_u32 v67, v71, 16, 1
	v_add3_u32 v67, v71, v67, s40
                                        ; implicit-def: $vgpr71
; %bb.2311:                             ;   in Loop: Header=BB30_2085 Depth=3
	s_andn2_saveexec_b64 s[38:39], s[24:25]
; %bb.2312:                             ;   in Loop: Header=BB30_2085 Depth=3
	v_or_b32_e32 v67, 0x10000, v71
	v_cmp_eq_u32_sdwa s[24:25], v71, v3 src0_sel:WORD_0 src1_sel:DWORD
	s_nop 1
	v_cndmask_b32_e64 v67, v67, v71, s[24:25]
; %bb.2313:                             ;   in Loop: Header=BB30_2085 Depth=3
	s_or_b64 exec, exec, s[38:39]
	v_lshlrev_b32_e32 v71, 16, v48
	s_waitcnt vmcnt(0)
	v_lshlrev_b32_e32 v97, 16, v52
	v_max_f32_e32 v97, v97, v97
	v_max_f32_e32 v71, v71, v71
	v_min_f32_e32 v98, v71, v97
	v_max_f32_e32 v71, v71, v97
	v_cndmask_b32_e32 v97, v71, v98, vcc
	v_and_b32_e32 v71, 0x7f800000, v97
	v_cmp_ne_u32_e64 s[24:25], s43, v71
                                        ; implicit-def: $vgpr71
	s_and_saveexec_b64 s[8:9], s[24:25]
	s_xor_b64 s[24:25], exec, s[8:9]
; %bb.2314:                             ;   in Loop: Header=BB30_2085 Depth=3
	v_bfe_u32 v71, v97, 16, 1
	v_add3_u32 v71, v97, v71, s40
                                        ; implicit-def: $vgpr97
; %bb.2315:                             ;   in Loop: Header=BB30_2085 Depth=3
	s_andn2_saveexec_b64 s[38:39], s[24:25]
; %bb.2316:                             ;   in Loop: Header=BB30_2085 Depth=3
	v_or_b32_e32 v71, 0x10000, v97
	v_cmp_eq_u32_sdwa s[24:25], v97, v3 src0_sel:WORD_0 src1_sel:DWORD
	s_nop 1
	v_cndmask_b32_e64 v71, v71, v97, s[24:25]
; %bb.2317:                             ;   in Loop: Header=BB30_2085 Depth=3
	s_or_b64 exec, exec, s[38:39]
	v_and_b32_e32 v48, 0xffff0000, v48
	v_and_b32_e32 v52, 0xffff0000, v52
	v_max_f32_e32 v52, v52, v52
	v_max_f32_e32 v48, v48, v48
	v_min_f32_e32 v97, v48, v52
	v_max_f32_e32 v48, v48, v52
	v_cndmask_b32_e32 v52, v48, v97, vcc
	v_and_b32_e32 v48, 0x7f800000, v52
	v_cmp_ne_u32_e64 s[24:25], s43, v48
                                        ; implicit-def: $vgpr48
	s_and_saveexec_b64 s[8:9], s[24:25]
	s_xor_b64 s[24:25], exec, s[8:9]
; %bb.2318:                             ;   in Loop: Header=BB30_2085 Depth=3
	v_bfe_u32 v48, v52, 16, 1
	v_add3_u32 v48, v52, v48, s40
                                        ; implicit-def: $vgpr52
; %bb.2319:                             ;   in Loop: Header=BB30_2085 Depth=3
	s_andn2_saveexec_b64 s[38:39], s[24:25]
; %bb.2320:                             ;   in Loop: Header=BB30_2085 Depth=3
	v_or_b32_e32 v48, 0x10000, v52
	v_cmp_eq_u32_sdwa s[24:25], v52, v3 src0_sel:WORD_0 src1_sel:DWORD
	s_nop 1
	v_cndmask_b32_e64 v48, v48, v52, s[24:25]
; %bb.2321:                             ;   in Loop: Header=BB30_2085 Depth=3
	s_or_b64 exec, exec, s[38:39]
	v_lshlrev_b32_e32 v52, 16, v49
	v_lshlrev_b32_e32 v97, 16, v53
	v_max_f32_e32 v97, v97, v97
	v_max_f32_e32 v52, v52, v52
	v_min_f32_e32 v98, v52, v97
	v_max_f32_e32 v52, v52, v97
	v_cndmask_b32_e32 v97, v52, v98, vcc
	v_and_b32_e32 v52, 0x7f800000, v97
	v_cmp_ne_u32_e64 s[24:25], s43, v52
                                        ; implicit-def: $vgpr52
	s_and_saveexec_b64 s[8:9], s[24:25]
	s_xor_b64 s[24:25], exec, s[8:9]
; %bb.2322:                             ;   in Loop: Header=BB30_2085 Depth=3
	v_bfe_u32 v52, v97, 16, 1
	v_add3_u32 v52, v97, v52, s40
                                        ; implicit-def: $vgpr97
; %bb.2323:                             ;   in Loop: Header=BB30_2085 Depth=3
	s_andn2_saveexec_b64 s[38:39], s[24:25]
; %bb.2324:                             ;   in Loop: Header=BB30_2085 Depth=3
	v_or_b32_e32 v52, 0x10000, v97
	v_cmp_eq_u32_sdwa s[24:25], v97, v3 src0_sel:WORD_0 src1_sel:DWORD
	s_nop 1
	v_cndmask_b32_e64 v52, v52, v97, s[24:25]
; %bb.2325:                             ;   in Loop: Header=BB30_2085 Depth=3
	s_or_b64 exec, exec, s[38:39]
	v_and_b32_e32 v49, 0xffff0000, v49
	v_and_b32_e32 v53, 0xffff0000, v53
	v_max_f32_e32 v53, v53, v53
	v_max_f32_e32 v49, v49, v49
	v_min_f32_e32 v97, v49, v53
	v_max_f32_e32 v49, v49, v53
	v_cndmask_b32_e32 v53, v49, v97, vcc
	v_and_b32_e32 v49, 0x7f800000, v53
	v_cmp_ne_u32_e64 s[24:25], s43, v49
                                        ; implicit-def: $vgpr49
	s_and_saveexec_b64 s[8:9], s[24:25]
	s_xor_b64 s[24:25], exec, s[8:9]
; %bb.2326:                             ;   in Loop: Header=BB30_2085 Depth=3
	v_bfe_u32 v49, v53, 16, 1
	v_add3_u32 v49, v53, v49, s40
                                        ; implicit-def: $vgpr53
; %bb.2327:                             ;   in Loop: Header=BB30_2085 Depth=3
	s_andn2_saveexec_b64 s[38:39], s[24:25]
; %bb.2328:                             ;   in Loop: Header=BB30_2085 Depth=3
	v_or_b32_e32 v49, 0x10000, v53
	v_cmp_eq_u32_sdwa s[24:25], v53, v3 src0_sel:WORD_0 src1_sel:DWORD
	s_nop 1
	v_cndmask_b32_e64 v49, v49, v53, s[24:25]
; %bb.2329:                             ;   in Loop: Header=BB30_2085 Depth=3
	s_or_b64 exec, exec, s[38:39]
	v_lshlrev_b32_e32 v53, 16, v50
	v_lshlrev_b32_e32 v97, 16, v54
	v_max_f32_e32 v97, v97, v97
	v_max_f32_e32 v53, v53, v53
	v_min_f32_e32 v98, v53, v97
	v_max_f32_e32 v53, v53, v97
	v_cndmask_b32_e32 v97, v53, v98, vcc
	v_and_b32_e32 v53, 0x7f800000, v97
	v_cmp_ne_u32_e64 s[24:25], s43, v53
                                        ; implicit-def: $vgpr53
	s_and_saveexec_b64 s[8:9], s[24:25]
	s_xor_b64 s[24:25], exec, s[8:9]
; %bb.2330:                             ;   in Loop: Header=BB30_2085 Depth=3
	v_bfe_u32 v53, v97, 16, 1
	v_add3_u32 v53, v97, v53, s40
                                        ; implicit-def: $vgpr97
; %bb.2331:                             ;   in Loop: Header=BB30_2085 Depth=3
	s_andn2_saveexec_b64 s[38:39], s[24:25]
; %bb.2332:                             ;   in Loop: Header=BB30_2085 Depth=3
	v_or_b32_e32 v53, 0x10000, v97
	v_cmp_eq_u32_sdwa s[24:25], v97, v3 src0_sel:WORD_0 src1_sel:DWORD
	s_nop 1
	v_cndmask_b32_e64 v53, v53, v97, s[24:25]
; %bb.2333:                             ;   in Loop: Header=BB30_2085 Depth=3
	s_or_b64 exec, exec, s[38:39]
	v_and_b32_e32 v50, 0xffff0000, v50
	v_and_b32_e32 v54, 0xffff0000, v54
	v_max_f32_e32 v54, v54, v54
	v_max_f32_e32 v50, v50, v50
	v_min_f32_e32 v97, v50, v54
	v_max_f32_e32 v50, v50, v54
	v_cndmask_b32_e32 v54, v50, v97, vcc
	v_and_b32_e32 v50, 0x7f800000, v54
	v_cmp_ne_u32_e64 s[24:25], s43, v50
                                        ; implicit-def: $vgpr50
	s_and_saveexec_b64 s[8:9], s[24:25]
	s_xor_b64 s[24:25], exec, s[8:9]
; %bb.2334:                             ;   in Loop: Header=BB30_2085 Depth=3
	v_bfe_u32 v50, v54, 16, 1
	v_add3_u32 v50, v54, v50, s40
                                        ; implicit-def: $vgpr54
; %bb.2335:                             ;   in Loop: Header=BB30_2085 Depth=3
	s_andn2_saveexec_b64 s[38:39], s[24:25]
; %bb.2336:                             ;   in Loop: Header=BB30_2085 Depth=3
	v_or_b32_e32 v50, 0x10000, v54
	v_cmp_eq_u32_sdwa s[24:25], v54, v3 src0_sel:WORD_0 src1_sel:DWORD
	s_nop 1
	v_cndmask_b32_e64 v50, v50, v54, s[24:25]
; %bb.2337:                             ;   in Loop: Header=BB30_2085 Depth=3
	s_or_b64 exec, exec, s[38:39]
	v_lshlrev_b32_e32 v54, 16, v51
	v_lshlrev_b32_e32 v97, 16, v55
	v_max_f32_e32 v97, v97, v97
	v_max_f32_e32 v54, v54, v54
	v_min_f32_e32 v98, v54, v97
	v_max_f32_e32 v54, v54, v97
	v_cndmask_b32_e32 v97, v54, v98, vcc
	v_and_b32_e32 v54, 0x7f800000, v97
	v_cmp_ne_u32_e64 s[24:25], s43, v54
                                        ; implicit-def: $vgpr54
	s_and_saveexec_b64 s[8:9], s[24:25]
	s_xor_b64 s[24:25], exec, s[8:9]
; %bb.2338:                             ;   in Loop: Header=BB30_2085 Depth=3
	v_bfe_u32 v54, v97, 16, 1
	v_add3_u32 v54, v97, v54, s40
                                        ; implicit-def: $vgpr97
; %bb.2339:                             ;   in Loop: Header=BB30_2085 Depth=3
	s_andn2_saveexec_b64 s[38:39], s[24:25]
; %bb.2340:                             ;   in Loop: Header=BB30_2085 Depth=3
	v_or_b32_e32 v54, 0x10000, v97
	v_cmp_eq_u32_sdwa s[24:25], v97, v3 src0_sel:WORD_0 src1_sel:DWORD
	s_nop 1
	v_cndmask_b32_e64 v54, v54, v97, s[24:25]
; %bb.2341:                             ;   in Loop: Header=BB30_2085 Depth=3
	s_or_b64 exec, exec, s[38:39]
	v_and_b32_e32 v51, 0xffff0000, v51
	v_and_b32_e32 v55, 0xffff0000, v55
	v_max_f32_e32 v55, v55, v55
	v_max_f32_e32 v51, v51, v51
	v_min_f32_e32 v97, v51, v55
	v_max_f32_e32 v51, v51, v55
	v_cndmask_b32_e32 v55, v51, v97, vcc
	v_and_b32_e32 v51, 0x7f800000, v55
	v_cmp_ne_u32_e64 s[24:25], s43, v51
                                        ; implicit-def: $vgpr51
	s_and_saveexec_b64 s[8:9], s[24:25]
	s_xor_b64 s[24:25], exec, s[8:9]
; %bb.2342:                             ;   in Loop: Header=BB30_2085 Depth=3
	v_bfe_u32 v51, v55, 16, 1
	v_add3_u32 v51, v55, v51, s40
                                        ; implicit-def: $vgpr55
; %bb.2343:                             ;   in Loop: Header=BB30_2085 Depth=3
	s_andn2_saveexec_b64 s[38:39], s[24:25]
	s_cbranch_execz .LBB30_2084
; %bb.2344:                             ;   in Loop: Header=BB30_2085 Depth=3
	v_or_b32_e32 v51, 0x10000, v55
	v_cmp_eq_u32_sdwa s[24:25], v55, v3 src0_sel:WORD_0 src1_sel:DWORD
	s_nop 1
	v_cndmask_b32_e64 v51, v51, v55, s[24:25]
	s_branch .LBB30_2084
.LBB30_2345:                            ;   in Loop: Header=BB30_1243 Depth=2
	v_cmp_lt_i32_e64 s[24:25], 0, v2
	s_and_saveexec_b64 s[26:27], s[4:5]
	s_cbranch_execnz .LBB30_2823
	s_branch .LBB30_2841
.LBB30_2346:                            ;   in Loop: Header=BB30_1243 Depth=2
	s_mov_b64 s[30:31], 0
                                        ; implicit-def: $sgpr64
	s_andn2_b64 vcc, exec, s[26:27]
	v_mov_b32_e32 v0, 0
	s_cbranch_vccz .LBB30_2082
.LBB30_2347:                            ;   in Loop: Header=BB30_1243 Depth=2
	scratch_load_dword v1, off, s33 offset:312 ; 4-byte Folded Reload
	s_waitcnt vmcnt(0)
	v_mov_b32_e32 v4, v1
	v_and_b32_e32 v12, 63, v1
	s_and_saveexec_b64 s[34:35], s[30:31]
	s_cbranch_execnz .LBB30_2595
	s_branch .LBB30_2822
.LBB30_2348:                            ;   in Loop: Header=BB30_1243 Depth=2
	s_or_b64 exec, exec, s[28:29]
	s_and_b64 s[24:25], s[34:35], exec
.LBB30_2349:                            ;   in Loop: Header=BB30_1243 Depth=2
	s_or_b64 exec, exec, s[26:27]
	s_and_saveexec_b64 s[26:27], s[24:25]
	s_cbranch_execz .LBB30_2479
; %bb.2350:                             ;   in Loop: Header=BB30_1243 Depth=2
	s_and_b32 s8, 0xffff, s64
	v_lshlrev_b32_e32 v6, 16, v80
	v_lshlrev_b32_e32 v7, 16, v32
	s_cmp_eq_u32 s8, 0
	v_max_f32_e32 v7, v7, v7
	v_max_f32_e32 v6, v6, v6
	v_min_f32_e32 v30, v6, v7
	v_max_f32_e32 v6, v6, v7
	s_cselect_b64 vcc, -1, 0
	v_cndmask_b32_e32 v6, v6, v30, vcc
	v_and_b32_e32 v7, 0x7f800000, v6
	v_cmp_ne_u32_e64 s[24:25], s43, v7
                                        ; implicit-def: $vgpr48
	s_and_saveexec_b64 s[8:9], s[24:25]
	s_xor_b64 s[24:25], exec, s[8:9]
; %bb.2351:                             ;   in Loop: Header=BB30_1243 Depth=2
	v_bfe_u32 v7, v6, 16, 1
	v_add3_u32 v48, v6, v7, s40
                                        ; implicit-def: $vgpr6
; %bb.2352:                             ;   in Loop: Header=BB30_1243 Depth=2
	s_andn2_saveexec_b64 s[28:29], s[24:25]
; %bb.2353:                             ;   in Loop: Header=BB30_1243 Depth=2
	v_or_b32_e32 v7, 0x10000, v6
	v_cmp_eq_u32_sdwa s[24:25], v6, v3 src0_sel:WORD_0 src1_sel:DWORD
	s_nop 1
	v_cndmask_b32_e64 v48, v7, v6, s[24:25]
; %bb.2354:                             ;   in Loop: Header=BB30_1243 Depth=2
	s_or_b64 exec, exec, s[28:29]
	v_and_b32_e32 v6, 0xffff0000, v80
	v_and_b32_e32 v7, 0xffff0000, v32
	v_max_f32_e32 v7, v7, v7
	v_max_f32_e32 v6, v6, v6
	v_min_f32_e32 v30, v6, v7
	v_max_f32_e32 v6, v6, v7
	v_cndmask_b32_e32 v6, v6, v30, vcc
	v_and_b32_e32 v7, 0x7f800000, v6
	v_cmp_ne_u32_e64 s[24:25], s43, v7
                                        ; implicit-def: $vgpr32
	s_and_saveexec_b64 s[8:9], s[24:25]
	s_xor_b64 s[24:25], exec, s[8:9]
; %bb.2355:                             ;   in Loop: Header=BB30_1243 Depth=2
	v_bfe_u32 v7, v6, 16, 1
	v_add3_u32 v32, v6, v7, s40
                                        ; implicit-def: $vgpr6
; %bb.2356:                             ;   in Loop: Header=BB30_1243 Depth=2
	s_andn2_saveexec_b64 s[28:29], s[24:25]
; %bb.2357:                             ;   in Loop: Header=BB30_1243 Depth=2
	v_or_b32_e32 v7, 0x10000, v6
	v_cmp_eq_u32_sdwa s[24:25], v6, v3 src0_sel:WORD_0 src1_sel:DWORD
	s_nop 1
	v_cndmask_b32_e64 v32, v7, v6, s[24:25]
; %bb.2358:                             ;   in Loop: Header=BB30_1243 Depth=2
	s_or_b64 exec, exec, s[28:29]
	v_lshlrev_b32_e32 v6, 16, v81
	v_lshlrev_b32_e32 v7, 16, v33
	v_max_f32_e32 v7, v7, v7
	v_max_f32_e32 v6, v6, v6
	v_min_f32_e32 v30, v6, v7
	v_max_f32_e32 v6, v6, v7
	v_cndmask_b32_e32 v6, v6, v30, vcc
	v_and_b32_e32 v7, 0x7f800000, v6
	v_cmp_ne_u32_e64 s[24:25], s43, v7
                                        ; implicit-def: $vgpr49
	s_and_saveexec_b64 s[8:9], s[24:25]
	s_xor_b64 s[24:25], exec, s[8:9]
; %bb.2359:                             ;   in Loop: Header=BB30_1243 Depth=2
	v_bfe_u32 v7, v6, 16, 1
	v_add3_u32 v49, v6, v7, s40
                                        ; implicit-def: $vgpr6
; %bb.2360:                             ;   in Loop: Header=BB30_1243 Depth=2
	s_andn2_saveexec_b64 s[28:29], s[24:25]
; %bb.2361:                             ;   in Loop: Header=BB30_1243 Depth=2
	v_or_b32_e32 v7, 0x10000, v6
	v_cmp_eq_u32_sdwa s[24:25], v6, v3 src0_sel:WORD_0 src1_sel:DWORD
	s_nop 1
	v_cndmask_b32_e64 v49, v7, v6, s[24:25]
; %bb.2362:                             ;   in Loop: Header=BB30_1243 Depth=2
	s_or_b64 exec, exec, s[28:29]
	v_and_b32_e32 v6, 0xffff0000, v81
	v_and_b32_e32 v7, 0xffff0000, v33
	v_max_f32_e32 v7, v7, v7
	v_max_f32_e32 v6, v6, v6
	v_min_f32_e32 v30, v6, v7
	v_max_f32_e32 v6, v6, v7
	v_cndmask_b32_e32 v6, v6, v30, vcc
	v_and_b32_e32 v7, 0x7f800000, v6
	v_cmp_ne_u32_e64 s[24:25], s43, v7
                                        ; implicit-def: $vgpr33
	s_and_saveexec_b64 s[8:9], s[24:25]
	s_xor_b64 s[24:25], exec, s[8:9]
; %bb.2363:                             ;   in Loop: Header=BB30_1243 Depth=2
	v_bfe_u32 v7, v6, 16, 1
	v_add3_u32 v33, v6, v7, s40
                                        ; implicit-def: $vgpr6
; %bb.2364:                             ;   in Loop: Header=BB30_1243 Depth=2
	s_andn2_saveexec_b64 s[28:29], s[24:25]
; %bb.2365:                             ;   in Loop: Header=BB30_1243 Depth=2
	v_or_b32_e32 v7, 0x10000, v6
	v_cmp_eq_u32_sdwa s[24:25], v6, v3 src0_sel:WORD_0 src1_sel:DWORD
	s_nop 1
	v_cndmask_b32_e64 v33, v7, v6, s[24:25]
; %bb.2366:                             ;   in Loop: Header=BB30_1243 Depth=2
	s_or_b64 exec, exec, s[28:29]
	v_lshlrev_b32_e32 v6, 16, v82
	v_lshlrev_b32_e32 v7, 16, v34
	v_max_f32_e32 v7, v7, v7
	v_max_f32_e32 v6, v6, v6
	v_min_f32_e32 v30, v6, v7
	v_max_f32_e32 v6, v6, v7
	v_cndmask_b32_e32 v6, v6, v30, vcc
	v_and_b32_e32 v7, 0x7f800000, v6
	v_cmp_ne_u32_e64 s[24:25], s43, v7
                                        ; implicit-def: $vgpr50
	s_and_saveexec_b64 s[8:9], s[24:25]
	s_xor_b64 s[24:25], exec, s[8:9]
; %bb.2367:                             ;   in Loop: Header=BB30_1243 Depth=2
	v_bfe_u32 v7, v6, 16, 1
	v_add3_u32 v50, v6, v7, s40
                                        ; implicit-def: $vgpr6
; %bb.2368:                             ;   in Loop: Header=BB30_1243 Depth=2
	s_andn2_saveexec_b64 s[28:29], s[24:25]
; %bb.2369:                             ;   in Loop: Header=BB30_1243 Depth=2
	v_or_b32_e32 v7, 0x10000, v6
	v_cmp_eq_u32_sdwa s[24:25], v6, v3 src0_sel:WORD_0 src1_sel:DWORD
	s_nop 1
	v_cndmask_b32_e64 v50, v7, v6, s[24:25]
; %bb.2370:                             ;   in Loop: Header=BB30_1243 Depth=2
	s_or_b64 exec, exec, s[28:29]
	v_and_b32_e32 v6, 0xffff0000, v82
	v_and_b32_e32 v7, 0xffff0000, v34
	v_max_f32_e32 v7, v7, v7
	v_max_f32_e32 v6, v6, v6
	v_min_f32_e32 v30, v6, v7
	v_max_f32_e32 v6, v6, v7
	v_cndmask_b32_e32 v6, v6, v30, vcc
	v_and_b32_e32 v7, 0x7f800000, v6
	v_cmp_ne_u32_e64 s[24:25], s43, v7
                                        ; implicit-def: $vgpr34
	s_and_saveexec_b64 s[8:9], s[24:25]
	s_xor_b64 s[24:25], exec, s[8:9]
; %bb.2371:                             ;   in Loop: Header=BB30_1243 Depth=2
	v_bfe_u32 v7, v6, 16, 1
	v_add3_u32 v34, v6, v7, s40
                                        ; implicit-def: $vgpr6
; %bb.2372:                             ;   in Loop: Header=BB30_1243 Depth=2
	s_andn2_saveexec_b64 s[28:29], s[24:25]
; %bb.2373:                             ;   in Loop: Header=BB30_1243 Depth=2
	v_or_b32_e32 v7, 0x10000, v6
	v_cmp_eq_u32_sdwa s[24:25], v6, v3 src0_sel:WORD_0 src1_sel:DWORD
	s_nop 1
	v_cndmask_b32_e64 v34, v7, v6, s[24:25]
; %bb.2374:                             ;   in Loop: Header=BB30_1243 Depth=2
	s_or_b64 exec, exec, s[28:29]
	v_lshlrev_b32_e32 v6, 16, v83
	v_lshlrev_b32_e32 v7, 16, v35
	v_max_f32_e32 v7, v7, v7
	v_max_f32_e32 v6, v6, v6
	v_min_f32_e32 v30, v6, v7
	v_max_f32_e32 v6, v6, v7
	v_cndmask_b32_e32 v6, v6, v30, vcc
	v_and_b32_e32 v7, 0x7f800000, v6
	v_cmp_ne_u32_e64 s[24:25], s43, v7
                                        ; implicit-def: $vgpr51
	s_and_saveexec_b64 s[8:9], s[24:25]
	s_xor_b64 s[24:25], exec, s[8:9]
; %bb.2375:                             ;   in Loop: Header=BB30_1243 Depth=2
	v_bfe_u32 v7, v6, 16, 1
	v_add3_u32 v51, v6, v7, s40
                                        ; implicit-def: $vgpr6
; %bb.2376:                             ;   in Loop: Header=BB30_1243 Depth=2
	s_andn2_saveexec_b64 s[28:29], s[24:25]
; %bb.2377:                             ;   in Loop: Header=BB30_1243 Depth=2
	v_or_b32_e32 v7, 0x10000, v6
	v_cmp_eq_u32_sdwa s[24:25], v6, v3 src0_sel:WORD_0 src1_sel:DWORD
	s_nop 1
	v_cndmask_b32_e64 v51, v7, v6, s[24:25]
; %bb.2378:                             ;   in Loop: Header=BB30_1243 Depth=2
	s_or_b64 exec, exec, s[28:29]
	v_and_b32_e32 v6, 0xffff0000, v83
	v_and_b32_e32 v7, 0xffff0000, v35
	v_max_f32_e32 v7, v7, v7
	v_max_f32_e32 v6, v6, v6
	v_min_f32_e32 v30, v6, v7
	v_max_f32_e32 v6, v6, v7
	v_cndmask_b32_e32 v6, v6, v30, vcc
	v_and_b32_e32 v7, 0x7f800000, v6
	v_cmp_ne_u32_e64 s[24:25], s43, v7
                                        ; implicit-def: $vgpr35
	s_and_saveexec_b64 s[8:9], s[24:25]
	s_xor_b64 s[24:25], exec, s[8:9]
; %bb.2379:                             ;   in Loop: Header=BB30_1243 Depth=2
	v_bfe_u32 v7, v6, 16, 1
	v_add3_u32 v35, v6, v7, s40
                                        ; implicit-def: $vgpr6
; %bb.2380:                             ;   in Loop: Header=BB30_1243 Depth=2
	s_andn2_saveexec_b64 s[28:29], s[24:25]
; %bb.2381:                             ;   in Loop: Header=BB30_1243 Depth=2
	v_or_b32_e32 v7, 0x10000, v6
	v_cmp_eq_u32_sdwa s[24:25], v6, v3 src0_sel:WORD_0 src1_sel:DWORD
	s_nop 1
	v_cndmask_b32_e64 v35, v7, v6, s[24:25]
; %bb.2382:                             ;   in Loop: Header=BB30_1243 Depth=2
	s_or_b64 exec, exec, s[28:29]
	v_lshlrev_b32_e32 v6, 16, v36
	v_lshlrev_b32_e32 v7, 16, v20
	v_max_f32_e32 v7, v7, v7
	v_max_f32_e32 v6, v6, v6
	v_min_f32_e32 v30, v6, v7
	v_max_f32_e32 v6, v6, v7
	v_cndmask_b32_e32 v6, v6, v30, vcc
	v_and_b32_e32 v7, 0x7f800000, v6
	v_cmp_ne_u32_e64 s[24:25], s43, v7
                                        ; implicit-def: $vgpr52
	s_and_saveexec_b64 s[8:9], s[24:25]
	s_xor_b64 s[24:25], exec, s[8:9]
; %bb.2383:                             ;   in Loop: Header=BB30_1243 Depth=2
	v_bfe_u32 v7, v6, 16, 1
	v_add3_u32 v52, v6, v7, s40
                                        ; implicit-def: $vgpr6
; %bb.2384:                             ;   in Loop: Header=BB30_1243 Depth=2
	s_andn2_saveexec_b64 s[28:29], s[24:25]
; %bb.2385:                             ;   in Loop: Header=BB30_1243 Depth=2
	v_or_b32_e32 v7, 0x10000, v6
	v_cmp_eq_u32_sdwa s[24:25], v6, v3 src0_sel:WORD_0 src1_sel:DWORD
	s_nop 1
	v_cndmask_b32_e64 v52, v7, v6, s[24:25]
; %bb.2386:                             ;   in Loop: Header=BB30_1243 Depth=2
	s_or_b64 exec, exec, s[28:29]
	v_and_b32_e32 v6, 0xffff0000, v36
	v_and_b32_e32 v7, 0xffff0000, v20
	v_max_f32_e32 v7, v7, v7
	v_max_f32_e32 v6, v6, v6
	v_min_f32_e32 v20, v6, v7
	v_max_f32_e32 v6, v6, v7
	v_cndmask_b32_e32 v6, v6, v20, vcc
	v_and_b32_e32 v7, 0x7f800000, v6
	v_cmp_ne_u32_e64 s[24:25], s43, v7
                                        ; implicit-def: $vgpr20
	s_and_saveexec_b64 s[8:9], s[24:25]
	s_xor_b64 s[24:25], exec, s[8:9]
; %bb.2387:                             ;   in Loop: Header=BB30_1243 Depth=2
	v_bfe_u32 v7, v6, 16, 1
	v_add3_u32 v20, v6, v7, s40
                                        ; implicit-def: $vgpr6
; %bb.2388:                             ;   in Loop: Header=BB30_1243 Depth=2
	s_andn2_saveexec_b64 s[28:29], s[24:25]
; %bb.2389:                             ;   in Loop: Header=BB30_1243 Depth=2
	v_or_b32_e32 v7, 0x10000, v6
	v_cmp_eq_u32_sdwa s[24:25], v6, v3 src0_sel:WORD_0 src1_sel:DWORD
	s_nop 1
	v_cndmask_b32_e64 v20, v7, v6, s[24:25]
; %bb.2390:                             ;   in Loop: Header=BB30_1243 Depth=2
	s_or_b64 exec, exec, s[28:29]
	v_lshlrev_b32_e32 v6, 16, v37
	v_lshlrev_b32_e32 v7, 16, v21
	v_max_f32_e32 v7, v7, v7
	v_max_f32_e32 v6, v6, v6
	v_min_f32_e32 v30, v6, v7
	v_max_f32_e32 v6, v6, v7
	v_cndmask_b32_e32 v6, v6, v30, vcc
	v_and_b32_e32 v7, 0x7f800000, v6
	v_cmp_ne_u32_e64 s[24:25], s43, v7
                                        ; implicit-def: $vgpr36
	s_and_saveexec_b64 s[8:9], s[24:25]
	s_xor_b64 s[24:25], exec, s[8:9]
; %bb.2391:                             ;   in Loop: Header=BB30_1243 Depth=2
	v_bfe_u32 v7, v6, 16, 1
	v_add3_u32 v36, v6, v7, s40
                                        ; implicit-def: $vgpr6
; %bb.2392:                             ;   in Loop: Header=BB30_1243 Depth=2
	s_andn2_saveexec_b64 s[28:29], s[24:25]
; %bb.2393:                             ;   in Loop: Header=BB30_1243 Depth=2
	v_or_b32_e32 v7, 0x10000, v6
	v_cmp_eq_u32_sdwa s[24:25], v6, v3 src0_sel:WORD_0 src1_sel:DWORD
	s_nop 1
	v_cndmask_b32_e64 v36, v7, v6, s[24:25]
; %bb.2394:                             ;   in Loop: Header=BB30_1243 Depth=2
	s_or_b64 exec, exec, s[28:29]
	v_and_b32_e32 v6, 0xffff0000, v37
	v_and_b32_e32 v7, 0xffff0000, v21
	v_max_f32_e32 v7, v7, v7
	v_max_f32_e32 v6, v6, v6
	v_min_f32_e32 v21, v6, v7
	v_max_f32_e32 v6, v6, v7
	v_cndmask_b32_e32 v6, v6, v21, vcc
	v_and_b32_e32 v7, 0x7f800000, v6
	v_cmp_ne_u32_e64 s[24:25], s43, v7
                                        ; implicit-def: $vgpr21
	s_and_saveexec_b64 s[8:9], s[24:25]
	s_xor_b64 s[24:25], exec, s[8:9]
; %bb.2395:                             ;   in Loop: Header=BB30_1243 Depth=2
	v_bfe_u32 v7, v6, 16, 1
	v_add3_u32 v21, v6, v7, s40
                                        ; implicit-def: $vgpr6
; %bb.2396:                             ;   in Loop: Header=BB30_1243 Depth=2
	s_andn2_saveexec_b64 s[28:29], s[24:25]
; %bb.2397:                             ;   in Loop: Header=BB30_1243 Depth=2
	v_or_b32_e32 v7, 0x10000, v6
	v_cmp_eq_u32_sdwa s[24:25], v6, v3 src0_sel:WORD_0 src1_sel:DWORD
	s_nop 1
	v_cndmask_b32_e64 v21, v7, v6, s[24:25]
; %bb.2398:                             ;   in Loop: Header=BB30_1243 Depth=2
	s_or_b64 exec, exec, s[28:29]
	v_lshlrev_b32_e32 v6, 16, v38
	v_lshlrev_b32_e32 v7, 16, v22
	v_max_f32_e32 v7, v7, v7
	v_max_f32_e32 v6, v6, v6
	v_min_f32_e32 v30, v6, v7
	v_max_f32_e32 v6, v6, v7
	v_cndmask_b32_e32 v7, v6, v30, vcc
	v_and_b32_e32 v6, 0x7f800000, v7
	v_cmp_ne_u32_e64 s[24:25], s43, v6
                                        ; implicit-def: $vgpr6
	s_and_saveexec_b64 s[8:9], s[24:25]
	s_xor_b64 s[24:25], exec, s[8:9]
; %bb.2399:                             ;   in Loop: Header=BB30_1243 Depth=2
	v_bfe_u32 v6, v7, 16, 1
	v_add3_u32 v6, v7, v6, s40
                                        ; implicit-def: $vgpr7
; %bb.2400:                             ;   in Loop: Header=BB30_1243 Depth=2
	s_andn2_saveexec_b64 s[28:29], s[24:25]
; %bb.2401:                             ;   in Loop: Header=BB30_1243 Depth=2
	v_or_b32_e32 v6, 0x10000, v7
	v_cmp_eq_u32_sdwa s[24:25], v7, v3 src0_sel:WORD_0 src1_sel:DWORD
	s_nop 1
	v_cndmask_b32_e64 v6, v6, v7, s[24:25]
; %bb.2402:                             ;   in Loop: Header=BB30_1243 Depth=2
	s_or_b64 exec, exec, s[28:29]
	v_and_b32_e32 v7, 0xffff0000, v38
	v_and_b32_e32 v22, 0xffff0000, v22
	v_max_f32_e32 v22, v22, v22
	v_max_f32_e32 v7, v7, v7
	v_min_f32_e32 v30, v7, v22
	v_max_f32_e32 v7, v7, v22
	v_cndmask_b32_e32 v22, v7, v30, vcc
	v_and_b32_e32 v7, 0x7f800000, v22
	v_cmp_ne_u32_e64 s[24:25], s43, v7
                                        ; implicit-def: $vgpr7
	s_and_saveexec_b64 s[8:9], s[24:25]
	s_xor_b64 s[24:25], exec, s[8:9]
; %bb.2403:                             ;   in Loop: Header=BB30_1243 Depth=2
	v_bfe_u32 v7, v22, 16, 1
	v_add3_u32 v7, v22, v7, s40
                                        ; implicit-def: $vgpr22
; %bb.2404:                             ;   in Loop: Header=BB30_1243 Depth=2
	s_andn2_saveexec_b64 s[28:29], s[24:25]
; %bb.2405:                             ;   in Loop: Header=BB30_1243 Depth=2
	v_or_b32_e32 v7, 0x10000, v22
	v_cmp_eq_u32_sdwa s[24:25], v22, v3 src0_sel:WORD_0 src1_sel:DWORD
	s_nop 1
	v_cndmask_b32_e64 v7, v7, v22, s[24:25]
; %bb.2406:                             ;   in Loop: Header=BB30_1243 Depth=2
	s_or_b64 exec, exec, s[28:29]
	v_lshlrev_b32_e32 v22, 16, v39
	v_lshlrev_b32_e32 v30, 16, v23
	v_max_f32_e32 v30, v30, v30
	v_max_f32_e32 v22, v22, v22
	v_min_f32_e32 v37, v22, v30
	v_max_f32_e32 v22, v22, v30
	v_cndmask_b32_e32 v30, v22, v37, vcc
	v_and_b32_e32 v22, 0x7f800000, v30
	v_cmp_ne_u32_e64 s[24:25], s43, v22
                                        ; implicit-def: $vgpr22
	s_and_saveexec_b64 s[8:9], s[24:25]
	s_xor_b64 s[24:25], exec, s[8:9]
; %bb.2407:                             ;   in Loop: Header=BB30_1243 Depth=2
	v_bfe_u32 v22, v30, 16, 1
	v_add3_u32 v22, v30, v22, s40
                                        ; implicit-def: $vgpr30
; %bb.2408:                             ;   in Loop: Header=BB30_1243 Depth=2
	s_andn2_saveexec_b64 s[28:29], s[24:25]
; %bb.2409:                             ;   in Loop: Header=BB30_1243 Depth=2
	v_or_b32_e32 v22, 0x10000, v30
	v_cmp_eq_u32_sdwa s[24:25], v30, v3 src0_sel:WORD_0 src1_sel:DWORD
	s_nop 1
	v_cndmask_b32_e64 v22, v22, v30, s[24:25]
; %bb.2410:                             ;   in Loop: Header=BB30_1243 Depth=2
	s_or_b64 exec, exec, s[28:29]
	v_and_b32_e32 v30, 0xffff0000, v39
	v_and_b32_e32 v23, 0xffff0000, v23
	v_max_f32_e32 v23, v23, v23
	v_max_f32_e32 v30, v30, v30
	v_min_f32_e32 v37, v30, v23
	v_max_f32_e32 v23, v30, v23
	v_cndmask_b32_e32 v30, v23, v37, vcc
	v_and_b32_e32 v23, 0x7f800000, v30
	v_cmp_ne_u32_e64 s[24:25], s43, v23
                                        ; implicit-def: $vgpr23
	s_and_saveexec_b64 s[8:9], s[24:25]
	s_xor_b64 s[24:25], exec, s[8:9]
; %bb.2411:                             ;   in Loop: Header=BB30_1243 Depth=2
	v_bfe_u32 v23, v30, 16, 1
	v_add3_u32 v23, v30, v23, s40
                                        ; implicit-def: $vgpr30
; %bb.2412:                             ;   in Loop: Header=BB30_1243 Depth=2
	s_andn2_saveexec_b64 s[28:29], s[24:25]
; %bb.2413:                             ;   in Loop: Header=BB30_1243 Depth=2
	v_or_b32_e32 v23, 0x10000, v30
	v_cmp_eq_u32_sdwa s[24:25], v30, v3 src0_sel:WORD_0 src1_sel:DWORD
	s_nop 1
	v_cndmask_b32_e64 v23, v23, v30, s[24:25]
; %bb.2414:                             ;   in Loop: Header=BB30_1243 Depth=2
	s_or_b64 exec, exec, s[28:29]
	v_lshlrev_b32_e32 v30, 16, v24
	v_lshlrev_b32_e32 v37, 16, v16
	v_max_f32_e32 v37, v37, v37
	v_max_f32_e32 v30, v30, v30
	v_min_f32_e32 v38, v30, v37
	v_max_f32_e32 v30, v30, v37
	v_cndmask_b32_e32 v37, v30, v38, vcc
	v_and_b32_e32 v30, 0x7f800000, v37
	v_cmp_ne_u32_e64 s[24:25], s43, v30
                                        ; implicit-def: $vgpr30
	s_and_saveexec_b64 s[8:9], s[24:25]
	s_xor_b64 s[24:25], exec, s[8:9]
; %bb.2415:                             ;   in Loop: Header=BB30_1243 Depth=2
	v_bfe_u32 v30, v37, 16, 1
	v_add3_u32 v30, v37, v30, s40
                                        ; implicit-def: $vgpr37
; %bb.2416:                             ;   in Loop: Header=BB30_1243 Depth=2
	s_andn2_saveexec_b64 s[28:29], s[24:25]
; %bb.2417:                             ;   in Loop: Header=BB30_1243 Depth=2
	v_or_b32_e32 v30, 0x10000, v37
	v_cmp_eq_u32_sdwa s[24:25], v37, v3 src0_sel:WORD_0 src1_sel:DWORD
	s_nop 1
	v_cndmask_b32_e64 v30, v30, v37, s[24:25]
; %bb.2418:                             ;   in Loop: Header=BB30_1243 Depth=2
	s_or_b64 exec, exec, s[28:29]
	v_and_b32_e32 v24, 0xffff0000, v24
	v_and_b32_e32 v16, 0xffff0000, v16
	v_max_f32_e32 v16, v16, v16
	v_max_f32_e32 v24, v24, v24
	v_min_f32_e32 v37, v24, v16
	v_max_f32_e32 v16, v24, v16
	v_cndmask_b32_e32 v24, v16, v37, vcc
	v_and_b32_e32 v16, 0x7f800000, v24
	v_cmp_ne_u32_e64 s[24:25], s43, v16
                                        ; implicit-def: $vgpr16
	s_and_saveexec_b64 s[8:9], s[24:25]
	s_xor_b64 s[24:25], exec, s[8:9]
; %bb.2419:                             ;   in Loop: Header=BB30_1243 Depth=2
	v_bfe_u32 v16, v24, 16, 1
	v_add3_u32 v16, v24, v16, s40
                                        ; implicit-def: $vgpr24
; %bb.2420:                             ;   in Loop: Header=BB30_1243 Depth=2
	s_andn2_saveexec_b64 s[28:29], s[24:25]
; %bb.2421:                             ;   in Loop: Header=BB30_1243 Depth=2
	v_or_b32_e32 v16, 0x10000, v24
	v_cmp_eq_u32_sdwa s[24:25], v24, v3 src0_sel:WORD_0 src1_sel:DWORD
	s_nop 1
	v_cndmask_b32_e64 v16, v16, v24, s[24:25]
; %bb.2422:                             ;   in Loop: Header=BB30_1243 Depth=2
	s_or_b64 exec, exec, s[28:29]
	v_lshlrev_b32_e32 v24, 16, v25
	v_lshlrev_b32_e32 v37, 16, v17
	v_max_f32_e32 v37, v37, v37
	v_max_f32_e32 v24, v24, v24
	v_min_f32_e32 v38, v24, v37
	v_max_f32_e32 v24, v24, v37
	v_cndmask_b32_e32 v37, v24, v38, vcc
	v_and_b32_e32 v24, 0x7f800000, v37
	v_cmp_ne_u32_e64 s[24:25], s43, v24
                                        ; implicit-def: $vgpr24
	s_and_saveexec_b64 s[8:9], s[24:25]
	s_xor_b64 s[24:25], exec, s[8:9]
; %bb.2423:                             ;   in Loop: Header=BB30_1243 Depth=2
	v_bfe_u32 v24, v37, 16, 1
	v_add3_u32 v24, v37, v24, s40
                                        ; implicit-def: $vgpr37
; %bb.2424:                             ;   in Loop: Header=BB30_1243 Depth=2
	s_andn2_saveexec_b64 s[28:29], s[24:25]
; %bb.2425:                             ;   in Loop: Header=BB30_1243 Depth=2
	v_or_b32_e32 v24, 0x10000, v37
	v_cmp_eq_u32_sdwa s[24:25], v37, v3 src0_sel:WORD_0 src1_sel:DWORD
	s_nop 1
	v_cndmask_b32_e64 v24, v24, v37, s[24:25]
; %bb.2426:                             ;   in Loop: Header=BB30_1243 Depth=2
	s_or_b64 exec, exec, s[28:29]
	v_and_b32_e32 v25, 0xffff0000, v25
	v_and_b32_e32 v17, 0xffff0000, v17
	v_max_f32_e32 v17, v17, v17
	v_max_f32_e32 v25, v25, v25
	v_min_f32_e32 v37, v25, v17
	v_max_f32_e32 v17, v25, v17
	v_cndmask_b32_e32 v25, v17, v37, vcc
	v_and_b32_e32 v17, 0x7f800000, v25
	v_cmp_ne_u32_e64 s[24:25], s43, v17
                                        ; implicit-def: $vgpr17
	s_and_saveexec_b64 s[8:9], s[24:25]
	s_xor_b64 s[24:25], exec, s[8:9]
; %bb.2427:                             ;   in Loop: Header=BB30_1243 Depth=2
	v_bfe_u32 v17, v25, 16, 1
	v_add3_u32 v17, v25, v17, s40
                                        ; implicit-def: $vgpr25
; %bb.2428:                             ;   in Loop: Header=BB30_1243 Depth=2
	s_andn2_saveexec_b64 s[28:29], s[24:25]
; %bb.2429:                             ;   in Loop: Header=BB30_1243 Depth=2
	v_or_b32_e32 v17, 0x10000, v25
	v_cmp_eq_u32_sdwa s[24:25], v25, v3 src0_sel:WORD_0 src1_sel:DWORD
	s_nop 1
	v_cndmask_b32_e64 v17, v17, v25, s[24:25]
; %bb.2430:                             ;   in Loop: Header=BB30_1243 Depth=2
	s_or_b64 exec, exec, s[28:29]
	v_lshlrev_b32_e32 v25, 16, v26
	v_lshlrev_b32_e32 v37, 16, v18
	v_max_f32_e32 v37, v37, v37
	v_max_f32_e32 v25, v25, v25
	v_min_f32_e32 v38, v25, v37
	v_max_f32_e32 v25, v25, v37
	v_cndmask_b32_e32 v37, v25, v38, vcc
	v_and_b32_e32 v25, 0x7f800000, v37
	v_cmp_ne_u32_e64 s[24:25], s43, v25
                                        ; implicit-def: $vgpr25
	s_and_saveexec_b64 s[8:9], s[24:25]
	s_xor_b64 s[24:25], exec, s[8:9]
; %bb.2431:                             ;   in Loop: Header=BB30_1243 Depth=2
	v_bfe_u32 v25, v37, 16, 1
	v_add3_u32 v25, v37, v25, s40
                                        ; implicit-def: $vgpr37
; %bb.2432:                             ;   in Loop: Header=BB30_1243 Depth=2
	s_andn2_saveexec_b64 s[28:29], s[24:25]
; %bb.2433:                             ;   in Loop: Header=BB30_1243 Depth=2
	v_or_b32_e32 v25, 0x10000, v37
	v_cmp_eq_u32_sdwa s[24:25], v37, v3 src0_sel:WORD_0 src1_sel:DWORD
	s_nop 1
	v_cndmask_b32_e64 v25, v25, v37, s[24:25]
; %bb.2434:                             ;   in Loop: Header=BB30_1243 Depth=2
	s_or_b64 exec, exec, s[28:29]
	v_and_b32_e32 v26, 0xffff0000, v26
	v_and_b32_e32 v18, 0xffff0000, v18
	v_max_f32_e32 v18, v18, v18
	v_max_f32_e32 v26, v26, v26
	v_min_f32_e32 v37, v26, v18
	v_max_f32_e32 v18, v26, v18
	v_cndmask_b32_e32 v26, v18, v37, vcc
	v_and_b32_e32 v18, 0x7f800000, v26
	v_cmp_ne_u32_e64 s[24:25], s43, v18
                                        ; implicit-def: $vgpr18
	s_and_saveexec_b64 s[8:9], s[24:25]
	s_xor_b64 s[24:25], exec, s[8:9]
; %bb.2435:                             ;   in Loop: Header=BB30_1243 Depth=2
	v_bfe_u32 v18, v26, 16, 1
	v_add3_u32 v18, v26, v18, s40
                                        ; implicit-def: $vgpr26
; %bb.2436:                             ;   in Loop: Header=BB30_1243 Depth=2
	s_andn2_saveexec_b64 s[28:29], s[24:25]
; %bb.2437:                             ;   in Loop: Header=BB30_1243 Depth=2
	v_or_b32_e32 v18, 0x10000, v26
	v_cmp_eq_u32_sdwa s[24:25], v26, v3 src0_sel:WORD_0 src1_sel:DWORD
	s_nop 1
	v_cndmask_b32_e64 v18, v18, v26, s[24:25]
; %bb.2438:                             ;   in Loop: Header=BB30_1243 Depth=2
	s_or_b64 exec, exec, s[28:29]
	v_lshlrev_b32_e32 v26, 16, v27
	v_lshlrev_b32_e32 v37, 16, v19
	v_max_f32_e32 v37, v37, v37
	v_max_f32_e32 v26, v26, v26
	v_min_f32_e32 v38, v26, v37
	v_max_f32_e32 v26, v26, v37
	v_cndmask_b32_e32 v37, v26, v38, vcc
	v_and_b32_e32 v26, 0x7f800000, v37
	v_cmp_ne_u32_e64 s[24:25], s43, v26
                                        ; implicit-def: $vgpr26
	s_and_saveexec_b64 s[8:9], s[24:25]
	s_xor_b64 s[24:25], exec, s[8:9]
; %bb.2439:                             ;   in Loop: Header=BB30_1243 Depth=2
	v_bfe_u32 v26, v37, 16, 1
	v_add3_u32 v26, v37, v26, s40
                                        ; implicit-def: $vgpr37
; %bb.2440:                             ;   in Loop: Header=BB30_1243 Depth=2
	s_andn2_saveexec_b64 s[28:29], s[24:25]
; %bb.2441:                             ;   in Loop: Header=BB30_1243 Depth=2
	v_or_b32_e32 v26, 0x10000, v37
	v_cmp_eq_u32_sdwa s[24:25], v37, v3 src0_sel:WORD_0 src1_sel:DWORD
	s_nop 1
	v_cndmask_b32_e64 v26, v26, v37, s[24:25]
; %bb.2442:                             ;   in Loop: Header=BB30_1243 Depth=2
	s_or_b64 exec, exec, s[28:29]
	v_and_b32_e32 v27, 0xffff0000, v27
	v_and_b32_e32 v19, 0xffff0000, v19
	v_max_f32_e32 v19, v19, v19
	v_max_f32_e32 v27, v27, v27
	v_min_f32_e32 v37, v27, v19
	v_max_f32_e32 v19, v27, v19
	v_cndmask_b32_e32 v27, v19, v37, vcc
	v_and_b32_e32 v19, 0x7f800000, v27
	v_cmp_ne_u32_e64 s[24:25], s43, v19
                                        ; implicit-def: $vgpr19
	s_and_saveexec_b64 s[8:9], s[24:25]
	s_xor_b64 s[24:25], exec, s[8:9]
; %bb.2443:                             ;   in Loop: Header=BB30_1243 Depth=2
	v_bfe_u32 v19, v27, 16, 1
	v_add3_u32 v19, v27, v19, s40
                                        ; implicit-def: $vgpr27
; %bb.2444:                             ;   in Loop: Header=BB30_1243 Depth=2
	s_andn2_saveexec_b64 s[28:29], s[24:25]
; %bb.2445:                             ;   in Loop: Header=BB30_1243 Depth=2
	v_or_b32_e32 v19, 0x10000, v27
	v_cmp_eq_u32_sdwa s[24:25], v27, v3 src0_sel:WORD_0 src1_sel:DWORD
	s_nop 1
	v_cndmask_b32_e64 v19, v19, v27, s[24:25]
; %bb.2446:                             ;   in Loop: Header=BB30_1243 Depth=2
	s_or_b64 exec, exec, s[28:29]
	v_lshlrev_b32_e32 v27, 16, v12
	v_lshlrev_b32_e32 v37, 16, v8
	v_max_f32_e32 v37, v37, v37
	v_max_f32_e32 v27, v27, v27
	v_min_f32_e32 v38, v27, v37
	v_max_f32_e32 v27, v27, v37
	v_cndmask_b32_e32 v37, v27, v38, vcc
	v_and_b32_e32 v27, 0x7f800000, v37
	v_cmp_ne_u32_e64 s[24:25], s43, v27
                                        ; implicit-def: $vgpr27
	s_and_saveexec_b64 s[8:9], s[24:25]
	s_xor_b64 s[24:25], exec, s[8:9]
; %bb.2447:                             ;   in Loop: Header=BB30_1243 Depth=2
	v_bfe_u32 v27, v37, 16, 1
	v_add3_u32 v27, v37, v27, s40
                                        ; implicit-def: $vgpr37
; %bb.2448:                             ;   in Loop: Header=BB30_1243 Depth=2
	s_andn2_saveexec_b64 s[28:29], s[24:25]
; %bb.2449:                             ;   in Loop: Header=BB30_1243 Depth=2
	v_or_b32_e32 v27, 0x10000, v37
	v_cmp_eq_u32_sdwa s[24:25], v37, v3 src0_sel:WORD_0 src1_sel:DWORD
	s_nop 1
	v_cndmask_b32_e64 v27, v27, v37, s[24:25]
; %bb.2450:                             ;   in Loop: Header=BB30_1243 Depth=2
	s_or_b64 exec, exec, s[28:29]
	v_and_b32_e32 v12, 0xffff0000, v12
	v_and_b32_e32 v8, 0xffff0000, v8
	v_max_f32_e32 v8, v8, v8
	v_max_f32_e32 v12, v12, v12
	v_min_f32_e32 v37, v12, v8
	v_max_f32_e32 v8, v12, v8
	v_cndmask_b32_e32 v12, v8, v37, vcc
	v_and_b32_e32 v8, 0x7f800000, v12
	v_cmp_ne_u32_e64 s[24:25], s43, v8
                                        ; implicit-def: $vgpr8
	s_and_saveexec_b64 s[8:9], s[24:25]
	s_xor_b64 s[24:25], exec, s[8:9]
; %bb.2451:                             ;   in Loop: Header=BB30_1243 Depth=2
	v_bfe_u32 v8, v12, 16, 1
	v_add3_u32 v8, v12, v8, s40
                                        ; implicit-def: $vgpr12
; %bb.2452:                             ;   in Loop: Header=BB30_1243 Depth=2
	s_andn2_saveexec_b64 s[28:29], s[24:25]
; %bb.2453:                             ;   in Loop: Header=BB30_1243 Depth=2
	v_or_b32_e32 v8, 0x10000, v12
	v_cmp_eq_u32_sdwa s[24:25], v12, v3 src0_sel:WORD_0 src1_sel:DWORD
	s_nop 1
	v_cndmask_b32_e64 v8, v8, v12, s[24:25]
; %bb.2454:                             ;   in Loop: Header=BB30_1243 Depth=2
	s_or_b64 exec, exec, s[28:29]
	v_lshlrev_b32_e32 v12, 16, v13
	v_lshlrev_b32_e32 v37, 16, v9
	v_max_f32_e32 v37, v37, v37
	v_max_f32_e32 v12, v12, v12
	v_min_f32_e32 v38, v12, v37
	v_max_f32_e32 v12, v12, v37
	v_cndmask_b32_e32 v37, v12, v38, vcc
	v_and_b32_e32 v12, 0x7f800000, v37
	v_cmp_ne_u32_e64 s[24:25], s43, v12
                                        ; implicit-def: $vgpr12
	s_and_saveexec_b64 s[8:9], s[24:25]
	s_xor_b64 s[24:25], exec, s[8:9]
; %bb.2455:                             ;   in Loop: Header=BB30_1243 Depth=2
	v_bfe_u32 v12, v37, 16, 1
	v_add3_u32 v12, v37, v12, s40
                                        ; implicit-def: $vgpr37
; %bb.2456:                             ;   in Loop: Header=BB30_1243 Depth=2
	s_andn2_saveexec_b64 s[28:29], s[24:25]
; %bb.2457:                             ;   in Loop: Header=BB30_1243 Depth=2
	v_or_b32_e32 v12, 0x10000, v37
	v_cmp_eq_u32_sdwa s[24:25], v37, v3 src0_sel:WORD_0 src1_sel:DWORD
	s_nop 1
	v_cndmask_b32_e64 v12, v12, v37, s[24:25]
; %bb.2458:                             ;   in Loop: Header=BB30_1243 Depth=2
	s_or_b64 exec, exec, s[28:29]
	v_and_b32_e32 v13, 0xffff0000, v13
	v_and_b32_e32 v9, 0xffff0000, v9
	v_max_f32_e32 v9, v9, v9
	v_max_f32_e32 v13, v13, v13
	v_min_f32_e32 v37, v13, v9
	v_max_f32_e32 v9, v13, v9
	v_cndmask_b32_e32 v13, v9, v37, vcc
	v_and_b32_e32 v9, 0x7f800000, v13
	v_cmp_ne_u32_e64 s[24:25], s43, v9
                                        ; implicit-def: $vgpr9
	s_and_saveexec_b64 s[8:9], s[24:25]
	s_xor_b64 s[24:25], exec, s[8:9]
; %bb.2459:                             ;   in Loop: Header=BB30_1243 Depth=2
	v_bfe_u32 v9, v13, 16, 1
	v_add3_u32 v9, v13, v9, s40
                                        ; implicit-def: $vgpr13
; %bb.2460:                             ;   in Loop: Header=BB30_1243 Depth=2
	s_andn2_saveexec_b64 s[28:29], s[24:25]
; %bb.2461:                             ;   in Loop: Header=BB30_1243 Depth=2
	v_or_b32_e32 v9, 0x10000, v13
	v_cmp_eq_u32_sdwa s[24:25], v13, v3 src0_sel:WORD_0 src1_sel:DWORD
	s_nop 1
	v_cndmask_b32_e64 v9, v9, v13, s[24:25]
; %bb.2462:                             ;   in Loop: Header=BB30_1243 Depth=2
	s_or_b64 exec, exec, s[28:29]
	v_lshlrev_b32_e32 v13, 16, v14
	v_lshlrev_b32_e32 v37, 16, v10
	v_max_f32_e32 v37, v37, v37
	v_max_f32_e32 v13, v13, v13
	v_min_f32_e32 v38, v13, v37
	v_max_f32_e32 v13, v13, v37
	v_cndmask_b32_e32 v37, v13, v38, vcc
	v_and_b32_e32 v13, 0x7f800000, v37
	v_cmp_ne_u32_e64 s[24:25], s43, v13
                                        ; implicit-def: $vgpr13
	s_and_saveexec_b64 s[8:9], s[24:25]
	s_xor_b64 s[24:25], exec, s[8:9]
; %bb.2463:                             ;   in Loop: Header=BB30_1243 Depth=2
	v_bfe_u32 v13, v37, 16, 1
	v_add3_u32 v13, v37, v13, s40
                                        ; implicit-def: $vgpr37
; %bb.2464:                             ;   in Loop: Header=BB30_1243 Depth=2
	s_andn2_saveexec_b64 s[28:29], s[24:25]
; %bb.2465:                             ;   in Loop: Header=BB30_1243 Depth=2
	v_or_b32_e32 v13, 0x10000, v37
	v_cmp_eq_u32_sdwa s[24:25], v37, v3 src0_sel:WORD_0 src1_sel:DWORD
	s_nop 1
	v_cndmask_b32_e64 v13, v13, v37, s[24:25]
; %bb.2466:                             ;   in Loop: Header=BB30_1243 Depth=2
	s_or_b64 exec, exec, s[28:29]
	v_and_b32_e32 v14, 0xffff0000, v14
	v_and_b32_e32 v10, 0xffff0000, v10
	v_max_f32_e32 v10, v10, v10
	v_max_f32_e32 v14, v14, v14
	v_min_f32_e32 v37, v14, v10
	v_max_f32_e32 v10, v14, v10
	v_cndmask_b32_e32 v14, v10, v37, vcc
	v_and_b32_e32 v10, 0x7f800000, v14
	v_cmp_ne_u32_e64 s[24:25], s43, v10
                                        ; implicit-def: $vgpr10
	s_and_saveexec_b64 s[8:9], s[24:25]
	s_xor_b64 s[24:25], exec, s[8:9]
; %bb.2467:                             ;   in Loop: Header=BB30_1243 Depth=2
	v_bfe_u32 v10, v14, 16, 1
	v_add3_u32 v10, v14, v10, s40
                                        ; implicit-def: $vgpr14
; %bb.2468:                             ;   in Loop: Header=BB30_1243 Depth=2
	s_andn2_saveexec_b64 s[28:29], s[24:25]
; %bb.2469:                             ;   in Loop: Header=BB30_1243 Depth=2
	v_or_b32_e32 v10, 0x10000, v14
	v_cmp_eq_u32_sdwa s[24:25], v14, v3 src0_sel:WORD_0 src1_sel:DWORD
	s_nop 1
	v_cndmask_b32_e64 v10, v10, v14, s[24:25]
; %bb.2470:                             ;   in Loop: Header=BB30_1243 Depth=2
	s_or_b64 exec, exec, s[28:29]
	v_lshlrev_b32_e32 v14, 16, v15
	v_lshlrev_b32_e32 v37, 16, v11
	v_max_f32_e32 v37, v37, v37
	v_max_f32_e32 v14, v14, v14
	v_min_f32_e32 v38, v14, v37
	v_max_f32_e32 v14, v14, v37
	v_cndmask_b32_e32 v37, v14, v38, vcc
	v_and_b32_e32 v14, 0x7f800000, v37
	v_cmp_ne_u32_e64 s[24:25], s43, v14
                                        ; implicit-def: $vgpr14
	s_and_saveexec_b64 s[8:9], s[24:25]
	s_xor_b64 s[24:25], exec, s[8:9]
; %bb.2471:                             ;   in Loop: Header=BB30_1243 Depth=2
	v_bfe_u32 v14, v37, 16, 1
	v_add3_u32 v14, v37, v14, s40
                                        ; implicit-def: $vgpr37
; %bb.2472:                             ;   in Loop: Header=BB30_1243 Depth=2
	s_andn2_saveexec_b64 s[28:29], s[24:25]
; %bb.2473:                             ;   in Loop: Header=BB30_1243 Depth=2
	v_or_b32_e32 v14, 0x10000, v37
	v_cmp_eq_u32_sdwa s[24:25], v37, v3 src0_sel:WORD_0 src1_sel:DWORD
	s_nop 1
	v_cndmask_b32_e64 v14, v14, v37, s[24:25]
; %bb.2474:                             ;   in Loop: Header=BB30_1243 Depth=2
	s_or_b64 exec, exec, s[28:29]
	v_and_b32_e32 v15, 0xffff0000, v15
	v_and_b32_e32 v11, 0xffff0000, v11
	v_max_f32_e32 v11, v11, v11
	v_max_f32_e32 v15, v15, v15
	v_min_f32_e32 v37, v15, v11
	v_max_f32_e32 v11, v15, v11
	v_cndmask_b32_e32 v15, v11, v37, vcc
	v_and_b32_e32 v11, 0x7f800000, v15
	v_cmp_ne_u32_e32 vcc, s43, v11
                                        ; implicit-def: $vgpr11
	s_and_saveexec_b64 s[8:9], vcc
	s_xor_b64 s[24:25], exec, s[8:9]
; %bb.2475:                             ;   in Loop: Header=BB30_1243 Depth=2
	v_bfe_u32 v11, v15, 16, 1
	v_add3_u32 v11, v15, v11, s40
                                        ; implicit-def: $vgpr15
; %bb.2476:                             ;   in Loop: Header=BB30_1243 Depth=2
	s_andn2_saveexec_b64 s[24:25], s[24:25]
; %bb.2477:                             ;   in Loop: Header=BB30_1243 Depth=2
	v_or_b32_e32 v11, 0x10000, v15
	v_cmp_eq_u32_sdwa vcc, v15, v3 src0_sel:WORD_0 src1_sel:DWORD
	s_nop 1
	v_cndmask_b32_e32 v11, v11, v15, vcc
; %bb.2478:                             ;   in Loop: Header=BB30_1243 Depth=2
	s_or_b64 exec, exec, s[24:25]
	v_lshrrev_b32_e32 v15, 16, v24
	v_and_or_b32 v17, v17, s41, v15
	v_lshrrev_b32_e32 v15, 16, v30
	v_and_or_b32 v16, v16, s41, v15
	v_lshrrev_b32_e32 v15, 16, v25
	v_lshrrev_b32_e32 v6, 16, v6
	v_and_or_b32 v18, v18, s41, v15
	v_lshrrev_b32_e32 v15, 16, v26
	v_and_or_b32 v38, v7, s41, v6
	;; [unrolled: 2-line block ×7, first 2 shown]
	v_and_or_b32 v20, v32, s41, v6
	v_lshrrev_b32_e32 v6, 16, v50
	v_and_or_b32 v22, v34, s41, v6
	v_lshrrev_b32_e32 v6, 16, v51
	;; [unrolled: 2-line block ×5, first 2 shown]
	v_lshrrev_b32_e32 v9, 16, v14
	v_and_or_b32 v8, v10, s41, v8
	v_and_or_b32 v9, v11, s41, v9
	global_store_dwordx4 v[4:5], v[20:23], off
	global_store_dwordx4 v[4:5], v[36:39], off offset:1024
	global_store_dwordx4 v[4:5], v[16:19], off offset:2048
	;; [unrolled: 1-line block ×3, first 2 shown]
.LBB30_2479:                            ;   in Loop: Header=BB30_1243 Depth=2
	s_or_b64 exec, exec, s[26:27]
	v_lshlrev_b32_e32 v20, 12, v0
	v_cmp_ne_u32_e32 vcc, v29, v20
                                        ; implicit-def: $vgpr0
                                        ; implicit-def: $vgpr4
                                        ; implicit-def: $vgpr12
	s_mov_b64 s[34:35], exec
	scratch_load_dwordx2 v[32:33], off, s33 offset:364 ; 8-byte Folded Reload
	s_and_b64 s[8:9], s[34:35], vcc
	s_mov_b64 exec, s[8:9]
	s_cbranch_execz .LBB30_2594
; %bb.2480:                             ;   in Loop: Header=BB30_1243 Depth=2
	v_lshlrev_b32_e32 v0, 6, v1
	scratch_load_dword v1, off, s33 offset:312 ; 4-byte Folded Reload
	v_sub_u32_e32 v4, v29, v20
	v_ashrrev_i32_e32 v6, 31, v4
	v_lshrrev_b32_e32 v6, 22, v6
	v_add_u32_e32 v6, v4, v6
	v_and_b32_e32 v21, 0xfffffc00, v6
	v_sub_u32_e32 v22, v4, v21
	v_ashrrev_i32_e32 v7, 10, v6
	v_cmp_lt_i32_e64 s[24:25], 15, v22
	s_mov_b64 s[26:27], 0
	s_waitcnt vmcnt(0)
	v_and_b32_e32 v1, 63, v1
	v_sub_u32_e32 v0, v1, v0
	v_ashrrev_i32_e32 v1, 31, v0
	v_lshrrev_b32_e32 v1, 26, v1
	v_add_u32_e32 v1, v0, v1
	v_ashrrev_i32_e32 v5, 6, v1
	v_and_b32_e32 v1, 0xffffffc0, v1
	v_sub_u32_e32 v1, v0, v1
	v_lshlrev_b32_e32 v0, 4, v1
	v_lshl_add_u32 v0, v5, 10, v0
	v_add_u32_e32 v8, v0, v20
	v_sub_u32_e32 v0, v4, v0
	v_addc_co_u32_e64 v4, vcc, 0, v7, s[24:25]
	v_ashrrev_i32_e32 v9, 31, v8
	v_sub_u32_e32 v23, v4, v5
	v_lshl_add_u64 v[4:5], v[8:9], 0, v[32:33]
	v_cmp_lt_i32_e32 vcc, 15, v0
	s_and_saveexec_b64 s[36:37], vcc
	s_cbranch_execz .LBB30_2557
; %bb.2481:                             ;   in Loop: Header=BB30_1243 Depth=2
	s_trap 2
	ds_read_b64 v[6:7], v0
	s_and_b32 s8, 0xffff, s64
	s_cmp_eq_u32 s8, 0
	v_lshl_add_u64 v[16:17], v[8:9], 0, v[120:121]
	s_mov_b64 s[50:51], 0
	s_waitcnt lgkmcnt(0)
	v_lshl_add_u64 v[18:19], v[6:7], 0, v[8:9]
	s_mov_b64 s[38:39], 0
	s_cselect_b64 s[26:27], -1, 0
                                        ; implicit-def: $sgpr48_sgpr49
	s_branch .LBB30_2483
.LBB30_2482:                            ;   in Loop: Header=BB30_2483 Depth=3
	s_or_b64 exec, exec, s[28:29]
	v_cmp_gt_i32_e32 vcc, 16, v0
	s_or_b64 s[38:39], vcc, s[38:39]
	s_andn2_b64 s[8:9], s[48:49], exec
	s_and_b64 s[28:29], s[50:51], exec
	s_or_b64 s[48:49], s[8:9], s[28:29]
	s_andn2_b64 exec, exec, s[38:39]
	s_cbranch_execz .LBB30_2556
.LBB30_2483:                            ;   Parent Loop BB30_47 Depth=1
                                        ;     Parent Loop BB30_1243 Depth=2
                                        ; =>    This Loop Header: Depth=3
                                        ;         Child Loop BB30_2484 Depth 4
                                        ;         Child Loop BB30_2521 Depth 4
	s_add_i32 s9, s33, 0xc0
	s_mov_b32 s8, s9
	s_mov_b64 s[52:53], -1
	s_mov_b64 s[28:29], 0
.LBB30_2484:                            ;   Parent Loop BB30_47 Depth=1
                                        ;     Parent Loop BB30_1243 Depth=2
                                        ;       Parent Loop BB30_2483 Depth=3
                                        ; =>      This Inner Loop Header: Depth=4
	s_cmp_eq_u32 s28, 1
	s_cselect_b64 vcc, -1, 0
	v_cndmask_b32_e32 v11, v17, v19, vcc
	v_cndmask_b32_e32 v10, v16, v18, vcc
	global_load_dwordx4 v[6:9], v[10:11], off nt
	s_cmp_eq_u32 s28, 0
	s_cselect_b64 s[28:29], -1, 0
	s_waitcnt vmcnt(0)
	scratch_store_dwordx4 off, v[6:9], s8
	s_nop 1
	v_lshl_add_u64 v[6:7], v[10:11], 0, s[56:57]
	v_cndmask_b32_e64 v17, v17, v7, s[28:29]
	v_cndmask_b32_e64 v16, v16, v6, s[28:29]
	v_cndmask_b32_e32 v19, v19, v7, vcc
	v_cndmask_b32_e32 v18, v18, v6, vcc
	s_mov_b64 s[28:29], 1
	s_and_b64 vcc, exec, s[52:53]
	s_mov_b64 s[52:53], 0
	s_mov_b32 s8, s85
	s_cbranch_vccnz .LBB30_2484
; %bb.2485:                             ;   in Loop: Header=BB30_2483 Depth=3
	s_and_saveexec_b64 s[28:29], s[50:51]
	s_cbranch_execz .LBB30_2519
; %bb.2486:                             ;   in Loop: Header=BB30_2483 Depth=3
	scratch_load_dwordx4 v[8:11], off, s33 offset:224
	scratch_load_dwordx4 v[12:15], off, s33 offset:240
	s_waitcnt vmcnt(1)
	v_lshlrev_b32_e32 v6, 16, v8
	s_waitcnt vmcnt(0)
	v_lshlrev_b32_e32 v7, 16, v12
	v_max_f32_e32 v7, v7, v7
	v_max_f32_e32 v6, v6, v6
	v_min_f32_e32 v24, v6, v7
	v_max_f32_e32 v6, v6, v7
	v_cndmask_b32_e64 v7, v6, v24, s[26:27]
	v_and_b32_e32 v6, 0x7f800000, v7
	v_cmp_ne_u32_e32 vcc, s43, v6
                                        ; implicit-def: $vgpr6
	s_and_saveexec_b64 s[8:9], vcc
	s_xor_b64 vcc, exec, s[8:9]
; %bb.2487:                             ;   in Loop: Header=BB30_2483 Depth=3
	v_bfe_u32 v6, v7, 16, 1
	v_add3_u32 v6, v7, v6, s40
                                        ; implicit-def: $vgpr7
; %bb.2488:                             ;   in Loop: Header=BB30_2483 Depth=3
	s_andn2_saveexec_b64 s[50:51], vcc
; %bb.2489:                             ;   in Loop: Header=BB30_2483 Depth=3
	v_or_b32_e32 v6, 0x10000, v7
	v_cmp_eq_u32_sdwa vcc, v7, v3 src0_sel:WORD_0 src1_sel:DWORD
	s_nop 1
	v_cndmask_b32_e32 v6, v6, v7, vcc
; %bb.2490:                             ;   in Loop: Header=BB30_2483 Depth=3
	s_or_b64 exec, exec, s[50:51]
	v_and_b32_e32 v7, 0xffff0000, v8
	v_and_b32_e32 v8, 0xffff0000, v12
	v_max_f32_e32 v8, v8, v8
	v_max_f32_e32 v7, v7, v7
	v_min_f32_e32 v12, v7, v8
	v_max_f32_e32 v7, v7, v8
	v_cndmask_b32_e64 v8, v7, v12, s[26:27]
	v_and_b32_e32 v7, 0x7f800000, v8
	v_cmp_ne_u32_e32 vcc, s43, v7
                                        ; implicit-def: $vgpr7
	s_and_saveexec_b64 s[8:9], vcc
	s_xor_b64 vcc, exec, s[8:9]
; %bb.2491:                             ;   in Loop: Header=BB30_2483 Depth=3
	v_bfe_u32 v7, v8, 16, 1
	v_add3_u32 v7, v8, v7, s40
                                        ; implicit-def: $vgpr8
; %bb.2492:                             ;   in Loop: Header=BB30_2483 Depth=3
	s_andn2_saveexec_b64 s[50:51], vcc
; %bb.2493:                             ;   in Loop: Header=BB30_2483 Depth=3
	v_or_b32_e32 v7, 0x10000, v8
	v_cmp_eq_u32_sdwa vcc, v8, v3 src0_sel:WORD_0 src1_sel:DWORD
	s_nop 1
	v_cndmask_b32_e32 v7, v7, v8, vcc
; %bb.2494:                             ;   in Loop: Header=BB30_2483 Depth=3
	s_or_b64 exec, exec, s[50:51]
	v_lshlrev_b32_e32 v8, 16, v9
	v_lshlrev_b32_e32 v12, 16, v13
	v_max_f32_e32 v12, v12, v12
	v_max_f32_e32 v8, v8, v8
	v_min_f32_e32 v24, v8, v12
	v_max_f32_e32 v8, v8, v12
	v_cndmask_b32_e64 v12, v8, v24, s[26:27]
	v_and_b32_e32 v8, 0x7f800000, v12
	v_cmp_ne_u32_e32 vcc, s43, v8
                                        ; implicit-def: $vgpr8
	s_and_saveexec_b64 s[8:9], vcc
	s_xor_b64 vcc, exec, s[8:9]
; %bb.2495:                             ;   in Loop: Header=BB30_2483 Depth=3
	v_bfe_u32 v8, v12, 16, 1
	v_add3_u32 v8, v12, v8, s40
                                        ; implicit-def: $vgpr12
; %bb.2496:                             ;   in Loop: Header=BB30_2483 Depth=3
	s_andn2_saveexec_b64 s[50:51], vcc
; %bb.2497:                             ;   in Loop: Header=BB30_2483 Depth=3
	v_or_b32_e32 v8, 0x10000, v12
	v_cmp_eq_u32_sdwa vcc, v12, v3 src0_sel:WORD_0 src1_sel:DWORD
	s_nop 1
	v_cndmask_b32_e32 v8, v8, v12, vcc
; %bb.2498:                             ;   in Loop: Header=BB30_2483 Depth=3
	s_or_b64 exec, exec, s[50:51]
	v_and_b32_e32 v9, 0xffff0000, v9
	v_and_b32_e32 v12, 0xffff0000, v13
	v_max_f32_e32 v12, v12, v12
	v_max_f32_e32 v9, v9, v9
	v_min_f32_e32 v13, v9, v12
	v_max_f32_e32 v9, v9, v12
	v_cndmask_b32_e64 v12, v9, v13, s[26:27]
	v_and_b32_e32 v9, 0x7f800000, v12
	v_cmp_ne_u32_e32 vcc, s43, v9
                                        ; implicit-def: $vgpr9
	s_and_saveexec_b64 s[8:9], vcc
	s_xor_b64 vcc, exec, s[8:9]
; %bb.2499:                             ;   in Loop: Header=BB30_2483 Depth=3
	v_bfe_u32 v9, v12, 16, 1
	v_add3_u32 v9, v12, v9, s40
                                        ; implicit-def: $vgpr12
; %bb.2500:                             ;   in Loop: Header=BB30_2483 Depth=3
	s_andn2_saveexec_b64 s[50:51], vcc
; %bb.2501:                             ;   in Loop: Header=BB30_2483 Depth=3
	v_or_b32_e32 v9, 0x10000, v12
	v_cmp_eq_u32_sdwa vcc, v12, v3 src0_sel:WORD_0 src1_sel:DWORD
	s_nop 1
	v_cndmask_b32_e32 v9, v9, v12, vcc
; %bb.2502:                             ;   in Loop: Header=BB30_2483 Depth=3
	s_or_b64 exec, exec, s[50:51]
	v_lshlrev_b32_e32 v12, 16, v10
	v_lshlrev_b32_e32 v13, 16, v14
	v_max_f32_e32 v13, v13, v13
	v_max_f32_e32 v12, v12, v12
	v_min_f32_e32 v24, v12, v13
	v_max_f32_e32 v12, v12, v13
	v_cndmask_b32_e64 v13, v12, v24, s[26:27]
	v_and_b32_e32 v12, 0x7f800000, v13
	v_cmp_ne_u32_e32 vcc, s43, v12
                                        ; implicit-def: $vgpr12
	s_and_saveexec_b64 s[8:9], vcc
	s_xor_b64 vcc, exec, s[8:9]
; %bb.2503:                             ;   in Loop: Header=BB30_2483 Depth=3
	v_bfe_u32 v12, v13, 16, 1
	v_add3_u32 v12, v13, v12, s40
                                        ; implicit-def: $vgpr13
; %bb.2504:                             ;   in Loop: Header=BB30_2483 Depth=3
	s_andn2_saveexec_b64 s[50:51], vcc
; %bb.2505:                             ;   in Loop: Header=BB30_2483 Depth=3
	v_or_b32_e32 v12, 0x10000, v13
	v_cmp_eq_u32_sdwa vcc, v13, v3 src0_sel:WORD_0 src1_sel:DWORD
	s_nop 1
	v_cndmask_b32_e32 v12, v12, v13, vcc
; %bb.2506:                             ;   in Loop: Header=BB30_2483 Depth=3
	s_or_b64 exec, exec, s[50:51]
	v_and_b32_e32 v10, 0xffff0000, v10
	v_and_b32_e32 v13, 0xffff0000, v14
	v_max_f32_e32 v13, v13, v13
	v_max_f32_e32 v10, v10, v10
	v_min_f32_e32 v14, v10, v13
	v_max_f32_e32 v10, v10, v13
	v_cndmask_b32_e64 v13, v10, v14, s[26:27]
	v_and_b32_e32 v10, 0x7f800000, v13
	v_cmp_ne_u32_e32 vcc, s43, v10
                                        ; implicit-def: $vgpr10
	s_and_saveexec_b64 s[8:9], vcc
	s_xor_b64 vcc, exec, s[8:9]
; %bb.2507:                             ;   in Loop: Header=BB30_2483 Depth=3
	v_bfe_u32 v10, v13, 16, 1
	v_add3_u32 v10, v13, v10, s40
                                        ; implicit-def: $vgpr13
; %bb.2508:                             ;   in Loop: Header=BB30_2483 Depth=3
	s_andn2_saveexec_b64 s[50:51], vcc
; %bb.2509:                             ;   in Loop: Header=BB30_2483 Depth=3
	v_or_b32_e32 v10, 0x10000, v13
	v_cmp_eq_u32_sdwa vcc, v13, v3 src0_sel:WORD_0 src1_sel:DWORD
	s_nop 1
	v_cndmask_b32_e32 v10, v10, v13, vcc
; %bb.2510:                             ;   in Loop: Header=BB30_2483 Depth=3
	s_or_b64 exec, exec, s[50:51]
	v_lshlrev_b32_e32 v13, 16, v11
	v_lshlrev_b32_e32 v14, 16, v15
	v_max_f32_e32 v14, v14, v14
	v_max_f32_e32 v13, v13, v13
	v_min_f32_e32 v24, v13, v14
	v_max_f32_e32 v13, v13, v14
	v_cndmask_b32_e64 v14, v13, v24, s[26:27]
	v_and_b32_e32 v13, 0x7f800000, v14
	v_cmp_ne_u32_e32 vcc, s43, v13
                                        ; implicit-def: $vgpr13
	s_and_saveexec_b64 s[8:9], vcc
	s_xor_b64 vcc, exec, s[8:9]
; %bb.2511:                             ;   in Loop: Header=BB30_2483 Depth=3
	v_bfe_u32 v13, v14, 16, 1
	v_add3_u32 v13, v14, v13, s40
                                        ; implicit-def: $vgpr14
; %bb.2512:                             ;   in Loop: Header=BB30_2483 Depth=3
	s_andn2_saveexec_b64 s[50:51], vcc
; %bb.2513:                             ;   in Loop: Header=BB30_2483 Depth=3
	v_or_b32_e32 v13, 0x10000, v14
	v_cmp_eq_u32_sdwa vcc, v14, v3 src0_sel:WORD_0 src1_sel:DWORD
	s_nop 1
	v_cndmask_b32_e32 v13, v13, v14, vcc
; %bb.2514:                             ;   in Loop: Header=BB30_2483 Depth=3
	s_or_b64 exec, exec, s[50:51]
	v_and_b32_e32 v11, 0xffff0000, v11
	v_and_b32_e32 v14, 0xffff0000, v15
	v_max_f32_e32 v14, v14, v14
	v_max_f32_e32 v11, v11, v11
	v_min_f32_e32 v15, v11, v14
	v_max_f32_e32 v11, v11, v14
	v_cndmask_b32_e64 v14, v11, v15, s[26:27]
	v_and_b32_e32 v11, 0x7f800000, v14
	v_cmp_ne_u32_e32 vcc, s43, v11
                                        ; implicit-def: $vgpr11
	s_and_saveexec_b64 s[8:9], vcc
	s_xor_b64 vcc, exec, s[8:9]
; %bb.2515:                             ;   in Loop: Header=BB30_2483 Depth=3
	v_bfe_u32 v11, v14, 16, 1
	v_add3_u32 v11, v14, v11, s40
                                        ; implicit-def: $vgpr14
; %bb.2516:                             ;   in Loop: Header=BB30_2483 Depth=3
	s_andn2_saveexec_b64 s[50:51], vcc
; %bb.2517:                             ;   in Loop: Header=BB30_2483 Depth=3
	v_or_b32_e32 v11, 0x10000, v14
	v_cmp_eq_u32_sdwa vcc, v14, v3 src0_sel:WORD_0 src1_sel:DWORD
	s_nop 1
	v_cndmask_b32_e32 v11, v11, v14, vcc
; %bb.2518:                             ;   in Loop: Header=BB30_2483 Depth=3
	s_or_b64 exec, exec, s[50:51]
	v_lshrrev_b32_e32 v8, 16, v8
	v_lshrrev_b32_e32 v6, 16, v6
	v_and_or_b32 v9, v9, s41, v8
	v_and_or_b32 v8, v7, s41, v6
	v_lshrrev_b32_e32 v6, 16, v12
	v_and_or_b32 v10, v10, s41, v6
	v_lshrrev_b32_e32 v6, 16, v13
	v_and_or_b32 v11, v11, s41, v6
	scratch_store_dwordx4 off, v[8:11], s33 offset:224
	global_store_dwordx4 v[4:5], v[8:11], off
	scratch_load_dwordx2 v[6:7], off, s33 offset:264 ; 8-byte Folded Reload
	s_waitcnt vmcnt(0)
	v_lshl_add_u64 v[4:5], v[6:7], 0, v[4:5]
.LBB30_2519:                            ;   in Loop: Header=BB30_2483 Depth=3
	s_or_b64 exec, exec, s[28:29]
	v_sub_u32_e32 v0, v0, v111
	v_lshl_add_u64 v[16:17], v[16:17], 0, v[90:91]
	v_lshl_add_u64 v[18:19], v[18:19], 0, v[90:91]
	v_cmp_lt_i32_e64 s[50:51], 15, v0
	s_and_saveexec_b64 s[52:53], s[50:51]
	s_cbranch_execz .LBB30_2522
; %bb.2520:                             ;   in Loop: Header=BB30_2483 Depth=3
	s_add_i32 s9, s33, 0xe0
	s_mov_b32 s8, s9
	s_mov_b64 s[28:29], 0
	s_mov_b64 s[54:55], -1
.LBB30_2521:                            ;   Parent Loop BB30_47 Depth=1
                                        ;     Parent Loop BB30_1243 Depth=2
                                        ;       Parent Loop BB30_2483 Depth=3
                                        ; =>      This Inner Loop Header: Depth=4
	s_cmp_eq_u32 s28, 1
	s_cselect_b64 vcc, -1, 0
	v_cndmask_b32_e32 v11, v17, v19, vcc
	v_cndmask_b32_e32 v10, v16, v18, vcc
	global_load_dwordx4 v[6:9], v[10:11], off nt
	s_cmp_eq_u32 s28, 0
	s_cselect_b64 s[28:29], -1, 0
	s_waitcnt vmcnt(0)
	scratch_store_dwordx4 off, v[6:9], s8
	s_nop 1
	v_lshl_add_u64 v[6:7], v[10:11], 0, s[56:57]
	v_cndmask_b32_e64 v17, v17, v7, s[28:29]
	v_cndmask_b32_e64 v16, v16, v6, s[28:29]
	v_cndmask_b32_e32 v19, v19, v7, vcc
	v_cndmask_b32_e32 v18, v18, v6, vcc
	s_mov_b64 s[28:29], 1
	s_and_b64 vcc, exec, s[54:55]
	s_mov_b64 s[54:55], 0
	s_mov_b32 s8, s84
	s_cbranch_vccnz .LBB30_2521
.LBB30_2522:                            ;   in Loop: Header=BB30_2483 Depth=3
	s_or_b64 exec, exec, s[52:53]
	scratch_load_dwordx4 v[8:11], off, s33 offset:192
	scratch_load_dwordx4 v[12:15], off, s33 offset:208
	s_waitcnt vmcnt(1)
	v_lshlrev_b32_e32 v6, 16, v8
	s_waitcnt vmcnt(0)
	v_lshlrev_b32_e32 v7, 16, v12
	v_max_f32_e32 v7, v7, v7
	v_max_f32_e32 v6, v6, v6
	v_min_f32_e32 v24, v6, v7
	v_max_f32_e32 v6, v6, v7
	v_cndmask_b32_e64 v7, v6, v24, s[26:27]
	v_and_b32_e32 v6, 0x7f800000, v7
	v_cmp_ne_u32_e32 vcc, s43, v6
                                        ; implicit-def: $vgpr6
	s_and_saveexec_b64 s[8:9], vcc
	s_xor_b64 s[28:29], exec, s[8:9]
; %bb.2523:                             ;   in Loop: Header=BB30_2483 Depth=3
	v_bfe_u32 v6, v7, 16, 1
	v_add3_u32 v6, v7, v6, s40
                                        ; implicit-def: $vgpr7
; %bb.2524:                             ;   in Loop: Header=BB30_2483 Depth=3
	s_andn2_saveexec_b64 s[28:29], s[28:29]
; %bb.2525:                             ;   in Loop: Header=BB30_2483 Depth=3
	v_or_b32_e32 v6, 0x10000, v7
	v_cmp_eq_u32_sdwa vcc, v7, v3 src0_sel:WORD_0 src1_sel:DWORD
	s_nop 1
	v_cndmask_b32_e32 v6, v6, v7, vcc
; %bb.2526:                             ;   in Loop: Header=BB30_2483 Depth=3
	s_or_b64 exec, exec, s[28:29]
	v_and_b32_e32 v7, 0xffff0000, v8
	v_and_b32_e32 v8, 0xffff0000, v12
	v_max_f32_e32 v8, v8, v8
	v_max_f32_e32 v7, v7, v7
	v_min_f32_e32 v12, v7, v8
	v_max_f32_e32 v7, v7, v8
	v_cndmask_b32_e64 v8, v7, v12, s[26:27]
	v_and_b32_e32 v7, 0x7f800000, v8
	v_cmp_ne_u32_e32 vcc, s43, v7
                                        ; implicit-def: $vgpr7
	s_and_saveexec_b64 s[8:9], vcc
	s_xor_b64 s[28:29], exec, s[8:9]
; %bb.2527:                             ;   in Loop: Header=BB30_2483 Depth=3
	v_bfe_u32 v7, v8, 16, 1
	v_add3_u32 v7, v8, v7, s40
                                        ; implicit-def: $vgpr8
; %bb.2528:                             ;   in Loop: Header=BB30_2483 Depth=3
	s_andn2_saveexec_b64 s[28:29], s[28:29]
; %bb.2529:                             ;   in Loop: Header=BB30_2483 Depth=3
	v_or_b32_e32 v7, 0x10000, v8
	v_cmp_eq_u32_sdwa vcc, v8, v3 src0_sel:WORD_0 src1_sel:DWORD
	s_nop 1
	v_cndmask_b32_e32 v7, v7, v8, vcc
; %bb.2530:                             ;   in Loop: Header=BB30_2483 Depth=3
	s_or_b64 exec, exec, s[28:29]
	v_lshlrev_b32_e32 v8, 16, v9
	v_lshlrev_b32_e32 v12, 16, v13
	v_max_f32_e32 v12, v12, v12
	v_max_f32_e32 v8, v8, v8
	v_min_f32_e32 v24, v8, v12
	v_max_f32_e32 v8, v8, v12
	v_cndmask_b32_e64 v12, v8, v24, s[26:27]
	v_and_b32_e32 v8, 0x7f800000, v12
	v_cmp_ne_u32_e32 vcc, s43, v8
                                        ; implicit-def: $vgpr8
	s_and_saveexec_b64 s[8:9], vcc
	s_xor_b64 s[28:29], exec, s[8:9]
; %bb.2531:                             ;   in Loop: Header=BB30_2483 Depth=3
	v_bfe_u32 v8, v12, 16, 1
	v_add3_u32 v8, v12, v8, s40
                                        ; implicit-def: $vgpr12
; %bb.2532:                             ;   in Loop: Header=BB30_2483 Depth=3
	s_andn2_saveexec_b64 s[28:29], s[28:29]
; %bb.2533:                             ;   in Loop: Header=BB30_2483 Depth=3
	v_or_b32_e32 v8, 0x10000, v12
	v_cmp_eq_u32_sdwa vcc, v12, v3 src0_sel:WORD_0 src1_sel:DWORD
	s_nop 1
	v_cndmask_b32_e32 v8, v8, v12, vcc
; %bb.2534:                             ;   in Loop: Header=BB30_2483 Depth=3
	s_or_b64 exec, exec, s[28:29]
	v_and_b32_e32 v9, 0xffff0000, v9
	v_and_b32_e32 v12, 0xffff0000, v13
	v_max_f32_e32 v12, v12, v12
	v_max_f32_e32 v9, v9, v9
	v_min_f32_e32 v13, v9, v12
	v_max_f32_e32 v9, v9, v12
	v_cndmask_b32_e64 v12, v9, v13, s[26:27]
	v_and_b32_e32 v9, 0x7f800000, v12
	v_cmp_ne_u32_e32 vcc, s43, v9
                                        ; implicit-def: $vgpr9
	s_and_saveexec_b64 s[8:9], vcc
	s_xor_b64 s[28:29], exec, s[8:9]
; %bb.2535:                             ;   in Loop: Header=BB30_2483 Depth=3
	v_bfe_u32 v9, v12, 16, 1
	v_add3_u32 v9, v12, v9, s40
                                        ; implicit-def: $vgpr12
; %bb.2536:                             ;   in Loop: Header=BB30_2483 Depth=3
	s_andn2_saveexec_b64 s[28:29], s[28:29]
; %bb.2537:                             ;   in Loop: Header=BB30_2483 Depth=3
	v_or_b32_e32 v9, 0x10000, v12
	v_cmp_eq_u32_sdwa vcc, v12, v3 src0_sel:WORD_0 src1_sel:DWORD
	s_nop 1
	v_cndmask_b32_e32 v9, v9, v12, vcc
; %bb.2538:                             ;   in Loop: Header=BB30_2483 Depth=3
	s_or_b64 exec, exec, s[28:29]
	v_lshlrev_b32_e32 v12, 16, v10
	v_lshlrev_b32_e32 v13, 16, v14
	v_max_f32_e32 v13, v13, v13
	v_max_f32_e32 v12, v12, v12
	v_min_f32_e32 v24, v12, v13
	v_max_f32_e32 v12, v12, v13
	v_cndmask_b32_e64 v13, v12, v24, s[26:27]
	v_and_b32_e32 v12, 0x7f800000, v13
	v_cmp_ne_u32_e32 vcc, s43, v12
                                        ; implicit-def: $vgpr12
	s_and_saveexec_b64 s[8:9], vcc
	s_xor_b64 s[28:29], exec, s[8:9]
; %bb.2539:                             ;   in Loop: Header=BB30_2483 Depth=3
	v_bfe_u32 v12, v13, 16, 1
	v_add3_u32 v12, v13, v12, s40
                                        ; implicit-def: $vgpr13
; %bb.2540:                             ;   in Loop: Header=BB30_2483 Depth=3
	s_andn2_saveexec_b64 s[28:29], s[28:29]
; %bb.2541:                             ;   in Loop: Header=BB30_2483 Depth=3
	v_or_b32_e32 v12, 0x10000, v13
	v_cmp_eq_u32_sdwa vcc, v13, v3 src0_sel:WORD_0 src1_sel:DWORD
	s_nop 1
	v_cndmask_b32_e32 v12, v12, v13, vcc
; %bb.2542:                             ;   in Loop: Header=BB30_2483 Depth=3
	s_or_b64 exec, exec, s[28:29]
	v_and_b32_e32 v10, 0xffff0000, v10
	v_and_b32_e32 v13, 0xffff0000, v14
	v_max_f32_e32 v13, v13, v13
	v_max_f32_e32 v10, v10, v10
	v_min_f32_e32 v14, v10, v13
	v_max_f32_e32 v10, v10, v13
	v_cndmask_b32_e64 v13, v10, v14, s[26:27]
	v_and_b32_e32 v10, 0x7f800000, v13
	v_cmp_ne_u32_e32 vcc, s43, v10
                                        ; implicit-def: $vgpr10
	s_and_saveexec_b64 s[8:9], vcc
	s_xor_b64 s[28:29], exec, s[8:9]
; %bb.2543:                             ;   in Loop: Header=BB30_2483 Depth=3
	v_bfe_u32 v10, v13, 16, 1
	v_add3_u32 v10, v13, v10, s40
                                        ; implicit-def: $vgpr13
; %bb.2544:                             ;   in Loop: Header=BB30_2483 Depth=3
	s_andn2_saveexec_b64 s[28:29], s[28:29]
; %bb.2545:                             ;   in Loop: Header=BB30_2483 Depth=3
	v_or_b32_e32 v10, 0x10000, v13
	v_cmp_eq_u32_sdwa vcc, v13, v3 src0_sel:WORD_0 src1_sel:DWORD
	s_nop 1
	v_cndmask_b32_e32 v10, v10, v13, vcc
; %bb.2546:                             ;   in Loop: Header=BB30_2483 Depth=3
	s_or_b64 exec, exec, s[28:29]
	v_lshlrev_b32_e32 v13, 16, v11
	v_lshlrev_b32_e32 v14, 16, v15
	v_max_f32_e32 v14, v14, v14
	v_max_f32_e32 v13, v13, v13
	v_min_f32_e32 v24, v13, v14
	v_max_f32_e32 v13, v13, v14
	v_cndmask_b32_e64 v14, v13, v24, s[26:27]
	v_and_b32_e32 v13, 0x7f800000, v14
	v_cmp_ne_u32_e32 vcc, s43, v13
                                        ; implicit-def: $vgpr13
	s_and_saveexec_b64 s[8:9], vcc
	s_xor_b64 s[28:29], exec, s[8:9]
; %bb.2547:                             ;   in Loop: Header=BB30_2483 Depth=3
	v_bfe_u32 v13, v14, 16, 1
	v_add3_u32 v13, v14, v13, s40
                                        ; implicit-def: $vgpr14
; %bb.2548:                             ;   in Loop: Header=BB30_2483 Depth=3
	s_andn2_saveexec_b64 s[28:29], s[28:29]
; %bb.2549:                             ;   in Loop: Header=BB30_2483 Depth=3
	v_or_b32_e32 v13, 0x10000, v14
	v_cmp_eq_u32_sdwa vcc, v14, v3 src0_sel:WORD_0 src1_sel:DWORD
	s_nop 1
	v_cndmask_b32_e32 v13, v13, v14, vcc
; %bb.2550:                             ;   in Loop: Header=BB30_2483 Depth=3
	s_or_b64 exec, exec, s[28:29]
	v_and_b32_e32 v11, 0xffff0000, v11
	v_and_b32_e32 v14, 0xffff0000, v15
	v_max_f32_e32 v14, v14, v14
	v_max_f32_e32 v11, v11, v11
	v_min_f32_e32 v15, v11, v14
	v_max_f32_e32 v11, v11, v14
	v_cndmask_b32_e64 v14, v11, v15, s[26:27]
	v_and_b32_e32 v11, 0x7f800000, v14
	v_cmp_ne_u32_e32 vcc, s43, v11
                                        ; implicit-def: $vgpr11
	s_and_saveexec_b64 s[8:9], vcc
	s_xor_b64 s[28:29], exec, s[8:9]
; %bb.2551:                             ;   in Loop: Header=BB30_2483 Depth=3
	v_bfe_u32 v11, v14, 16, 1
	v_add3_u32 v11, v14, v11, s40
                                        ; implicit-def: $vgpr14
; %bb.2552:                             ;   in Loop: Header=BB30_2483 Depth=3
	s_andn2_saveexec_b64 s[28:29], s[28:29]
; %bb.2553:                             ;   in Loop: Header=BB30_2483 Depth=3
	v_or_b32_e32 v11, 0x10000, v14
	v_cmp_eq_u32_sdwa vcc, v14, v3 src0_sel:WORD_0 src1_sel:DWORD
	s_nop 1
	v_cndmask_b32_e32 v11, v11, v14, vcc
; %bb.2554:                             ;   in Loop: Header=BB30_2483 Depth=3
	s_or_b64 exec, exec, s[28:29]
	v_lshrrev_b32_e32 v8, 16, v8
	v_lshrrev_b32_e32 v6, 16, v6
	v_and_or_b32 v9, v9, s41, v8
	v_and_or_b32 v8, v7, s41, v6
	v_lshrrev_b32_e32 v6, 16, v12
	v_and_or_b32 v10, v10, s41, v6
	v_lshrrev_b32_e32 v6, 16, v13
	v_and_or_b32 v11, v11, s41, v6
	v_sub_u32_e32 v23, v23, v60
	scratch_store_dwordx4 off, v[8:11], s33 offset:192
	global_store_dwordx4 v[4:5], v[8:11], off
	v_lshl_add_u64 v[4:5], v[4:5], 0, s[56:57]
	s_and_saveexec_b64 s[28:29], s[50:51]
	s_cbranch_execz .LBB30_2482
; %bb.2555:                             ;   in Loop: Header=BB30_2483 Depth=3
	v_lshl_add_u64 v[16:17], v[16:17], 0, v[90:91]
	v_lshl_add_u64 v[18:19], v[18:19], 0, v[90:91]
	;; [unrolled: 1-line block ×3, first 2 shown]
	v_sub_u32_e32 v0, v0, v111
	v_sub_u32_e32 v23, v23, v60
	s_branch .LBB30_2482
.LBB30_2556:                            ;   in Loop: Header=BB30_1243 Depth=2
	s_or_b64 exec, exec, s[38:39]
	s_and_b64 s[26:27], s[48:49], exec
.LBB30_2557:                            ;   in Loop: Header=BB30_1243 Depth=2
	s_or_b64 exec, exec, s[36:37]
	s_and_saveexec_b64 s[28:29], s[26:27]
	s_cbranch_execz .LBB30_2591
; %bb.2558:                             ;   in Loop: Header=BB30_1243 Depth=2
	scratch_load_dwordx4 v[8:11], off, s33 offset:224
	scratch_load_dwordx4 v[12:15], off, s33 offset:240
	s_and_b32 s8, 0xffff, s64
	s_cmp_eq_u32 s8, 0
	s_cselect_b64 vcc, -1, 0
	s_waitcnt vmcnt(0)
	v_lshlrev_b32_e32 v0, 16, v8
	v_lshlrev_b32_e32 v6, 16, v12
	v_max_f32_e32 v6, v6, v6
	v_max_f32_e32 v0, v0, v0
	v_min_f32_e32 v7, v0, v6
	v_max_f32_e32 v0, v0, v6
	v_cndmask_b32_e32 v6, v0, v7, vcc
	v_and_b32_e32 v0, 0x7f800000, v6
	v_cmp_ne_u32_e64 s[26:27], s43, v0
                                        ; implicit-def: $vgpr0
	s_and_saveexec_b64 s[8:9], s[26:27]
	s_xor_b64 s[26:27], exec, s[8:9]
; %bb.2559:                             ;   in Loop: Header=BB30_1243 Depth=2
	v_bfe_u32 v0, v6, 16, 1
	v_add3_u32 v0, v6, v0, s40
                                        ; implicit-def: $vgpr6
; %bb.2560:                             ;   in Loop: Header=BB30_1243 Depth=2
	s_andn2_saveexec_b64 s[36:37], s[26:27]
; %bb.2561:                             ;   in Loop: Header=BB30_1243 Depth=2
	v_or_b32_e32 v0, 0x10000, v6
	v_cmp_eq_u32_sdwa s[26:27], v6, v3 src0_sel:WORD_0 src1_sel:DWORD
	s_nop 1
	v_cndmask_b32_e64 v0, v0, v6, s[26:27]
; %bb.2562:                             ;   in Loop: Header=BB30_1243 Depth=2
	s_or_b64 exec, exec, s[36:37]
	v_and_b32_e32 v6, 0xffff0000, v8
	v_and_b32_e32 v7, 0xffff0000, v12
	v_max_f32_e32 v7, v7, v7
	v_max_f32_e32 v6, v6, v6
	v_min_f32_e32 v8, v6, v7
	v_max_f32_e32 v6, v6, v7
	v_cndmask_b32_e32 v7, v6, v8, vcc
	v_and_b32_e32 v6, 0x7f800000, v7
	v_cmp_ne_u32_e64 s[26:27], s43, v6
                                        ; implicit-def: $vgpr6
	s_and_saveexec_b64 s[8:9], s[26:27]
	s_xor_b64 s[26:27], exec, s[8:9]
; %bb.2563:                             ;   in Loop: Header=BB30_1243 Depth=2
	v_bfe_u32 v6, v7, 16, 1
	v_add3_u32 v6, v7, v6, s40
                                        ; implicit-def: $vgpr7
; %bb.2564:                             ;   in Loop: Header=BB30_1243 Depth=2
	s_andn2_saveexec_b64 s[36:37], s[26:27]
; %bb.2565:                             ;   in Loop: Header=BB30_1243 Depth=2
	v_or_b32_e32 v6, 0x10000, v7
	v_cmp_eq_u32_sdwa s[26:27], v7, v3 src0_sel:WORD_0 src1_sel:DWORD
	s_nop 1
	v_cndmask_b32_e64 v6, v6, v7, s[26:27]
; %bb.2566:                             ;   in Loop: Header=BB30_1243 Depth=2
	s_or_b64 exec, exec, s[36:37]
	v_lshlrev_b32_e32 v7, 16, v9
	v_lshlrev_b32_e32 v8, 16, v13
	v_max_f32_e32 v8, v8, v8
	v_max_f32_e32 v7, v7, v7
	v_min_f32_e32 v12, v7, v8
	v_max_f32_e32 v7, v7, v8
	v_cndmask_b32_e32 v8, v7, v12, vcc
	v_and_b32_e32 v7, 0x7f800000, v8
	v_cmp_ne_u32_e64 s[26:27], s43, v7
                                        ; implicit-def: $vgpr7
	s_and_saveexec_b64 s[8:9], s[26:27]
	s_xor_b64 s[26:27], exec, s[8:9]
; %bb.2567:                             ;   in Loop: Header=BB30_1243 Depth=2
	v_bfe_u32 v7, v8, 16, 1
	v_add3_u32 v7, v8, v7, s40
                                        ; implicit-def: $vgpr8
; %bb.2568:                             ;   in Loop: Header=BB30_1243 Depth=2
	s_andn2_saveexec_b64 s[36:37], s[26:27]
; %bb.2569:                             ;   in Loop: Header=BB30_1243 Depth=2
	v_or_b32_e32 v7, 0x10000, v8
	v_cmp_eq_u32_sdwa s[26:27], v8, v3 src0_sel:WORD_0 src1_sel:DWORD
	s_nop 1
	v_cndmask_b32_e64 v7, v7, v8, s[26:27]
; %bb.2570:                             ;   in Loop: Header=BB30_1243 Depth=2
	s_or_b64 exec, exec, s[36:37]
	v_and_b32_e32 v8, 0xffff0000, v9
	v_and_b32_e32 v9, 0xffff0000, v13
	v_max_f32_e32 v9, v9, v9
	v_max_f32_e32 v8, v8, v8
	v_min_f32_e32 v12, v8, v9
	v_max_f32_e32 v8, v8, v9
	v_cndmask_b32_e32 v9, v8, v12, vcc
	v_and_b32_e32 v8, 0x7f800000, v9
	v_cmp_ne_u32_e64 s[26:27], s43, v8
                                        ; implicit-def: $vgpr8
	s_and_saveexec_b64 s[8:9], s[26:27]
	s_xor_b64 s[26:27], exec, s[8:9]
; %bb.2571:                             ;   in Loop: Header=BB30_1243 Depth=2
	v_bfe_u32 v8, v9, 16, 1
	v_add3_u32 v8, v9, v8, s40
                                        ; implicit-def: $vgpr9
; %bb.2572:                             ;   in Loop: Header=BB30_1243 Depth=2
	s_andn2_saveexec_b64 s[36:37], s[26:27]
; %bb.2573:                             ;   in Loop: Header=BB30_1243 Depth=2
	v_or_b32_e32 v8, 0x10000, v9
	v_cmp_eq_u32_sdwa s[26:27], v9, v3 src0_sel:WORD_0 src1_sel:DWORD
	s_nop 1
	v_cndmask_b32_e64 v8, v8, v9, s[26:27]
; %bb.2574:                             ;   in Loop: Header=BB30_1243 Depth=2
	s_or_b64 exec, exec, s[36:37]
	v_lshlrev_b32_e32 v9, 16, v10
	v_lshlrev_b32_e32 v12, 16, v14
	v_max_f32_e32 v12, v12, v12
	v_max_f32_e32 v9, v9, v9
	v_min_f32_e32 v13, v9, v12
	v_max_f32_e32 v9, v9, v12
	v_cndmask_b32_e32 v12, v9, v13, vcc
	v_and_b32_e32 v9, 0x7f800000, v12
	v_cmp_ne_u32_e64 s[26:27], s43, v9
                                        ; implicit-def: $vgpr9
	s_and_saveexec_b64 s[8:9], s[26:27]
	s_xor_b64 s[26:27], exec, s[8:9]
; %bb.2575:                             ;   in Loop: Header=BB30_1243 Depth=2
	v_bfe_u32 v9, v12, 16, 1
	v_add3_u32 v9, v12, v9, s40
                                        ; implicit-def: $vgpr12
; %bb.2576:                             ;   in Loop: Header=BB30_1243 Depth=2
	s_andn2_saveexec_b64 s[36:37], s[26:27]
; %bb.2577:                             ;   in Loop: Header=BB30_1243 Depth=2
	v_or_b32_e32 v9, 0x10000, v12
	v_cmp_eq_u32_sdwa s[26:27], v12, v3 src0_sel:WORD_0 src1_sel:DWORD
	s_nop 1
	v_cndmask_b32_e64 v9, v9, v12, s[26:27]
; %bb.2578:                             ;   in Loop: Header=BB30_1243 Depth=2
	s_or_b64 exec, exec, s[36:37]
	v_and_b32_e32 v10, 0xffff0000, v10
	v_and_b32_e32 v12, 0xffff0000, v14
	v_max_f32_e32 v12, v12, v12
	v_max_f32_e32 v10, v10, v10
	v_min_f32_e32 v13, v10, v12
	v_max_f32_e32 v10, v10, v12
	v_cndmask_b32_e32 v12, v10, v13, vcc
	v_and_b32_e32 v10, 0x7f800000, v12
	v_cmp_ne_u32_e64 s[26:27], s43, v10
                                        ; implicit-def: $vgpr10
	s_and_saveexec_b64 s[8:9], s[26:27]
	s_xor_b64 s[26:27], exec, s[8:9]
; %bb.2579:                             ;   in Loop: Header=BB30_1243 Depth=2
	v_bfe_u32 v10, v12, 16, 1
	v_add3_u32 v10, v12, v10, s40
                                        ; implicit-def: $vgpr12
; %bb.2580:                             ;   in Loop: Header=BB30_1243 Depth=2
	s_andn2_saveexec_b64 s[36:37], s[26:27]
; %bb.2581:                             ;   in Loop: Header=BB30_1243 Depth=2
	v_or_b32_e32 v10, 0x10000, v12
	v_cmp_eq_u32_sdwa s[26:27], v12, v3 src0_sel:WORD_0 src1_sel:DWORD
	s_nop 1
	v_cndmask_b32_e64 v10, v10, v12, s[26:27]
; %bb.2582:                             ;   in Loop: Header=BB30_1243 Depth=2
	s_or_b64 exec, exec, s[36:37]
	v_lshlrev_b32_e32 v12, 16, v11
	v_lshlrev_b32_e32 v13, 16, v15
	v_max_f32_e32 v13, v13, v13
	v_max_f32_e32 v12, v12, v12
	v_min_f32_e32 v14, v12, v13
	v_max_f32_e32 v12, v12, v13
	v_cndmask_b32_e32 v13, v12, v14, vcc
	v_and_b32_e32 v12, 0x7f800000, v13
	v_cmp_ne_u32_e64 s[26:27], s43, v12
                                        ; implicit-def: $vgpr12
	s_and_saveexec_b64 s[8:9], s[26:27]
	s_xor_b64 s[26:27], exec, s[8:9]
; %bb.2583:                             ;   in Loop: Header=BB30_1243 Depth=2
	v_bfe_u32 v12, v13, 16, 1
	v_add3_u32 v12, v13, v12, s40
                                        ; implicit-def: $vgpr13
; %bb.2584:                             ;   in Loop: Header=BB30_1243 Depth=2
	s_andn2_saveexec_b64 s[36:37], s[26:27]
; %bb.2585:                             ;   in Loop: Header=BB30_1243 Depth=2
	v_or_b32_e32 v12, 0x10000, v13
	v_cmp_eq_u32_sdwa s[26:27], v13, v3 src0_sel:WORD_0 src1_sel:DWORD
	s_nop 1
	v_cndmask_b32_e64 v12, v12, v13, s[26:27]
; %bb.2586:                             ;   in Loop: Header=BB30_1243 Depth=2
	s_or_b64 exec, exec, s[36:37]
	v_and_b32_e32 v11, 0xffff0000, v11
	v_and_b32_e32 v13, 0xffff0000, v15
	v_max_f32_e32 v13, v13, v13
	v_max_f32_e32 v11, v11, v11
	v_min_f32_e32 v14, v11, v13
	v_max_f32_e32 v11, v11, v13
	v_cndmask_b32_e32 v13, v11, v14, vcc
	v_and_b32_e32 v11, 0x7f800000, v13
	v_cmp_ne_u32_e32 vcc, s43, v11
                                        ; implicit-def: $vgpr11
	s_and_saveexec_b64 s[8:9], vcc
	s_xor_b64 s[26:27], exec, s[8:9]
; %bb.2587:                             ;   in Loop: Header=BB30_1243 Depth=2
	v_bfe_u32 v11, v13, 16, 1
	v_add3_u32 v11, v13, v11, s40
                                        ; implicit-def: $vgpr13
; %bb.2588:                             ;   in Loop: Header=BB30_1243 Depth=2
	s_andn2_saveexec_b64 s[26:27], s[26:27]
; %bb.2589:                             ;   in Loop: Header=BB30_1243 Depth=2
	v_or_b32_e32 v11, 0x10000, v13
	v_cmp_eq_u32_sdwa vcc, v13, v3 src0_sel:WORD_0 src1_sel:DWORD
	s_nop 1
	v_cndmask_b32_e32 v11, v11, v13, vcc
; %bb.2590:                             ;   in Loop: Header=BB30_1243 Depth=2
	s_or_b64 exec, exec, s[26:27]
	v_lshrrev_b32_e32 v0, 16, v0
	v_lshrrev_b32_e32 v7, 16, v7
	v_and_or_b32 v6, v6, s41, v0
	v_lshrrev_b32_e32 v0, 16, v9
	v_and_or_b32 v7, v8, s41, v7
	v_and_or_b32 v8, v10, s41, v0
	v_lshrrev_b32_e32 v0, 16, v12
	v_and_or_b32 v9, v11, s41, v0
	global_store_dwordx4 v[4:5], v[6:9], off
.LBB30_2591:                            ;   in Loop: Header=BB30_1243 Depth=2
	s_or_b64 exec, exec, s[28:29]
	v_and_b32_e32 v5, 14, v29
	v_cndmask_b32_e64 v29, v22, v5, s[24:25]
	v_cmp_ne_u32_e32 vcc, 0, v29
	s_mov_b64 s[28:29], s[30:31]
                                        ; implicit-def: $vgpr0
                                        ; implicit-def: $vgpr4
                                        ; implicit-def: $vgpr12
	s_and_saveexec_b64 s[26:27], vcc
	s_cbranch_execz .LBB30_2593
; %bb.2592:                             ;   in Loop: Header=BB30_1243 Depth=2
	v_cmp_lt_i32_e32 vcc, 0, v23
	v_sub_u32_e32 v0, v22, v5
	v_cndmask_b32_e64 v0, 0, v0, s[24:25]
	v_cndmask_b32_e32 v4, 0, v60, vcc
	v_sub_u32_e32 v4, v4, v23
	v_lshl_add_u32 v4, v4, 6, v1
	v_ashrrev_i32_e32 v1, 31, v4
	v_lshrrev_b32_e32 v1, 26, v1
	v_add_u32_e32 v1, v4, v1
	v_and_b32_e32 v1, 0xffffffc0, v1
	v_add3_u32 v0, v21, v20, v0
	v_sub_u32_e32 v12, v4, v1
	s_or_b64 s[28:29], s[30:31], exec
.LBB30_2593:                            ;   in Loop: Header=BB30_1243 Depth=2
	s_or_b64 exec, exec, s[26:27]
	s_andn2_b64 s[8:9], s[30:31], exec
	s_and_b64 s[24:25], s[28:29], exec
	s_or_b64 s[30:31], s[8:9], s[24:25]
.LBB30_2594:                            ;   in Loop: Header=BB30_1243 Depth=2
	s_or_b64 exec, exec, s[34:35]
	s_and_saveexec_b64 s[34:35], s[30:31]
	s_cbranch_execz .LBB30_2822
.LBB30_2595:                            ;   in Loop: Header=BB30_1243 Depth=2
	v_ashrrev_i32_e32 v1, 31, v4
	v_lshrrev_b32_e32 v1, 26, v1
	v_add_u32_e32 v1, v4, v1
	v_ashrrev_i32_e32 v4, 6, v1
	v_lshlrev_b32_e32 v1, 11, v4
	v_lshlrev_b32_e32 v5, 1, v12
	v_add3_u32 v10, v0, v5, v1
	v_ashrrev_i32_e32 v1, 31, v29
	v_lshrrev_b32_e32 v1, 21, v1
	v_add_u32_e32 v1, v29, v1
	v_ashrrev_i32_e32 v1, 11, v1
	v_ashrrev_i32_e32 v11, 31, v10
	v_sub_u32_e32 v13, v1, v4
	s_waitcnt vmcnt(0)
	v_mov_b64_e32 v[42:43], v[32:33]
	v_lshl_add_u64 v[4:5], v[32:33], 0, v[10:11]
	v_cmp_lt_i32_e32 vcc, 0, v13
	v_mov_b32_e32 v87, 0
	s_mov_b64 s[24:25], 0
	v_mov_b32_e32 v84, 0
	v_mov_b32_e32 v82, 0
	;; [unrolled: 1-line block ×31, first 2 shown]
	s_and_saveexec_b64 s[26:27], vcc
	s_cbranch_execz .LBB30_2731
; %bb.2596:                             ;   in Loop: Header=BB30_1243 Depth=2
	s_trap 2
	ds_read_b64 v[6:7], v0
	s_and_b32 s8, s64, 0xff
	s_cmp_eq_u32 s8, 0
	v_lshl_add_u64 v[8:9], v[10:11], 0, v[120:121]
	s_mov_b64 s[36:37], 0
	s_waitcnt lgkmcnt(0)
	v_lshl_add_u64 v[10:11], v[6:7], 0, v[10:11]
	s_mov_b64 s[30:31], 0
	s_cselect_b64 vcc, -1, 0
                                        ; implicit-def: $sgpr28_sgpr29
                                        ; implicit-def: $vgpr113
                                        ; implicit-def: $vgpr102
                                        ; implicit-def: $vgpr99
                                        ; implicit-def: $vgpr96
                                        ; implicit-def: $vgpr85
                                        ; implicit-def: $vgpr81
                                        ; implicit-def: $vgpr70
                                        ; implicit-def: $vgpr67
                                        ; implicit-def: $vgpr64
                                        ; implicit-def: $vgpr53
                                        ; implicit-def: $vgpr49
                                        ; implicit-def: $vgpr38
                                        ; implicit-def: $vgpr37
                                        ; implicit-def: $vgpr36
                                        ; implicit-def: $vgpr35
                                        ; implicit-def: $vgpr34
                                        ; implicit-def: $vgpr14
                                        ; implicit-def: $vgpr15
                                        ; implicit-def: $vgpr16
                                        ; implicit-def: $vgpr17
                                        ; implicit-def: $vgpr18
                                        ; implicit-def: $vgpr19
                                        ; implicit-def: $vgpr20
                                        ; implicit-def: $vgpr21
                                        ; implicit-def: $vgpr22
                                        ; implicit-def: $vgpr23
                                        ; implicit-def: $vgpr24
                                        ; implicit-def: $vgpr25
                                        ; implicit-def: $vgpr26
                                        ; implicit-def: $vgpr27
                                        ; implicit-def: $vgpr32
                                        ; implicit-def: $vgpr33
	s_branch .LBB30_2598
.LBB30_2597:                            ;   in Loop: Header=BB30_2598 Depth=3
	s_or_b64 exec, exec, s[38:39]
	flat_store_short_d16_hi v[4:5], v6 nt
	flat_store_short_d16_hi v[4:5], v7 offset:128 nt
	flat_store_short_d16_hi v[4:5], v30 offset:256 nt
	;; [unrolled: 1-line block ×15, first 2 shown]
	v_lshl_add_u64 v[6:7], v[8:9], 0, v[76:77]
	v_cndmask_b32_e64 v8, v8, v6, s[36:37]
	v_cndmask_b32_e64 v6, 0, v60, s[36:37]
	v_sub_u32_e32 v13, v13, v6
	v_cmp_gt_i32_e64 s[24:25], 1, v13
	v_mov_b32_e32 v30, 0x800
	s_or_b64 s[30:31], s[24:25], s[30:31]
	v_lshl_add_u64 v[50:51], v[10:11], 0, v[76:77]
	v_cndmask_b32_e64 v55, 0, v105, s[36:37]
	v_cndmask_b32_e64 v54, v30, v104, s[36:37]
	s_andn2_b64 s[8:9], s[28:29], exec
	s_and_b64 s[24:25], s[36:37], exec
	v_lshl_add_u64 v[4:5], v[4:5], 0, v[54:55]
	v_cndmask_b32_e64 v9, v9, v7, s[36:37]
	v_cndmask_b32_e64 v11, v11, v51, s[36:37]
	;; [unrolled: 1-line block ×3, first 2 shown]
	s_or_b64 s[28:29], s[8:9], s[24:25]
	s_andn2_b64 exec, exec, s[30:31]
	s_cbranch_execz .LBB30_2730
.LBB30_2598:                            ;   Parent Loop BB30_47 Depth=1
                                        ;     Parent Loop BB30_1243 Depth=2
                                        ; =>    This Inner Loop Header: Depth=3
	flat_load_ushort v44, v[8:9] nt
	flat_load_ushort v118, v[8:9] offset:128 nt
	flat_load_ushort v116, v[8:9] offset:256 nt
	;; [unrolled: 1-line block ×15, first 2 shown]
	flat_load_ushort v45, v[10:11] nt
	flat_load_ushort v119, v[10:11] offset:128 nt
	flat_load_ushort v117, v[10:11] offset:256 nt
	;; [unrolled: 1-line block ×15, first 2 shown]
	s_and_saveexec_b64 s[38:39], s[36:37]
	s_cbranch_execz .LBB30_2664
; %bb.2599:                             ;   in Loop: Header=BB30_2598 Depth=3
	v_lshlrev_b32_e32 v6, 16, v113
	v_lshlrev_b32_e32 v7, 16, v14
	v_max_f32_e32 v7, v7, v7
	v_max_f32_e32 v6, v6, v6
	v_min_f32_e32 v30, v6, v7
	v_max_f32_e32 v6, v6, v7
	v_cndmask_b32_e32 v7, v6, v30, vcc
	v_and_b32_e32 v6, 0x7f800000, v7
	v_cmp_ne_u32_e64 s[24:25], s43, v6
                                        ; implicit-def: $vgpr6
	s_and_saveexec_b64 s[8:9], s[24:25]
	s_xor_b64 s[24:25], exec, s[8:9]
; %bb.2600:                             ;   in Loop: Header=BB30_2598 Depth=3
	v_bfe_u32 v6, v7, 16, 1
	v_add3_u32 v6, v7, v6, s40
                                        ; implicit-def: $vgpr7
; %bb.2601:                             ;   in Loop: Header=BB30_2598 Depth=3
	s_andn2_saveexec_b64 s[36:37], s[24:25]
; %bb.2602:                             ;   in Loop: Header=BB30_2598 Depth=3
	v_or_b32_e32 v6, 0x10000, v7
	v_cmp_eq_u32_sdwa s[24:25], v7, v3 src0_sel:WORD_0 src1_sel:DWORD
	s_nop 1
	v_cndmask_b32_e64 v6, v6, v7, s[24:25]
; %bb.2603:                             ;   in Loop: Header=BB30_2598 Depth=3
	s_or_b64 exec, exec, s[36:37]
	v_lshlrev_b32_e32 v7, 16, v102
	v_lshlrev_b32_e32 v30, 16, v15
	v_max_f32_e32 v30, v30, v30
	v_max_f32_e32 v7, v7, v7
	v_min_f32_e32 v102, v7, v30
	v_max_f32_e32 v7, v7, v30
	v_cndmask_b32_e32 v30, v7, v102, vcc
	v_and_b32_e32 v7, 0x7f800000, v30
	v_cmp_ne_u32_e64 s[24:25], s43, v7
                                        ; implicit-def: $vgpr7
	s_and_saveexec_b64 s[8:9], s[24:25]
	s_xor_b64 s[24:25], exec, s[8:9]
; %bb.2604:                             ;   in Loop: Header=BB30_2598 Depth=3
	v_bfe_u32 v7, v30, 16, 1
	v_add3_u32 v7, v30, v7, s40
                                        ; implicit-def: $vgpr30
; %bb.2605:                             ;   in Loop: Header=BB30_2598 Depth=3
	s_andn2_saveexec_b64 s[36:37], s[24:25]
; %bb.2606:                             ;   in Loop: Header=BB30_2598 Depth=3
	v_or_b32_e32 v7, 0x10000, v30
	v_cmp_eq_u32_sdwa s[24:25], v30, v3 src0_sel:WORD_0 src1_sel:DWORD
	s_nop 1
	v_cndmask_b32_e64 v7, v7, v30, s[24:25]
; %bb.2607:                             ;   in Loop: Header=BB30_2598 Depth=3
	s_or_b64 exec, exec, s[36:37]
	v_lshlrev_b32_e32 v30, 16, v99
	v_lshlrev_b32_e32 v99, 16, v16
	v_max_f32_e32 v99, v99, v99
	v_max_f32_e32 v30, v30, v30
	v_min_f32_e32 v102, v30, v99
	v_max_f32_e32 v30, v30, v99
	v_cndmask_b32_e32 v99, v30, v102, vcc
	v_and_b32_e32 v30, 0x7f800000, v99
	v_cmp_ne_u32_e64 s[24:25], s43, v30
                                        ; implicit-def: $vgpr30
	s_and_saveexec_b64 s[8:9], s[24:25]
	s_xor_b64 s[24:25], exec, s[8:9]
; %bb.2608:                             ;   in Loop: Header=BB30_2598 Depth=3
	v_bfe_u32 v30, v99, 16, 1
	v_add3_u32 v30, v99, v30, s40
                                        ; implicit-def: $vgpr99
; %bb.2609:                             ;   in Loop: Header=BB30_2598 Depth=3
	s_andn2_saveexec_b64 s[36:37], s[24:25]
; %bb.2610:                             ;   in Loop: Header=BB30_2598 Depth=3
	v_or_b32_e32 v30, 0x10000, v99
	v_cmp_eq_u32_sdwa s[24:25], v99, v3 src0_sel:WORD_0 src1_sel:DWORD
	s_nop 1
	v_cndmask_b32_e64 v30, v30, v99, s[24:25]
; %bb.2611:                             ;   in Loop: Header=BB30_2598 Depth=3
	s_or_b64 exec, exec, s[36:37]
	v_lshlrev_b32_e32 v96, 16, v96
	v_lshlrev_b32_e32 v99, 16, v17
	v_max_f32_e32 v99, v99, v99
	v_max_f32_e32 v96, v96, v96
	v_min_f32_e32 v102, v96, v99
	v_max_f32_e32 v96, v96, v99
	v_cndmask_b32_e32 v99, v96, v102, vcc
	v_and_b32_e32 v96, 0x7f800000, v99
	v_cmp_ne_u32_e64 s[24:25], s43, v96
                                        ; implicit-def: $vgpr96
	s_and_saveexec_b64 s[8:9], s[24:25]
	s_xor_b64 s[24:25], exec, s[8:9]
; %bb.2612:                             ;   in Loop: Header=BB30_2598 Depth=3
	v_bfe_u32 v96, v99, 16, 1
	v_add3_u32 v96, v99, v96, s40
                                        ; implicit-def: $vgpr99
; %bb.2613:                             ;   in Loop: Header=BB30_2598 Depth=3
	s_andn2_saveexec_b64 s[36:37], s[24:25]
; %bb.2614:                             ;   in Loop: Header=BB30_2598 Depth=3
	v_or_b32_e32 v96, 0x10000, v99
	v_cmp_eq_u32_sdwa s[24:25], v99, v3 src0_sel:WORD_0 src1_sel:DWORD
	s_nop 1
	v_cndmask_b32_e64 v96, v96, v99, s[24:25]
; %bb.2615:                             ;   in Loop: Header=BB30_2598 Depth=3
	s_or_b64 exec, exec, s[36:37]
	v_lshlrev_b32_e32 v85, 16, v85
	v_lshlrev_b32_e32 v99, 16, v18
	v_max_f32_e32 v99, v99, v99
	v_max_f32_e32 v85, v85, v85
	v_min_f32_e32 v102, v85, v99
	v_max_f32_e32 v85, v85, v99
	v_cndmask_b32_e32 v99, v85, v102, vcc
	v_and_b32_e32 v85, 0x7f800000, v99
	v_cmp_ne_u32_e64 s[24:25], s43, v85
                                        ; implicit-def: $vgpr85
	s_and_saveexec_b64 s[8:9], s[24:25]
	s_xor_b64 s[24:25], exec, s[8:9]
; %bb.2616:                             ;   in Loop: Header=BB30_2598 Depth=3
	v_bfe_u32 v85, v99, 16, 1
	v_add3_u32 v85, v99, v85, s40
                                        ; implicit-def: $vgpr99
; %bb.2617:                             ;   in Loop: Header=BB30_2598 Depth=3
	s_andn2_saveexec_b64 s[36:37], s[24:25]
; %bb.2618:                             ;   in Loop: Header=BB30_2598 Depth=3
	v_or_b32_e32 v85, 0x10000, v99
	v_cmp_eq_u32_sdwa s[24:25], v99, v3 src0_sel:WORD_0 src1_sel:DWORD
	s_nop 1
	v_cndmask_b32_e64 v85, v85, v99, s[24:25]
; %bb.2619:                             ;   in Loop: Header=BB30_2598 Depth=3
	s_or_b64 exec, exec, s[36:37]
	v_lshlrev_b32_e32 v81, 16, v81
	v_lshlrev_b32_e32 v99, 16, v19
	v_max_f32_e32 v99, v99, v99
	v_max_f32_e32 v81, v81, v81
	v_min_f32_e32 v102, v81, v99
	v_max_f32_e32 v81, v81, v99
	v_cndmask_b32_e32 v99, v81, v102, vcc
	v_and_b32_e32 v81, 0x7f800000, v99
	v_cmp_ne_u32_e64 s[24:25], s43, v81
                                        ; implicit-def: $vgpr81
	s_and_saveexec_b64 s[8:9], s[24:25]
	s_xor_b64 s[24:25], exec, s[8:9]
; %bb.2620:                             ;   in Loop: Header=BB30_2598 Depth=3
	v_bfe_u32 v81, v99, 16, 1
	v_add3_u32 v81, v99, v81, s40
                                        ; implicit-def: $vgpr99
; %bb.2621:                             ;   in Loop: Header=BB30_2598 Depth=3
	s_andn2_saveexec_b64 s[36:37], s[24:25]
; %bb.2622:                             ;   in Loop: Header=BB30_2598 Depth=3
	v_or_b32_e32 v81, 0x10000, v99
	v_cmp_eq_u32_sdwa s[24:25], v99, v3 src0_sel:WORD_0 src1_sel:DWORD
	s_nop 1
	v_cndmask_b32_e64 v81, v81, v99, s[24:25]
; %bb.2623:                             ;   in Loop: Header=BB30_2598 Depth=3
	s_or_b64 exec, exec, s[36:37]
	v_lshlrev_b32_e32 v70, 16, v70
	v_lshlrev_b32_e32 v99, 16, v20
	v_max_f32_e32 v99, v99, v99
	v_max_f32_e32 v70, v70, v70
	v_min_f32_e32 v102, v70, v99
	v_max_f32_e32 v70, v70, v99
	v_cndmask_b32_e32 v99, v70, v102, vcc
	v_and_b32_e32 v70, 0x7f800000, v99
	v_cmp_ne_u32_e64 s[24:25], s43, v70
                                        ; implicit-def: $vgpr70
	s_and_saveexec_b64 s[8:9], s[24:25]
	s_xor_b64 s[24:25], exec, s[8:9]
; %bb.2624:                             ;   in Loop: Header=BB30_2598 Depth=3
	v_bfe_u32 v70, v99, 16, 1
	v_add3_u32 v70, v99, v70, s40
                                        ; implicit-def: $vgpr99
; %bb.2625:                             ;   in Loop: Header=BB30_2598 Depth=3
	s_andn2_saveexec_b64 s[36:37], s[24:25]
; %bb.2626:                             ;   in Loop: Header=BB30_2598 Depth=3
	v_or_b32_e32 v70, 0x10000, v99
	v_cmp_eq_u32_sdwa s[24:25], v99, v3 src0_sel:WORD_0 src1_sel:DWORD
	s_nop 1
	v_cndmask_b32_e64 v70, v70, v99, s[24:25]
; %bb.2627:                             ;   in Loop: Header=BB30_2598 Depth=3
	s_or_b64 exec, exec, s[36:37]
	v_lshlrev_b32_e32 v67, 16, v67
	v_lshlrev_b32_e32 v99, 16, v21
	v_max_f32_e32 v99, v99, v99
	v_max_f32_e32 v67, v67, v67
	v_min_f32_e32 v102, v67, v99
	v_max_f32_e32 v67, v67, v99
	v_cndmask_b32_e32 v99, v67, v102, vcc
	v_and_b32_e32 v67, 0x7f800000, v99
	v_cmp_ne_u32_e64 s[24:25], s43, v67
                                        ; implicit-def: $vgpr67
	s_and_saveexec_b64 s[8:9], s[24:25]
	s_xor_b64 s[24:25], exec, s[8:9]
; %bb.2628:                             ;   in Loop: Header=BB30_2598 Depth=3
	v_bfe_u32 v67, v99, 16, 1
	v_add3_u32 v67, v99, v67, s40
                                        ; implicit-def: $vgpr99
; %bb.2629:                             ;   in Loop: Header=BB30_2598 Depth=3
	s_andn2_saveexec_b64 s[36:37], s[24:25]
; %bb.2630:                             ;   in Loop: Header=BB30_2598 Depth=3
	v_or_b32_e32 v67, 0x10000, v99
	v_cmp_eq_u32_sdwa s[24:25], v99, v3 src0_sel:WORD_0 src1_sel:DWORD
	s_nop 1
	v_cndmask_b32_e64 v67, v67, v99, s[24:25]
; %bb.2631:                             ;   in Loop: Header=BB30_2598 Depth=3
	s_or_b64 exec, exec, s[36:37]
	v_lshlrev_b32_e32 v64, 16, v64
	v_lshlrev_b32_e32 v99, 16, v22
	v_max_f32_e32 v99, v99, v99
	v_max_f32_e32 v64, v64, v64
	v_min_f32_e32 v102, v64, v99
	v_max_f32_e32 v64, v64, v99
	v_cndmask_b32_e32 v99, v64, v102, vcc
	v_and_b32_e32 v64, 0x7f800000, v99
	v_cmp_ne_u32_e64 s[24:25], s43, v64
                                        ; implicit-def: $vgpr64
	s_and_saveexec_b64 s[8:9], s[24:25]
	s_xor_b64 s[24:25], exec, s[8:9]
; %bb.2632:                             ;   in Loop: Header=BB30_2598 Depth=3
	v_bfe_u32 v64, v99, 16, 1
	v_add3_u32 v64, v99, v64, s40
                                        ; implicit-def: $vgpr99
; %bb.2633:                             ;   in Loop: Header=BB30_2598 Depth=3
	s_andn2_saveexec_b64 s[36:37], s[24:25]
; %bb.2634:                             ;   in Loop: Header=BB30_2598 Depth=3
	v_or_b32_e32 v64, 0x10000, v99
	v_cmp_eq_u32_sdwa s[24:25], v99, v3 src0_sel:WORD_0 src1_sel:DWORD
	s_nop 1
	v_cndmask_b32_e64 v64, v64, v99, s[24:25]
; %bb.2635:                             ;   in Loop: Header=BB30_2598 Depth=3
	s_or_b64 exec, exec, s[36:37]
	v_lshlrev_b32_e32 v53, 16, v53
	v_lshlrev_b32_e32 v99, 16, v23
	v_max_f32_e32 v99, v99, v99
	v_max_f32_e32 v53, v53, v53
	v_min_f32_e32 v102, v53, v99
	v_max_f32_e32 v53, v53, v99
	v_cndmask_b32_e32 v99, v53, v102, vcc
	v_and_b32_e32 v53, 0x7f800000, v99
	v_cmp_ne_u32_e64 s[24:25], s43, v53
                                        ; implicit-def: $vgpr53
	s_and_saveexec_b64 s[8:9], s[24:25]
	s_xor_b64 s[24:25], exec, s[8:9]
; %bb.2636:                             ;   in Loop: Header=BB30_2598 Depth=3
	v_bfe_u32 v53, v99, 16, 1
	v_add3_u32 v53, v99, v53, s40
                                        ; implicit-def: $vgpr99
; %bb.2637:                             ;   in Loop: Header=BB30_2598 Depth=3
	s_andn2_saveexec_b64 s[36:37], s[24:25]
; %bb.2638:                             ;   in Loop: Header=BB30_2598 Depth=3
	v_or_b32_e32 v53, 0x10000, v99
	v_cmp_eq_u32_sdwa s[24:25], v99, v3 src0_sel:WORD_0 src1_sel:DWORD
	s_nop 1
	v_cndmask_b32_e64 v53, v53, v99, s[24:25]
; %bb.2639:                             ;   in Loop: Header=BB30_2598 Depth=3
	s_or_b64 exec, exec, s[36:37]
	v_lshlrev_b32_e32 v49, 16, v49
	v_lshlrev_b32_e32 v99, 16, v24
	v_max_f32_e32 v99, v99, v99
	v_max_f32_e32 v49, v49, v49
	v_min_f32_e32 v102, v49, v99
	v_max_f32_e32 v49, v49, v99
	v_cndmask_b32_e32 v99, v49, v102, vcc
	v_and_b32_e32 v49, 0x7f800000, v99
	v_cmp_ne_u32_e64 s[24:25], s43, v49
                                        ; implicit-def: $vgpr49
	s_and_saveexec_b64 s[8:9], s[24:25]
	s_xor_b64 s[24:25], exec, s[8:9]
; %bb.2640:                             ;   in Loop: Header=BB30_2598 Depth=3
	v_bfe_u32 v49, v99, 16, 1
	v_add3_u32 v49, v99, v49, s40
                                        ; implicit-def: $vgpr99
; %bb.2641:                             ;   in Loop: Header=BB30_2598 Depth=3
	s_andn2_saveexec_b64 s[36:37], s[24:25]
; %bb.2642:                             ;   in Loop: Header=BB30_2598 Depth=3
	v_or_b32_e32 v49, 0x10000, v99
	v_cmp_eq_u32_sdwa s[24:25], v99, v3 src0_sel:WORD_0 src1_sel:DWORD
	s_nop 1
	v_cndmask_b32_e64 v49, v49, v99, s[24:25]
; %bb.2643:                             ;   in Loop: Header=BB30_2598 Depth=3
	s_or_b64 exec, exec, s[36:37]
	v_lshlrev_b32_e32 v38, 16, v38
	v_lshlrev_b32_e32 v99, 16, v25
	v_max_f32_e32 v99, v99, v99
	v_max_f32_e32 v38, v38, v38
	v_min_f32_e32 v102, v38, v99
	v_max_f32_e32 v38, v38, v99
	v_cndmask_b32_e32 v99, v38, v102, vcc
	v_and_b32_e32 v38, 0x7f800000, v99
	v_cmp_ne_u32_e64 s[24:25], s43, v38
                                        ; implicit-def: $vgpr38
	s_and_saveexec_b64 s[8:9], s[24:25]
	s_xor_b64 s[24:25], exec, s[8:9]
; %bb.2644:                             ;   in Loop: Header=BB30_2598 Depth=3
	v_bfe_u32 v38, v99, 16, 1
	v_add3_u32 v38, v99, v38, s40
                                        ; implicit-def: $vgpr99
; %bb.2645:                             ;   in Loop: Header=BB30_2598 Depth=3
	s_andn2_saveexec_b64 s[36:37], s[24:25]
; %bb.2646:                             ;   in Loop: Header=BB30_2598 Depth=3
	v_or_b32_e32 v38, 0x10000, v99
	v_cmp_eq_u32_sdwa s[24:25], v99, v3 src0_sel:WORD_0 src1_sel:DWORD
	s_nop 1
	v_cndmask_b32_e64 v38, v38, v99, s[24:25]
; %bb.2647:                             ;   in Loop: Header=BB30_2598 Depth=3
	s_or_b64 exec, exec, s[36:37]
	v_lshlrev_b32_e32 v37, 16, v37
	v_lshlrev_b32_e32 v99, 16, v26
	v_max_f32_e32 v99, v99, v99
	v_max_f32_e32 v37, v37, v37
	v_min_f32_e32 v102, v37, v99
	v_max_f32_e32 v37, v37, v99
	v_cndmask_b32_e32 v99, v37, v102, vcc
	v_and_b32_e32 v37, 0x7f800000, v99
	v_cmp_ne_u32_e64 s[24:25], s43, v37
                                        ; implicit-def: $vgpr37
	s_and_saveexec_b64 s[8:9], s[24:25]
	s_xor_b64 s[24:25], exec, s[8:9]
; %bb.2648:                             ;   in Loop: Header=BB30_2598 Depth=3
	v_bfe_u32 v37, v99, 16, 1
	v_add3_u32 v37, v99, v37, s40
                                        ; implicit-def: $vgpr99
; %bb.2649:                             ;   in Loop: Header=BB30_2598 Depth=3
	s_andn2_saveexec_b64 s[36:37], s[24:25]
; %bb.2650:                             ;   in Loop: Header=BB30_2598 Depth=3
	v_or_b32_e32 v37, 0x10000, v99
	v_cmp_eq_u32_sdwa s[24:25], v99, v3 src0_sel:WORD_0 src1_sel:DWORD
	s_nop 1
	v_cndmask_b32_e64 v37, v37, v99, s[24:25]
; %bb.2651:                             ;   in Loop: Header=BB30_2598 Depth=3
	s_or_b64 exec, exec, s[36:37]
	v_lshlrev_b32_e32 v36, 16, v36
	v_lshlrev_b32_e32 v99, 16, v27
	v_max_f32_e32 v99, v99, v99
	v_max_f32_e32 v36, v36, v36
	v_min_f32_e32 v102, v36, v99
	v_max_f32_e32 v36, v36, v99
	v_cndmask_b32_e32 v99, v36, v102, vcc
	v_and_b32_e32 v36, 0x7f800000, v99
	v_cmp_ne_u32_e64 s[24:25], s43, v36
                                        ; implicit-def: $vgpr36
	s_and_saveexec_b64 s[8:9], s[24:25]
	s_xor_b64 s[24:25], exec, s[8:9]
; %bb.2652:                             ;   in Loop: Header=BB30_2598 Depth=3
	v_bfe_u32 v36, v99, 16, 1
	v_add3_u32 v36, v99, v36, s40
                                        ; implicit-def: $vgpr99
; %bb.2653:                             ;   in Loop: Header=BB30_2598 Depth=3
	s_andn2_saveexec_b64 s[36:37], s[24:25]
; %bb.2654:                             ;   in Loop: Header=BB30_2598 Depth=3
	v_or_b32_e32 v36, 0x10000, v99
	v_cmp_eq_u32_sdwa s[24:25], v99, v3 src0_sel:WORD_0 src1_sel:DWORD
	s_nop 1
	v_cndmask_b32_e64 v36, v36, v99, s[24:25]
; %bb.2655:                             ;   in Loop: Header=BB30_2598 Depth=3
	s_or_b64 exec, exec, s[36:37]
	v_lshlrev_b32_e32 v35, 16, v35
	v_lshlrev_b32_e32 v99, 16, v32
	v_max_f32_e32 v99, v99, v99
	v_max_f32_e32 v35, v35, v35
	v_min_f32_e32 v102, v35, v99
	v_max_f32_e32 v35, v35, v99
	v_cndmask_b32_e32 v99, v35, v102, vcc
	v_and_b32_e32 v35, 0x7f800000, v99
	v_cmp_ne_u32_e64 s[24:25], s43, v35
                                        ; implicit-def: $vgpr35
	s_and_saveexec_b64 s[8:9], s[24:25]
	s_xor_b64 s[24:25], exec, s[8:9]
; %bb.2656:                             ;   in Loop: Header=BB30_2598 Depth=3
	v_bfe_u32 v35, v99, 16, 1
	v_add3_u32 v35, v99, v35, s40
                                        ; implicit-def: $vgpr99
; %bb.2657:                             ;   in Loop: Header=BB30_2598 Depth=3
	s_andn2_saveexec_b64 s[36:37], s[24:25]
; %bb.2658:                             ;   in Loop: Header=BB30_2598 Depth=3
	v_or_b32_e32 v35, 0x10000, v99
	v_cmp_eq_u32_sdwa s[24:25], v99, v3 src0_sel:WORD_0 src1_sel:DWORD
	s_nop 1
	v_cndmask_b32_e64 v35, v35, v99, s[24:25]
; %bb.2659:                             ;   in Loop: Header=BB30_2598 Depth=3
	s_or_b64 exec, exec, s[36:37]
	v_lshlrev_b32_e32 v34, 16, v34
	v_lshlrev_b32_e32 v99, 16, v33
	v_max_f32_e32 v99, v99, v99
	v_max_f32_e32 v34, v34, v34
	v_min_f32_e32 v102, v34, v99
	v_max_f32_e32 v34, v34, v99
	v_cndmask_b32_e32 v99, v34, v102, vcc
	v_and_b32_e32 v34, 0x7f800000, v99
	v_cmp_ne_u32_e64 s[24:25], s43, v34
                                        ; implicit-def: $vgpr34
	s_and_saveexec_b64 s[8:9], s[24:25]
	s_xor_b64 s[24:25], exec, s[8:9]
; %bb.2660:                             ;   in Loop: Header=BB30_2598 Depth=3
	v_bfe_u32 v34, v99, 16, 1
	v_add3_u32 v34, v99, v34, s40
                                        ; implicit-def: $vgpr99
; %bb.2661:                             ;   in Loop: Header=BB30_2598 Depth=3
	s_andn2_saveexec_b64 s[36:37], s[24:25]
; %bb.2662:                             ;   in Loop: Header=BB30_2598 Depth=3
	v_or_b32_e32 v34, 0x10000, v99
	v_cmp_eq_u32_sdwa s[24:25], v99, v3 src0_sel:WORD_0 src1_sel:DWORD
	s_nop 1
	v_cndmask_b32_e64 v34, v34, v99, s[24:25]
; %bb.2663:                             ;   in Loop: Header=BB30_2598 Depth=3
	s_or_b64 exec, exec, s[36:37]
	v_lshrrev_b32_e32 v113, 16, v6
	v_lshrrev_b32_e32 v35, 16, v35
	;; [unrolled: 1-line block ×16, first 2 shown]
	flat_store_short v[4:5], v113 nt
	flat_store_short v[4:5], v102 offset:128 nt
	flat_store_short v[4:5], v99 offset:256 nt
	;; [unrolled: 1-line block ×15, first 2 shown]
	v_lshl_add_u64 v[4:5], v[4:5], 0, v[104:105]
.LBB30_2664:                            ;   in Loop: Header=BB30_2598 Depth=3
	s_or_b64 exec, exec, s[38:39]
	v_sub_u32_e32 v13, v13, v60
	v_lshl_add_u64 v[8:9], v[8:9], 0, v[104:105]
	v_lshl_add_u64 v[10:11], v[10:11], 0, v[104:105]
	v_cmp_lt_i32_e64 s[36:37], 0, v13
	s_and_saveexec_b64 s[24:25], s[36:37]
	s_cbranch_execz .LBB30_2666
; %bb.2665:                             ;   in Loop: Header=BB30_2598 Depth=3
	flat_load_ushort v113, v[8:9] nt
	flat_load_ushort v102, v[8:9] offset:128 nt
	flat_load_ushort v99, v[8:9] offset:256 nt
	;; [unrolled: 1-line block ×15, first 2 shown]
	flat_load_ushort v14, v[10:11] nt
	flat_load_ushort v15, v[10:11] offset:128 nt
	flat_load_ushort v16, v[10:11] offset:256 nt
	;; [unrolled: 1-line block ×15, first 2 shown]
	v_lshl_add_u64 v[8:9], v[8:9], 0, s[58:59]
	v_lshl_add_u64 v[10:11], v[10:11], 0, s[58:59]
.LBB30_2666:                            ;   in Loop: Header=BB30_2598 Depth=3
	s_or_b64 exec, exec, s[24:25]
	s_waitcnt vmcnt(0) lgkmcnt(0)
	v_lshlrev_b32_e32 v6, 16, v44
	v_lshlrev_b32_e32 v7, 16, v45
	v_max_f32_e32 v7, v7, v7
	v_max_f32_e32 v6, v6, v6
	v_min_f32_e32 v30, v6, v7
	v_max_f32_e32 v6, v6, v7
	v_cndmask_b32_e32 v7, v6, v30, vcc
	v_and_b32_e32 v6, 0x7f800000, v7
	v_cmp_ne_u32_e64 s[24:25], s43, v6
                                        ; implicit-def: $vgpr6
	s_and_saveexec_b64 s[8:9], s[24:25]
	s_xor_b64 s[24:25], exec, s[8:9]
; %bb.2667:                             ;   in Loop: Header=BB30_2598 Depth=3
	v_bfe_u32 v6, v7, 16, 1
	v_add3_u32 v6, v7, v6, s40
                                        ; implicit-def: $vgpr7
; %bb.2668:                             ;   in Loop: Header=BB30_2598 Depth=3
	s_andn2_saveexec_b64 s[38:39], s[24:25]
; %bb.2669:                             ;   in Loop: Header=BB30_2598 Depth=3
	v_or_b32_e32 v6, 0x10000, v7
	v_cmp_eq_u32_sdwa s[24:25], v7, v3 src0_sel:WORD_0 src1_sel:DWORD
	s_nop 1
	v_cndmask_b32_e64 v6, v6, v7, s[24:25]
; %bb.2670:                             ;   in Loop: Header=BB30_2598 Depth=3
	s_or_b64 exec, exec, s[38:39]
	v_lshlrev_b32_e32 v7, 16, v118
	v_lshlrev_b32_e32 v30, 16, v119
	v_max_f32_e32 v30, v30, v30
	v_max_f32_e32 v7, v7, v7
	v_min_f32_e32 v118, v7, v30
	v_max_f32_e32 v7, v7, v30
	v_cndmask_b32_e32 v30, v7, v118, vcc
	v_and_b32_e32 v7, 0x7f800000, v30
	v_cmp_ne_u32_e64 s[24:25], s43, v7
                                        ; implicit-def: $vgpr7
	s_and_saveexec_b64 s[8:9], s[24:25]
	s_xor_b64 s[24:25], exec, s[8:9]
; %bb.2671:                             ;   in Loop: Header=BB30_2598 Depth=3
	v_bfe_u32 v7, v30, 16, 1
	v_add3_u32 v7, v30, v7, s40
                                        ; implicit-def: $vgpr30
; %bb.2672:                             ;   in Loop: Header=BB30_2598 Depth=3
	s_andn2_saveexec_b64 s[38:39], s[24:25]
; %bb.2673:                             ;   in Loop: Header=BB30_2598 Depth=3
	v_or_b32_e32 v7, 0x10000, v30
	v_cmp_eq_u32_sdwa s[24:25], v30, v3 src0_sel:WORD_0 src1_sel:DWORD
	s_nop 1
	v_cndmask_b32_e64 v7, v7, v30, s[24:25]
; %bb.2674:                             ;   in Loop: Header=BB30_2598 Depth=3
	s_or_b64 exec, exec, s[38:39]
	v_lshlrev_b32_e32 v30, 16, v116
	v_lshlrev_b32_e32 v116, 16, v117
	v_max_f32_e32 v116, v116, v116
	v_max_f32_e32 v30, v30, v30
	v_min_f32_e32 v117, v30, v116
	v_max_f32_e32 v30, v30, v116
	v_cndmask_b32_e32 v116, v30, v117, vcc
	v_and_b32_e32 v30, 0x7f800000, v116
	v_cmp_ne_u32_e64 s[24:25], s43, v30
                                        ; implicit-def: $vgpr30
	s_and_saveexec_b64 s[8:9], s[24:25]
	s_xor_b64 s[24:25], exec, s[8:9]
; %bb.2675:                             ;   in Loop: Header=BB30_2598 Depth=3
	v_bfe_u32 v30, v116, 16, 1
	v_add3_u32 v30, v116, v30, s40
                                        ; implicit-def: $vgpr116
; %bb.2676:                             ;   in Loop: Header=BB30_2598 Depth=3
	s_andn2_saveexec_b64 s[38:39], s[24:25]
; %bb.2677:                             ;   in Loop: Header=BB30_2598 Depth=3
	v_or_b32_e32 v30, 0x10000, v116
	v_cmp_eq_u32_sdwa s[24:25], v116, v3 src0_sel:WORD_0 src1_sel:DWORD
	s_nop 1
	v_cndmask_b32_e64 v30, v30, v116, s[24:25]
; %bb.2678:                             ;   in Loop: Header=BB30_2598 Depth=3
	s_or_b64 exec, exec, s[38:39]
	v_lshlrev_b32_e32 v114, 16, v114
	v_lshlrev_b32_e32 v115, 16, v115
	v_max_f32_e32 v115, v115, v115
	v_max_f32_e32 v114, v114, v114
	v_min_f32_e32 v116, v114, v115
	v_max_f32_e32 v114, v114, v115
	v_cndmask_b32_e32 v115, v114, v116, vcc
	v_and_b32_e32 v114, 0x7f800000, v115
	v_cmp_ne_u32_e64 s[24:25], s43, v114
                                        ; implicit-def: $vgpr114
	s_and_saveexec_b64 s[8:9], s[24:25]
	s_xor_b64 s[24:25], exec, s[8:9]
; %bb.2679:                             ;   in Loop: Header=BB30_2598 Depth=3
	v_bfe_u32 v114, v115, 16, 1
	v_add3_u32 v114, v115, v114, s40
                                        ; implicit-def: $vgpr115
; %bb.2680:                             ;   in Loop: Header=BB30_2598 Depth=3
	s_andn2_saveexec_b64 s[38:39], s[24:25]
; %bb.2681:                             ;   in Loop: Header=BB30_2598 Depth=3
	v_or_b32_e32 v114, 0x10000, v115
	v_cmp_eq_u32_sdwa s[24:25], v115, v3 src0_sel:WORD_0 src1_sel:DWORD
	s_nop 1
	v_cndmask_b32_e64 v114, v114, v115, s[24:25]
; %bb.2682:                             ;   in Loop: Header=BB30_2598 Depth=3
	s_or_b64 exec, exec, s[38:39]
	v_lshlrev_b32_e32 v103, 16, v103
	v_lshlrev_b32_e32 v112, 16, v112
	v_max_f32_e32 v112, v112, v112
	v_max_f32_e32 v103, v103, v103
	v_min_f32_e32 v115, v103, v112
	v_max_f32_e32 v103, v103, v112
	v_cndmask_b32_e32 v112, v103, v115, vcc
	v_and_b32_e32 v103, 0x7f800000, v112
	v_cmp_ne_u32_e64 s[24:25], s43, v103
                                        ; implicit-def: $vgpr103
	s_and_saveexec_b64 s[8:9], s[24:25]
	s_xor_b64 s[24:25], exec, s[8:9]
; %bb.2683:                             ;   in Loop: Header=BB30_2598 Depth=3
	v_bfe_u32 v103, v112, 16, 1
	v_add3_u32 v103, v112, v103, s40
                                        ; implicit-def: $vgpr112
; %bb.2684:                             ;   in Loop: Header=BB30_2598 Depth=3
	s_andn2_saveexec_b64 s[38:39], s[24:25]
; %bb.2685:                             ;   in Loop: Header=BB30_2598 Depth=3
	v_or_b32_e32 v103, 0x10000, v112
	v_cmp_eq_u32_sdwa s[24:25], v112, v3 src0_sel:WORD_0 src1_sel:DWORD
	s_nop 1
	v_cndmask_b32_e64 v103, v103, v112, s[24:25]
; %bb.2686:                             ;   in Loop: Header=BB30_2598 Depth=3
	s_or_b64 exec, exec, s[38:39]
	v_lshlrev_b32_e32 v100, 16, v100
	v_lshlrev_b32_e32 v101, 16, v101
	v_max_f32_e32 v101, v101, v101
	v_max_f32_e32 v100, v100, v100
	v_min_f32_e32 v112, v100, v101
	v_max_f32_e32 v100, v100, v101
	v_cndmask_b32_e32 v101, v100, v112, vcc
	v_and_b32_e32 v100, 0x7f800000, v101
	v_cmp_ne_u32_e64 s[24:25], s43, v100
                                        ; implicit-def: $vgpr100
	s_and_saveexec_b64 s[8:9], s[24:25]
	s_xor_b64 s[24:25], exec, s[8:9]
; %bb.2687:                             ;   in Loop: Header=BB30_2598 Depth=3
	v_bfe_u32 v100, v101, 16, 1
	v_add3_u32 v100, v101, v100, s40
                                        ; implicit-def: $vgpr101
; %bb.2688:                             ;   in Loop: Header=BB30_2598 Depth=3
	s_andn2_saveexec_b64 s[38:39], s[24:25]
; %bb.2689:                             ;   in Loop: Header=BB30_2598 Depth=3
	v_or_b32_e32 v100, 0x10000, v101
	v_cmp_eq_u32_sdwa s[24:25], v101, v3 src0_sel:WORD_0 src1_sel:DWORD
	s_nop 1
	v_cndmask_b32_e64 v100, v100, v101, s[24:25]
; %bb.2690:                             ;   in Loop: Header=BB30_2598 Depth=3
	s_or_b64 exec, exec, s[38:39]
	v_lshlrev_b32_e32 v97, 16, v97
	v_lshlrev_b32_e32 v98, 16, v98
	v_max_f32_e32 v98, v98, v98
	v_max_f32_e32 v97, v97, v97
	v_min_f32_e32 v101, v97, v98
	v_max_f32_e32 v97, v97, v98
	v_cndmask_b32_e32 v98, v97, v101, vcc
	v_and_b32_e32 v97, 0x7f800000, v98
	v_cmp_ne_u32_e64 s[24:25], s43, v97
                                        ; implicit-def: $vgpr97
	s_and_saveexec_b64 s[8:9], s[24:25]
	s_xor_b64 s[24:25], exec, s[8:9]
; %bb.2691:                             ;   in Loop: Header=BB30_2598 Depth=3
	v_bfe_u32 v97, v98, 16, 1
	v_add3_u32 v97, v98, v97, s40
                                        ; implicit-def: $vgpr98
; %bb.2692:                             ;   in Loop: Header=BB30_2598 Depth=3
	s_andn2_saveexec_b64 s[38:39], s[24:25]
; %bb.2693:                             ;   in Loop: Header=BB30_2598 Depth=3
	v_or_b32_e32 v97, 0x10000, v98
	v_cmp_eq_u32_sdwa s[24:25], v98, v3 src0_sel:WORD_0 src1_sel:DWORD
	s_nop 1
	v_cndmask_b32_e64 v97, v97, v98, s[24:25]
; %bb.2694:                             ;   in Loop: Header=BB30_2598 Depth=3
	s_or_b64 exec, exec, s[38:39]
	v_lshlrev_b32_e32 v86, 16, v86
	v_lshlrev_b32_e32 v87, 16, v87
	v_max_f32_e32 v87, v87, v87
	v_max_f32_e32 v86, v86, v86
	v_min_f32_e32 v98, v86, v87
	v_max_f32_e32 v86, v86, v87
	v_cndmask_b32_e32 v87, v86, v98, vcc
	v_and_b32_e32 v86, 0x7f800000, v87
	v_cmp_ne_u32_e64 s[24:25], s43, v86
                                        ; implicit-def: $vgpr86
	s_and_saveexec_b64 s[8:9], s[24:25]
	s_xor_b64 s[24:25], exec, s[8:9]
; %bb.2695:                             ;   in Loop: Header=BB30_2598 Depth=3
	v_bfe_u32 v86, v87, 16, 1
	v_add3_u32 v86, v87, v86, s40
                                        ; implicit-def: $vgpr87
; %bb.2696:                             ;   in Loop: Header=BB30_2598 Depth=3
	s_andn2_saveexec_b64 s[38:39], s[24:25]
; %bb.2697:                             ;   in Loop: Header=BB30_2598 Depth=3
	v_or_b32_e32 v86, 0x10000, v87
	v_cmp_eq_u32_sdwa s[24:25], v87, v3 src0_sel:WORD_0 src1_sel:DWORD
	s_nop 1
	v_cndmask_b32_e64 v86, v86, v87, s[24:25]
; %bb.2698:                             ;   in Loop: Header=BB30_2598 Depth=3
	s_or_b64 exec, exec, s[38:39]
	v_lshlrev_b32_e32 v83, 16, v83
	v_lshlrev_b32_e32 v84, 16, v84
	v_max_f32_e32 v84, v84, v84
	v_max_f32_e32 v83, v83, v83
	v_min_f32_e32 v87, v83, v84
	v_max_f32_e32 v83, v83, v84
	v_cndmask_b32_e32 v84, v83, v87, vcc
	v_and_b32_e32 v83, 0x7f800000, v84
	v_cmp_ne_u32_e64 s[24:25], s43, v83
                                        ; implicit-def: $vgpr83
	s_and_saveexec_b64 s[8:9], s[24:25]
	s_xor_b64 s[24:25], exec, s[8:9]
; %bb.2699:                             ;   in Loop: Header=BB30_2598 Depth=3
	v_bfe_u32 v83, v84, 16, 1
	v_add3_u32 v83, v84, v83, s40
                                        ; implicit-def: $vgpr84
; %bb.2700:                             ;   in Loop: Header=BB30_2598 Depth=3
	s_andn2_saveexec_b64 s[38:39], s[24:25]
; %bb.2701:                             ;   in Loop: Header=BB30_2598 Depth=3
	v_or_b32_e32 v83, 0x10000, v84
	v_cmp_eq_u32_sdwa s[24:25], v84, v3 src0_sel:WORD_0 src1_sel:DWORD
	s_nop 1
	v_cndmask_b32_e64 v83, v83, v84, s[24:25]
; %bb.2702:                             ;   in Loop: Header=BB30_2598 Depth=3
	s_or_b64 exec, exec, s[38:39]
	v_lshlrev_b32_e32 v80, 16, v80
	v_lshlrev_b32_e32 v82, 16, v82
	v_max_f32_e32 v82, v82, v82
	v_max_f32_e32 v80, v80, v80
	v_min_f32_e32 v84, v80, v82
	v_max_f32_e32 v80, v80, v82
	v_cndmask_b32_e32 v82, v80, v84, vcc
	v_and_b32_e32 v80, 0x7f800000, v82
	v_cmp_ne_u32_e64 s[24:25], s43, v80
                                        ; implicit-def: $vgpr80
	s_and_saveexec_b64 s[8:9], s[24:25]
	s_xor_b64 s[24:25], exec, s[8:9]
; %bb.2703:                             ;   in Loop: Header=BB30_2598 Depth=3
	v_bfe_u32 v80, v82, 16, 1
	v_add3_u32 v80, v82, v80, s40
                                        ; implicit-def: $vgpr82
; %bb.2704:                             ;   in Loop: Header=BB30_2598 Depth=3
	s_andn2_saveexec_b64 s[38:39], s[24:25]
; %bb.2705:                             ;   in Loop: Header=BB30_2598 Depth=3
	v_or_b32_e32 v80, 0x10000, v82
	v_cmp_eq_u32_sdwa s[24:25], v82, v3 src0_sel:WORD_0 src1_sel:DWORD
	s_nop 1
	v_cndmask_b32_e64 v80, v80, v82, s[24:25]
; %bb.2706:                             ;   in Loop: Header=BB30_2598 Depth=3
	s_or_b64 exec, exec, s[38:39]
	v_lshlrev_b32_e32 v69, 16, v69
	v_lshlrev_b32_e32 v71, 16, v71
	v_max_f32_e32 v71, v71, v71
	v_max_f32_e32 v69, v69, v69
	v_min_f32_e32 v82, v69, v71
	v_max_f32_e32 v69, v69, v71
	v_cndmask_b32_e32 v71, v69, v82, vcc
	v_and_b32_e32 v69, 0x7f800000, v71
	v_cmp_ne_u32_e64 s[24:25], s43, v69
                                        ; implicit-def: $vgpr69
	s_and_saveexec_b64 s[8:9], s[24:25]
	s_xor_b64 s[24:25], exec, s[8:9]
; %bb.2707:                             ;   in Loop: Header=BB30_2598 Depth=3
	v_bfe_u32 v69, v71, 16, 1
	v_add3_u32 v69, v71, v69, s40
                                        ; implicit-def: $vgpr71
; %bb.2708:                             ;   in Loop: Header=BB30_2598 Depth=3
	s_andn2_saveexec_b64 s[38:39], s[24:25]
; %bb.2709:                             ;   in Loop: Header=BB30_2598 Depth=3
	v_or_b32_e32 v69, 0x10000, v71
	v_cmp_eq_u32_sdwa s[24:25], v71, v3 src0_sel:WORD_0 src1_sel:DWORD
	s_nop 1
	v_cndmask_b32_e64 v69, v69, v71, s[24:25]
; %bb.2710:                             ;   in Loop: Header=BB30_2598 Depth=3
	s_or_b64 exec, exec, s[38:39]
	v_lshlrev_b32_e32 v66, 16, v66
	v_lshlrev_b32_e32 v68, 16, v68
	v_max_f32_e32 v68, v68, v68
	v_max_f32_e32 v66, v66, v66
	v_min_f32_e32 v71, v66, v68
	v_max_f32_e32 v66, v66, v68
	v_cndmask_b32_e32 v68, v66, v71, vcc
	v_and_b32_e32 v66, 0x7f800000, v68
	v_cmp_ne_u32_e64 s[24:25], s43, v66
                                        ; implicit-def: $vgpr66
	s_and_saveexec_b64 s[8:9], s[24:25]
	s_xor_b64 s[24:25], exec, s[8:9]
; %bb.2711:                             ;   in Loop: Header=BB30_2598 Depth=3
	v_bfe_u32 v66, v68, 16, 1
	v_add3_u32 v66, v68, v66, s40
                                        ; implicit-def: $vgpr68
; %bb.2712:                             ;   in Loop: Header=BB30_2598 Depth=3
	s_andn2_saveexec_b64 s[38:39], s[24:25]
; %bb.2713:                             ;   in Loop: Header=BB30_2598 Depth=3
	v_or_b32_e32 v66, 0x10000, v68
	v_cmp_eq_u32_sdwa s[24:25], v68, v3 src0_sel:WORD_0 src1_sel:DWORD
	s_nop 1
	v_cndmask_b32_e64 v66, v66, v68, s[24:25]
; %bb.2714:                             ;   in Loop: Header=BB30_2598 Depth=3
	s_or_b64 exec, exec, s[38:39]
	v_lshlrev_b32_e32 v55, 16, v55
	v_lshlrev_b32_e32 v65, 16, v65
	v_max_f32_e32 v65, v65, v65
	v_max_f32_e32 v55, v55, v55
	v_min_f32_e32 v68, v55, v65
	v_max_f32_e32 v55, v55, v65
	v_cndmask_b32_e32 v65, v55, v68, vcc
	v_and_b32_e32 v55, 0x7f800000, v65
	v_cmp_ne_u32_e64 s[24:25], s43, v55
                                        ; implicit-def: $vgpr55
	s_and_saveexec_b64 s[8:9], s[24:25]
	s_xor_b64 s[24:25], exec, s[8:9]
; %bb.2715:                             ;   in Loop: Header=BB30_2598 Depth=3
	v_bfe_u32 v55, v65, 16, 1
	v_add3_u32 v55, v65, v55, s40
                                        ; implicit-def: $vgpr65
; %bb.2716:                             ;   in Loop: Header=BB30_2598 Depth=3
	s_andn2_saveexec_b64 s[38:39], s[24:25]
; %bb.2717:                             ;   in Loop: Header=BB30_2598 Depth=3
	v_or_b32_e32 v55, 0x10000, v65
	v_cmp_eq_u32_sdwa s[24:25], v65, v3 src0_sel:WORD_0 src1_sel:DWORD
	s_nop 1
	v_cndmask_b32_e64 v55, v55, v65, s[24:25]
; %bb.2718:                             ;   in Loop: Header=BB30_2598 Depth=3
	s_or_b64 exec, exec, s[38:39]
	v_lshlrev_b32_e32 v52, 16, v52
	v_lshlrev_b32_e32 v54, 16, v54
	v_max_f32_e32 v54, v54, v54
	v_max_f32_e32 v52, v52, v52
	v_min_f32_e32 v65, v52, v54
	v_max_f32_e32 v52, v52, v54
	v_cndmask_b32_e32 v54, v52, v65, vcc
	v_and_b32_e32 v52, 0x7f800000, v54
	v_cmp_ne_u32_e64 s[24:25], s43, v52
                                        ; implicit-def: $vgpr52
	s_and_saveexec_b64 s[8:9], s[24:25]
	s_xor_b64 s[24:25], exec, s[8:9]
; %bb.2719:                             ;   in Loop: Header=BB30_2598 Depth=3
	v_bfe_u32 v52, v54, 16, 1
	v_add3_u32 v52, v54, v52, s40
                                        ; implicit-def: $vgpr54
; %bb.2720:                             ;   in Loop: Header=BB30_2598 Depth=3
	s_andn2_saveexec_b64 s[38:39], s[24:25]
; %bb.2721:                             ;   in Loop: Header=BB30_2598 Depth=3
	v_or_b32_e32 v52, 0x10000, v54
	v_cmp_eq_u32_sdwa s[24:25], v54, v3 src0_sel:WORD_0 src1_sel:DWORD
	s_nop 1
	v_cndmask_b32_e64 v52, v52, v54, s[24:25]
; %bb.2722:                             ;   in Loop: Header=BB30_2598 Depth=3
	s_or_b64 exec, exec, s[38:39]
	v_lshlrev_b32_e32 v50, 16, v50
	v_lshlrev_b32_e32 v51, 16, v51
	v_max_f32_e32 v51, v51, v51
	v_max_f32_e32 v50, v50, v50
	v_min_f32_e32 v54, v50, v51
	v_max_f32_e32 v50, v50, v51
	v_cndmask_b32_e32 v51, v50, v54, vcc
	v_and_b32_e32 v50, 0x7f800000, v51
	v_cmp_ne_u32_e64 s[24:25], s43, v50
                                        ; implicit-def: $vgpr50
	s_and_saveexec_b64 s[8:9], s[24:25]
	s_xor_b64 s[24:25], exec, s[8:9]
; %bb.2723:                             ;   in Loop: Header=BB30_2598 Depth=3
	v_bfe_u32 v50, v51, 16, 1
	v_add3_u32 v50, v51, v50, s40
                                        ; implicit-def: $vgpr51
; %bb.2724:                             ;   in Loop: Header=BB30_2598 Depth=3
	s_andn2_saveexec_b64 s[38:39], s[24:25]
; %bb.2725:                             ;   in Loop: Header=BB30_2598 Depth=3
	v_or_b32_e32 v50, 0x10000, v51
	v_cmp_eq_u32_sdwa s[24:25], v51, v3 src0_sel:WORD_0 src1_sel:DWORD
	s_nop 1
	v_cndmask_b32_e64 v50, v50, v51, s[24:25]
; %bb.2726:                             ;   in Loop: Header=BB30_2598 Depth=3
	s_or_b64 exec, exec, s[38:39]
	v_lshlrev_b32_e32 v39, 16, v39
	v_lshlrev_b32_e32 v48, 16, v48
	v_max_f32_e32 v48, v48, v48
	v_max_f32_e32 v39, v39, v39
	v_min_f32_e32 v51, v39, v48
	v_max_f32_e32 v39, v39, v48
	v_cndmask_b32_e32 v48, v39, v51, vcc
	v_and_b32_e32 v39, 0x7f800000, v48
	v_cmp_ne_u32_e64 s[24:25], s43, v39
                                        ; implicit-def: $vgpr39
	s_and_saveexec_b64 s[8:9], s[24:25]
	s_xor_b64 s[24:25], exec, s[8:9]
; %bb.2727:                             ;   in Loop: Header=BB30_2598 Depth=3
	v_bfe_u32 v39, v48, 16, 1
	v_add3_u32 v39, v48, v39, s40
                                        ; implicit-def: $vgpr48
; %bb.2728:                             ;   in Loop: Header=BB30_2598 Depth=3
	s_andn2_saveexec_b64 s[38:39], s[24:25]
	s_cbranch_execz .LBB30_2597
; %bb.2729:                             ;   in Loop: Header=BB30_2598 Depth=3
	v_or_b32_e32 v39, 0x10000, v48
	v_cmp_eq_u32_sdwa s[24:25], v48, v3 src0_sel:WORD_0 src1_sel:DWORD
	s_nop 1
	v_cndmask_b32_e64 v39, v39, v48, s[24:25]
	s_branch .LBB30_2597
.LBB30_2730:                            ;   in Loop: Header=BB30_1243 Depth=2
	s_or_b64 exec, exec, s[30:31]
	v_lshlrev_b32_e32 v87, 16, v113
	v_lshlrev_b32_e32 v97, 16, v14
	;; [unrolled: 1-line block ×32, first 2 shown]
	s_and_b64 s[24:25], s[28:29], exec
.LBB30_2731:                            ;   in Loop: Header=BB30_1243 Depth=2
	s_or_b64 exec, exec, s[26:27]
	s_and_saveexec_b64 s[26:27], s[24:25]
	s_cbranch_execz .LBB30_2797
; %bb.2732:                             ;   in Loop: Header=BB30_1243 Depth=2
	s_and_b32 s8, s64, 0xff
	s_cmp_eq_u32 s8, 0
	v_max_f32_e32 v10, v97, v97
	v_max_f32_e32 v11, v87, v87
	v_min_f32_e32 v20, v11, v10
	v_max_f32_e32 v10, v11, v10
	s_cselect_b64 vcc, -1, 0
	v_cndmask_b32_e32 v11, v10, v20, vcc
	v_and_b32_e32 v10, 0x7f800000, v11
	v_cmp_ne_u32_e64 s[24:25], s43, v10
                                        ; implicit-def: $vgpr10
	s_and_saveexec_b64 s[8:9], s[24:25]
	s_xor_b64 s[24:25], exec, s[8:9]
; %bb.2733:                             ;   in Loop: Header=BB30_1243 Depth=2
	v_bfe_u32 v10, v11, 16, 1
	v_add3_u32 v10, v11, v10, s40
                                        ; implicit-def: $vgpr11
; %bb.2734:                             ;   in Loop: Header=BB30_1243 Depth=2
	s_andn2_saveexec_b64 s[28:29], s[24:25]
; %bb.2735:                             ;   in Loop: Header=BB30_1243 Depth=2
	v_or_b32_e32 v10, 0x10000, v11
	v_cmp_eq_u32_sdwa s[24:25], v11, v3 src0_sel:WORD_0 src1_sel:DWORD
	s_nop 1
	v_cndmask_b32_e64 v10, v10, v11, s[24:25]
; %bb.2736:                             ;   in Loop: Header=BB30_1243 Depth=2
	s_or_b64 exec, exec, s[28:29]
	v_max_f32_e32 v11, v86, v86
	v_max_f32_e32 v20, v84, v84
	v_min_f32_e32 v23, v20, v11
	v_max_f32_e32 v11, v20, v11
	v_cndmask_b32_e32 v20, v11, v23, vcc
	v_and_b32_e32 v11, 0x7f800000, v20
	v_cmp_ne_u32_e64 s[24:25], s43, v11
                                        ; implicit-def: $vgpr11
	s_and_saveexec_b64 s[8:9], s[24:25]
	s_xor_b64 s[24:25], exec, s[8:9]
; %bb.2737:                             ;   in Loop: Header=BB30_1243 Depth=2
	v_bfe_u32 v11, v20, 16, 1
	v_add3_u32 v11, v20, v11, s40
                                        ; implicit-def: $vgpr20
; %bb.2738:                             ;   in Loop: Header=BB30_1243 Depth=2
	s_andn2_saveexec_b64 s[28:29], s[24:25]
; %bb.2739:                             ;   in Loop: Header=BB30_1243 Depth=2
	v_or_b32_e32 v11, 0x10000, v20
	v_cmp_eq_u32_sdwa s[24:25], v20, v3 src0_sel:WORD_0 src1_sel:DWORD
	s_nop 1
	v_cndmask_b32_e64 v11, v11, v20, s[24:25]
; %bb.2740:                             ;   in Loop: Header=BB30_1243 Depth=2
	s_or_b64 exec, exec, s[28:29]
	v_max_f32_e32 v20, v83, v83
	v_max_f32_e32 v23, v82, v82
	v_min_f32_e32 v24, v23, v20
	v_max_f32_e32 v20, v23, v20
	v_cndmask_b32_e32 v23, v20, v24, vcc
	v_and_b32_e32 v20, 0x7f800000, v23
	v_cmp_ne_u32_e64 s[24:25], s43, v20
                                        ; implicit-def: $vgpr20
	s_and_saveexec_b64 s[8:9], s[24:25]
	s_xor_b64 s[24:25], exec, s[8:9]
; %bb.2741:                             ;   in Loop: Header=BB30_1243 Depth=2
	v_bfe_u32 v20, v23, 16, 1
	v_add3_u32 v20, v23, v20, s40
                                        ; implicit-def: $vgpr23
; %bb.2742:                             ;   in Loop: Header=BB30_1243 Depth=2
	s_andn2_saveexec_b64 s[28:29], s[24:25]
; %bb.2743:                             ;   in Loop: Header=BB30_1243 Depth=2
	v_or_b32_e32 v20, 0x10000, v23
	v_cmp_eq_u32_sdwa s[24:25], v23, v3 src0_sel:WORD_0 src1_sel:DWORD
	s_nop 1
	v_cndmask_b32_e64 v20, v20, v23, s[24:25]
; %bb.2744:                             ;   in Loop: Header=BB30_1243 Depth=2
	s_or_b64 exec, exec, s[28:29]
	v_max_f32_e32 v23, v80, v80
	v_max_f32_e32 v24, v71, v71
	v_min_f32_e32 v25, v24, v23
	v_max_f32_e32 v23, v24, v23
	v_cndmask_b32_e32 v24, v23, v25, vcc
	v_and_b32_e32 v23, 0x7f800000, v24
	v_cmp_ne_u32_e64 s[24:25], s43, v23
                                        ; implicit-def: $vgpr23
	s_and_saveexec_b64 s[8:9], s[24:25]
	s_xor_b64 s[24:25], exec, s[8:9]
; %bb.2745:                             ;   in Loop: Header=BB30_1243 Depth=2
	v_bfe_u32 v23, v24, 16, 1
	v_add3_u32 v23, v24, v23, s40
                                        ; implicit-def: $vgpr24
; %bb.2746:                             ;   in Loop: Header=BB30_1243 Depth=2
	s_andn2_saveexec_b64 s[28:29], s[24:25]
; %bb.2747:                             ;   in Loop: Header=BB30_1243 Depth=2
	v_or_b32_e32 v23, 0x10000, v24
	v_cmp_eq_u32_sdwa s[24:25], v24, v3 src0_sel:WORD_0 src1_sel:DWORD
	s_nop 1
	v_cndmask_b32_e64 v23, v23, v24, s[24:25]
; %bb.2748:                             ;   in Loop: Header=BB30_1243 Depth=2
	s_or_b64 exec, exec, s[28:29]
	v_max_f32_e32 v24, v69, v69
	v_max_f32_e32 v25, v68, v68
	v_min_f32_e32 v26, v25, v24
	v_max_f32_e32 v24, v25, v24
	v_cndmask_b32_e32 v25, v24, v26, vcc
	v_and_b32_e32 v24, 0x7f800000, v25
	v_cmp_ne_u32_e64 s[24:25], s43, v24
                                        ; implicit-def: $vgpr24
	s_and_saveexec_b64 s[8:9], s[24:25]
	s_xor_b64 s[24:25], exec, s[8:9]
; %bb.2749:                             ;   in Loop: Header=BB30_1243 Depth=2
	v_bfe_u32 v24, v25, 16, 1
	v_add3_u32 v24, v25, v24, s40
                                        ; implicit-def: $vgpr25
; %bb.2750:                             ;   in Loop: Header=BB30_1243 Depth=2
	s_andn2_saveexec_b64 s[28:29], s[24:25]
; %bb.2751:                             ;   in Loop: Header=BB30_1243 Depth=2
	v_or_b32_e32 v24, 0x10000, v25
	v_cmp_eq_u32_sdwa s[24:25], v25, v3 src0_sel:WORD_0 src1_sel:DWORD
	s_nop 1
	v_cndmask_b32_e64 v24, v24, v25, s[24:25]
; %bb.2752:                             ;   in Loop: Header=BB30_1243 Depth=2
	s_or_b64 exec, exec, s[28:29]
	v_max_f32_e32 v25, v66, v66
	v_max_f32_e32 v26, v65, v65
	v_min_f32_e32 v27, v26, v25
	v_max_f32_e32 v25, v26, v25
	v_cndmask_b32_e32 v26, v25, v27, vcc
	v_and_b32_e32 v25, 0x7f800000, v26
	v_cmp_ne_u32_e64 s[24:25], s43, v25
                                        ; implicit-def: $vgpr25
	s_and_saveexec_b64 s[8:9], s[24:25]
	s_xor_b64 s[24:25], exec, s[8:9]
; %bb.2753:                             ;   in Loop: Header=BB30_1243 Depth=2
	v_bfe_u32 v25, v26, 16, 1
	v_add3_u32 v25, v26, v25, s40
                                        ; implicit-def: $vgpr26
; %bb.2754:                             ;   in Loop: Header=BB30_1243 Depth=2
	s_andn2_saveexec_b64 s[28:29], s[24:25]
; %bb.2755:                             ;   in Loop: Header=BB30_1243 Depth=2
	v_or_b32_e32 v25, 0x10000, v26
	v_cmp_eq_u32_sdwa s[24:25], v26, v3 src0_sel:WORD_0 src1_sel:DWORD
	s_nop 1
	v_cndmask_b32_e64 v25, v25, v26, s[24:25]
; %bb.2756:                             ;   in Loop: Header=BB30_1243 Depth=2
	s_or_b64 exec, exec, s[28:29]
	v_max_f32_e32 v26, v55, v55
	v_max_f32_e32 v27, v54, v54
	v_min_f32_e32 v32, v27, v26
	v_max_f32_e32 v26, v27, v26
	v_cndmask_b32_e32 v27, v26, v32, vcc
	v_and_b32_e32 v26, 0x7f800000, v27
	v_cmp_ne_u32_e64 s[24:25], s43, v26
                                        ; implicit-def: $vgpr26
	s_and_saveexec_b64 s[8:9], s[24:25]
	s_xor_b64 s[24:25], exec, s[8:9]
; %bb.2757:                             ;   in Loop: Header=BB30_1243 Depth=2
	v_bfe_u32 v26, v27, 16, 1
	v_add3_u32 v26, v27, v26, s40
                                        ; implicit-def: $vgpr27
; %bb.2758:                             ;   in Loop: Header=BB30_1243 Depth=2
	s_andn2_saveexec_b64 s[28:29], s[24:25]
; %bb.2759:                             ;   in Loop: Header=BB30_1243 Depth=2
	v_or_b32_e32 v26, 0x10000, v27
	v_cmp_eq_u32_sdwa s[24:25], v27, v3 src0_sel:WORD_0 src1_sel:DWORD
	s_nop 1
	v_cndmask_b32_e64 v26, v26, v27, s[24:25]
; %bb.2760:                             ;   in Loop: Header=BB30_1243 Depth=2
	s_or_b64 exec, exec, s[28:29]
	v_max_f32_e32 v27, v52, v52
	v_max_f32_e32 v32, v51, v51
	v_min_f32_e32 v33, v32, v27
	v_max_f32_e32 v27, v32, v27
	v_cndmask_b32_e32 v32, v27, v33, vcc
	v_and_b32_e32 v27, 0x7f800000, v32
	v_cmp_ne_u32_e64 s[24:25], s43, v27
                                        ; implicit-def: $vgpr27
	s_and_saveexec_b64 s[8:9], s[24:25]
	s_xor_b64 s[24:25], exec, s[8:9]
; %bb.2761:                             ;   in Loop: Header=BB30_1243 Depth=2
	v_bfe_u32 v27, v32, 16, 1
	v_add3_u32 v27, v32, v27, s40
                                        ; implicit-def: $vgpr32
; %bb.2762:                             ;   in Loop: Header=BB30_1243 Depth=2
	s_andn2_saveexec_b64 s[28:29], s[24:25]
; %bb.2763:                             ;   in Loop: Header=BB30_1243 Depth=2
	v_or_b32_e32 v27, 0x10000, v32
	v_cmp_eq_u32_sdwa s[24:25], v32, v3 src0_sel:WORD_0 src1_sel:DWORD
	s_nop 1
	v_cndmask_b32_e64 v27, v27, v32, s[24:25]
; %bb.2764:                             ;   in Loop: Header=BB30_1243 Depth=2
	s_or_b64 exec, exec, s[28:29]
	v_max_f32_e32 v32, v50, v50
	v_max_f32_e32 v33, v48, v48
	v_min_f32_e32 v34, v33, v32
	v_max_f32_e32 v32, v33, v32
	v_cndmask_b32_e32 v33, v32, v34, vcc
	v_and_b32_e32 v32, 0x7f800000, v33
	v_cmp_ne_u32_e64 s[24:25], s43, v32
                                        ; implicit-def: $vgpr32
	s_and_saveexec_b64 s[8:9], s[24:25]
	s_xor_b64 s[24:25], exec, s[8:9]
; %bb.2765:                             ;   in Loop: Header=BB30_1243 Depth=2
	v_bfe_u32 v32, v33, 16, 1
	v_add3_u32 v32, v33, v32, s40
                                        ; implicit-def: $vgpr33
; %bb.2766:                             ;   in Loop: Header=BB30_1243 Depth=2
	s_andn2_saveexec_b64 s[28:29], s[24:25]
; %bb.2767:                             ;   in Loop: Header=BB30_1243 Depth=2
	v_or_b32_e32 v32, 0x10000, v33
	v_cmp_eq_u32_sdwa s[24:25], v33, v3 src0_sel:WORD_0 src1_sel:DWORD
	s_nop 1
	v_cndmask_b32_e64 v32, v32, v33, s[24:25]
; %bb.2768:                             ;   in Loop: Header=BB30_1243 Depth=2
	s_or_b64 exec, exec, s[28:29]
	v_max_f32_e32 v33, v39, v39
	v_max_f32_e32 v30, v30, v30
	v_min_f32_e32 v34, v30, v33
	v_max_f32_e32 v30, v30, v33
	v_cndmask_b32_e32 v33, v30, v34, vcc
	v_and_b32_e32 v30, 0x7f800000, v33
	v_cmp_ne_u32_e64 s[24:25], s43, v30
                                        ; implicit-def: $vgpr30
	s_and_saveexec_b64 s[8:9], s[24:25]
	s_xor_b64 s[24:25], exec, s[8:9]
; %bb.2769:                             ;   in Loop: Header=BB30_1243 Depth=2
	v_bfe_u32 v30, v33, 16, 1
	v_add3_u32 v30, v33, v30, s40
                                        ; implicit-def: $vgpr33
; %bb.2770:                             ;   in Loop: Header=BB30_1243 Depth=2
	s_andn2_saveexec_b64 s[28:29], s[24:25]
; %bb.2771:                             ;   in Loop: Header=BB30_1243 Depth=2
	v_or_b32_e32 v30, 0x10000, v33
	v_cmp_eq_u32_sdwa s[24:25], v33, v3 src0_sel:WORD_0 src1_sel:DWORD
	s_nop 1
	v_cndmask_b32_e64 v30, v30, v33, s[24:25]
; %bb.2772:                             ;   in Loop: Header=BB30_1243 Depth=2
	s_or_b64 exec, exec, s[28:29]
	v_max_f32_e32 v22, v22, v22
	v_max_f32_e32 v21, v21, v21
	v_min_f32_e32 v33, v21, v22
	v_max_f32_e32 v21, v21, v22
	v_cndmask_b32_e32 v22, v21, v33, vcc
	v_and_b32_e32 v21, 0x7f800000, v22
	v_cmp_ne_u32_e64 s[24:25], s43, v21
                                        ; implicit-def: $vgpr21
	s_and_saveexec_b64 s[8:9], s[24:25]
	s_xor_b64 s[24:25], exec, s[8:9]
; %bb.2773:                             ;   in Loop: Header=BB30_1243 Depth=2
	v_bfe_u32 v21, v22, 16, 1
	v_add3_u32 v21, v22, v21, s40
                                        ; implicit-def: $vgpr22
; %bb.2774:                             ;   in Loop: Header=BB30_1243 Depth=2
	s_andn2_saveexec_b64 s[28:29], s[24:25]
; %bb.2775:                             ;   in Loop: Header=BB30_1243 Depth=2
	v_or_b32_e32 v21, 0x10000, v22
	v_cmp_eq_u32_sdwa s[24:25], v22, v3 src0_sel:WORD_0 src1_sel:DWORD
	s_nop 1
	v_cndmask_b32_e64 v21, v21, v22, s[24:25]
; %bb.2776:                             ;   in Loop: Header=BB30_1243 Depth=2
	s_or_b64 exec, exec, s[28:29]
	v_max_f32_e32 v19, v19, v19
	v_max_f32_e32 v18, v18, v18
	v_min_f32_e32 v22, v18, v19
	v_max_f32_e32 v18, v18, v19
	v_cndmask_b32_e32 v19, v18, v22, vcc
	v_and_b32_e32 v18, 0x7f800000, v19
	v_cmp_ne_u32_e64 s[24:25], s43, v18
                                        ; implicit-def: $vgpr18
	s_and_saveexec_b64 s[8:9], s[24:25]
	s_xor_b64 s[24:25], exec, s[8:9]
; %bb.2777:                             ;   in Loop: Header=BB30_1243 Depth=2
	v_bfe_u32 v18, v19, 16, 1
	v_add3_u32 v18, v19, v18, s40
                                        ; implicit-def: $vgpr19
; %bb.2778:                             ;   in Loop: Header=BB30_1243 Depth=2
	s_andn2_saveexec_b64 s[28:29], s[24:25]
; %bb.2779:                             ;   in Loop: Header=BB30_1243 Depth=2
	v_or_b32_e32 v18, 0x10000, v19
	v_cmp_eq_u32_sdwa s[24:25], v19, v3 src0_sel:WORD_0 src1_sel:DWORD
	s_nop 1
	v_cndmask_b32_e64 v18, v18, v19, s[24:25]
; %bb.2780:                             ;   in Loop: Header=BB30_1243 Depth=2
	s_or_b64 exec, exec, s[28:29]
	v_max_f32_e32 v17, v17, v17
	v_max_f32_e32 v16, v16, v16
	v_min_f32_e32 v19, v16, v17
	v_max_f32_e32 v16, v16, v17
	v_cndmask_b32_e32 v17, v16, v19, vcc
	v_and_b32_e32 v16, 0x7f800000, v17
	v_cmp_ne_u32_e64 s[24:25], s43, v16
                                        ; implicit-def: $vgpr16
	s_and_saveexec_b64 s[8:9], s[24:25]
	s_xor_b64 s[24:25], exec, s[8:9]
; %bb.2781:                             ;   in Loop: Header=BB30_1243 Depth=2
	v_bfe_u32 v16, v17, 16, 1
	v_add3_u32 v16, v17, v16, s40
                                        ; implicit-def: $vgpr17
; %bb.2782:                             ;   in Loop: Header=BB30_1243 Depth=2
	s_andn2_saveexec_b64 s[28:29], s[24:25]
; %bb.2783:                             ;   in Loop: Header=BB30_1243 Depth=2
	v_or_b32_e32 v16, 0x10000, v17
	v_cmp_eq_u32_sdwa s[24:25], v17, v3 src0_sel:WORD_0 src1_sel:DWORD
	s_nop 1
	v_cndmask_b32_e64 v16, v16, v17, s[24:25]
; %bb.2784:                             ;   in Loop: Header=BB30_1243 Depth=2
	s_or_b64 exec, exec, s[28:29]
	v_max_f32_e32 v15, v15, v15
	v_max_f32_e32 v14, v14, v14
	v_min_f32_e32 v17, v14, v15
	v_max_f32_e32 v14, v14, v15
	v_cndmask_b32_e32 v15, v14, v17, vcc
	v_and_b32_e32 v14, 0x7f800000, v15
	v_cmp_ne_u32_e64 s[24:25], s43, v14
                                        ; implicit-def: $vgpr14
	s_and_saveexec_b64 s[8:9], s[24:25]
	s_xor_b64 s[24:25], exec, s[8:9]
; %bb.2785:                             ;   in Loop: Header=BB30_1243 Depth=2
	v_bfe_u32 v14, v15, 16, 1
	v_add3_u32 v14, v15, v14, s40
                                        ; implicit-def: $vgpr15
; %bb.2786:                             ;   in Loop: Header=BB30_1243 Depth=2
	s_andn2_saveexec_b64 s[28:29], s[24:25]
; %bb.2787:                             ;   in Loop: Header=BB30_1243 Depth=2
	v_or_b32_e32 v14, 0x10000, v15
	v_cmp_eq_u32_sdwa s[24:25], v15, v3 src0_sel:WORD_0 src1_sel:DWORD
	s_nop 1
	v_cndmask_b32_e64 v14, v14, v15, s[24:25]
; %bb.2788:                             ;   in Loop: Header=BB30_1243 Depth=2
	s_or_b64 exec, exec, s[28:29]
	v_max_f32_e32 v9, v9, v9
	v_max_f32_e32 v8, v8, v8
	v_min_f32_e32 v15, v8, v9
	v_max_f32_e32 v8, v8, v9
	v_cndmask_b32_e32 v9, v8, v15, vcc
	v_and_b32_e32 v8, 0x7f800000, v9
	v_cmp_ne_u32_e64 s[24:25], s43, v8
                                        ; implicit-def: $vgpr8
	s_and_saveexec_b64 s[8:9], s[24:25]
	s_xor_b64 s[24:25], exec, s[8:9]
; %bb.2789:                             ;   in Loop: Header=BB30_1243 Depth=2
	v_bfe_u32 v8, v9, 16, 1
	v_add3_u32 v8, v9, v8, s40
                                        ; implicit-def: $vgpr9
; %bb.2790:                             ;   in Loop: Header=BB30_1243 Depth=2
	s_andn2_saveexec_b64 s[28:29], s[24:25]
; %bb.2791:                             ;   in Loop: Header=BB30_1243 Depth=2
	v_or_b32_e32 v8, 0x10000, v9
	v_cmp_eq_u32_sdwa s[24:25], v9, v3 src0_sel:WORD_0 src1_sel:DWORD
	s_nop 1
	v_cndmask_b32_e64 v8, v8, v9, s[24:25]
; %bb.2792:                             ;   in Loop: Header=BB30_1243 Depth=2
	s_or_b64 exec, exec, s[28:29]
	v_max_f32_e32 v7, v7, v7
	v_max_f32_e32 v6, v6, v6
	v_min_f32_e32 v9, v6, v7
	v_max_f32_e32 v6, v6, v7
	v_cndmask_b32_e32 v7, v6, v9, vcc
	v_and_b32_e32 v6, 0x7f800000, v7
	v_cmp_ne_u32_e32 vcc, s43, v6
                                        ; implicit-def: $vgpr6
	s_and_saveexec_b64 s[8:9], vcc
	s_xor_b64 s[24:25], exec, s[8:9]
; %bb.2793:                             ;   in Loop: Header=BB30_1243 Depth=2
	v_bfe_u32 v6, v7, 16, 1
	v_add3_u32 v6, v7, v6, s40
                                        ; implicit-def: $vgpr7
; %bb.2794:                             ;   in Loop: Header=BB30_1243 Depth=2
	s_andn2_saveexec_b64 s[24:25], s[24:25]
; %bb.2795:                             ;   in Loop: Header=BB30_1243 Depth=2
	v_or_b32_e32 v6, 0x10000, v7
	v_cmp_eq_u32_sdwa vcc, v7, v3 src0_sel:WORD_0 src1_sel:DWORD
	s_nop 1
	v_cndmask_b32_e32 v6, v6, v7, vcc
; %bb.2796:                             ;   in Loop: Header=BB30_1243 Depth=2
	s_or_b64 exec, exec, s[24:25]
	flat_store_short_d16_hi v[4:5], v10 nt
	flat_store_short_d16_hi v[4:5], v11 offset:128 nt
	flat_store_short_d16_hi v[4:5], v20 offset:256 nt
	;; [unrolled: 1-line block ×15, first 2 shown]
.LBB30_2797:                            ;   in Loop: Header=BB30_1243 Depth=2
	s_or_b64 exec, exec, s[26:27]
	v_lshlrev_b32_e32 v1, 11, v1
	v_cmp_ne_u32_e32 vcc, v29, v1
	s_and_b64 s[8:9], exec, vcc
	v_mov_b64_e32 v[10:11], v[42:43]
	s_mov_b64 exec, s[8:9]
	s_cbranch_execz .LBB30_2822
; %bb.2798:                             ;   in Loop: Header=BB30_1243 Depth=2
	v_lshlrev_b32_e32 v4, 6, v13
	v_sub_u32_e32 v4, v12, v4
	v_ashrrev_i32_e32 v5, 31, v4
	v_lshrrev_b32_e32 v5, 26, v5
	v_add_u32_e32 v5, v4, v5
	v_and_b32_e32 v6, 0x7fffffc0, v5
	v_sub_u32_e32 v4, v4, v6
	v_lshlrev_b32_e32 v5, 1, v5
	v_and_b32_e32 v5, 0xffffff80, v5
	v_lshlrev_b32_e32 v4, 1, v4
	v_add3_u32 v4, v5, v4, v1
	v_sub_u32_e32 v1, v29, v4
	v_cmp_lt_i32_e32 vcc, 1, v1
	s_and_b64 exec, exec, vcc
	s_cbranch_execz .LBB30_2822
; %bb.2799:                             ;   in Loop: Header=BB30_1243 Depth=2
	s_trap 2
	ds_read_b64 v[6:7], v0
	v_add_u32_e32 v8, v4, v0
	s_and_b32 s8, s64, 0xff
	v_ashrrev_i32_e32 v9, 31, v8
	s_cmp_eq_u32 s8, 0
	v_lshl_add_u64 v[4:5], v[10:11], 0, v[8:9]
	v_lshl_add_u64 v[10:11], v[8:9], 0, v[120:121]
	s_waitcnt lgkmcnt(0)
	v_lshl_add_u64 v[8:9], v[6:7], 0, v[8:9]
	s_mov_b64 s[38:39], 0
	s_mov_b64 s[30:31], 0
	s_cselect_b64 s[24:25], -1, 0
                                        ; implicit-def: $sgpr36_sgpr37
	s_branch .LBB30_2801
.LBB30_2800:                            ;   in Loop: Header=BB30_2801 Depth=3
	s_or_b64 exec, exec, s[26:27]
	v_lshrrev_b32_e32 v1, 16, v6
	scratch_store_short off, v1, s33 offset:192
	flat_store_short v[4:5], v1 nt
	scratch_load_dwordx2 v[14:15], off, s33 offset:256 ; 8-byte Folded Reload
	v_mov_b32_e32 v1, 0x80
	v_lshl_add_u64 v[6:7], v[10:11], 0, v[92:93]
	v_lshl_add_u64 v[12:13], v[8:9], 0, v[92:93]
	v_cndmask_b32_e64 v9, v9, v13, s[38:39]
	v_cndmask_b32_e64 v8, v8, v12, s[38:39]
	;; [unrolled: 1-line block ×4, first 2 shown]
	s_waitcnt vmcnt(0)
	v_cndmask_b32_e64 v14, v1, v14, s[38:39]
	v_cndmask_b32_e64 v1, 0, v31, s[38:39]
	v_sub_u32_e32 v1, v0, v1
	v_cmp_gt_i32_e32 vcc, 2, v1
	s_or_b64 s[30:31], vcc, s[30:31]
	v_cndmask_b32_e64 v15, 0, v15, s[38:39]
	s_andn2_b64 s[8:9], s[36:37], exec
	s_and_b64 s[26:27], s[38:39], exec
	v_lshl_add_u64 v[4:5], v[4:5], 0, v[14:15]
	s_or_b64 s[36:37], s[8:9], s[26:27]
	s_andn2_b64 exec, exec, s[30:31]
	s_cbranch_execz .LBB30_2816
.LBB30_2801:                            ;   Parent Loop BB30_47 Depth=1
                                        ;     Parent Loop BB30_1243 Depth=2
                                        ; =>    This Loop Header: Depth=3
                                        ;         Child Loop BB30_2802 Depth 4
                                        ;         Child Loop BB30_2811 Depth 4
	s_add_i32 s9, s33, 0xc0
	s_mov_b32 s8, s9
	s_mov_b64 s[48:49], -1
	s_mov_b64 s[50:51], 0
.LBB30_2802:                            ;   Parent Loop BB30_47 Depth=1
                                        ;     Parent Loop BB30_1243 Depth=2
                                        ;       Parent Loop BB30_2801 Depth=3
                                        ; =>      This Inner Loop Header: Depth=4
	s_cmp_eq_u32 s50, 1
	s_cselect_b64 vcc, -1, 0
	v_cndmask_b32_e32 v7, v11, v9, vcc
	v_cndmask_b32_e32 v6, v10, v8, vcc
	flat_load_ushort v0, v[6:7] nt
	s_cmp_eq_u32 s50, 0
	s_cselect_b64 s[26:27], -1, 0
	s_and_b64 s[28:29], exec, s[48:49]
	v_lshl_add_u64 v[6:7], v[6:7], 0, s[60:61]
	s_add_i32 s9, s33, 0xe0
	s_mov_b64 s[50:51], 1
	s_mov_b64 s[48:49], 0
	v_cndmask_b32_e32 v9, v9, v7, vcc
	v_cndmask_b32_e32 v8, v8, v6, vcc
	v_cndmask_b32_e64 v11, v11, v7, s[26:27]
	v_cndmask_b32_e64 v10, v10, v6, s[26:27]
	s_mov_b64 vcc, s[28:29]
	s_waitcnt vmcnt(0) lgkmcnt(0)
	scratch_store_short off, v0, s8
	s_mov_b32 s8, s9
	s_cbranch_vccnz .LBB30_2802
; %bb.2803:                             ;   in Loop: Header=BB30_2801 Depth=3
	s_and_saveexec_b64 s[26:27], s[38:39]
	s_cbranch_execz .LBB30_2809
; %bb.2804:                             ;   in Loop: Header=BB30_2801 Depth=3
	scratch_load_ushort v0, off, s33 offset:184
	scratch_load_ushort v6, off, s33 offset:186
	s_waitcnt vmcnt(1)
	v_lshlrev_b32_e32 v0, 16, v0
	s_waitcnt vmcnt(0)
	v_lshlrev_b32_e32 v6, 16, v6
	v_max_f32_e32 v6, v6, v6
	v_max_f32_e32 v0, v0, v0
	v_min_f32_e32 v7, v0, v6
	v_max_f32_e32 v0, v0, v6
	v_cndmask_b32_e64 v0, v0, v7, s[24:25]
	v_and_b32_e32 v6, 0x7f800000, v0
	v_cmp_ne_u32_e32 vcc, s43, v6
                                        ; implicit-def: $vgpr6
	s_and_saveexec_b64 s[8:9], vcc
	s_xor_b64 s[28:29], exec, s[8:9]
; %bb.2805:                             ;   in Loop: Header=BB30_2801 Depth=3
	v_bfe_u32 v6, v0, 16, 1
	v_add3_u32 v6, v0, v6, s40
                                        ; implicit-def: $vgpr0
; %bb.2806:                             ;   in Loop: Header=BB30_2801 Depth=3
	s_andn2_saveexec_b64 s[28:29], s[28:29]
; %bb.2807:                             ;   in Loop: Header=BB30_2801 Depth=3
	v_or_b32_e32 v6, 0x10000, v0
	v_cmp_eq_u32_sdwa vcc, v0, v3 src0_sel:WORD_0 src1_sel:DWORD
	s_nop 1
	v_cndmask_b32_e32 v6, v6, v0, vcc
; %bb.2808:                             ;   in Loop: Header=BB30_2801 Depth=3
	s_or_b64 exec, exec, s[28:29]
	v_lshrrev_b32_e32 v0, 16, v6
	scratch_store_short off, v0, s33 offset:184
	flat_store_short v[4:5], v0 nt
	scratch_load_dwordx2 v[6:7], off, s33 offset:256 ; 8-byte Folded Reload
	s_waitcnt vmcnt(0)
	v_lshl_add_u64 v[4:5], v[4:5], 0, v[6:7]
.LBB30_2809:                            ;   in Loop: Header=BB30_2801 Depth=3
	s_or_b64 exec, exec, s[26:27]
	v_sub_u32_e32 v0, v1, v31
	v_lshl_add_u64 v[10:11], v[10:11], 0, v[92:93]
	v_lshl_add_u64 v[8:9], v[8:9], 0, v[92:93]
	v_cmp_lt_i32_e64 s[38:39], 1, v0
	s_and_saveexec_b64 s[48:49], s[38:39]
	s_cbranch_execz .LBB30_2812
; %bb.2810:                             ;   in Loop: Header=BB30_2801 Depth=3
	s_add_i32 s9, s33, 0xb8
	s_mov_b32 s8, s9
	s_mov_b64 s[52:53], 0
	s_mov_b64 s[50:51], -1
.LBB30_2811:                            ;   Parent Loop BB30_47 Depth=1
                                        ;     Parent Loop BB30_1243 Depth=2
                                        ;       Parent Loop BB30_2801 Depth=3
                                        ; =>      This Inner Loop Header: Depth=4
	s_cmp_eq_u32 s52, 1
	s_cselect_b64 vcc, -1, 0
	v_cndmask_b32_e32 v7, v11, v9, vcc
	v_cndmask_b32_e32 v6, v10, v8, vcc
	flat_load_ushort v1, v[6:7] nt
	s_cmp_eq_u32 s52, 0
	s_cselect_b64 s[26:27], -1, 0
	s_and_b64 s[28:29], exec, s[50:51]
	v_lshl_add_u64 v[6:7], v[6:7], 0, s[60:61]
	s_add_i32 s9, s33, 0xba
	s_mov_b64 s[52:53], 1
	s_mov_b64 s[50:51], 0
	v_cndmask_b32_e64 v11, v11, v7, s[26:27]
	v_cndmask_b32_e64 v10, v10, v6, s[26:27]
	v_cndmask_b32_e32 v9, v9, v7, vcc
	v_cndmask_b32_e32 v8, v8, v6, vcc
	s_mov_b64 vcc, s[28:29]
	s_waitcnt vmcnt(0) lgkmcnt(0)
	scratch_store_short off, v1, s8
	s_mov_b32 s8, s9
	s_cbranch_vccnz .LBB30_2811
.LBB30_2812:                            ;   in Loop: Header=BB30_2801 Depth=3
	s_or_b64 exec, exec, s[48:49]
	scratch_load_ushort v1, off, s33 offset:192
	scratch_load_ushort v6, off, s33 offset:224
	s_waitcnt vmcnt(0)
	v_lshlrev_b32_e32 v1, 16, v1
	v_lshlrev_b32_e32 v6, 16, v6
	v_max_f32_e32 v6, v6, v6
	v_max_f32_e32 v1, v1, v1
	v_min_f32_e32 v7, v1, v6
	v_max_f32_e32 v1, v1, v6
	v_cndmask_b32_e64 v1, v1, v7, s[24:25]
	v_and_b32_e32 v6, 0x7f800000, v1
	v_cmp_ne_u32_e32 vcc, s43, v6
                                        ; implicit-def: $vgpr6
	s_and_saveexec_b64 s[8:9], vcc
	s_xor_b64 s[26:27], exec, s[8:9]
; %bb.2813:                             ;   in Loop: Header=BB30_2801 Depth=3
	v_bfe_u32 v6, v1, 16, 1
	v_add3_u32 v6, v1, v6, s40
                                        ; implicit-def: $vgpr1
; %bb.2814:                             ;   in Loop: Header=BB30_2801 Depth=3
	s_andn2_saveexec_b64 s[26:27], s[26:27]
	s_cbranch_execz .LBB30_2800
; %bb.2815:                             ;   in Loop: Header=BB30_2801 Depth=3
	v_or_b32_e32 v6, 0x10000, v1
	v_cmp_eq_u32_sdwa vcc, v1, v3 src0_sel:WORD_0 src1_sel:DWORD
	s_nop 1
	v_cndmask_b32_e32 v6, v6, v1, vcc
	s_branch .LBB30_2800
.LBB30_2816:                            ;   in Loop: Header=BB30_1243 Depth=2
	s_or_b64 exec, exec, s[30:31]
	s_and_b64 exec, exec, s[36:37]
	s_cbranch_execz .LBB30_2822
; %bb.2817:                             ;   in Loop: Header=BB30_1243 Depth=2
	scratch_load_ushort v0, off, s33 offset:184
	scratch_load_ushort v1, off, s33 offset:186
	s_waitcnt vmcnt(0)
	v_lshlrev_b32_e32 v0, 16, v0
	v_lshlrev_b32_e32 v1, 16, v1
	v_max_f32_e32 v1, v1, v1
	v_max_f32_e32 v0, v0, v0
	v_min_f32_e32 v6, v0, v1
	v_max_f32_e32 v0, v0, v1
	v_cndmask_b32_e64 v0, v0, v6, s[24:25]
	v_and_b32_e32 v1, 0x7f800000, v0
	v_cmp_ne_u32_e32 vcc, s43, v1
                                        ; implicit-def: $vgpr1
	s_and_saveexec_b64 s[8:9], vcc
	s_xor_b64 s[24:25], exec, s[8:9]
; %bb.2818:                             ;   in Loop: Header=BB30_1243 Depth=2
	v_bfe_u32 v1, v0, 16, 1
	v_add3_u32 v1, v0, v1, s40
                                        ; implicit-def: $vgpr0
; %bb.2819:                             ;   in Loop: Header=BB30_1243 Depth=2
	s_andn2_saveexec_b64 s[24:25], s[24:25]
; %bb.2820:                             ;   in Loop: Header=BB30_1243 Depth=2
	v_or_b32_e32 v1, 0x10000, v0
	v_cmp_eq_u32_sdwa vcc, v0, v3 src0_sel:WORD_0 src1_sel:DWORD
	s_nop 1
	v_cndmask_b32_e32 v1, v1, v0, vcc
; %bb.2821:                             ;   in Loop: Header=BB30_1243 Depth=2
	s_or_b64 exec, exec, s[24:25]
	flat_store_short_d16_hi v[4:5], v1 nt
.LBB30_2822:                            ;   in Loop: Header=BB30_1243 Depth=2
	s_or_b64 exec, exec, s[34:35]
	v_cmp_lt_i32_e64 s[24:25], 0, v2
	s_and_saveexec_b64 s[26:27], s[4:5]
	s_cbranch_execz .LBB30_2841
.LBB30_2823:                            ;   in Loop: Header=BB30_1243 Depth=2
	s_and_saveexec_b64 s[8:9], s[44:45]
	s_xor_b64 s[28:29], exec, s[8:9]
	s_cbranch_execz .LBB30_2838
; %bb.2824:                             ;   in Loop: Header=BB30_1243 Depth=2
	s_and_saveexec_b64 s[30:31], s[12:13]
	s_cbranch_execz .LBB30_2837
; %bb.2825:                             ;   in Loop: Header=BB30_1243 Depth=2
	s_mov_b64 s[36:37], exec
	v_mbcnt_lo_u32_b32 v0, s36, 0
	v_mbcnt_hi_u32_b32 v0, s37, v0
	v_cmp_eq_u32_e32 vcc, 0, v0
	s_waitcnt lgkmcnt(0)
	s_and_saveexec_b64 s[34:35], vcc
	s_cbranch_execz .LBB30_2827
; %bb.2826:                             ;   in Loop: Header=BB30_1243 Depth=2
	s_bcnt1_i32_b64 s8, s[36:37]
	v_mov_b32_e32 v2, s8
	ds_add_u64 v0, v[2:3]
	s_trap 2
.LBB30_2827:                            ;   in Loop: Header=BB30_1243 Depth=2
	s_or_b64 exec, exec, s[34:35]
	s_trap 2
	ds_read_b64 v[0:1], v0
	s_waitcnt lgkmcnt(0)
	v_lshl_add_u64 v[46:47], v[46:47], 0, v[60:61]
	v_cmp_lt_u64_e32 vcc, v[0:1], v[46:47]
	s_and_saveexec_b64 s[34:35], vcc
	s_cbranch_execz .LBB30_2836
; %bb.2828:                             ;   in Loop: Header=BB30_1243 Depth=2
	s_mov_b32 s8, 0
	s_mov_b64 s[36:37], 0
                                        ; implicit-def: $sgpr38_sgpr39
                                        ; implicit-def: $sgpr48_sgpr49
	s_branch .LBB30_2830
.LBB30_2829:                            ;   in Loop: Header=BB30_2830 Depth=3
	s_or_b64 exec, exec, s[52:53]
	s_and_b64 vcc, exec, vcc
	s_or_b64 s[36:37], vcc, s[36:37]
	s_andn2_b64 vcc, s[38:39], exec
	s_and_b64 s[38:39], s[48:49], exec
	s_or_b64 s[38:39], vcc, s[38:39]
	s_andn2_b64 exec, exec, s[36:37]
	s_cbranch_execz .LBB30_2834
.LBB30_2830:                            ;   Parent Loop BB30_47 Depth=1
                                        ;     Parent Loop BB30_1243 Depth=2
                                        ; =>    This Inner Loop Header: Depth=3
	s_add_i32 s8, s8, 1
	s_cmpk_lg_i32 s8, 0x2710
	s_cselect_b64 s[50:51], -1, 0
	s_and_b64 vcc, exec, s[50:51]
	s_cbranch_vccz .LBB30_2832
; %bb.2831:                             ;   in Loop: Header=BB30_2830 Depth=3
	s_mov_b64 vcc, -1
	s_or_b64 s[48:49], s[48:49], exec
	s_and_saveexec_b64 s[52:53], s[50:51]
	s_cbranch_execz .LBB30_2829
	s_branch .LBB30_2833
.LBB30_2832:                            ;   in Loop: Header=BB30_2830 Depth=3
	s_trap 2
	ds_read_b64 v[0:1], v0
	s_andn2_b64 s[50:51], s[50:51], exec
	s_mov_b32 s8, 0
	s_waitcnt vmcnt(0) lgkmcnt(0)
	flat_load_dword v0, v[0:1] sc0 sc1
	s_waitcnt vmcnt(0) lgkmcnt(0)
	buffer_inv sc0 sc1
	v_cmp_eq_u32_e32 vcc, 0, v0
	s_and_b64 vcc, vcc, exec
	s_or_b64 s[50:51], s[50:51], vcc
	s_mov_b64 vcc, -1
	s_or_b64 s[48:49], s[48:49], exec
	s_and_saveexec_b64 s[52:53], s[50:51]
	s_cbranch_execz .LBB30_2829
.LBB30_2833:                            ;   in Loop: Header=BB30_2830 Depth=3
	s_sleep 1
	s_trap 2
	ds_read_b64 v[0:1], v0
	s_waitcnt lgkmcnt(0)
	s_andn2_b64 s[48:49], s[48:49], exec
	v_cmp_ge_u64_e32 vcc, v[0:1], v[46:47]
	s_orn2_b64 vcc, vcc, exec
	s_branch .LBB30_2829
.LBB30_2834:                            ;   in Loop: Header=BB30_1243 Depth=2
	s_or_b64 exec, exec, s[36:37]
	s_and_saveexec_b64 s[8:9], s[38:39]
	s_xor_b64 s[8:9], exec, s[8:9]
	s_cbranch_execz .LBB30_2836
; %bb.2835:                             ;   in Loop: Header=BB30_1243 Depth=2
	v_mov_b32_e32 v0, 1
	ds_write_b32 v0, v0
	s_trap 2
.LBB30_2836:                            ;   in Loop: Header=BB30_1243 Depth=2
	s_or_b64 exec, exec, s[34:35]
	;;#ASMSTART
	s_wakeup
	;;#ASMEND
.LBB30_2837:                            ;   in Loop: Header=BB30_1243 Depth=2
	s_or_b64 exec, exec, s[30:31]
.LBB30_2838:                            ;   in Loop: Header=BB30_1243 Depth=2
	s_andn2_saveexec_b64 s[28:29], s[28:29]
	s_cbranch_execz .LBB30_2840
; %bb.2839:                             ;   in Loop: Header=BB30_1243 Depth=2
	s_waitcnt lgkmcnt(0)
	s_barrier
.LBB30_2840:                            ;   in Loop: Header=BB30_1243 Depth=2
	s_or_b64 exec, exec, s[28:29]
.LBB30_2841:                            ;   in Loop: Header=BB30_1243 Depth=2
	s_or_b64 exec, exec, s[26:27]
	v_and_b32_e32 v0, 16, v110
	s_and_saveexec_b64 s[8:9], s[20:21]
	s_xor_b64 s[26:27], exec, s[8:9]
	s_cbranch_execz .LBB30_2845
; %bb.2842:                             ;   in Loop: Header=BB30_1243 Depth=2
	v_and_b32_e32 v1, 16, v110
	v_cmp_ne_u32_e32 vcc, 0, v1
	v_and_b32_e32 v0, 16, v110
	s_and_b64 s[8:9], vcc, s[24:25]
	s_and_saveexec_b64 s[24:25], s[8:9]
	s_cbranch_execz .LBB30_2844
; %bb.2843:                             ;   in Loop: Header=BB30_1243 Depth=2
	v_mov_b32_e32 v0, 1
	buffer_wbl2 sc1
	s_waitcnt vmcnt(0) lgkmcnt(0)
	buffer_inv sc1
.LBB30_2844:                            ;   in Loop: Header=BB30_1243 Depth=2
	s_or_b64 exec, exec, s[24:25]
.LBB30_2845:                            ;   in Loop: Header=BB30_1243 Depth=2
	s_andn2_saveexec_b64 s[24:25], s[26:27]
	s_cbranch_execz .LBB30_2864
; %bb.2846:                             ;   in Loop: Header=BB30_1243 Depth=2
	s_and_saveexec_b64 s[8:9], s[44:45]
	s_xor_b64 s[26:27], exec, s[8:9]
	s_cbranch_execz .LBB30_2861
; %bb.2847:                             ;   in Loop: Header=BB30_1243 Depth=2
	s_and_saveexec_b64 s[28:29], s[12:13]
	s_cbranch_execz .LBB30_2860
; %bb.2848:                             ;   in Loop: Header=BB30_1243 Depth=2
	s_mov_b64 s[34:35], exec
	v_mbcnt_lo_u32_b32 v1, s34, 0
	v_mbcnt_hi_u32_b32 v1, s35, v1
	v_cmp_eq_u32_e32 vcc, 0, v1
	;;#ASMSTART
	s_waitcnt lgkmcnt(0) vmcnt(0)
	;;#ASMEND
	s_and_saveexec_b64 s[30:31], vcc
	s_cbranch_execz .LBB30_2850
; %bb.2849:                             ;   in Loop: Header=BB30_1243 Depth=2
	s_bcnt1_i32_b64 s8, s[34:35]
	v_mov_b32_e32 v2, s8
	s_waitcnt lgkmcnt(0)
	ds_add_u64 v0, v[2:3]
	s_trap 2
.LBB30_2850:                            ;   in Loop: Header=BB30_1243 Depth=2
	s_or_b64 exec, exec, s[30:31]
	s_trap 2
	ds_read_b64 v[4:5], v0
	s_waitcnt lgkmcnt(0)
	v_lshl_add_u64 v[46:47], v[46:47], 0, v[60:61]
	v_cmp_lt_u64_e32 vcc, v[4:5], v[46:47]
	s_and_saveexec_b64 s[30:31], vcc
	s_cbranch_execz .LBB30_2859
; %bb.2851:                             ;   in Loop: Header=BB30_1243 Depth=2
	s_mov_b32 s8, 0
	s_mov_b64 s[34:35], 0
                                        ; implicit-def: $sgpr36_sgpr37
                                        ; implicit-def: $sgpr38_sgpr39
	s_branch .LBB30_2853
.LBB30_2852:                            ;   in Loop: Header=BB30_2853 Depth=3
	s_or_b64 exec, exec, s[50:51]
	s_and_b64 vcc, exec, vcc
	s_or_b64 s[34:35], vcc, s[34:35]
	s_andn2_b64 vcc, s[36:37], exec
	s_and_b64 s[36:37], s[38:39], exec
	s_or_b64 s[36:37], vcc, s[36:37]
	s_andn2_b64 exec, exec, s[34:35]
	s_cbranch_execz .LBB30_2857
.LBB30_2853:                            ;   Parent Loop BB30_47 Depth=1
                                        ;     Parent Loop BB30_1243 Depth=2
                                        ; =>    This Inner Loop Header: Depth=3
	s_add_i32 s8, s8, 1
	s_cmpk_lg_i32 s8, 0x2710
	s_cselect_b64 s[48:49], -1, 0
	s_and_b64 vcc, exec, s[48:49]
	s_cbranch_vccz .LBB30_2855
; %bb.2854:                             ;   in Loop: Header=BB30_2853 Depth=3
	s_mov_b64 vcc, -1
	s_or_b64 s[38:39], s[38:39], exec
	s_and_saveexec_b64 s[50:51], s[48:49]
	s_cbranch_execz .LBB30_2852
	s_branch .LBB30_2856
.LBB30_2855:                            ;   in Loop: Header=BB30_2853 Depth=3
	s_trap 2
	ds_read_b64 v[4:5], v0
	s_andn2_b64 s[48:49], s[48:49], exec
	s_mov_b32 s8, 0
	s_waitcnt vmcnt(0) lgkmcnt(0)
	flat_load_dword v1, v[4:5] sc0 sc1
	s_waitcnt vmcnt(0) lgkmcnt(0)
	buffer_inv sc0 sc1
	v_cmp_eq_u32_e32 vcc, 0, v1
	s_and_b64 vcc, vcc, exec
	s_or_b64 s[48:49], s[48:49], vcc
	s_mov_b64 vcc, -1
	s_or_b64 s[38:39], s[38:39], exec
	s_and_saveexec_b64 s[50:51], s[48:49]
	s_cbranch_execz .LBB30_2852
.LBB30_2856:                            ;   in Loop: Header=BB30_2853 Depth=3
	s_sleep 1
	s_trap 2
	ds_read_b64 v[4:5], v0
	s_waitcnt lgkmcnt(0)
	s_andn2_b64 s[38:39], s[38:39], exec
	v_cmp_ge_u64_e32 vcc, v[4:5], v[46:47]
	s_orn2_b64 vcc, vcc, exec
	s_branch .LBB30_2852
.LBB30_2857:                            ;   in Loop: Header=BB30_1243 Depth=2
	s_or_b64 exec, exec, s[34:35]
	s_and_saveexec_b64 s[8:9], s[36:37]
	s_xor_b64 s[8:9], exec, s[8:9]
	s_cbranch_execz .LBB30_2859
; %bb.2858:                             ;   in Loop: Header=BB30_1243 Depth=2
	v_mov_b32_e32 v1, 1
	ds_write_b32 v0, v1
	s_trap 2
.LBB30_2859:                            ;   in Loop: Header=BB30_1243 Depth=2
	s_or_b64 exec, exec, s[30:31]
	;;#ASMSTART
	s_wakeup
	;;#ASMEND
.LBB30_2860:                            ;   in Loop: Header=BB30_1243 Depth=2
	s_or_b64 exec, exec, s[28:29]
.LBB30_2861:                            ;   in Loop: Header=BB30_1243 Depth=2
	s_andn2_saveexec_b64 s[26:27], s[26:27]
	s_cbranch_execz .LBB30_2863
; %bb.2862:                             ;   in Loop: Header=BB30_1243 Depth=2
	;;#ASMSTART
	s_waitcnt lgkmcnt(0) vmcnt(0)
	;;#ASMEND
	s_barrier
.LBB30_2863:                            ;   in Loop: Header=BB30_1243 Depth=2
	s_or_b64 exec, exec, s[26:27]
.LBB30_2864:                            ;   in Loop: Header=BB30_1243 Depth=2
	s_or_b64 exec, exec, s[24:25]
	v_cmp_ne_u32_e32 vcc, 0, v0
	s_xor_b64 s[8:9], s[6:7], -1
	s_and_b64 s[8:9], vcc, s[8:9]
	s_and_saveexec_b64 s[24:25], s[8:9]
	s_cbranch_execz .LBB30_2866
; %bb.2865:                             ;   in Loop: Header=BB30_1243 Depth=2
	scratch_load_dwordx2 v[0:1], off, s33 offset:304 ; 8-byte Folded Reload
	v_mov_b32_e32 v2, 1
	s_waitcnt vmcnt(0)
	flat_store_dword v[0:1], v2 sc0 sc1
.LBB30_2866:                            ;   in Loop: Header=BB30_1243 Depth=2
	s_or_b64 exec, exec, s[24:25]
	v_and_b32_e32 v0, 48, v110
	v_cmp_ne_u32_e32 vcc, 0, v0
	s_and_saveexec_b64 s[24:25], vcc
	s_cbranch_execz .LBB30_1242
; %bb.2867:                             ;   in Loop: Header=BB30_1243 Depth=2
	v_lshl_add_u64 v[124:125], v[124:125], 0, 2
	flat_store_dwordx2 v[40:41], v[124:125] sc0 sc1
	s_branch .LBB30_1242
.LBB30_2868:                            ;   in Loop: Header=BB30_47 Depth=1
	s_or_b64 exec, exec, s[92:93]
.LBB30_2869:                            ;   in Loop: Header=BB30_47 Depth=1
	s_or_b64 exec, exec, s[90:91]
	v_cmp_gt_i32_e32 vcc, 2, v0
	s_and_saveexec_b64 s[26:27], vcc
	s_cbranch_execz .LBB30_2945
; %bb.2870:                             ;   in Loop: Header=BB30_47 Depth=1
	v_cmp_eq_u32_e64 s[90:91], 0, v0
	s_mov_b64 s[28:29], 0
	s_branch .LBB30_2872
.LBB30_2871:                            ;   in Loop: Header=BB30_2872 Depth=2
	s_or_b64 exec, exec, s[24:25]
	v_add_u32_e32 v62, v28, v62
	s_mov_b64 s[90:91], 0
	s_andn2_b64 exec, exec, s[28:29]
	s_cbranch_execz .LBB30_2944
.LBB30_2872:                            ;   Parent Loop BB30_47 Depth=1
                                        ; =>  This Loop Header: Depth=2
                                        ;       Child Loop BB30_2878 Depth 3
                                        ;       Child Loop BB30_2906 Depth 3
	;; [unrolled: 1-line block ×3, first 2 shown]
	v_sub_u32_e32 v0, v108, v62
	v_min_i32_e32 v28, v28, v0
	v_and_b32_e32 v0, 12, v110
	v_cmp_ne_u32_e32 vcc, 0, v0
	s_and_saveexec_b64 s[92:93], vcc
	s_cbranch_execz .LBB30_2898
; %bb.2873:                             ;   in Loop: Header=BB30_2872 Depth=2
	v_and_b32_e32 v2, 8, v110
	s_waitcnt lgkmcnt(0)
	v_lshl_add_u64 v[0:1], v[56:57], 0, v[2:3]
	v_lshl_add_u64 v[4:5], v[124:125], 0, 2
	v_cmp_lt_u64_e32 vcc, v[0:1], v[4:5]
	s_and_saveexec_b64 s[94:95], vcc
	s_cbranch_execz .LBB30_2885
; %bb.2874:                             ;   in Loop: Header=BB30_2872 Depth=2
	v_and_b32_e32 v0, 64, v110
	s_mov_b32 s74, 0
	v_cmp_eq_u32_e32 vcc, 0, v0
	s_mov_b64 s[30:31], 0
                                        ; implicit-def: $sgpr34_sgpr35
                                        ; implicit-def: $sgpr36_sgpr37
                                        ; implicit-def: $sgpr38_sgpr39
	s_branch .LBB30_2878
.LBB30_2875:                            ;   in Loop: Header=BB30_2878 Depth=3
	s_waitcnt vmcnt(0) lgkmcnt(0)
	v_lshl_add_u64 v[6:7], v[56:57], 0, v[2:3]
	v_cmp_ge_u64_e64 s[24:25], v[6:7], v[4:5]
	s_or_b64 s[52:53], s[52:53], exec
	s_orn2_b64 s[50:51], s[24:25], exec
.LBB30_2876:                            ;   in Loop: Header=BB30_2878 Depth=3
	s_or_b64 exec, exec, s[64:65]
	s_andn2_b64 s[8:9], s[38:39], exec
	s_and_b64 s[24:25], s[52:53], exec
	s_or_b64 s[38:39], s[8:9], s[24:25]
	s_andn2_b64 s[8:9], s[36:37], exec
	s_and_b64 s[24:25], s[50:51], exec
	s_or_b64 s[36:37], s[8:9], s[24:25]
.LBB30_2877:                            ;   in Loop: Header=BB30_2878 Depth=3
	s_or_b64 exec, exec, s[48:49]
	s_and_b64 s[8:9], exec, s[36:37]
	s_or_b64 s[30:31], s[8:9], s[30:31]
	s_andn2_b64 s[8:9], s[34:35], exec
	s_and_b64 s[24:25], s[38:39], exec
	s_or_b64 s[34:35], s[8:9], s[24:25]
	s_andn2_b64 exec, exec, s[30:31]
	s_cbranch_execz .LBB30_2882
.LBB30_2878:                            ;   Parent Loop BB30_47 Depth=1
                                        ;     Parent Loop BB30_2872 Depth=2
                                        ; =>    This Inner Loop Header: Depth=3
	s_sleep 1
	s_waitcnt vmcnt(0) lgkmcnt(0)
	flat_load_dwordx2 v[56:57], v[40:41] sc0 sc1
	s_or_b64 s[38:39], s[38:39], exec
	s_or_b64 s[36:37], s[36:37], exec
                                        ; implicit-def: $vgpr0
	s_and_saveexec_b64 s[48:49], vcc
	s_cbranch_execz .LBB30_2877
; %bb.2879:                             ;   in Loop: Header=BB30_2878 Depth=3
	s_cmpk_lt_i32 s74, 0x270f
	s_cselect_b64 s[54:55], -1, 0
	s_cmpk_gt_i32 s74, 0x270e
	s_mov_b64 s[50:51], -1
	s_cbranch_scc0 .LBB30_2881
; %bb.2880:                             ;   in Loop: Header=BB30_2878 Depth=3
	s_trap 2
	ds_read_b64 v[0:1], v0
	s_andn2_b64 s[8:9], s[54:55], exec
	s_mov_b32 s74, 0
	s_mov_b64 s[52:53], 0
	s_waitcnt vmcnt(0) lgkmcnt(0)
	flat_load_dword v0, v[0:1] sc0 sc1
	s_waitcnt vmcnt(0) lgkmcnt(0)
	buffer_inv sc0 sc1
	v_cmp_eq_u32_e64 s[24:25], 0, v0
	s_and_b64 s[24:25], s[24:25], exec
	s_or_b64 s[54:55], s[8:9], s[24:25]
	s_and_saveexec_b64 s[64:65], s[54:55]
	s_cbranch_execz .LBB30_2876
	s_branch .LBB30_2875
.LBB30_2881:                            ;   in Loop: Header=BB30_2878 Depth=3
	s_add_i32 s74, s74, 1
	s_mov_b64 s[52:53], -1
                                        ; implicit-def: $vgpr0
	s_and_saveexec_b64 s[64:65], s[54:55]
	s_cbranch_execz .LBB30_2876
	s_branch .LBB30_2875
.LBB30_2882:                            ;   in Loop: Header=BB30_2872 Depth=2
	s_or_b64 exec, exec, s[30:31]
	s_xor_b64 s[8:9], s[34:35], -1
	s_and_saveexec_b64 s[24:25], s[8:9]
	s_xor_b64 s[24:25], exec, s[24:25]
	s_cbranch_execz .LBB30_2884
; %bb.2883:                             ;   in Loop: Header=BB30_2872 Depth=2
	v_or_b32_e32 v110, 64, v110
	s_waitcnt lgkmcnt(0)
	ds_write_b32 v0, v0
	s_trap 2
.LBB30_2884:                            ;   in Loop: Header=BB30_2872 Depth=2
	s_or_b64 exec, exec, s[24:25]
.LBB30_2885:                            ;   in Loop: Header=BB30_2872 Depth=2
	s_or_b64 exec, exec, s[94:95]
	v_and_b32_e32 v0, 0x108, v110
	v_cmp_ne_u32_e32 vcc, s42, v0
	v_and_b32_e32 v8, 7, v124
	;;#ASMSTART
	s_wakeup
	;;#ASMEND
	s_and_saveexec_b64 s[8:9], vcc
	s_xor_b64 s[24:25], exec, s[8:9]
                                        ; implicit-def: $vgpr9
; %bb.2886:                             ;   in Loop: Header=BB30_2872 Depth=2
	v_mov_b32_e32 v9, v3
; %bb.2887:                             ;   in Loop: Header=BB30_2872 Depth=2
	s_andn2_saveexec_b64 s[24:25], s[24:25]
	s_cbranch_execz .LBB30_2889
; %bb.2888:                             ;   in Loop: Header=BB30_2872 Depth=2
	scratch_load_dwordx4 v[10:13], off, s33 offset:288 ; 16-byte Folded Reload
	v_ashrrev_i32_e32 v29, 31, v28
	v_mov_b32_e32 v9, v3
	v_lshlrev_b64 v[6:7], 1, v[28:29]
	s_waitcnt vmcnt(0)
	v_mad_u64_u32 v[0:1], s[8:9], v8, 24, v[10:11]
	flat_store_dwordx2 v[0:1], v[6:7] offset:8
.LBB30_2889:                            ;   in Loop: Header=BB30_2872 Depth=2
	s_or_b64 exec, exec, s[24:25]
	v_and_b32_e32 v0, 0x100, v110
	v_cmp_ne_u32_e32 vcc, 0, v0
	s_mov_b64 s[24:25], -1
                                        ; implicit-def: $vgpr10_vgpr11
	s_and_saveexec_b64 s[94:95], vcc
	s_cbranch_execz .LBB30_2893
; %bb.2890:                             ;   in Loop: Header=BB30_2872 Depth=2
	scratch_load_dwordx4 v[10:13], off, s33 offset:288 ; 16-byte Folded Reload
	s_waitcnt vmcnt(0)
	v_mad_u64_u32 v[12:13], s[8:9], v8, 24, v[10:11]
	v_mov_b32_e32 v0, v13
	v_mad_u64_u32 v[0:1], s[8:9], v9, 24, v[0:1]
	v_mov_b32_e32 v13, v0
	flat_load_dword v0, v[12:13]
                                        ; implicit-def: $vgpr10_vgpr11
	s_waitcnt vmcnt(0) lgkmcnt(0)
	v_cmp_ne_u32_e32 vcc, 1, v0
	v_cmp_eq_u32_e64 s[24:25], 1, v0
	s_and_saveexec_b64 s[30:31], s[24:25]
	s_cbranch_execz .LBB30_2892
; %bb.2891:                             ;   in Loop: Header=BB30_2872 Depth=2
	flat_load_dword v0, v[12:13] offset:4 sc0 sc1
	s_waitcnt vmcnt(0) lgkmcnt(0)
	v_ashrrev_i32_e32 v1, 31, v0
	v_lshrrev_b64 v[10:11], 1, v[0:1]
.LBB30_2892:                            ;   in Loop: Header=BB30_2872 Depth=2
	s_or_b64 exec, exec, s[30:31]
	s_orn2_b64 s[24:25], vcc, exec
.LBB30_2893:                            ;   in Loop: Header=BB30_2872 Depth=2
	s_or_b64 exec, exec, s[94:95]
	s_and_saveexec_b64 s[94:95], s[24:25]
	s_cbranch_execz .LBB30_2895
; %bb.2894:                             ;   in Loop: Header=BB30_2872 Depth=2
	scratch_load_dwordx2 v[0:1], off, s33 offset:316 ; 8-byte Folded Reload
	scratch_load_dwordx2 v[10:11], off, s33 offset:324 ; 8-byte Folded Reload
	s_waitcnt vmcnt(0)
	v_mov_b32_e32 v6, v0
	v_mul_lo_u32 v0, v9, v6
	v_mul_lo_u32 v1, v8, v11
	v_mad_u64_u32 v[10:11], s[8:9], v8, v6, 0
	v_add3_u32 v11, v11, v1, v0
.LBB30_2895:                            ;   in Loop: Header=BB30_2872 Depth=2
	s_or_b64 exec, exec, s[94:95]
	v_cmp_eq_u32_e32 vcc, 0, v2
	v_mov_b32_e32 v0, 0x90
	v_mov_b32_e32 v1, 0xd0
	v_cndmask_b32_e32 v2, v1, v0, vcc
	scratch_load_dwordx2 v[0:1], off, s33 offset:280 ; 8-byte Folded Reload
	s_waitcnt vmcnt(0)
	v_lshl_add_u64 v[0:1], v[10:11], 1, v[0:1]
	v_add_u32_e32 v2, v0, v2
	ds_write_b64 v2, v[0:1] offset:584
	v_and_b32_e32 v0, 0x2000, v110
	v_cmp_ne_u32_e32 vcc, 0, v0
	s_and_saveexec_b64 s[24:25], vcc
	s_cbranch_execz .LBB30_2897
; %bb.2896:                             ;   in Loop: Header=BB30_2872 Depth=2
	ds_read_b64 v[0:1], v0 offset:872
	s_waitcnt lgkmcnt(0)
	v_lshl_add_u64 v[0:1], v[0:1], 0, 1
	ds_write_b64 v0, v[0:1] offset:872
.LBB30_2897:                            ;   in Loop: Header=BB30_2872 Depth=2
	s_or_b64 exec, exec, s[24:25]
	v_mov_b64_e32 v[124:125], v[4:5]
.LBB30_2898:                            ;   in Loop: Header=BB30_2872 Depth=2
	s_or_b64 exec, exec, s[92:93]
	s_xor_b64 s[8:9], s[90:91], -1
	s_and_b64 s[8:9], exec, s[8:9]
	s_or_b64 s[28:29], s[8:9], s[28:29]
	s_and_saveexec_b64 s[24:25], s[4:5]
	s_cbranch_execz .LBB30_2917
; %bb.2899:                             ;   in Loop: Header=BB30_2872 Depth=2
	s_and_saveexec_b64 s[8:9], s[44:45]
	s_xor_b64 s[90:91], exec, s[8:9]
	s_cbranch_execz .LBB30_2914
; %bb.2900:                             ;   in Loop: Header=BB30_2872 Depth=2
	s_and_saveexec_b64 s[92:93], s[12:13]
	s_cbranch_execz .LBB30_2913
; %bb.2901:                             ;   in Loop: Header=BB30_2872 Depth=2
	s_mov_b64 s[30:31], exec
	v_mbcnt_lo_u32_b32 v0, s30, 0
	v_mbcnt_hi_u32_b32 v0, s31, v0
	v_cmp_eq_u32_e32 vcc, 0, v0
	s_waitcnt lgkmcnt(0)
	s_and_saveexec_b64 s[94:95], vcc
	s_cbranch_execz .LBB30_2903
; %bb.2902:                             ;   in Loop: Header=BB30_2872 Depth=2
	s_bcnt1_i32_b64 s8, s[30:31]
	v_mov_b32_e32 v2, s8
	ds_add_u64 v0, v[2:3]
	s_trap 2
.LBB30_2903:                            ;   in Loop: Header=BB30_2872 Depth=2
	s_or_b64 exec, exec, s[94:95]
	s_trap 2
	ds_read_b64 v[0:1], v0
	s_waitcnt lgkmcnt(0)
	v_lshl_add_u64 v[46:47], v[46:47], 0, v[60:61]
	v_cmp_lt_u64_e32 vcc, v[0:1], v[46:47]
	s_and_saveexec_b64 s[94:95], vcc
	s_cbranch_execz .LBB30_2912
; %bb.2904:                             ;   in Loop: Header=BB30_2872 Depth=2
	s_mov_b32 s8, 0
	s_mov_b64 s[30:31], 0
                                        ; implicit-def: $sgpr34_sgpr35
                                        ; implicit-def: $sgpr36_sgpr37
	s_branch .LBB30_2906
.LBB30_2905:                            ;   in Loop: Header=BB30_2906 Depth=3
	s_or_b64 exec, exec, s[48:49]
	s_and_b64 s[74:75], exec, vcc
	s_or_b64 s[30:31], s[74:75], s[30:31]
	s_andn2_b64 s[74:75], s[34:35], exec
	s_and_b64 vcc, s[36:37], exec
	s_or_b64 s[34:35], s[74:75], vcc
	s_andn2_b64 exec, exec, s[30:31]
	s_cbranch_execz .LBB30_2910
.LBB30_2906:                            ;   Parent Loop BB30_47 Depth=1
                                        ;     Parent Loop BB30_2872 Depth=2
                                        ; =>    This Inner Loop Header: Depth=3
	s_add_i32 s8, s8, 1
	s_cmpk_lg_i32 s8, 0x2710
	s_cselect_b64 s[38:39], -1, 0
	s_and_b64 vcc, exec, s[38:39]
	s_cbranch_vccz .LBB30_2908
; %bb.2907:                             ;   in Loop: Header=BB30_2906 Depth=3
	s_mov_b64 vcc, -1
	s_or_b64 s[36:37], s[36:37], exec
	s_and_saveexec_b64 s[48:49], s[38:39]
	s_cbranch_execz .LBB30_2905
	s_branch .LBB30_2909
.LBB30_2908:                            ;   in Loop: Header=BB30_2906 Depth=3
	s_trap 2
	ds_read_b64 v[0:1], v0
	s_andn2_b64 s[74:75], s[38:39], exec
	s_mov_b32 s8, 0
	s_waitcnt vmcnt(0) lgkmcnt(0)
	flat_load_dword v0, v[0:1] sc0 sc1
	s_waitcnt vmcnt(0) lgkmcnt(0)
	buffer_inv sc0 sc1
	v_cmp_eq_u32_e32 vcc, 0, v0
	s_and_b64 vcc, vcc, exec
	s_or_b64 s[38:39], s[74:75], vcc
	s_mov_b64 vcc, -1
	s_or_b64 s[36:37], s[36:37], exec
	s_and_saveexec_b64 s[48:49], s[38:39]
	s_cbranch_execz .LBB30_2905
.LBB30_2909:                            ;   in Loop: Header=BB30_2906 Depth=3
	s_sleep 1
	s_trap 2
	ds_read_b64 v[0:1], v0
	s_waitcnt lgkmcnt(0)
	s_andn2_b64 s[36:37], s[36:37], exec
	v_cmp_ge_u64_e32 vcc, v[0:1], v[46:47]
	s_orn2_b64 vcc, vcc, exec
	s_branch .LBB30_2905
.LBB30_2910:                            ;   in Loop: Header=BB30_2872 Depth=2
	s_or_b64 exec, exec, s[30:31]
	s_and_saveexec_b64 s[8:9], s[34:35]
	s_xor_b64 s[8:9], exec, s[8:9]
	s_cbranch_execz .LBB30_2912
; %bb.2911:                             ;   in Loop: Header=BB30_2872 Depth=2
	v_mov_b32_e32 v0, 1
	ds_write_b32 v0, v0
	s_trap 2
.LBB30_2912:                            ;   in Loop: Header=BB30_2872 Depth=2
	s_or_b64 exec, exec, s[94:95]
	;;#ASMSTART
	s_wakeup
	;;#ASMEND
.LBB30_2913:                            ;   in Loop: Header=BB30_2872 Depth=2
	s_or_b64 exec, exec, s[92:93]
.LBB30_2914:                            ;   in Loop: Header=BB30_2872 Depth=2
	s_andn2_saveexec_b64 s[90:91], s[90:91]
	s_cbranch_execz .LBB30_2916
; %bb.2915:                             ;   in Loop: Header=BB30_2872 Depth=2
	s_waitcnt lgkmcnt(0)
	s_barrier
.LBB30_2916:                            ;   in Loop: Header=BB30_2872 Depth=2
	s_or_b64 exec, exec, s[90:91]
.LBB30_2917:                            ;   in Loop: Header=BB30_2872 Depth=2
	s_or_b64 exec, exec, s[24:25]
	v_and_b32_e32 v0, 16, v110
	s_and_saveexec_b64 s[8:9], s[20:21]
	s_xor_b64 s[24:25], exec, s[8:9]
	s_cbranch_execz .LBB30_2921
; %bb.2918:                             ;   in Loop: Header=BB30_2872 Depth=2
	s_trap 2
	ds_read_b32 v1, v0
	v_cmp_lt_i32_e32 vcc, 0, v28
	v_and_b32_e32 v2, 16, v110
	v_and_b32_e32 v0, 16, v110
	s_waitcnt lgkmcnt(0)
	v_readfirstlane_b32 s8, v1
	s_cmp_eq_u32 s8, 0
	s_cselect_b64 s[8:9], -1, 0
	s_and_b64 s[8:9], vcc, s[8:9]
	v_cmp_ne_u32_e32 vcc, 0, v2
	s_and_b64 s[8:9], vcc, s[8:9]
	s_and_saveexec_b64 s[90:91], s[8:9]
	s_cbranch_execz .LBB30_2920
; %bb.2919:                             ;   in Loop: Header=BB30_2872 Depth=2
	v_mov_b32_e32 v0, 1
	buffer_wbl2 sc1
	s_waitcnt vmcnt(0)
	buffer_inv sc1
.LBB30_2920:                            ;   in Loop: Header=BB30_2872 Depth=2
	s_or_b64 exec, exec, s[90:91]
.LBB30_2921:                            ;   in Loop: Header=BB30_2872 Depth=2
	s_andn2_saveexec_b64 s[24:25], s[24:25]
	s_cbranch_execz .LBB30_2940
; %bb.2922:                             ;   in Loop: Header=BB30_2872 Depth=2
	s_and_saveexec_b64 s[8:9], s[44:45]
	s_xor_b64 s[90:91], exec, s[8:9]
	s_cbranch_execz .LBB30_2937
; %bb.2923:                             ;   in Loop: Header=BB30_2872 Depth=2
	s_and_saveexec_b64 s[92:93], s[12:13]
	s_cbranch_execz .LBB30_2936
; %bb.2924:                             ;   in Loop: Header=BB30_2872 Depth=2
	s_mov_b64 s[30:31], exec
	v_mbcnt_lo_u32_b32 v1, s30, 0
	v_mbcnt_hi_u32_b32 v1, s31, v1
	v_cmp_eq_u32_e32 vcc, 0, v1
	;;#ASMSTART
	s_waitcnt lgkmcnt(0) vmcnt(0)
	;;#ASMEND
	s_and_saveexec_b64 s[94:95], vcc
	s_cbranch_execz .LBB30_2926
; %bb.2925:                             ;   in Loop: Header=BB30_2872 Depth=2
	s_bcnt1_i32_b64 s8, s[30:31]
	v_mov_b32_e32 v2, s8
	s_waitcnt lgkmcnt(0)
	ds_add_u64 v0, v[2:3]
	s_trap 2
.LBB30_2926:                            ;   in Loop: Header=BB30_2872 Depth=2
	s_or_b64 exec, exec, s[94:95]
	s_trap 2
	ds_read_b64 v[4:5], v0
	s_waitcnt lgkmcnt(0)
	v_lshl_add_u64 v[46:47], v[46:47], 0, v[60:61]
	v_cmp_lt_u64_e32 vcc, v[4:5], v[46:47]
	s_and_saveexec_b64 s[94:95], vcc
	s_cbranch_execz .LBB30_2935
; %bb.2927:                             ;   in Loop: Header=BB30_2872 Depth=2
	s_mov_b32 s8, 0
	s_mov_b64 s[30:31], 0
                                        ; implicit-def: $sgpr34_sgpr35
                                        ; implicit-def: $sgpr36_sgpr37
	s_branch .LBB30_2929
.LBB30_2928:                            ;   in Loop: Header=BB30_2929 Depth=3
	s_or_b64 exec, exec, s[48:49]
	s_and_b64 s[74:75], exec, vcc
	s_or_b64 s[30:31], s[74:75], s[30:31]
	s_andn2_b64 s[74:75], s[34:35], exec
	s_and_b64 vcc, s[36:37], exec
	s_or_b64 s[34:35], s[74:75], vcc
	s_andn2_b64 exec, exec, s[30:31]
	s_cbranch_execz .LBB30_2933
.LBB30_2929:                            ;   Parent Loop BB30_47 Depth=1
                                        ;     Parent Loop BB30_2872 Depth=2
                                        ; =>    This Inner Loop Header: Depth=3
	s_add_i32 s8, s8, 1
	s_cmpk_lg_i32 s8, 0x2710
	s_cselect_b64 s[38:39], -1, 0
	s_and_b64 vcc, exec, s[38:39]
	s_cbranch_vccz .LBB30_2931
; %bb.2930:                             ;   in Loop: Header=BB30_2929 Depth=3
	s_mov_b64 vcc, -1
	s_or_b64 s[36:37], s[36:37], exec
	s_and_saveexec_b64 s[48:49], s[38:39]
	s_cbranch_execz .LBB30_2928
	s_branch .LBB30_2932
.LBB30_2931:                            ;   in Loop: Header=BB30_2929 Depth=3
	s_trap 2
	ds_read_b64 v[4:5], v0
	s_andn2_b64 s[74:75], s[38:39], exec
	s_mov_b32 s8, 0
	s_waitcnt vmcnt(0) lgkmcnt(0)
	flat_load_dword v1, v[4:5] sc0 sc1
	s_waitcnt vmcnt(0) lgkmcnt(0)
	buffer_inv sc0 sc1
	v_cmp_eq_u32_e32 vcc, 0, v1
	s_and_b64 vcc, vcc, exec
	s_or_b64 s[38:39], s[74:75], vcc
	s_mov_b64 vcc, -1
	s_or_b64 s[36:37], s[36:37], exec
	s_and_saveexec_b64 s[48:49], s[38:39]
	s_cbranch_execz .LBB30_2928
.LBB30_2932:                            ;   in Loop: Header=BB30_2929 Depth=3
	s_sleep 1
	s_trap 2
	ds_read_b64 v[4:5], v0
	s_waitcnt lgkmcnt(0)
	s_andn2_b64 s[36:37], s[36:37], exec
	v_cmp_ge_u64_e32 vcc, v[4:5], v[46:47]
	s_orn2_b64 vcc, vcc, exec
	s_branch .LBB30_2928
.LBB30_2933:                            ;   in Loop: Header=BB30_2872 Depth=2
	s_or_b64 exec, exec, s[30:31]
	s_and_saveexec_b64 s[8:9], s[34:35]
	s_xor_b64 s[8:9], exec, s[8:9]
	s_cbranch_execz .LBB30_2935
; %bb.2934:                             ;   in Loop: Header=BB30_2872 Depth=2
	v_mov_b32_e32 v1, 1
	ds_write_b32 v0, v1
	s_trap 2
.LBB30_2935:                            ;   in Loop: Header=BB30_2872 Depth=2
	s_or_b64 exec, exec, s[94:95]
	;;#ASMSTART
	s_wakeup
	;;#ASMEND
.LBB30_2936:                            ;   in Loop: Header=BB30_2872 Depth=2
	s_or_b64 exec, exec, s[92:93]
.LBB30_2937:                            ;   in Loop: Header=BB30_2872 Depth=2
	s_andn2_saveexec_b64 s[90:91], s[90:91]
	s_cbranch_execz .LBB30_2939
; %bb.2938:                             ;   in Loop: Header=BB30_2872 Depth=2
	;;#ASMSTART
	s_waitcnt lgkmcnt(0) vmcnt(0)
	;;#ASMEND
	s_barrier
.LBB30_2939:                            ;   in Loop: Header=BB30_2872 Depth=2
	s_or_b64 exec, exec, s[90:91]
.LBB30_2940:                            ;   in Loop: Header=BB30_2872 Depth=2
	s_or_b64 exec, exec, s[24:25]
	v_cmp_ne_u32_e32 vcc, 0, v0
	s_xor_b64 s[8:9], s[6:7], -1
	s_and_b64 s[8:9], vcc, s[8:9]
	s_and_saveexec_b64 s[24:25], s[8:9]
	s_cbranch_execz .LBB30_2942
; %bb.2941:                             ;   in Loop: Header=BB30_2872 Depth=2
	scratch_load_dwordx2 v[0:1], off, s33 offset:304 ; 8-byte Folded Reload
	v_mov_b32_e32 v2, 1
	s_waitcnt vmcnt(0)
	flat_store_dword v[0:1], v2 sc0 sc1
.LBB30_2942:                            ;   in Loop: Header=BB30_2872 Depth=2
	s_or_b64 exec, exec, s[24:25]
	v_and_b32_e32 v0, 48, v110
	v_cmp_ne_u32_e32 vcc, 0, v0
	s_and_saveexec_b64 s[24:25], vcc
	s_cbranch_execz .LBB30_2871
; %bb.2943:                             ;   in Loop: Header=BB30_2872 Depth=2
	v_lshl_add_u64 v[124:125], v[124:125], 0, 2
	flat_store_dwordx2 v[40:41], v[124:125] sc0 sc1
	s_branch .LBB30_2871
.LBB30_2944:                            ;   in Loop: Header=BB30_47 Depth=1
	s_or_b64 exec, exec, s[28:29]
.LBB30_2945:                            ;   in Loop: Header=BB30_47 Depth=1
	s_or_b64 exec, exec, s[26:27]
	scratch_load_dwordx2 v[12:13], off, s33 offset:404 ; 8-byte Folded Reload
	scratch_load_dwordx2 v[14:15], off, s33 offset:396 ; 8-byte Folded Reload
	s_and_b64 vcc, exec, s[22:23]
	s_cbranch_vccnz .LBB30_3268
; %bb.2946:                             ;   in Loop: Header=BB30_47 Depth=1
	s_mov_b32 s74, 1
.LBB30_2947:                            ;   Parent Loop BB30_47 Depth=1
                                        ; =>  This Loop Header: Depth=2
                                        ;       Child Loop BB30_2950 Depth 3
                                        ;         Child Loop BB30_2958 Depth 4
                                        ;         Child Loop BB30_2986 Depth 4
	;; [unrolled: 1-line block ×5, first 2 shown]
                                        ;           Child Loop BB30_3048 Depth 5
                                        ;           Child Loop BB30_3053 Depth 5
                                        ;         Child Loop BB30_3059 Depth 4
                                        ;         Child Loop BB30_3067 Depth 4
	;; [unrolled: 1-line block ×3, first 2 shown]
                                        ;           Child Loop BB30_3079 Depth 5
                                        ;           Child Loop BB30_3084 Depth 5
                                        ;         Child Loop BB30_3088 Depth 4
                                        ;         Child Loop BB30_3100 Depth 4
	;; [unrolled: 1-line block ×7, first 2 shown]
                                        ;       Child Loop BB30_3193 Depth 3
                                        ;         Child Loop BB30_3199 Depth 4
                                        ;         Child Loop BB30_3227 Depth 4
	;; [unrolled: 1-line block ×3, first 2 shown]
	scratch_load_dwordx2 v[4:5], off, s33 offset:388 ; 8-byte Folded Reload
	s_sub_i32 s8, s68, s74
	s_cmp_ge_i32 s8, s66
	s_cselect_b32 s9, s66, 0
	s_sub_i32 s8, s8, s9
	s_ashr_i32 s9, s8, 31
	v_mov_b32_e32 v28, 0
	s_waitcnt vmcnt(0)
	v_mul_lo_u32 v0, v4, s9
	v_mul_lo_u32 v1, v5, s8
	v_mad_u64_u32 v[8:9], s[8:9], v4, s8, 0
	v_add3_u32 v9, v9, v0, v1
	scratch_load_dwordx2 v[0:1], off, s33 offset:380 ; 8-byte Folded Reload
	s_waitcnt vmcnt(0)
	v_sub_co_u32_e32 v0, vcc, v0, v8
	s_nop 1
	v_subb_co_u32_e32 v1, vcc, v1, v9, vcc
	v_cmp_lt_i64_e32 vcc, v[4:5], v[0:1]
	s_nop 1
	v_cndmask_b32_e32 v1, v0, v4, vcc
	v_max_i32_e32 v0, 0, v1
	v_add_u32_e32 v2, 31, v0
	v_ashrrev_i32_e32 v4, 31, v2
	v_lshrrev_b32_e32 v4, 27, v4
	v_add_u32_e32 v2, v2, v4
	v_ashrrev_i32_e32 v2, 5, v2
	v_lshlrev_b32_e32 v2, 4, v2
	v_cmp_lt_i32_e32 vcc, 0, v1
	v_max_i32_e32 v4, s71, v2
	s_and_b64 s[8:9], s[88:89], vcc
	v_mov_b32_e32 v1, 0
	s_and_saveexec_b64 s[28:29], s[8:9]
	s_cbranch_execz .LBB30_3190
; %bb.2948:                             ;   in Loop: Header=BB30_2947 Depth=2
	scratch_load_dwordx2 v[6:7], off, s33 offset:340 ; 8-byte Folded Reload
	s_mov_b32 s75, 1
	s_mov_b64 s[92:93], -1
	v_mov_b32_e32 v28, 0
	s_mov_b64 s[90:91], 0
	s_waitcnt vmcnt(0)
	v_lshl_add_u64 v[6:7], v[8:9], 0, v[6:7]
	v_lshlrev_b64 v[116:117], 1, v[6:7]
	s_branch .LBB30_2950
.LBB30_2949:                            ;   in Loop: Header=BB30_2950 Depth=3
	s_or_b64 exec, exec, s[22:23]
	v_add_u32_e32 v28, v4, v28
	v_cmp_ge_i32_e32 vcc, v28, v0
	s_xor_b64 s[8:9], s[92:93], -1
	s_or_b64 s[8:9], s[8:9], vcc
	s_and_b64 s[8:9], exec, s[8:9]
	s_or_b64 s[90:91], s[8:9], s[90:91]
	s_mov_b64 s[92:93], 0
	v_mov_b32_e32 v1, s75
	s_mov_b32 s75, 2
	s_andn2_b64 exec, exec, s[90:91]
	s_cbranch_execz .LBB30_3189
.LBB30_2950:                            ;   Parent Loop BB30_47 Depth=1
                                        ;     Parent Loop BB30_2947 Depth=2
                                        ; =>    This Loop Header: Depth=3
                                        ;         Child Loop BB30_2958 Depth 4
                                        ;         Child Loop BB30_2986 Depth 4
	;; [unrolled: 1-line block ×5, first 2 shown]
                                        ;           Child Loop BB30_3048 Depth 5
                                        ;           Child Loop BB30_3053 Depth 5
                                        ;         Child Loop BB30_3059 Depth 4
                                        ;         Child Loop BB30_3067 Depth 4
	;; [unrolled: 1-line block ×3, first 2 shown]
                                        ;           Child Loop BB30_3079 Depth 5
                                        ;           Child Loop BB30_3084 Depth 5
                                        ;         Child Loop BB30_3088 Depth 4
                                        ;         Child Loop BB30_3100 Depth 4
	;; [unrolled: 1-line block ×7, first 2 shown]
	s_and_saveexec_b64 s[22:23], s[0:1]
	s_cbranch_execz .LBB30_2952
; %bb.2951:                             ;   in Loop: Header=BB30_2950 Depth=3
	s_trap 2
	ds_read_b128 v[6:9], v0
	v_ashrrev_i32_e32 v29, 31, v28
	v_lshlrev_b64 v[10:11], 1, v[28:29]
	s_waitcnt lgkmcnt(0)
	v_lshl_add_u64 v[6:7], v[6:7], 0, v[116:117]
	v_lshl_add_u64 v[12:13], v[8:9], 0, v[116:117]
	v_lshl_add_u64 v[6:7], v[6:7], 0, v[10:11]
	ds_write_b64 v0, v[6:7]
	v_lshl_add_u64 v[6:7], v[12:13], 0, v[10:11]
	v_cmp_ne_u64_e32 vcc, 0, v[8:9]
	s_nop 1
	v_cndmask_b32_e32 v7, 0, v7, vcc
	v_cndmask_b32_e32 v6, 0, v6, vcc
	ds_write_b64 v0, v[6:7]
.LBB30_2952:                            ;   in Loop: Header=BB30_2950 Depth=3
	s_or_b64 exec, exec, s[22:23]
	v_sub_u32_e32 v1, v0, v28
	v_min_i32_e32 v4, v4, v1
	v_and_b32_e32 v1, 12, v110
	v_cmp_ne_u32_e32 vcc, 0, v1
	s_and_saveexec_b64 s[24:25], vcc
	s_cbranch_execz .LBB30_2978
; %bb.2953:                             ;   in Loop: Header=BB30_2950 Depth=3
	s_waitcnt vmcnt(0)
	v_and_b32_e32 v2, 8, v110
	s_waitcnt lgkmcnt(0)
	v_lshl_add_u64 v[6:7], v[56:57], 0, v[2:3]
	v_lshl_add_u64 v[8:9], v[124:125], 0, 2
	v_cmp_lt_u64_e32 vcc, v[6:7], v[8:9]
	s_and_saveexec_b64 s[26:27], vcc
	s_cbranch_execz .LBB30_2965
; %bb.2954:                             ;   in Loop: Header=BB30_2950 Depth=3
	v_and_b32_e32 v1, 64, v110
	s_mov_b32 s8, 0
	v_cmp_eq_u32_e32 vcc, 0, v1
	s_mov_b64 s[94:95], 0
                                        ; implicit-def: $sgpr30_sgpr31
                                        ; implicit-def: $sgpr34_sgpr35
                                        ; implicit-def: $sgpr36_sgpr37
	s_branch .LBB30_2958
.LBB30_2955:                            ;   in Loop: Header=BB30_2958 Depth=4
	s_waitcnt vmcnt(0) lgkmcnt(0)
	v_lshl_add_u64 v[6:7], v[56:57], 0, v[2:3]
	v_cmp_ge_u64_e64 s[22:23], v[6:7], v[8:9]
	s_or_b64 s[50:51], s[50:51], exec
	s_orn2_b64 s[48:49], s[22:23], exec
.LBB30_2956:                            ;   in Loop: Header=BB30_2958 Depth=4
	s_or_b64 exec, exec, s[54:55]
	s_andn2_b64 s[22:23], s[36:37], exec
	s_and_b64 s[36:37], s[50:51], exec
	s_or_b64 s[36:37], s[22:23], s[36:37]
	s_andn2_b64 s[22:23], s[34:35], exec
	s_and_b64 s[34:35], s[48:49], exec
	s_or_b64 s[34:35], s[22:23], s[34:35]
.LBB30_2957:                            ;   in Loop: Header=BB30_2958 Depth=4
	s_or_b64 exec, exec, s[38:39]
	s_and_b64 s[22:23], exec, s[34:35]
	s_or_b64 s[94:95], s[22:23], s[94:95]
	s_andn2_b64 s[22:23], s[30:31], exec
	s_and_b64 s[30:31], s[36:37], exec
	s_or_b64 s[30:31], s[22:23], s[30:31]
	s_andn2_b64 exec, exec, s[94:95]
	s_cbranch_execz .LBB30_2962
.LBB30_2958:                            ;   Parent Loop BB30_47 Depth=1
                                        ;     Parent Loop BB30_2947 Depth=2
                                        ;       Parent Loop BB30_2950 Depth=3
                                        ; =>      This Inner Loop Header: Depth=4
	s_sleep 1
	s_waitcnt vmcnt(0) lgkmcnt(0)
	flat_load_dwordx2 v[56:57], v[40:41] sc0 sc1
	s_or_b64 s[36:37], s[36:37], exec
	s_or_b64 s[34:35], s[34:35], exec
                                        ; implicit-def: $vgpr1
	s_and_saveexec_b64 s[38:39], vcc
	s_cbranch_execz .LBB30_2957
; %bb.2959:                             ;   in Loop: Header=BB30_2958 Depth=4
	s_cmpk_lt_i32 s8, 0x270f
	s_cselect_b64 s[52:53], -1, 0
	s_cmpk_gt_i32 s8, 0x270e
	s_mov_b64 s[48:49], -1
	s_cbranch_scc0 .LBB30_2961
; %bb.2960:                             ;   in Loop: Header=BB30_2958 Depth=4
	s_trap 2
	ds_read_b64 v[6:7], v0
	s_andn2_b64 s[52:53], s[52:53], exec
	s_mov_b32 s8, 0
	s_mov_b64 s[50:51], 0
	s_waitcnt vmcnt(0) lgkmcnt(0)
	flat_load_dword v1, v[6:7] sc0 sc1
	s_waitcnt vmcnt(0) lgkmcnt(0)
	buffer_inv sc0 sc1
	v_cmp_eq_u32_e64 s[22:23], 0, v1
	s_and_b64 s[22:23], s[22:23], exec
	s_or_b64 s[52:53], s[52:53], s[22:23]
	s_and_saveexec_b64 s[54:55], s[52:53]
	s_cbranch_execz .LBB30_2956
	s_branch .LBB30_2955
.LBB30_2961:                            ;   in Loop: Header=BB30_2958 Depth=4
	s_add_i32 s8, s8, 1
	s_mov_b64 s[50:51], -1
                                        ; implicit-def: $vgpr1
	s_and_saveexec_b64 s[54:55], s[52:53]
	s_cbranch_execz .LBB30_2956
	s_branch .LBB30_2955
.LBB30_2962:                            ;   in Loop: Header=BB30_2950 Depth=3
	s_or_b64 exec, exec, s[94:95]
	s_xor_b64 s[8:9], s[30:31], -1
	s_and_saveexec_b64 s[22:23], s[8:9]
	s_xor_b64 s[22:23], exec, s[22:23]
	s_cbranch_execz .LBB30_2964
; %bb.2963:                             ;   in Loop: Header=BB30_2950 Depth=3
	v_or_b32_e32 v110, 64, v110
	s_waitcnt lgkmcnt(0)
	ds_write_b32 v0, v1
	s_trap 2
.LBB30_2964:                            ;   in Loop: Header=BB30_2950 Depth=3
	s_or_b64 exec, exec, s[22:23]
.LBB30_2965:                            ;   in Loop: Header=BB30_2950 Depth=3
	s_or_b64 exec, exec, s[26:27]
	v_and_b32_e32 v1, 0x108, v110
	v_cmp_ne_u32_e32 vcc, s42, v1
	;;#ASMSTART
	s_wakeup
	;;#ASMEND
                                        ; implicit-def: $vgpr10_vgpr11
	s_and_saveexec_b64 s[8:9], vcc
	s_xor_b64 s[22:23], exec, s[8:9]
; %bb.2966:                             ;   in Loop: Header=BB30_2950 Depth=3
	v_and_b32_e32 v10, 7, v124
	v_mov_b32_e32 v11, v3
                                        ; implicit-def: $vgpr124_vgpr125
; %bb.2967:                             ;   in Loop: Header=BB30_2950 Depth=3
	s_andn2_saveexec_b64 s[22:23], s[22:23]
	s_cbranch_execz .LBB30_2969
; %bb.2968:                             ;   in Loop: Header=BB30_2950 Depth=3
	scratch_load_dwordx4 v[12:15], off, s33 offset:288 ; 16-byte Folded Reload
	v_and_b32_e32 v10, 7, v124
	v_ashrrev_i32_e32 v5, 31, v4
	v_mov_b32_e32 v11, v3
	s_waitcnt vmcnt(0)
	v_mad_u64_u32 v[6:7], s[8:9], v10, 24, v[12:13]
	v_lshlrev_b64 v[12:13], 1, v[4:5]
	flat_store_dwordx2 v[6:7], v[12:13] offset:8
.LBB30_2969:                            ;   in Loop: Header=BB30_2950 Depth=3
	s_or_b64 exec, exec, s[22:23]
	v_and_b32_e32 v1, 0x100, v110
	v_cmp_ne_u32_e32 vcc, 0, v1
	s_mov_b64 s[22:23], -1
                                        ; implicit-def: $vgpr12_vgpr13
	s_and_saveexec_b64 s[26:27], vcc
	s_cbranch_execz .LBB30_2973
; %bb.2970:                             ;   in Loop: Header=BB30_2950 Depth=3
	scratch_load_dwordx4 v[12:15], off, s33 offset:288 ; 16-byte Folded Reload
	s_waitcnt vmcnt(0)
	v_mad_u64_u32 v[14:15], s[8:9], v10, 24, v[12:13]
	v_mov_b32_e32 v6, v15
	v_mad_u64_u32 v[6:7], s[8:9], v11, 24, v[6:7]
	v_mov_b32_e32 v15, v6
	flat_load_dword v1, v[14:15]
                                        ; implicit-def: $vgpr12_vgpr13
	s_waitcnt vmcnt(0) lgkmcnt(0)
	v_cmp_ne_u32_e32 vcc, 1, v1
	v_cmp_eq_u32_e64 s[22:23], 1, v1
	s_and_saveexec_b64 s[94:95], s[22:23]
	s_cbranch_execz .LBB30_2972
; %bb.2971:                             ;   in Loop: Header=BB30_2950 Depth=3
	flat_load_dword v6, v[14:15] offset:4 sc0 sc1
	s_waitcnt vmcnt(0) lgkmcnt(0)
	v_ashrrev_i32_e32 v7, 31, v6
	v_lshrrev_b64 v[12:13], 1, v[6:7]
.LBB30_2972:                            ;   in Loop: Header=BB30_2950 Depth=3
	s_or_b64 exec, exec, s[94:95]
	s_orn2_b64 s[22:23], vcc, exec
.LBB30_2973:                            ;   in Loop: Header=BB30_2950 Depth=3
	s_or_b64 exec, exec, s[26:27]
	s_and_saveexec_b64 s[26:27], s[22:23]
	s_cbranch_execz .LBB30_2975
; %bb.2974:                             ;   in Loop: Header=BB30_2950 Depth=3
	scratch_load_dwordx2 v[6:7], off, s33 offset:316 ; 8-byte Folded Reload
	scratch_load_dwordx2 v[12:13], off, s33 offset:324 ; 8-byte Folded Reload
	s_waitcnt vmcnt(0)
	v_mul_lo_u32 v1, v11, v6
	v_mul_lo_u32 v5, v10, v13
	v_mad_u64_u32 v[12:13], s[8:9], v10, v6, 0
	v_add3_u32 v13, v13, v5, v1
.LBB30_2975:                            ;   in Loop: Header=BB30_2950 Depth=3
	s_or_b64 exec, exec, s[26:27]
	scratch_load_dwordx2 v[6:7], off, s33 offset:280 ; 8-byte Folded Reload
	v_cmp_eq_u32_e32 vcc, 0, v2
	v_mov_b32_e32 v1, 0xd0
	v_mov_b32_e32 v2, 0x88
	v_cndmask_b32_e32 v1, v1, v2, vcc
	v_add_u32_e32 v1, v0, v1
	s_waitcnt vmcnt(0)
	v_lshl_add_u64 v[6:7], v[12:13], 1, v[6:7]
	ds_write_b64 v1, v[6:7] offset:584
	v_and_b32_e32 v1, 0x2000, v110
	v_cmp_ne_u32_e32 vcc, 0, v1
	s_and_saveexec_b64 s[22:23], vcc
	s_cbranch_execz .LBB30_2977
; %bb.2976:                             ;   in Loop: Header=BB30_2950 Depth=3
	ds_read_b64 v[6:7], v0 offset:872
	s_waitcnt lgkmcnt(0)
	v_lshl_add_u64 v[6:7], v[6:7], 0, 1
	ds_write_b64 v0, v[6:7] offset:872
.LBB30_2977:                            ;   in Loop: Header=BB30_2950 Depth=3
	s_or_b64 exec, exec, s[22:23]
	v_mov_b64_e32 v[124:125], v[8:9]
.LBB30_2978:                            ;   in Loop: Header=BB30_2950 Depth=3
	s_or_b64 exec, exec, s[24:25]
	s_and_saveexec_b64 s[22:23], s[4:5]
	s_cbranch_execz .LBB30_2997
; %bb.2979:                             ;   in Loop: Header=BB30_2950 Depth=3
	s_and_saveexec_b64 s[8:9], s[44:45]
	s_xor_b64 s[24:25], exec, s[8:9]
	s_cbranch_execz .LBB30_2994
; %bb.2980:                             ;   in Loop: Header=BB30_2950 Depth=3
	s_and_saveexec_b64 s[26:27], s[12:13]
	s_cbranch_execz .LBB30_2993
; %bb.2981:                             ;   in Loop: Header=BB30_2950 Depth=3
	s_mov_b64 s[30:31], exec
	v_mbcnt_lo_u32_b32 v1, s30, 0
	v_mbcnt_hi_u32_b32 v1, s31, v1
	v_cmp_eq_u32_e32 vcc, 0, v1
	s_waitcnt lgkmcnt(0)
	s_and_saveexec_b64 s[94:95], vcc
	s_cbranch_execz .LBB30_2983
; %bb.2982:                             ;   in Loop: Header=BB30_2950 Depth=3
	s_bcnt1_i32_b64 s8, s[30:31]
	s_waitcnt vmcnt(0)
	v_mov_b32_e32 v2, s8
	ds_add_u64 v0, v[2:3]
	s_trap 2
.LBB30_2983:                            ;   in Loop: Header=BB30_2950 Depth=3
	s_or_b64 exec, exec, s[94:95]
	s_trap 2
	ds_read_b64 v[6:7], v0
	s_waitcnt lgkmcnt(0)
	v_lshl_add_u64 v[46:47], v[46:47], 0, v[60:61]
	v_cmp_lt_u64_e32 vcc, v[6:7], v[46:47]
	s_and_saveexec_b64 s[94:95], vcc
	s_cbranch_execz .LBB30_2992
; %bb.2984:                             ;   in Loop: Header=BB30_2950 Depth=3
	s_mov_b32 s8, 0
	s_mov_b64 s[30:31], 0
                                        ; implicit-def: $sgpr34_sgpr35
                                        ; implicit-def: $sgpr36_sgpr37
	s_branch .LBB30_2986
.LBB30_2985:                            ;   in Loop: Header=BB30_2986 Depth=4
	s_or_b64 exec, exec, s[48:49]
	s_and_b64 vcc, exec, vcc
	s_or_b64 s[30:31], vcc, s[30:31]
	s_andn2_b64 vcc, s[34:35], exec
	s_and_b64 s[34:35], s[36:37], exec
	s_or_b64 s[34:35], vcc, s[34:35]
	s_andn2_b64 exec, exec, s[30:31]
	s_cbranch_execz .LBB30_2990
.LBB30_2986:                            ;   Parent Loop BB30_47 Depth=1
                                        ;     Parent Loop BB30_2947 Depth=2
                                        ;       Parent Loop BB30_2950 Depth=3
                                        ; =>      This Inner Loop Header: Depth=4
	s_add_i32 s8, s8, 1
	s_cmpk_lg_i32 s8, 0x2710
	s_cselect_b64 s[38:39], -1, 0
	s_and_b64 vcc, exec, s[38:39]
	s_cbranch_vccz .LBB30_2988
; %bb.2987:                             ;   in Loop: Header=BB30_2986 Depth=4
	s_mov_b64 vcc, -1
	s_or_b64 s[36:37], s[36:37], exec
	s_and_saveexec_b64 s[48:49], s[38:39]
	s_cbranch_execz .LBB30_2985
	s_branch .LBB30_2989
.LBB30_2988:                            ;   in Loop: Header=BB30_2986 Depth=4
	s_trap 2
	ds_read_b64 v[6:7], v0
	s_andn2_b64 s[38:39], s[38:39], exec
	s_mov_b32 s8, 0
	s_waitcnt lgkmcnt(0)
	flat_load_dword v1, v[6:7] sc0 sc1
	s_waitcnt vmcnt(0) lgkmcnt(0)
	buffer_inv sc0 sc1
	v_cmp_eq_u32_e32 vcc, 0, v1
	s_and_b64 vcc, vcc, exec
	s_or_b64 s[38:39], s[38:39], vcc
	s_mov_b64 vcc, -1
	s_or_b64 s[36:37], s[36:37], exec
	s_and_saveexec_b64 s[48:49], s[38:39]
	s_cbranch_execz .LBB30_2985
.LBB30_2989:                            ;   in Loop: Header=BB30_2986 Depth=4
	s_sleep 1
	s_trap 2
	ds_read_b64 v[6:7], v0
	s_waitcnt lgkmcnt(0)
	s_andn2_b64 s[36:37], s[36:37], exec
	v_cmp_ge_u64_e32 vcc, v[6:7], v[46:47]
	s_orn2_b64 vcc, vcc, exec
	s_branch .LBB30_2985
.LBB30_2990:                            ;   in Loop: Header=BB30_2950 Depth=3
	s_or_b64 exec, exec, s[30:31]
	s_and_saveexec_b64 s[8:9], s[34:35]
	s_xor_b64 s[8:9], exec, s[8:9]
	s_cbranch_execz .LBB30_2992
; %bb.2991:                             ;   in Loop: Header=BB30_2950 Depth=3
	v_mov_b32_e32 v1, 1
	ds_write_b32 v0, v1
	s_trap 2
.LBB30_2992:                            ;   in Loop: Header=BB30_2950 Depth=3
	s_or_b64 exec, exec, s[94:95]
	;;#ASMSTART
	s_wakeup
	;;#ASMEND
.LBB30_2993:                            ;   in Loop: Header=BB30_2950 Depth=3
	s_or_b64 exec, exec, s[26:27]
.LBB30_2994:                            ;   in Loop: Header=BB30_2950 Depth=3
	s_andn2_saveexec_b64 s[24:25], s[24:25]
	s_cbranch_execz .LBB30_2996
; %bb.2995:                             ;   in Loop: Header=BB30_2950 Depth=3
	s_waitcnt lgkmcnt(0)
	s_barrier
.LBB30_2996:                            ;   in Loop: Header=BB30_2950 Depth=3
	s_or_b64 exec, exec, s[24:25]
.LBB30_2997:                            ;   in Loop: Header=BB30_2950 Depth=3
	s_or_b64 exec, exec, s[22:23]
	s_trap 2
	ds_read_b32 v1, v0
	s_waitcnt vmcnt(0)
	v_and_b32_e32 v2, 0x4000, v110
	v_cmp_ne_u32_e32 vcc, 0, v2
	s_xor_b64 s[8:9], s[2:3], -1
	s_and_b64 s[8:9], s[8:9], vcc
	s_and_saveexec_b64 s[22:23], s[8:9]
	s_cbranch_execz .LBB30_3016
; %bb.2998:                             ;   in Loop: Header=BB30_2950 Depth=3
	s_and_saveexec_b64 s[8:9], s[44:45]
	s_xor_b64 s[24:25], exec, s[8:9]
	s_cbranch_execz .LBB30_3013
; %bb.2999:                             ;   in Loop: Header=BB30_2950 Depth=3
	s_and_saveexec_b64 s[26:27], s[12:13]
	s_cbranch_execz .LBB30_3012
; %bb.3000:                             ;   in Loop: Header=BB30_2950 Depth=3
	s_mov_b64 s[30:31], exec
	v_mbcnt_lo_u32_b32 v2, s30, 0
	v_mbcnt_hi_u32_b32 v2, s31, v2
	v_cmp_eq_u32_e32 vcc, 0, v2
	s_waitcnt lgkmcnt(0)
	s_and_saveexec_b64 s[94:95], vcc
	s_cbranch_execz .LBB30_3002
; %bb.3001:                             ;   in Loop: Header=BB30_2950 Depth=3
	s_bcnt1_i32_b64 s8, s[30:31]
	v_mov_b32_e32 v2, s8
	ds_add_u64 v0, v[2:3]
	s_trap 2
.LBB30_3002:                            ;   in Loop: Header=BB30_2950 Depth=3
	s_or_b64 exec, exec, s[94:95]
	s_trap 2
	ds_read_b64 v[6:7], v0
	s_waitcnt lgkmcnt(0)
	v_lshl_add_u64 v[46:47], v[46:47], 0, v[60:61]
	v_cmp_lt_u64_e32 vcc, v[6:7], v[46:47]
	s_and_saveexec_b64 s[94:95], vcc
	s_cbranch_execz .LBB30_3011
; %bb.3003:                             ;   in Loop: Header=BB30_2950 Depth=3
	s_mov_b32 s8, 0
	s_mov_b64 s[30:31], 0
                                        ; implicit-def: $sgpr34_sgpr35
                                        ; implicit-def: $sgpr36_sgpr37
	s_branch .LBB30_3005
.LBB30_3004:                            ;   in Loop: Header=BB30_3005 Depth=4
	s_or_b64 exec, exec, s[48:49]
	s_and_b64 vcc, exec, vcc
	s_or_b64 s[30:31], vcc, s[30:31]
	s_andn2_b64 vcc, s[34:35], exec
	s_and_b64 s[34:35], s[36:37], exec
	s_or_b64 s[34:35], vcc, s[34:35]
	s_andn2_b64 exec, exec, s[30:31]
	s_cbranch_execz .LBB30_3009
.LBB30_3005:                            ;   Parent Loop BB30_47 Depth=1
                                        ;     Parent Loop BB30_2947 Depth=2
                                        ;       Parent Loop BB30_2950 Depth=3
                                        ; =>      This Inner Loop Header: Depth=4
	s_add_i32 s8, s8, 1
	s_cmpk_lg_i32 s8, 0x2710
	s_cselect_b64 s[38:39], -1, 0
	s_and_b64 vcc, exec, s[38:39]
	s_cbranch_vccz .LBB30_3007
; %bb.3006:                             ;   in Loop: Header=BB30_3005 Depth=4
	s_mov_b64 vcc, -1
	s_or_b64 s[36:37], s[36:37], exec
	s_and_saveexec_b64 s[48:49], s[38:39]
	s_cbranch_execz .LBB30_3004
	s_branch .LBB30_3008
.LBB30_3007:                            ;   in Loop: Header=BB30_3005 Depth=4
	s_trap 2
	ds_read_b64 v[6:7], v0
	s_andn2_b64 s[38:39], s[38:39], exec
	s_mov_b32 s8, 0
	s_waitcnt lgkmcnt(0)
	flat_load_dword v2, v[6:7] sc0 sc1
	s_waitcnt vmcnt(0) lgkmcnt(0)
	buffer_inv sc0 sc1
	v_cmp_eq_u32_e32 vcc, 0, v2
	s_and_b64 vcc, vcc, exec
	s_or_b64 s[38:39], s[38:39], vcc
	s_mov_b64 vcc, -1
	s_or_b64 s[36:37], s[36:37], exec
	s_and_saveexec_b64 s[48:49], s[38:39]
	s_cbranch_execz .LBB30_3004
.LBB30_3008:                            ;   in Loop: Header=BB30_3005 Depth=4
	s_sleep 1
	s_trap 2
	ds_read_b64 v[6:7], v0
	s_waitcnt lgkmcnt(0)
	s_andn2_b64 s[36:37], s[36:37], exec
	v_cmp_ge_u64_e32 vcc, v[6:7], v[46:47]
	s_orn2_b64 vcc, vcc, exec
	s_branch .LBB30_3004
.LBB30_3009:                            ;   in Loop: Header=BB30_2950 Depth=3
	s_or_b64 exec, exec, s[30:31]
	s_and_saveexec_b64 s[8:9], s[34:35]
	s_xor_b64 s[8:9], exec, s[8:9]
	s_cbranch_execz .LBB30_3011
; %bb.3010:                             ;   in Loop: Header=BB30_2950 Depth=3
	v_mov_b32_e32 v2, 1
	ds_write_b32 v0, v2
	s_trap 2
.LBB30_3011:                            ;   in Loop: Header=BB30_2950 Depth=3
	s_or_b64 exec, exec, s[94:95]
	;;#ASMSTART
	s_wakeup
	;;#ASMEND
.LBB30_3012:                            ;   in Loop: Header=BB30_2950 Depth=3
	s_or_b64 exec, exec, s[26:27]
.LBB30_3013:                            ;   in Loop: Header=BB30_2950 Depth=3
	s_andn2_saveexec_b64 s[24:25], s[24:25]
	s_cbranch_execz .LBB30_3015
; %bb.3014:                             ;   in Loop: Header=BB30_2950 Depth=3
	s_waitcnt lgkmcnt(0)
	s_barrier
.LBB30_3015:                            ;   in Loop: Header=BB30_2950 Depth=3
	s_or_b64 exec, exec, s[24:25]
.LBB30_3016:                            ;   in Loop: Header=BB30_2950 Depth=3
	s_or_b64 exec, exec, s[22:23]
	s_trap 2
	ds_read_b64 v[62:63], v0
	s_waitcnt lgkmcnt(0)
	v_cmp_eq_u64_e32 vcc, 0, v[62:63]
	s_cbranch_vccnz .LBB30_3032
; %bb.3017:                             ;   in Loop: Header=BB30_2950 Depth=3
	s_trap 2
	ds_read_b64 v[72:73], v0
	s_waitcnt lgkmcnt(0)
	v_cmp_eq_u64_e32 vcc, 0, v[72:73]
	s_cbranch_vccnz .LBB30_3032
; %bb.3018:                             ;   in Loop: Header=BB30_2950 Depth=3
	s_trap 2
	ds_read_b64 v[52:53], v0
	v_cmp_eq_u32_e32 vcc, 0, v1
	s_mov_b64 s[22:23], -1
	s_nop 0
	v_cndmask_b32_e32 v1, 0, v4, vcc
	s_waitcnt lgkmcnt(0)
	v_cmp_ne_u64_e32 vcc, 0, v[52:53]
	v_lshlrev_b32_e32 v2, 1, v1
	s_cbranch_vccz .LBB30_3090
; %bb.3019:                             ;   in Loop: Header=BB30_2950 Depth=3
	s_and_saveexec_b64 s[24:25], s[16:17]
	s_cbranch_execz .LBB30_3021
; %bb.3020:                             ;   in Loop: Header=BB30_2950 Depth=3
	ds_read_b32 v5, v0 offset:720
	s_waitcnt lgkmcnt(0)
	v_and_b32_e32 v5, 15, v5
	v_cmp_eq_u32_e32 vcc, 0, v5
	s_orn2_b64 s[22:23], vcc, exec
.LBB30_3021:                            ;   in Loop: Header=BB30_2950 Depth=3
	s_or_b64 exec, exec, s[24:25]
	s_and_saveexec_b64 s[24:25], s[18:19]
	s_cbranch_execz .LBB30_3023
; %bb.3022:                             ;   in Loop: Header=BB30_2950 Depth=3
	ds_read_b32 v5, v0 offset:784
	s_waitcnt lgkmcnt(0)
	v_and_b32_e32 v5, 15, v5
	v_cmp_eq_u32_e32 vcc, 0, v5
	s_and_b64 s[8:9], s[22:23], vcc
	s_andn2_b64 s[22:23], s[22:23], exec
	s_and_b64 s[8:9], s[8:9], exec
	s_or_b64 s[22:23], s[22:23], s[8:9]
.LBB30_3023:                            ;   in Loop: Header=BB30_2950 Depth=3
	s_or_b64 exec, exec, s[24:25]
	s_xor_b64 s[8:9], s[22:23], -1
	v_cndmask_b32_e64 v5, 0, 1, s[8:9]
	s_mov_b64 s[24:25], -1
	v_cmp_ne_u32_e32 vcc, 0, v5
	s_cbranch_vccz .LBB30_3037
; %bb.3024:                             ;   in Loop: Header=BB30_2950 Depth=3
	s_mov_b64 s[94:95], -1
	v_mov_b32_e32 v5, 0
	s_cbranch_execnz .LBB30_3038
.LBB30_3025:                            ;   in Loop: Header=BB30_2950 Depth=3
	scratch_load_dwordx2 v[6:7], off, s33 offset:356 ; 8-byte Folded Reload
	v_ashrrev_i32_e32 v5, 31, v2
	v_lshrrev_b32_e32 v5, 20, v5
	v_add_u32_e32 v5, v2, v5
	v_ashrrev_i32_e32 v5, 12, v5
	s_mov_b64 s[24:25], 0
                                        ; implicit-def: $vgpr8_vgpr9
                                        ; implicit-def: $vgpr12_vgpr13
                                        ; implicit-def: $vgpr16_vgpr17
                                        ; implicit-def: $vgpr20_vgpr21
	s_waitcnt vmcnt(0)
	v_lshl_add_u64 v[64:65], v[72:73], 0, v[6:7]
	v_lshl_add_u64 v[54:55], v[52:53], 0, v[6:7]
	scratch_load_dword v6, off, s33 offset:312 ; 4-byte Folded Reload
	s_waitcnt vmcnt(0)
	v_lshrrev_b32_e32 v6, 6, v6
	v_sub_u32_e32 v29, v5, v6
	v_cmp_lt_i32_e32 vcc, 0, v29
	s_and_saveexec_b64 s[22:23], vcc
	s_cbranch_execz .LBB30_3040
; %bb.3026:                             ;   in Loop: Header=BB30_2950 Depth=3
	scratch_load_dwordx2 v[6:7], off, s33 offset:356 ; 8-byte Folded Reload
	s_mov_b64 s[30:31], 0
                                        ; implicit-def: $sgpr26_sgpr27
                                        ; implicit-def: $vgpr8_vgpr9
                                        ; implicit-def: $vgpr12_vgpr13
                                        ; implicit-def: $vgpr16_vgpr17
                                        ; implicit-def: $vgpr20_vgpr21
	s_waitcnt vmcnt(0)
	v_lshl_add_u64 v[66:67], v[62:63], 0, v[6:7]
	s_branch .LBB30_3028
.LBB30_3027:                            ;   in Loop: Header=BB30_3028 Depth=4
	s_or_b64 exec, exec, vcc
	v_sub_u32_e32 v29, v6, v7
	v_cmp_gt_i32_e32 vcc, 1, v29
	s_waitcnt vmcnt(3)
	global_store_dwordx4 v[64:65], v[24:27], off
	s_waitcnt vmcnt(3)
	global_store_dwordx4 v[64:65], v[32:35], off offset:1024
	s_waitcnt vmcnt(3)
	global_store_dwordx4 v[64:65], v[36:39], off offset:2048
	;; [unrolled: 2-line block ×3, first 2 shown]
	v_lshl_add_u64 v[64:65], v[64:65], 0, s[72:73]
	global_store_dwordx4 v[54:55], v[24:27], off
	global_store_dwordx4 v[54:55], v[32:35], off offset:1024
	global_store_dwordx4 v[54:55], v[36:39], off offset:2048
	;; [unrolled: 1-line block ×3, first 2 shown]
	v_lshl_add_u64 v[24:25], v[54:55], 0, s[72:73]
	s_or_b64 s[24:25], vcc, s[24:25]
	v_lshl_add_u64 v[26:27], v[64:65], 0, v[88:89]
	v_lshl_add_u64 v[32:33], v[24:25], 0, v[88:89]
	s_andn2_b64 s[8:9], s[26:27], exec
	s_and_b64 s[26:27], s[30:31], exec
	v_lshl_add_u64 v[66:67], v[66:67], 0, v[68:69]
	v_cndmask_b32_e64 v65, v65, v27, s[30:31]
	v_cndmask_b32_e64 v64, v64, v26, s[30:31]
	;; [unrolled: 1-line block ×4, first 2 shown]
	s_or_b64 s[26:27], s[8:9], s[26:27]
	s_andn2_b64 exec, exec, s[24:25]
	s_cbranch_execz .LBB30_3039
.LBB30_3028:                            ;   Parent Loop BB30_47 Depth=1
                                        ;     Parent Loop BB30_2947 Depth=2
                                        ;       Parent Loop BB30_2950 Depth=3
                                        ; =>      This Inner Loop Header: Depth=4
	global_load_dwordx4 v[24:27], v[66:67], off nt
	global_load_dwordx4 v[32:35], v[66:67], off offset:1024 nt
	global_load_dwordx4 v[36:39], v[66:67], off offset:2048 nt
	;; [unrolled: 1-line block ×3, first 2 shown]
	s_and_saveexec_b64 vcc, s[30:31]
	s_cbranch_execz .LBB30_3030
; %bb.3029:                             ;   in Loop: Header=BB30_3028 Depth=4
	global_store_dwordx4 v[64:65], v[8:11], off
	global_store_dwordx4 v[64:65], v[12:15], off offset:1024
	global_store_dwordx4 v[64:65], v[16:19], off offset:2048
	;; [unrolled: 1-line block ×3, first 2 shown]
	global_store_dwordx4 v[54:55], v[8:11], off
	global_store_dwordx4 v[54:55], v[12:15], off offset:1024
	global_store_dwordx4 v[54:55], v[16:19], off offset:2048
	;; [unrolled: 1-line block ×3, first 2 shown]
	v_lshl_add_u64 v[64:65], v[64:65], 0, v[106:107]
	v_lshl_add_u64 v[54:55], v[54:55], 0, v[106:107]
.LBB30_3030:                            ;   in Loop: Header=BB30_3028 Depth=4
	s_or_b64 exec, exec, vcc
	v_sub_u32_e32 v6, v29, v60
	v_lshl_add_u64 v[66:67], v[66:67], 0, v[106:107]
	v_mov_b32_e32 v7, 0
	v_cmp_lt_i32_e64 s[30:31], 0, v6
	v_mov_b64_e32 v[68:69], 0
	s_and_saveexec_b64 vcc, s[30:31]
	s_cbranch_execz .LBB30_3027
; %bb.3031:                             ;   in Loop: Header=BB30_3028 Depth=4
	global_load_dwordx4 v[8:11], v[66:67], off nt
	global_load_dwordx4 v[12:15], v[66:67], off offset:1024 nt
	global_load_dwordx4 v[16:19], v[66:67], off offset:2048 nt
	;; [unrolled: 1-line block ×3, first 2 shown]
	v_lshl_add_u64 v[66:67], v[66:67], 0, s[72:73]
	v_mov_b32_e32 v7, v60
	v_mov_b64_e32 v[68:69], v[88:89]
	s_branch .LBB30_3027
.LBB30_3032:                            ;   in Loop: Header=BB30_2950 Depth=3
	s_mov_b64 s[22:23], 0
	s_and_saveexec_b64 s[24:25], s[4:5]
	s_cbranch_execnz .LBB30_3148
.LBB30_3033:                            ;   in Loop: Header=BB30_2950 Depth=3
	s_or_b64 exec, exec, s[24:25]
                                        ; implicit-def: $vgpr1
	s_and_saveexec_b64 s[8:9], s[20:21]
	s_xor_b64 s[24:25], exec, s[8:9]
	s_cbranch_execz .LBB30_3166
.LBB30_3034:                            ;   in Loop: Header=BB30_2950 Depth=3
	s_waitcnt vmcnt(0)
	v_and_b32_e32 v2, 16, v110
	v_cmp_ne_u32_e32 vcc, 0, v2
	v_and_b32_e32 v1, 16, v110
	s_and_b64 s[8:9], vcc, s[22:23]
	s_and_saveexec_b64 s[22:23], s[8:9]
	s_cbranch_execz .LBB30_3036
; %bb.3035:                             ;   in Loop: Header=BB30_2950 Depth=3
	v_mov_b32_e32 v1, 1
	buffer_wbl2 sc1
	s_waitcnt lgkmcnt(0)
	buffer_inv sc1
.LBB30_3036:                            ;   in Loop: Header=BB30_2950 Depth=3
	s_or_b64 exec, exec, s[22:23]
	s_andn2_saveexec_b64 s[22:23], s[24:25]
	s_cbranch_execz .LBB30_3185
	s_branch .LBB30_3167
.LBB30_3037:                            ;   in Loop: Header=BB30_2950 Depth=3
	s_mov_b64 s[94:95], 0
	s_andn2_b64 vcc, exec, s[24:25]
	v_mov_b32_e32 v5, 0
	s_cbranch_vccz .LBB30_3025
.LBB30_3038:                            ;   in Loop: Header=BB30_2950 Depth=3
	scratch_load_dword v7, off, s33 offset:312 ; 4-byte Folded Reload
	v_mov_b32_e32 v6, v2
	s_waitcnt vmcnt(0)
	v_mov_b32_e32 v8, v7
	v_and_b32_e32 v7, 63, v7
	s_and_saveexec_b64 s[26:27], s[94:95]
	s_cbranch_execnz .LBB30_3064
	s_branch .LBB30_3089
.LBB30_3039:                            ;   in Loop: Header=BB30_2950 Depth=3
	s_or_b64 exec, exec, s[24:25]
	s_and_b64 s[24:25], s[26:27], exec
.LBB30_3040:                            ;   in Loop: Header=BB30_2950 Depth=3
	s_or_b64 exec, exec, s[22:23]
	s_and_saveexec_b64 s[22:23], s[24:25]
	s_cbranch_execz .LBB30_3042
; %bb.3041:                             ;   in Loop: Header=BB30_2950 Depth=3
	global_store_dwordx4 v[64:65], v[8:11], off
	global_store_dwordx4 v[64:65], v[12:15], off offset:1024
	global_store_dwordx4 v[64:65], v[16:19], off offset:2048
	;; [unrolled: 1-line block ×3, first 2 shown]
	global_store_dwordx4 v[54:55], v[8:11], off
	global_store_dwordx4 v[54:55], v[12:15], off offset:1024
	global_store_dwordx4 v[54:55], v[16:19], off offset:2048
	;; [unrolled: 1-line block ×3, first 2 shown]
.LBB30_3042:                            ;   in Loop: Header=BB30_2950 Depth=3
	s_or_b64 exec, exec, s[22:23]
	s_nop 0
	v_lshlrev_b32_e32 v22, 12, v5
	v_cmp_ne_u32_e32 vcc, v2, v22
                                        ; implicit-def: $vgpr6
                                        ; implicit-def: $vgpr5
                                        ; implicit-def: $vgpr8
                                        ; implicit-def: $vgpr7
	s_and_saveexec_b64 s[30:31], vcc
	s_cbranch_execz .LBB30_3063
; %bb.3043:                             ;   in Loop: Header=BB30_2950 Depth=3
	scratch_load_dword v7, off, s33 offset:312 ; 4-byte Folded Reload
	v_lshlrev_b32_e32 v5, 6, v29
	v_sub_u32_e32 v6, v2, v22
	s_mov_b64 s[24:25], 0
	s_waitcnt vmcnt(0)
	v_and_b32_e32 v7, 63, v7
	v_sub_u32_e32 v5, v7, v5
	v_ashrrev_i32_e32 v7, 31, v5
	v_lshrrev_b32_e32 v7, 26, v7
	v_add_u32_e32 v7, v5, v7
	v_ashrrev_i32_e32 v8, 6, v7
	v_and_b32_e32 v7, 0xffffffc0, v7
	v_sub_u32_e32 v23, v5, v7
	v_ashrrev_i32_e32 v7, 31, v6
	v_lshrrev_b32_e32 v7, 22, v7
	v_add_u32_e32 v7, v6, v7
	v_lshlrev_b32_e32 v5, 4, v23
	v_and_b32_e32 v24, 0xfffffc00, v7
	v_lshl_add_u32 v5, v8, 10, v5
	v_sub_u32_e32 v25, v6, v24
	v_add_u32_e32 v10, v5, v22
	v_ashrrev_i32_e32 v9, 10, v7
	v_cmp_lt_i32_e64 s[22:23], 15, v25
	v_sub_u32_e32 v5, v6, v5
	v_ashrrev_i32_e32 v11, 31, v10
	v_addc_co_u32_e64 v6, vcc, 0, v9, s[22:23]
	v_lshl_add_u64 v[16:17], v[10:11], 0, v[72:73]
	v_lshl_add_u64 v[18:19], v[10:11], 0, v[52:53]
	v_sub_u32_e32 v26, v6, v8
	v_cmp_lt_i32_e32 vcc, 15, v5
                                        ; implicit-def: $vgpr8_vgpr9
	s_and_saveexec_b64 s[34:35], vcc
	s_cbranch_execz .LBB30_3057
; %bb.3044:                             ;   in Loop: Header=BB30_2950 Depth=3
	v_lshl_add_u64 v[20:21], v[10:11], 0, v[62:63]
	s_mov_b64 s[48:49], 0
	s_mov_b64 s[36:37], 0
                                        ; implicit-def: $sgpr38_sgpr39
                                        ; implicit-def: $vgpr8_vgpr9
	s_branch .LBB30_3046
.LBB30_3045:                            ;   in Loop: Header=BB30_3046 Depth=4
	s_or_b64 exec, exec, s[24:25]
	v_cmp_gt_i32_e32 vcc, 16, v5
	s_or_b64 s[36:37], vcc, s[36:37]
	s_andn2_b64 s[8:9], s[38:39], exec
	s_and_b64 s[24:25], s[48:49], exec
	s_or_b64 s[38:39], s[8:9], s[24:25]
	s_andn2_b64 exec, exec, s[36:37]
	s_cbranch_execz .LBB30_3056
.LBB30_3046:                            ;   Parent Loop BB30_47 Depth=1
                                        ;     Parent Loop BB30_2947 Depth=2
                                        ;       Parent Loop BB30_2950 Depth=3
                                        ; =>      This Loop Header: Depth=4
                                        ;           Child Loop BB30_3048 Depth 5
                                        ;           Child Loop BB30_3053 Depth 5
	global_load_dwordx4 v[12:15], v[20:21], off nt
	s_and_saveexec_b64 s[50:51], s[48:49]
	s_cbranch_execz .LBB30_3050
; %bb.3047:                             ;   in Loop: Header=BB30_3046 Depth=4
	s_mov_b64 s[52:53], 0
	s_mov_b64 s[48:49], -1
.LBB30_3048:                            ;   Parent Loop BB30_47 Depth=1
                                        ;     Parent Loop BB30_2947 Depth=2
                                        ;       Parent Loop BB30_2950 Depth=3
                                        ;         Parent Loop BB30_3046 Depth=4
                                        ; =>        This Inner Loop Header: Depth=5
	s_cmp_eq_u32 s52, 1
	s_cselect_b64 vcc, -1, 0
	v_cndmask_b32_e32 v7, v17, v19, vcc
	s_cmp_eq_u32 s52, 0
	v_cndmask_b32_e32 v6, v16, v18, vcc
	s_waitcnt vmcnt(2)
	global_store_dwordx4 v[6:7], v[8:11], off
	v_lshl_add_u64 v[6:7], v[6:7], 0, s[56:57]
	s_cselect_b64 s[24:25], -1, 0
	s_and_b64 s[26:27], exec, s[48:49]
	s_mov_b64 s[52:53], 1
	s_mov_b64 s[48:49], 0
	v_cndmask_b32_e32 v19, v19, v7, vcc
	v_cndmask_b32_e32 v18, v18, v6, vcc
	v_cndmask_b32_e64 v17, v17, v7, s[24:25]
	v_cndmask_b32_e64 v16, v16, v6, s[24:25]
	s_mov_b64 vcc, s[26:27]
	s_cbranch_vccnz .LBB30_3048
; %bb.3049:                             ;   in Loop: Header=BB30_3046 Depth=4
	v_lshl_add_u64 v[16:17], v[16:17], 0, v[90:91]
	v_lshl_add_u64 v[18:19], v[18:19], 0, v[90:91]
.LBB30_3050:                            ;   in Loop: Header=BB30_3046 Depth=4
	s_or_b64 exec, exec, s[50:51]
	scratch_load_dwordx2 v[6:7], off, s33 offset:264 ; 8-byte Folded Reload
	v_sub_u32_e32 v5, v5, v111
	v_cmp_lt_i32_e64 s[48:49], 15, v5
	s_waitcnt vmcnt(0)
	v_lshl_add_u64 v[20:21], v[6:7], 0, v[20:21]
	s_and_saveexec_b64 s[24:25], s[48:49]
	s_cbranch_execz .LBB30_3052
; %bb.3051:                             ;   in Loop: Header=BB30_3046 Depth=4
	global_load_dwordx4 v[8:11], v[20:21], off nt
	v_lshl_add_u64 v[20:21], v[20:21], 0, s[56:57]
.LBB30_3052:                            ;   in Loop: Header=BB30_3046 Depth=4
	s_or_b64 exec, exec, s[24:25]
	s_mov_b64 s[52:53], 0
	s_mov_b64 s[50:51], -1
.LBB30_3053:                            ;   Parent Loop BB30_47 Depth=1
                                        ;     Parent Loop BB30_2947 Depth=2
                                        ;       Parent Loop BB30_2950 Depth=3
                                        ;         Parent Loop BB30_3046 Depth=4
                                        ; =>        This Inner Loop Header: Depth=5
	s_cmp_eq_u32 s52, 1
	s_cselect_b64 vcc, -1, 0
	v_cndmask_b32_e32 v7, v17, v19, vcc
	s_cmp_eq_u32 s52, 0
	v_cndmask_b32_e32 v6, v16, v18, vcc
	global_store_dwordx4 v[6:7], v[12:15], off
	v_lshl_add_u64 v[6:7], v[6:7], 0, s[56:57]
	s_cselect_b64 s[24:25], -1, 0
	s_and_b64 s[26:27], exec, s[50:51]
	s_mov_b64 s[52:53], 1
	s_mov_b64 s[50:51], 0
	v_cndmask_b32_e32 v19, v19, v7, vcc
	v_cndmask_b32_e32 v18, v18, v6, vcc
	v_cndmask_b32_e64 v17, v17, v7, s[24:25]
	v_cndmask_b32_e64 v16, v16, v6, s[24:25]
	s_mov_b64 vcc, s[26:27]
	s_cbranch_vccnz .LBB30_3053
; %bb.3054:                             ;   in Loop: Header=BB30_3046 Depth=4
	v_sub_u32_e32 v26, v26, v60
	s_and_saveexec_b64 s[24:25], s[48:49]
	s_cbranch_execz .LBB30_3045
; %bb.3055:                             ;   in Loop: Header=BB30_3046 Depth=4
	v_lshl_add_u64 v[16:17], v[16:17], 0, v[90:91]
	v_lshl_add_u64 v[18:19], v[18:19], 0, v[90:91]
	;; [unrolled: 1-line block ×3, first 2 shown]
	v_sub_u32_e32 v5, v5, v111
	v_sub_u32_e32 v26, v26, v60
	s_branch .LBB30_3045
.LBB30_3056:                            ;   in Loop: Header=BB30_2950 Depth=3
	s_or_b64 exec, exec, s[36:37]
	s_and_b64 s[24:25], s[38:39], exec
.LBB30_3057:                            ;   in Loop: Header=BB30_2950 Depth=3
	s_or_b64 exec, exec, s[34:35]
	s_and_saveexec_b64 s[34:35], s[24:25]
	s_cbranch_execz .LBB30_3060
; %bb.3058:                             ;   in Loop: Header=BB30_2950 Depth=3
	s_mov_b64 s[38:39], 0
	s_mov_b64 s[36:37], -1
	s_waitcnt vmcnt(0)
.LBB30_3059:                            ;   Parent Loop BB30_47 Depth=1
                                        ;     Parent Loop BB30_2947 Depth=2
                                        ;       Parent Loop BB30_2950 Depth=3
                                        ; =>      This Inner Loop Header: Depth=4
	s_cmp_eq_u32 s38, 1
	s_cselect_b64 vcc, -1, 0
	v_cndmask_b32_e32 v7, v17, v19, vcc
	s_cmp_eq_u32 s38, 0
	v_cndmask_b32_e32 v6, v16, v18, vcc
	global_store_dwordx4 v[6:7], v[8:11], off
	v_lshl_add_u64 v[6:7], v[6:7], 0, s[56:57]
	s_cselect_b64 s[24:25], -1, 0
	s_and_b64 s[26:27], exec, s[36:37]
	s_mov_b64 s[38:39], 1
	s_mov_b64 s[36:37], 0
	v_cndmask_b32_e32 v19, v19, v7, vcc
	v_cndmask_b32_e32 v18, v18, v6, vcc
	v_cndmask_b32_e64 v17, v17, v7, s[24:25]
	v_cndmask_b32_e64 v16, v16, v6, s[24:25]
	s_mov_b64 vcc, s[26:27]
	s_cbranch_vccnz .LBB30_3059
.LBB30_3060:                            ;   in Loop: Header=BB30_2950 Depth=3
	s_or_b64 exec, exec, s[34:35]
	s_waitcnt vmcnt(1)
	v_and_b32_e32 v9, 14, v2
	v_cndmask_b32_e64 v6, v25, v9, s[22:23]
	v_cmp_ne_u32_e32 vcc, 0, v6
	s_mov_b64 s[24:25], s[94:95]
                                        ; implicit-def: $vgpr5
                                        ; implicit-def: $vgpr8
                                        ; implicit-def: $vgpr7
	s_and_saveexec_b64 s[26:27], vcc
	s_cbranch_execz .LBB30_3062
; %bb.3061:                             ;   in Loop: Header=BB30_2950 Depth=3
	v_cmp_lt_i32_e32 vcc, 0, v26
	v_sub_u32_e32 v5, v25, v9
	v_cndmask_b32_e64 v5, 0, v5, s[22:23]
	v_cndmask_b32_e32 v7, 0, v60, vcc
	v_sub_u32_e32 v7, v7, v26
	v_lshl_add_u32 v8, v7, 6, v23
	v_ashrrev_i32_e32 v7, 31, v8
	v_lshrrev_b32_e32 v7, 26, v7
	v_add_u32_e32 v7, v8, v7
	v_and_b32_e32 v7, 0xffffffc0, v7
	v_add3_u32 v5, v24, v22, v5
	v_sub_u32_e32 v7, v8, v7
	s_or_b64 s[24:25], s[94:95], exec
.LBB30_3062:                            ;   in Loop: Header=BB30_2950 Depth=3
	s_or_b64 exec, exec, s[26:27]
	s_andn2_b64 s[8:9], s[94:95], exec
	s_and_b64 s[22:23], s[24:25], exec
	s_or_b64 s[94:95], s[8:9], s[22:23]
.LBB30_3063:                            ;   in Loop: Header=BB30_2950 Depth=3
	s_or_b64 exec, exec, s[30:31]
	s_and_saveexec_b64 s[26:27], s[94:95]
	s_cbranch_execz .LBB30_3089
.LBB30_3064:                            ;   in Loop: Header=BB30_2950 Depth=3
	v_ashrrev_i32_e32 v9, 31, v8
	v_lshrrev_b32_e32 v9, 26, v9
	v_add_u32_e32 v8, v8, v9
	v_ashrrev_i32_e32 v14, 6, v8
	v_lshlrev_b32_e32 v8, 11, v14
	v_lshlrev_b32_e32 v9, 1, v7
	v_add3_u32 v12, v5, v9, v8
	v_ashrrev_i32_e32 v8, 31, v6
	v_lshrrev_b32_e32 v8, 21, v8
	v_add_u32_e32 v8, v6, v8
	v_ashrrev_i32_e32 v16, 11, v8
	v_ashrrev_i32_e32 v13, 31, v12
	v_sub_u32_e32 v14, v16, v14
	v_lshl_add_u64 v[10:11], v[72:73], 0, v[12:13]
	v_lshl_add_u64 v[8:9], v[52:53], 0, v[12:13]
	v_cmp_lt_i32_e32 vcc, 0, v14
	s_mov_b64 s[24:25], 0
                                        ; implicit-def: $vgpr17
                                        ; implicit-def: $vgpr18
                                        ; implicit-def: $vgpr19
                                        ; implicit-def: $vgpr20
                                        ; implicit-def: $vgpr21
                                        ; implicit-def: $vgpr22
                                        ; implicit-def: $vgpr23
                                        ; implicit-def: $vgpr24
                                        ; implicit-def: $vgpr25
                                        ; implicit-def: $vgpr26
                                        ; implicit-def: $vgpr27
                                        ; implicit-def: $vgpr29
                                        ; implicit-def: $vgpr30
                                        ; implicit-def: $vgpr32
                                        ; implicit-def: $vgpr33
                                        ; implicit-def: $vgpr34
	s_and_saveexec_b64 s[22:23], vcc
	s_cbranch_execz .LBB30_3072
; %bb.3065:                             ;   in Loop: Header=BB30_2950 Depth=3
	v_lshl_add_u64 v[12:13], v[12:13], 0, v[62:63]
	s_mov_b64 s[30:31], 0
                                        ; implicit-def: $sgpr94_sgpr95
                                        ; implicit-def: $vgpr17
                                        ; implicit-def: $vgpr18
                                        ; implicit-def: $vgpr19
                                        ; implicit-def: $vgpr20
                                        ; implicit-def: $vgpr21
                                        ; implicit-def: $vgpr22
                                        ; implicit-def: $vgpr23
                                        ; implicit-def: $vgpr24
                                        ; implicit-def: $vgpr25
                                        ; implicit-def: $vgpr26
                                        ; implicit-def: $vgpr27
                                        ; implicit-def: $vgpr29
                                        ; implicit-def: $vgpr30
                                        ; implicit-def: $vgpr32
                                        ; implicit-def: $vgpr33
                                        ; implicit-def: $vgpr34
	s_branch .LBB30_3067
.LBB30_3066:                            ;   in Loop: Header=BB30_3067 Depth=4
	s_or_b64 exec, exec, vcc
	v_lshl_add_u64 v[12:13], v[12:13], 0, v[14:15]
	v_sub_u32_e32 v14, v69, v70
	v_cmp_gt_i32_e32 vcc, 1, v14
	s_waitcnt vmcnt(0) lgkmcnt(0)
	flat_store_short v[10:11], v35 nt
	flat_store_short v[10:11], v36 offset:128 nt
	flat_store_short v[10:11], v37 offset:256 nt
	flat_store_short v[10:11], v38 offset:384 nt
	flat_store_short v[10:11], v39 offset:512 nt
	flat_store_short v[10:11], v48 offset:640 nt
	flat_store_short v[10:11], v49 offset:768 nt
	flat_store_short v[10:11], v50 offset:896 nt
	flat_store_short v[10:11], v51 offset:1024 nt
	flat_store_short v[10:11], v54 offset:1152 nt
	flat_store_short v[10:11], v55 offset:1280 nt
	flat_store_short v[10:11], v64 offset:1408 nt
	flat_store_short v[10:11], v65 offset:1536 nt
	flat_store_short v[10:11], v66 offset:1664 nt
	flat_store_short v[10:11], v67 offset:1792 nt
	flat_store_short v[10:11], v68 offset:1920 nt
	v_lshl_add_u64 v[10:11], v[10:11], 0, s[58:59]
	flat_store_short v[8:9], v35 nt
	flat_store_short v[8:9], v36 offset:128 nt
	flat_store_short v[8:9], v37 offset:256 nt
	;; [unrolled: 1-line block ×15, first 2 shown]
	v_lshl_add_u64 v[8:9], v[8:9], 0, s[58:59]
	s_or_b64 s[24:25], vcc, s[24:25]
	v_lshl_add_u64 v[36:37], v[10:11], 0, v[76:77]
	v_lshl_add_u64 v[38:39], v[8:9], 0, v[76:77]
	s_andn2_b64 s[8:9], s[94:95], exec
	s_and_b64 s[94:95], s[30:31], exec
	v_cndmask_b32_e64 v11, v11, v37, s[30:31]
	v_cndmask_b32_e64 v10, v10, v36, s[30:31]
	;; [unrolled: 1-line block ×4, first 2 shown]
	s_or_b64 s[94:95], s[8:9], s[94:95]
	s_andn2_b64 exec, exec, s[24:25]
	s_cbranch_execz .LBB30_3071
.LBB30_3067:                            ;   Parent Loop BB30_47 Depth=1
                                        ;     Parent Loop BB30_2947 Depth=2
                                        ;       Parent Loop BB30_2950 Depth=3
                                        ; =>      This Inner Loop Header: Depth=4
	flat_load_ushort v35, v[12:13] nt
	flat_load_ushort v36, v[12:13] offset:128 nt
	flat_load_ushort v37, v[12:13] offset:256 nt
	;; [unrolled: 1-line block ×15, first 2 shown]
	s_and_saveexec_b64 vcc, s[30:31]
	s_cbranch_execz .LBB30_3069
; %bb.3068:                             ;   in Loop: Header=BB30_3067 Depth=4
	flat_store_short v[10:11], v17 nt
	flat_store_short v[10:11], v18 offset:128 nt
	flat_store_short v[10:11], v19 offset:256 nt
	;; [unrolled: 1-line block ×15, first 2 shown]
	flat_store_short v[8:9], v17 nt
	flat_store_short v[8:9], v18 offset:128 nt
	flat_store_short v[8:9], v19 offset:256 nt
	;; [unrolled: 1-line block ×15, first 2 shown]
	v_lshl_add_u64 v[10:11], v[10:11], 0, v[104:105]
	v_lshl_add_u64 v[8:9], v[8:9], 0, v[104:105]
.LBB30_3069:                            ;   in Loop: Header=BB30_3067 Depth=4
	s_or_b64 exec, exec, vcc
	v_sub_u32_e32 v69, v14, v60
	v_lshl_add_u64 v[12:13], v[12:13], 0, v[104:105]
	v_mov_b32_e32 v70, 0
	v_cmp_lt_i32_e64 s[30:31], 0, v69
	v_mov_b64_e32 v[14:15], 0
	s_and_saveexec_b64 vcc, s[30:31]
	s_cbranch_execz .LBB30_3066
; %bb.3070:                             ;   in Loop: Header=BB30_3067 Depth=4
	flat_load_ushort v17, v[12:13] nt
	flat_load_ushort v18, v[12:13] offset:128 nt
	flat_load_ushort v19, v[12:13] offset:256 nt
	;; [unrolled: 1-line block ×15, first 2 shown]
	v_lshl_add_u64 v[12:13], v[12:13], 0, s[58:59]
	v_mov_b32_e32 v70, v60
	v_mov_b64_e32 v[14:15], v[76:77]
	s_branch .LBB30_3066
.LBB30_3071:                            ;   in Loop: Header=BB30_2950 Depth=3
	s_or_b64 exec, exec, s[24:25]
	s_and_b64 s[24:25], s[94:95], exec
.LBB30_3072:                            ;   in Loop: Header=BB30_2950 Depth=3
	s_or_b64 exec, exec, s[22:23]
	s_and_saveexec_b64 s[22:23], s[24:25]
	s_cbranch_execz .LBB30_3074
; %bb.3073:                             ;   in Loop: Header=BB30_2950 Depth=3
	flat_store_short v[10:11], v17 nt
	flat_store_short v[10:11], v18 offset:128 nt
	flat_store_short v[10:11], v19 offset:256 nt
	;; [unrolled: 1-line block ×15, first 2 shown]
	flat_store_short v[8:9], v17 nt
	flat_store_short v[8:9], v18 offset:128 nt
	flat_store_short v[8:9], v19 offset:256 nt
	;; [unrolled: 1-line block ×15, first 2 shown]
.LBB30_3074:                            ;   in Loop: Header=BB30_2950 Depth=3
	s_or_b64 exec, exec, s[22:23]
	v_lshlrev_b32_e32 v8, 11, v16
	v_cmp_ne_u32_e32 vcc, v6, v8
	s_and_b64 exec, exec, vcc
	s_cbranch_execz .LBB30_3089
; %bb.3075:                             ;   in Loop: Header=BB30_2950 Depth=3
	v_lshlrev_b32_e32 v9, 6, v14
	v_sub_u32_e32 v7, v7, v9
	v_ashrrev_i32_e32 v9, 31, v7
	v_lshrrev_b32_e32 v9, 26, v9
	v_add_u32_e32 v9, v7, v9
	v_and_b32_e32 v10, 0x7fffffc0, v9
	v_sub_u32_e32 v7, v7, v10
	v_lshlrev_b32_e32 v9, 1, v9
	v_and_b32_e32 v9, 0xffffff80, v9
	v_lshlrev_b32_e32 v7, 1, v7
	v_add3_u32 v8, v9, v7, v8
	v_sub_u32_e32 v7, v6, v8
	v_cmp_lt_i32_e32 vcc, 1, v7
	s_and_b64 exec, exec, vcc
	s_cbranch_execz .LBB30_3089
; %bb.3076:                             ;   in Loop: Header=BB30_2950 Depth=3
	s_trap 2
	ds_read_b64 v[12:13], v0
	v_add_u32_e32 v14, v8, v5
	v_ashrrev_i32_e32 v15, 31, v14
	v_lshl_add_u64 v[8:9], v[72:73], 0, v[14:15]
	v_lshl_add_u64 v[10:11], v[52:53], 0, v[14:15]
	s_waitcnt lgkmcnt(0)
	v_lshl_add_u64 v[12:13], v[12:13], 0, v[14:15]
	s_mov_b64 s[34:35], 0
	s_mov_b64 s[94:95], 0
                                        ; implicit-def: $sgpr30_sgpr31
                                        ; implicit-def: $vgpr5
.LBB30_3077:                            ;   Parent Loop BB30_47 Depth=1
                                        ;     Parent Loop BB30_2947 Depth=2
                                        ;       Parent Loop BB30_2950 Depth=3
                                        ; =>      This Loop Header: Depth=4
                                        ;           Child Loop BB30_3079 Depth 5
                                        ;           Child Loop BB30_3084 Depth 5
	flat_load_ushort v6, v[12:13] nt
	s_and_saveexec_b64 s[36:37], s[34:35]
	s_cbranch_execz .LBB30_3081
; %bb.3078:                             ;   in Loop: Header=BB30_3077 Depth=4
	s_mov_b64 s[38:39], 0
	s_mov_b64 s[34:35], -1
.LBB30_3079:                            ;   Parent Loop BB30_47 Depth=1
                                        ;     Parent Loop BB30_2947 Depth=2
                                        ;       Parent Loop BB30_2950 Depth=3
                                        ;         Parent Loop BB30_3077 Depth=4
                                        ; =>        This Inner Loop Header: Depth=5
	s_cmp_eq_u32 s38, 1
	s_cselect_b64 vcc, -1, 0
	v_cndmask_b32_e32 v15, v9, v11, vcc
	s_cmp_eq_u32 s38, 0
	v_cndmask_b32_e32 v14, v8, v10, vcc
	s_waitcnt vmcnt(0)
	flat_store_short v[14:15], v5 nt
	v_lshl_add_u64 v[14:15], v[14:15], 0, s[60:61]
	s_cselect_b64 s[22:23], -1, 0
	s_and_b64 s[24:25], exec, s[34:35]
	s_mov_b64 s[38:39], 1
	s_mov_b64 s[34:35], 0
	v_cndmask_b32_e32 v11, v11, v15, vcc
	v_cndmask_b32_e32 v10, v10, v14, vcc
	v_cndmask_b32_e64 v9, v9, v15, s[22:23]
	v_cndmask_b32_e64 v8, v8, v14, s[22:23]
	s_mov_b64 vcc, s[24:25]
	s_cbranch_vccnz .LBB30_3079
; %bb.3080:                             ;   in Loop: Header=BB30_3077 Depth=4
	v_lshl_add_u64 v[8:9], v[8:9], 0, v[92:93]
	v_lshl_add_u64 v[10:11], v[10:11], 0, v[92:93]
.LBB30_3081:                            ;   in Loop: Header=BB30_3077 Depth=4
	s_or_b64 exec, exec, s[36:37]
	scratch_load_dwordx2 v[14:15], off, s33 offset:256 ; 8-byte Folded Reload
	v_sub_u32_e32 v7, v7, v31
	v_cmp_lt_i32_e64 s[34:35], 1, v7
	s_waitcnt vmcnt(0)
	v_lshl_add_u64 v[12:13], v[14:15], 0, v[12:13]
	s_and_saveexec_b64 s[22:23], s[34:35]
	s_cbranch_execz .LBB30_3083
; %bb.3082:                             ;   in Loop: Header=BB30_3077 Depth=4
	flat_load_ushort v5, v[12:13] nt
	v_lshl_add_u64 v[12:13], v[12:13], 0, s[60:61]
.LBB30_3083:                            ;   in Loop: Header=BB30_3077 Depth=4
	s_or_b64 exec, exec, s[22:23]
	s_mov_b64 s[38:39], 0
	s_mov_b64 s[36:37], -1
.LBB30_3084:                            ;   Parent Loop BB30_47 Depth=1
                                        ;     Parent Loop BB30_2947 Depth=2
                                        ;       Parent Loop BB30_2950 Depth=3
                                        ;         Parent Loop BB30_3077 Depth=4
                                        ; =>        This Inner Loop Header: Depth=5
	s_cmp_eq_u32 s38, 1
	s_cselect_b64 vcc, -1, 0
	v_cndmask_b32_e32 v15, v9, v11, vcc
	s_cmp_eq_u32 s38, 0
	v_cndmask_b32_e32 v14, v8, v10, vcc
	s_waitcnt lgkmcnt(0)
	flat_store_short v[14:15], v6 nt
	v_lshl_add_u64 v[14:15], v[14:15], 0, s[60:61]
	s_cselect_b64 s[22:23], -1, 0
	s_and_b64 s[24:25], exec, s[36:37]
	s_mov_b64 s[38:39], 1
	s_mov_b64 s[36:37], 0
	v_cndmask_b32_e32 v11, v11, v15, vcc
	v_cndmask_b32_e32 v10, v10, v14, vcc
	v_cndmask_b32_e64 v9, v9, v15, s[22:23]
	v_cndmask_b32_e64 v8, v8, v14, s[22:23]
	s_mov_b64 vcc, s[24:25]
	s_cbranch_vccnz .LBB30_3084
; %bb.3085:                             ;   in Loop: Header=BB30_3077 Depth=4
	v_cndmask_b32_e64 v6, 0, v31, s[34:35]
	v_sub_u32_e32 v7, v7, v6
	v_cmp_gt_i32_e32 vcc, 2, v7
	s_or_b64 s[94:95], vcc, s[94:95]
	v_lshl_add_u64 v[14:15], v[8:9], 0, v[92:93]
	v_lshl_add_u64 v[16:17], v[10:11], 0, v[92:93]
	v_cndmask_b32_e64 v19, 0, v93, s[34:35]
	v_cndmask_b32_e64 v18, 0, v92, s[34:35]
	s_andn2_b64 s[8:9], s[30:31], exec
	s_and_b64 s[22:23], s[34:35], exec
	v_lshl_add_u64 v[12:13], v[12:13], 0, v[18:19]
	v_cndmask_b32_e64 v11, v11, v17, s[34:35]
	v_cndmask_b32_e64 v10, v10, v16, s[34:35]
	;; [unrolled: 1-line block ×4, first 2 shown]
	s_or_b64 s[30:31], s[8:9], s[22:23]
	s_andn2_b64 exec, exec, s[94:95]
	s_cbranch_execnz .LBB30_3077
; %bb.3086:                             ;   in Loop: Header=BB30_2950 Depth=3
	s_or_b64 exec, exec, s[94:95]
	s_and_b64 exec, exec, s[30:31]
	s_cbranch_execz .LBB30_3089
; %bb.3087:                             ;   in Loop: Header=BB30_2950 Depth=3
	s_mov_b64 s[30:31], 0
	s_mov_b64 s[94:95], -1
	s_waitcnt vmcnt(0)
.LBB30_3088:                            ;   Parent Loop BB30_47 Depth=1
                                        ;     Parent Loop BB30_2947 Depth=2
                                        ;       Parent Loop BB30_2950 Depth=3
                                        ; =>      This Inner Loop Header: Depth=4
	s_cmp_eq_u32 s30, 1
	s_cselect_b64 vcc, -1, 0
	v_cndmask_b32_e32 v7, v15, v17, vcc
	s_cmp_eq_u32 s30, 0
	v_cndmask_b32_e32 v6, v14, v16, vcc
	flat_store_short v[6:7], v5 nt
	v_lshl_add_u64 v[6:7], v[6:7], 0, s[60:61]
	s_cselect_b64 s[22:23], -1, 0
	s_and_b64 s[24:25], exec, s[94:95]
	s_mov_b64 s[30:31], 1
	s_mov_b64 s[94:95], 0
	v_cndmask_b32_e64 v15, v15, v7, s[22:23]
	v_cndmask_b32_e64 v14, v14, v6, s[22:23]
	v_cndmask_b32_e32 v17, v17, v7, vcc
	v_cndmask_b32_e32 v16, v16, v6, vcc
	s_mov_b64 vcc, s[24:25]
	s_cbranch_vccnz .LBB30_3088
.LBB30_3089:                            ;   in Loop: Header=BB30_2950 Depth=3
	s_or_b64 exec, exec, s[26:27]
	s_mov_b64 s[22:23], 0
.LBB30_3090:                            ;   in Loop: Header=BB30_2950 Depth=3
	s_and_b64 vcc, exec, s[22:23]
	s_cbranch_vccz .LBB30_3104
; %bb.3091:                             ;   in Loop: Header=BB30_2950 Depth=3
	s_mov_b64 s[22:23], -1
	s_and_saveexec_b64 s[24:25], s[16:17]
	s_cbranch_execz .LBB30_3093
; %bb.3092:                             ;   in Loop: Header=BB30_2950 Depth=3
	s_waitcnt vmcnt(0)
	ds_read_b32 v5, v0 offset:720
	s_waitcnt lgkmcnt(0)
	v_and_b32_e32 v5, 15, v5
	v_cmp_eq_u32_e32 vcc, 0, v5
	s_orn2_b64 s[22:23], vcc, exec
.LBB30_3093:                            ;   in Loop: Header=BB30_2950 Depth=3
	s_or_b64 exec, exec, s[24:25]
	s_and_saveexec_b64 s[24:25], s[14:15]
	s_cbranch_execz .LBB30_3095
; %bb.3094:                             ;   in Loop: Header=BB30_2950 Depth=3
	s_waitcnt vmcnt(0)
	ds_read_b32 v5, v0 offset:784
	s_waitcnt lgkmcnt(0)
	v_and_b32_e32 v5, 15, v5
	v_cmp_eq_u32_e32 vcc, 0, v5
	s_and_b64 s[8:9], s[22:23], vcc
	s_andn2_b64 s[22:23], s[22:23], exec
	s_and_b64 s[8:9], s[8:9], exec
	s_or_b64 s[22:23], s[22:23], s[8:9]
.LBB30_3095:                            ;   in Loop: Header=BB30_2950 Depth=3
	s_or_b64 exec, exec, s[24:25]
	s_xor_b64 s[8:9], s[22:23], -1
	s_waitcnt vmcnt(0)
	v_cndmask_b32_e64 v5, 0, 1, s[8:9]
	s_mov_b64 s[26:27], -1
	v_cmp_ne_u32_e32 vcc, 0, v5
	s_cbranch_vccz .LBB30_3105
; %bb.3096:                             ;   in Loop: Header=BB30_2950 Depth=3
	s_mov_b64 s[24:25], -1
	v_mov_b32_e32 v5, 0
	s_cbranch_execnz .LBB30_3106
.LBB30_3097:                            ;   in Loop: Header=BB30_2950 Depth=3
	scratch_load_dword v6, off, s33 offset:312 ; 4-byte Folded Reload
	scratch_load_dwordx2 v[8:9], off, s33 offset:372 ; 8-byte Folded Reload
	v_ashrrev_i32_e32 v5, 31, v2
	v_lshrrev_b32_e32 v5, 19, v5
	v_add_u32_e32 v5, v2, v5
	v_ashrrev_i32_e32 v5, 13, v5
	s_mov_b64 s[26:27], 0
                                        ; implicit-def: $vgpr12_vgpr13
                                        ; implicit-def: $vgpr16_vgpr17
                                        ; implicit-def: $vgpr20_vgpr21
                                        ; implicit-def: $vgpr24_vgpr25
                                        ; implicit-def: $vgpr32_vgpr33
                                        ; implicit-def: $vgpr36_vgpr37
                                        ; implicit-def: $vgpr48_vgpr49
	s_waitcnt vmcnt(0)
	v_lshrrev_b32_e32 v6, 6, v6
	v_sub_u32_e32 v7, v5, v6
	v_lshl_add_u64 v[118:119], v[72:73], 0, v[8:9]
	v_cmp_lt_i32_e32 vcc, 0, v7
                                        ; implicit-def: $vgpr8_vgpr9
	s_and_saveexec_b64 s[22:23], vcc
	s_cbranch_execz .LBB30_3108
; %bb.3098:                             ;   in Loop: Header=BB30_2950 Depth=3
	scratch_load_dwordx2 v[8:9], off, s33 offset:372 ; 8-byte Folded Reload
	s_mov_b64 s[30:31], 0
                                        ; implicit-def: $sgpr94_sgpr95
                                        ; implicit-def: $vgpr12_vgpr13
                                        ; implicit-def: $vgpr16_vgpr17
                                        ; implicit-def: $vgpr20_vgpr21
                                        ; implicit-def: $vgpr24_vgpr25
                                        ; implicit-def: $vgpr32_vgpr33
                                        ; implicit-def: $vgpr36_vgpr37
                                        ; implicit-def: $vgpr48_vgpr49
	s_waitcnt vmcnt(0)
	v_lshl_add_u64 v[58:59], v[62:63], 0, v[8:9]
                                        ; implicit-def: $vgpr8_vgpr9
	s_branch .LBB30_3100
.LBB30_3099:                            ;   in Loop: Header=BB30_3100 Depth=4
	s_or_b64 exec, exec, s[34:35]
	global_store_dwordx4 v[118:119], v[52:55], off
	global_store_dwordx4 v[118:119], v[64:67], off offset:1024
	global_store_dwordx4 v[118:119], v[68:71], off offset:2048
	global_store_dwordx4 v[118:119], v[80:83], off offset:3072
	v_add_co_u32_e32 v52, vcc, s97, v118
	v_sub_u32_e32 v7, v6, v7
	s_nop 0
	v_addc_co_u32_e32 v53, vcc, 0, v119, vcc
	v_cmp_gt_i32_e32 vcc, 1, v7
	s_or_b64 s[26:27], vcc, s[26:27]
	global_store_dwordx4 v[52:53], v[84:87], off
	global_store_dwordx4 v[52:53], v[96:99], off offset:1024
	global_store_dwordx4 v[52:53], v[100:103], off offset:2048
	;; [unrolled: 1-line block ×3, first 2 shown]
	s_waitcnt vmcnt(0)
	v_lshl_add_u64 v[52:53], v[118:119], 0, v[120:121]
	s_andn2_b64 s[8:9], s[94:95], exec
	s_and_b64 s[94:95], s[30:31], exec
	v_lshl_add_u64 v[118:119], v[52:53], 0, s[46:47]
	v_lshl_add_u64 v[58:59], v[58:59], 0, v[120:121]
	s_or_b64 s[94:95], s[8:9], s[94:95]
	s_andn2_b64 exec, exec, s[26:27]
	s_cbranch_execz .LBB30_3107
.LBB30_3100:                            ;   Parent Loop BB30_47 Depth=1
                                        ;     Parent Loop BB30_2947 Depth=2
                                        ;       Parent Loop BB30_2950 Depth=3
                                        ; =>      This Inner Loop Header: Depth=4
	v_add_co_u32_e32 v112, vcc, 0x1000, v58
	global_load_dwordx4 v[52:55], v[58:59], off nt
	global_load_dwordx4 v[64:67], v[58:59], off offset:1024 nt
	global_load_dwordx4 v[68:71], v[58:59], off offset:2048 nt
	;; [unrolled: 1-line block ×3, first 2 shown]
	v_addc_co_u32_e32 v113, vcc, 0, v59, vcc
	global_load_dwordx4 v[84:87], v[112:113], off nt
	global_load_dwordx4 v[96:99], v[112:113], off offset:1024 nt
	global_load_dwordx4 v[100:103], v[112:113], off offset:2048 nt
	s_nop 0
	global_load_dwordx4 v[112:115], v[112:113], off offset:3072 nt
	s_and_saveexec_b64 s[34:35], s[30:31]
	s_cbranch_execz .LBB30_3102
; %bb.3101:                             ;   in Loop: Header=BB30_3100 Depth=4
	v_add_co_u32_e32 v42, vcc, 0x1000, v118
	global_store_dwordx4 v[118:119], v[8:11], off
	global_store_dwordx4 v[118:119], v[12:15], off offset:1024
	global_store_dwordx4 v[118:119], v[16:19], off offset:2048
	;; [unrolled: 1-line block ×3, first 2 shown]
	v_addc_co_u32_e32 v43, vcc, 0, v119, vcc
	global_store_dwordx4 v[42:43], v[24:27], off
	global_store_dwordx4 v[42:43], v[32:35], off offset:1024
	global_store_dwordx4 v[42:43], v[36:39], off offset:2048
	;; [unrolled: 1-line block ×3, first 2 shown]
	scratch_load_dwordx2 v[42:43], off, s33 offset:272 ; 8-byte Folded Reload
	s_waitcnt vmcnt(0)
	v_lshl_add_u64 v[118:119], v[118:119], 0, v[42:43]
.LBB30_3102:                            ;   in Loop: Header=BB30_3100 Depth=4
	s_or_b64 exec, exec, s[34:35]
	scratch_load_dwordx2 v[42:43], off, s33 offset:272 ; 8-byte Folded Reload
	v_sub_u32_e32 v6, v7, v60
	v_mov_b32_e32 v7, 0
	v_cmp_lt_i32_e64 s[30:31], 0, v6
	v_mov_b64_e32 v[120:121], 0
	s_waitcnt vmcnt(0)
	v_lshl_add_u64 v[58:59], v[58:59], 0, v[42:43]
	s_and_saveexec_b64 s[34:35], s[30:31]
	s_cbranch_execz .LBB30_3099
; %bb.3103:                             ;   in Loop: Header=BB30_3100 Depth=4
	v_add_co_u32_e32 v48, vcc, s97, v58
	global_load_dwordx4 v[8:11], v[58:59], off nt
	global_load_dwordx4 v[12:15], v[58:59], off offset:1024 nt
	global_load_dwordx4 v[16:19], v[58:59], off offset:2048 nt
	;; [unrolled: 1-line block ×3, first 2 shown]
	v_addc_co_u32_e32 v49, vcc, 0, v59, vcc
	global_load_dwordx4 v[24:27], v[48:49], off nt
	global_load_dwordx4 v[32:35], v[48:49], off offset:1024 nt
	global_load_dwordx4 v[36:39], v[48:49], off offset:2048 nt
	s_nop 0
	global_load_dwordx4 v[48:51], v[48:49], off offset:3072 nt
	v_lshl_add_u64 v[58:59], v[58:59], 0, s[46:47]
	scratch_load_dwordx2 v[120:121], off, s33 offset:332 ; 8-byte Folded Reload
	v_mov_b32_e32 v7, v60
	s_branch .LBB30_3099
.LBB30_3104:                            ;   in Loop: Header=BB30_2950 Depth=3
	v_cmp_lt_i32_e64 s[22:23], 0, v1
	s_and_saveexec_b64 s[24:25], s[4:5]
	s_cbranch_execnz .LBB30_3148
	s_branch .LBB30_3033
.LBB30_3105:                            ;   in Loop: Header=BB30_2950 Depth=3
	s_mov_b64 s[24:25], 0
	s_andn2_b64 vcc, exec, s[26:27]
	v_mov_b32_e32 v5, 0
	s_cbranch_vccz .LBB30_3097
.LBB30_3106:                            ;   in Loop: Header=BB30_2950 Depth=3
	scratch_load_dword v6, off, s33 offset:312 ; 4-byte Folded Reload
	s_waitcnt vmcnt(0)
	v_mov_b32_e32 v8, v6
	v_and_b32_e32 v6, 63, v6
	s_and_saveexec_b64 s[22:23], s[24:25]
	s_cbranch_execnz .LBB30_3127
	s_branch .LBB30_3147
.LBB30_3107:                            ;   in Loop: Header=BB30_2950 Depth=3
	s_or_b64 exec, exec, s[26:27]
	s_and_b64 s[26:27], s[94:95], exec
.LBB30_3108:                            ;   in Loop: Header=BB30_2950 Depth=3
	s_or_b64 exec, exec, s[22:23]
	s_and_saveexec_b64 s[22:23], s[26:27]
	s_cbranch_execz .LBB30_3110
; %bb.3109:                             ;   in Loop: Header=BB30_2950 Depth=3
	global_store_dwordx4 v[118:119], v[8:11], off
	global_store_dwordx4 v[118:119], v[12:15], off offset:1024
	global_store_dwordx4 v[118:119], v[16:19], off offset:2048
	;; [unrolled: 1-line block ×3, first 2 shown]
	v_add_co_u32_e32 v8, vcc, 0x1000, v118
	s_nop 1
	v_addc_co_u32_e32 v9, vcc, 0, v119, vcc
	global_store_dwordx4 v[8:9], v[24:27], off
	global_store_dwordx4 v[8:9], v[32:35], off offset:1024
	global_store_dwordx4 v[8:9], v[36:39], off offset:2048
	;; [unrolled: 1-line block ×3, first 2 shown]
.LBB30_3110:                            ;   in Loop: Header=BB30_2950 Depth=3
	s_or_b64 exec, exec, s[22:23]
	v_lshlrev_b32_e32 v20, 13, v5
	v_cmp_ne_u32_e32 vcc, v2, v20
                                        ; implicit-def: $vgpr5
                                        ; implicit-def: $vgpr8
                                        ; implicit-def: $vgpr6
	s_and_saveexec_b64 s[26:27], vcc
	s_cbranch_execz .LBB30_3126
; %bb.3111:                             ;   in Loop: Header=BB30_2950 Depth=3
	v_lshlrev_b32_e32 v5, 6, v7
	scratch_load_dword v7, off, s33 offset:312 ; 4-byte Folded Reload
	v_sub_u32_e32 v6, v2, v20
	v_ashrrev_i32_e32 v9, 31, v6
	v_lshrrev_b32_e32 v9, 22, v9
	v_add_u32_e32 v9, v6, v9
	v_and_b32_e32 v21, 0xfffffc00, v9
	v_sub_u32_e32 v23, v6, v21
	v_ashrrev_i32_e32 v11, 10, v9
	v_cmp_lt_i32_e32 vcc, 15, v23
	s_mov_b64 s[30:31], 0
	s_waitcnt vmcnt(0)
	v_and_b32_e32 v7, 63, v7
	v_sub_u32_e32 v5, v7, v5
	v_ashrrev_i32_e32 v7, 31, v5
	v_lshrrev_b32_e32 v7, 26, v7
	v_add_u32_e32 v7, v5, v7
	v_ashrrev_i32_e32 v8, 6, v7
	v_and_b32_e32 v7, 0xffffffc0, v7
	v_sub_u32_e32 v7, v5, v7
	v_lshlrev_b32_e32 v5, 4, v7
	v_lshl_add_u32 v5, v8, 10, v5
	v_add_u32_e32 v10, v5, v20
	v_sub_u32_e32 v5, v6, v5
	v_addc_co_u32_e64 v6, s[22:23], 0, v11, vcc
	v_ashrrev_i32_e32 v11, 31, v10
	v_sub_u32_e32 v22, v6, v8
	v_lshl_add_u64 v[16:17], v[10:11], 0, v[72:73]
	v_cmp_lt_i32_e64 s[22:23], 15, v5
                                        ; implicit-def: $vgpr8_vgpr9
	s_and_saveexec_b64 s[94:95], s[22:23]
	s_cbranch_execz .LBB30_3121
; %bb.3112:                             ;   in Loop: Header=BB30_2950 Depth=3
	v_lshl_add_u64 v[18:19], v[10:11], 0, v[62:63]
	s_mov_b64 s[36:37], 0
                                        ; implicit-def: $sgpr34_sgpr35
                                        ; implicit-def: $vgpr8_vgpr9
	s_branch .LBB30_3114
.LBB30_3113:                            ;   in Loop: Header=BB30_3114 Depth=4
	s_or_b64 exec, exec, s[22:23]
	v_cmp_gt_i32_e64 s[22:23], 16, v5
	s_or_b64 s[30:31], s[22:23], s[30:31]
	s_andn2_b64 s[8:9], s[34:35], exec
	s_and_b64 s[22:23], s[36:37], exec
	s_or_b64 s[34:35], s[8:9], s[22:23]
	s_andn2_b64 exec, exec, s[30:31]
	s_cbranch_execz .LBB30_3120
.LBB30_3114:                            ;   Parent Loop BB30_47 Depth=1
                                        ;     Parent Loop BB30_2947 Depth=2
                                        ;       Parent Loop BB30_2950 Depth=3
                                        ; =>      This Inner Loop Header: Depth=4
	global_load_dwordx4 v[12:15], v[18:19], off nt
	s_and_saveexec_b64 s[22:23], s[36:37]
	s_cbranch_execz .LBB30_3116
; %bb.3115:                             ;   in Loop: Header=BB30_3114 Depth=4
	scratch_load_dwordx2 v[24:25], off, s33 offset:264 ; 8-byte Folded Reload
	s_waitcnt vmcnt(0)
	v_lshl_add_u64 v[24:25], v[16:17], 0, v[24:25]
	global_store_dwordx4 v[16:17], v[8:11], off
	v_mov_b64_e32 v[16:17], v[24:25]
.LBB30_3116:                            ;   in Loop: Header=BB30_3114 Depth=4
	s_or_b64 exec, exec, s[22:23]
	scratch_load_dwordx2 v[24:25], off, s33 offset:264 ; 8-byte Folded Reload
	v_sub_u32_e32 v5, v5, v111
	v_cmp_lt_i32_e64 s[36:37], 15, v5
	s_waitcnt vmcnt(0)
	v_lshl_add_u64 v[18:19], v[18:19], 0, v[24:25]
	s_and_saveexec_b64 s[22:23], s[36:37]
	s_cbranch_execz .LBB30_3118
; %bb.3117:                             ;   in Loop: Header=BB30_3114 Depth=4
	global_load_dwordx4 v[8:11], v[18:19], off nt
	v_lshl_add_u64 v[18:19], v[18:19], 0, s[56:57]
.LBB30_3118:                            ;   in Loop: Header=BB30_3114 Depth=4
	s_or_b64 exec, exec, s[22:23]
	v_sub_u32_e32 v22, v22, v60
	global_store_dwordx4 v[16:17], v[12:15], off
	v_lshl_add_u64 v[16:17], v[16:17], 0, s[56:57]
	s_and_saveexec_b64 s[22:23], s[36:37]
	s_cbranch_execz .LBB30_3113
; %bb.3119:                             ;   in Loop: Header=BB30_3114 Depth=4
	v_sub_u32_e32 v22, v22, v60
	v_sub_u32_e32 v5, v5, v111
	v_lshl_add_u64 v[18:19], v[18:19], 0, v[90:91]
	v_lshl_add_u64 v[16:17], v[16:17], 0, v[90:91]
	s_branch .LBB30_3113
.LBB30_3120:                            ;   in Loop: Header=BB30_2950 Depth=3
	s_or_b64 exec, exec, s[30:31]
	s_and_b64 s[30:31], s[34:35], exec
.LBB30_3121:                            ;   in Loop: Header=BB30_2950 Depth=3
	s_or_b64 exec, exec, s[94:95]
	s_and_saveexec_b64 s[22:23], s[30:31]
	s_cbranch_execz .LBB30_3123
; %bb.3122:                             ;   in Loop: Header=BB30_2950 Depth=3
	s_waitcnt vmcnt(0)
	global_store_dwordx4 v[16:17], v[8:11], off
.LBB30_3123:                            ;   in Loop: Header=BB30_2950 Depth=3
	s_or_b64 exec, exec, s[22:23]
	s_waitcnt vmcnt(0)
	v_and_b32_e32 v9, 14, v2
	v_cndmask_b32_e32 v2, v23, v9, vcc
	v_cmp_ne_u32_e64 s[22:23], 0, v2
	s_mov_b64 s[30:31], s[24:25]
                                        ; implicit-def: $vgpr5
                                        ; implicit-def: $vgpr8
                                        ; implicit-def: $vgpr6
	s_and_saveexec_b64 s[94:95], s[22:23]
	s_cbranch_execz .LBB30_3125
; %bb.3124:                             ;   in Loop: Header=BB30_2950 Depth=3
	v_sub_u32_e32 v5, v23, v9
	v_cndmask_b32_e32 v5, 0, v5, vcc
	v_cmp_lt_i32_e32 vcc, 0, v22
	v_add3_u32 v5, v21, v20, v5
	s_or_b64 s[30:31], s[24:25], exec
	v_cndmask_b32_e32 v6, 0, v60, vcc
	v_sub_u32_e32 v6, v6, v22
	v_lshl_add_u32 v8, v6, 6, v7
	v_ashrrev_i32_e32 v6, 31, v8
	v_lshrrev_b32_e32 v6, 26, v6
	v_add_u32_e32 v6, v8, v6
	v_and_b32_e32 v6, 0xffffffc0, v6
	v_sub_u32_e32 v6, v8, v6
.LBB30_3125:                            ;   in Loop: Header=BB30_2950 Depth=3
	s_or_b64 exec, exec, s[94:95]
	s_andn2_b64 s[8:9], s[24:25], exec
	s_and_b64 s[22:23], s[30:31], exec
	s_or_b64 s[24:25], s[8:9], s[22:23]
.LBB30_3126:                            ;   in Loop: Header=BB30_2950 Depth=3
	s_or_b64 exec, exec, s[26:27]
	s_and_saveexec_b64 s[22:23], s[24:25]
	s_cbranch_execz .LBB30_3147
.LBB30_3127:                            ;   in Loop: Header=BB30_2950 Depth=3
	v_ashrrev_i32_e32 v7, 31, v8
	v_lshrrev_b32_e32 v7, 26, v7
	v_add_u32_e32 v7, v8, v7
	v_ashrrev_i32_e32 v8, 6, v7
	v_lshlrev_b32_e32 v7, 11, v8
	v_lshlrev_b32_e32 v9, 1, v6
	v_add3_u32 v10, v5, v9, v7
	v_ashrrev_i32_e32 v7, 31, v2
	v_lshrrev_b32_e32 v7, 21, v7
	v_add_u32_e32 v7, v2, v7
	v_ashrrev_i32_e32 v7, 11, v7
	v_sub_u32_e32 v12, v7, v8
	v_ashrrev_i32_e32 v11, 31, v10
	v_lshl_add_u64 v[8:9], v[72:73], 0, v[10:11]
	v_cmp_lt_i32_e32 vcc, 0, v12
	s_mov_b64 s[26:27], 0
                                        ; implicit-def: $vgpr14
                                        ; implicit-def: $vgpr15
                                        ; implicit-def: $vgpr16
                                        ; implicit-def: $vgpr17
                                        ; implicit-def: $vgpr18
                                        ; implicit-def: $vgpr19
                                        ; implicit-def: $vgpr20
                                        ; implicit-def: $vgpr21
                                        ; implicit-def: $vgpr22
                                        ; implicit-def: $vgpr23
                                        ; implicit-def: $vgpr24
                                        ; implicit-def: $vgpr25
                                        ; implicit-def: $vgpr26
                                        ; implicit-def: $vgpr27
                                        ; implicit-def: $vgpr29
                                        ; implicit-def: $vgpr30
	s_and_saveexec_b64 s[24:25], vcc
	s_cbranch_execz .LBB30_3135
; %bb.3128:                             ;   in Loop: Header=BB30_2950 Depth=3
	v_lshl_add_u64 v[10:11], v[10:11], 0, v[62:63]
	s_mov_b64 s[30:31], 0
                                        ; implicit-def: $sgpr94_sgpr95
                                        ; implicit-def: $vgpr14
                                        ; implicit-def: $vgpr15
                                        ; implicit-def: $vgpr16
                                        ; implicit-def: $vgpr17
                                        ; implicit-def: $vgpr18
                                        ; implicit-def: $vgpr19
                                        ; implicit-def: $vgpr20
                                        ; implicit-def: $vgpr21
                                        ; implicit-def: $vgpr22
                                        ; implicit-def: $vgpr23
                                        ; implicit-def: $vgpr24
                                        ; implicit-def: $vgpr25
                                        ; implicit-def: $vgpr26
                                        ; implicit-def: $vgpr27
                                        ; implicit-def: $vgpr29
                                        ; implicit-def: $vgpr30
	s_branch .LBB30_3130
.LBB30_3129:                            ;   in Loop: Header=BB30_3130 Depth=4
	s_or_b64 exec, exec, vcc
	s_waitcnt vmcnt(0) lgkmcnt(0)
	flat_store_short v[8:9], v32 nt
	flat_store_short v[8:9], v33 offset:128 nt
	flat_store_short v[8:9], v34 offset:256 nt
	;; [unrolled: 1-line block ×15, first 2 shown]
	v_lshl_add_u64 v[8:9], v[8:9], 0, v[12:13]
	v_lshl_add_u64 v[10:11], v[10:11], 0, v[12:13]
	v_sub_u32_e32 v12, v64, v65
	v_cmp_gt_i32_e32 vcc, 1, v12
	s_or_b64 s[26:27], vcc, s[26:27]
	s_andn2_b64 s[8:9], s[94:95], exec
	s_and_b64 s[94:95], s[30:31], exec
	v_lshl_add_u64 v[8:9], v[8:9], 0, s[58:59]
	s_or_b64 s[94:95], s[8:9], s[94:95]
	s_andn2_b64 exec, exec, s[26:27]
	s_cbranch_execz .LBB30_3134
.LBB30_3130:                            ;   Parent Loop BB30_47 Depth=1
                                        ;     Parent Loop BB30_2947 Depth=2
                                        ;       Parent Loop BB30_2950 Depth=3
                                        ; =>      This Inner Loop Header: Depth=4
	flat_load_ushort v32, v[10:11] nt
	flat_load_ushort v33, v[10:11] offset:128 nt
	flat_load_ushort v34, v[10:11] offset:256 nt
	;; [unrolled: 1-line block ×15, first 2 shown]
	s_and_saveexec_b64 vcc, s[30:31]
	s_cbranch_execz .LBB30_3132
; %bb.3131:                             ;   in Loop: Header=BB30_3130 Depth=4
	flat_store_short v[8:9], v14 nt
	flat_store_short v[8:9], v15 offset:128 nt
	flat_store_short v[8:9], v16 offset:256 nt
	;; [unrolled: 1-line block ×15, first 2 shown]
	v_lshl_add_u64 v[8:9], v[8:9], 0, v[104:105]
.LBB30_3132:                            ;   in Loop: Header=BB30_3130 Depth=4
	s_or_b64 exec, exec, vcc
	v_sub_u32_e32 v64, v12, v60
	v_lshl_add_u64 v[10:11], v[10:11], 0, v[104:105]
	v_mov_b32_e32 v65, 0
	v_cmp_lt_i32_e64 s[30:31], 0, v64
	v_mov_b64_e32 v[12:13], 0
	s_and_saveexec_b64 vcc, s[30:31]
	s_cbranch_execz .LBB30_3129
; %bb.3133:                             ;   in Loop: Header=BB30_3130 Depth=4
	flat_load_ushort v14, v[10:11] nt
	flat_load_ushort v15, v[10:11] offset:128 nt
	flat_load_ushort v16, v[10:11] offset:256 nt
	;; [unrolled: 1-line block ×15, first 2 shown]
	v_lshl_add_u64 v[10:11], v[10:11], 0, s[58:59]
	v_mov_b32_e32 v65, v60
	v_mov_b64_e32 v[12:13], v[76:77]
	s_branch .LBB30_3129
.LBB30_3134:                            ;   in Loop: Header=BB30_2950 Depth=3
	s_or_b64 exec, exec, s[26:27]
	s_and_b64 s[26:27], s[94:95], exec
.LBB30_3135:                            ;   in Loop: Header=BB30_2950 Depth=3
	s_or_b64 exec, exec, s[24:25]
	s_and_saveexec_b64 s[24:25], s[26:27]
	s_cbranch_execz .LBB30_3137
; %bb.3136:                             ;   in Loop: Header=BB30_2950 Depth=3
	flat_store_short v[8:9], v14 nt
	flat_store_short v[8:9], v15 offset:128 nt
	flat_store_short v[8:9], v16 offset:256 nt
	flat_store_short v[8:9], v17 offset:384 nt
	flat_store_short v[8:9], v18 offset:512 nt
	flat_store_short v[8:9], v19 offset:640 nt
	flat_store_short v[8:9], v20 offset:768 nt
	flat_store_short v[8:9], v21 offset:896 nt
	flat_store_short v[8:9], v22 offset:1024 nt
	flat_store_short v[8:9], v23 offset:1152 nt
	flat_store_short v[8:9], v24 offset:1280 nt
	flat_store_short v[8:9], v25 offset:1408 nt
	flat_store_short v[8:9], v26 offset:1536 nt
	flat_store_short v[8:9], v27 offset:1664 nt
	flat_store_short v[8:9], v29 offset:1792 nt
	flat_store_short v[8:9], v30 offset:1920 nt
.LBB30_3137:                            ;   in Loop: Header=BB30_2950 Depth=3
	s_or_b64 exec, exec, s[24:25]
	v_lshlrev_b32_e32 v7, 11, v7
	v_cmp_ne_u32_e32 vcc, v2, v7
	s_and_b64 exec, exec, vcc
	s_cbranch_execz .LBB30_3147
; %bb.3138:                             ;   in Loop: Header=BB30_2950 Depth=3
	v_lshlrev_b32_e32 v8, 6, v12
	v_sub_u32_e32 v6, v6, v8
	v_ashrrev_i32_e32 v8, 31, v6
	v_lshrrev_b32_e32 v8, 26, v8
	v_add_u32_e32 v8, v6, v8
	v_and_b32_e32 v9, 0x7fffffc0, v8
	v_sub_u32_e32 v6, v6, v9
	v_lshlrev_b32_e32 v8, 1, v8
	v_and_b32_e32 v8, 0xffffff80, v8
	v_lshlrev_b32_e32 v6, 1, v6
	v_add3_u32 v7, v8, v6, v7
	v_sub_u32_e32 v6, v2, v7
	v_cmp_lt_i32_e32 vcc, 1, v6
	s_and_b64 exec, exec, vcc
	s_cbranch_execz .LBB30_3147
; %bb.3139:                             ;   in Loop: Header=BB30_2950 Depth=3
	v_add_u32_e32 v10, v7, v5
	v_ashrrev_i32_e32 v11, 31, v10
	v_lshl_add_u64 v[8:9], v[72:73], 0, v[10:11]
	v_lshl_add_u64 v[10:11], v[10:11], 0, v[62:63]
	s_mov_b64 s[94:95], 0
	s_mov_b64 s[24:25], 0
                                        ; implicit-def: $sgpr26_sgpr27
                                        ; implicit-def: $vgpr2
	s_branch .LBB30_3141
.LBB30_3140:                            ;   in Loop: Header=BB30_3141 Depth=4
	s_or_b64 exec, exec, vcc
	v_sub_u32_e32 v6, v6, v7
	v_cmp_gt_i32_e32 vcc, 2, v6
	s_or_b64 s[24:25], vcc, s[24:25]
	s_waitcnt lgkmcnt(0)
	flat_store_short v[8:9], v5 nt
	v_lshl_add_u64 v[8:9], v[8:9], 0, v[12:13]
	s_andn2_b64 s[8:9], s[26:27], exec
	s_and_b64 s[26:27], s[94:95], exec
	v_lshl_add_u64 v[10:11], v[10:11], 0, v[12:13]
	v_lshl_add_u64 v[8:9], v[8:9], 0, s[60:61]
	s_or_b64 s[26:27], s[8:9], s[26:27]
	s_andn2_b64 exec, exec, s[24:25]
	s_cbranch_execz .LBB30_3145
.LBB30_3141:                            ;   Parent Loop BB30_47 Depth=1
                                        ;     Parent Loop BB30_2947 Depth=2
                                        ;       Parent Loop BB30_2950 Depth=3
                                        ; =>      This Inner Loop Header: Depth=4
	flat_load_ushort v5, v[10:11] nt
	s_and_saveexec_b64 vcc, s[94:95]
	s_cbranch_execz .LBB30_3143
; %bb.3142:                             ;   in Loop: Header=BB30_3141 Depth=4
	scratch_load_dwordx2 v[12:13], off, s33 offset:256 ; 8-byte Folded Reload
	s_waitcnt vmcnt(0)
	v_lshl_add_u64 v[12:13], v[8:9], 0, v[12:13]
	flat_store_short v[8:9], v2 nt
	v_mov_b64_e32 v[8:9], v[12:13]
.LBB30_3143:                            ;   in Loop: Header=BB30_3141 Depth=4
	s_or_b64 exec, exec, vcc
	scratch_load_dwordx2 v[12:13], off, s33 offset:256 ; 8-byte Folded Reload
	v_sub_u32_e32 v6, v6, v31
	v_cmp_lt_i32_e64 s[94:95], 1, v6
	v_mov_b32_e32 v7, 0
	s_waitcnt vmcnt(0)
	v_lshl_add_u64 v[10:11], v[10:11], 0, v[12:13]
	v_mov_b64_e32 v[12:13], 0
	s_and_saveexec_b64 vcc, s[94:95]
	s_cbranch_execz .LBB30_3140
; %bb.3144:                             ;   in Loop: Header=BB30_3141 Depth=4
	flat_load_ushort v2, v[10:11] nt
	v_lshl_add_u64 v[10:11], v[10:11], 0, s[60:61]
	v_mov_b32_e32 v7, v31
	v_mov_b64_e32 v[12:13], v[92:93]
	s_branch .LBB30_3140
.LBB30_3145:                            ;   in Loop: Header=BB30_2950 Depth=3
	s_or_b64 exec, exec, s[24:25]
	s_and_b64 exec, exec, s[26:27]
	s_cbranch_execz .LBB30_3147
; %bb.3146:                             ;   in Loop: Header=BB30_2950 Depth=3
	s_waitcnt vmcnt(0)
	flat_store_short v[8:9], v2 nt
.LBB30_3147:                            ;   in Loop: Header=BB30_2950 Depth=3
	s_or_b64 exec, exec, s[22:23]
	v_cmp_lt_i32_e64 s[22:23], 0, v1
	s_and_saveexec_b64 s[24:25], s[4:5]
	s_cbranch_execz .LBB30_3033
.LBB30_3148:                            ;   in Loop: Header=BB30_2950 Depth=3
	s_and_saveexec_b64 s[8:9], s[44:45]
	s_xor_b64 s[26:27], exec, s[8:9]
	s_cbranch_execz .LBB30_3163
; %bb.3149:                             ;   in Loop: Header=BB30_2950 Depth=3
	s_and_saveexec_b64 s[94:95], s[12:13]
	s_cbranch_execz .LBB30_3162
; %bb.3150:                             ;   in Loop: Header=BB30_2950 Depth=3
	s_mov_b64 s[34:35], exec
	v_mbcnt_lo_u32_b32 v1, s34, 0
	v_mbcnt_hi_u32_b32 v1, s35, v1
	v_cmp_eq_u32_e32 vcc, 0, v1
	s_waitcnt lgkmcnt(0)
	s_and_saveexec_b64 s[30:31], vcc
	s_cbranch_execz .LBB30_3152
; %bb.3151:                             ;   in Loop: Header=BB30_2950 Depth=3
	s_bcnt1_i32_b64 s8, s[34:35]
	s_waitcnt vmcnt(0)
	v_mov_b32_e32 v2, s8
	ds_add_u64 v0, v[2:3]
	s_trap 2
.LBB30_3152:                            ;   in Loop: Header=BB30_2950 Depth=3
	s_or_b64 exec, exec, s[30:31]
	s_trap 2
	ds_read_b64 v[6:7], v0
	s_waitcnt lgkmcnt(0)
	v_lshl_add_u64 v[46:47], v[46:47], 0, v[60:61]
	v_cmp_lt_u64_e32 vcc, v[6:7], v[46:47]
	s_and_saveexec_b64 s[30:31], vcc
	s_cbranch_execz .LBB30_3161
; %bb.3153:                             ;   in Loop: Header=BB30_2950 Depth=3
	s_mov_b32 s8, 0
	s_mov_b64 s[34:35], 0
                                        ; implicit-def: $sgpr36_sgpr37
                                        ; implicit-def: $sgpr38_sgpr39
	s_branch .LBB30_3155
.LBB30_3154:                            ;   in Loop: Header=BB30_3155 Depth=4
	s_or_b64 exec, exec, s[50:51]
	s_and_b64 vcc, exec, vcc
	s_or_b64 s[34:35], vcc, s[34:35]
	s_andn2_b64 vcc, s[36:37], exec
	s_and_b64 s[36:37], s[38:39], exec
	s_or_b64 s[36:37], vcc, s[36:37]
	s_andn2_b64 exec, exec, s[34:35]
	s_cbranch_execz .LBB30_3159
.LBB30_3155:                            ;   Parent Loop BB30_47 Depth=1
                                        ;     Parent Loop BB30_2947 Depth=2
                                        ;       Parent Loop BB30_2950 Depth=3
                                        ; =>      This Inner Loop Header: Depth=4
	s_add_i32 s8, s8, 1
	s_cmpk_lg_i32 s8, 0x2710
	s_cselect_b64 s[48:49], -1, 0
	s_and_b64 vcc, exec, s[48:49]
	s_cbranch_vccz .LBB30_3157
; %bb.3156:                             ;   in Loop: Header=BB30_3155 Depth=4
	s_mov_b64 vcc, -1
	s_or_b64 s[38:39], s[38:39], exec
	s_and_saveexec_b64 s[50:51], s[48:49]
	s_cbranch_execz .LBB30_3154
	s_branch .LBB30_3158
.LBB30_3157:                            ;   in Loop: Header=BB30_3155 Depth=4
	s_trap 2
	ds_read_b64 v[6:7], v0
	s_andn2_b64 s[48:49], s[48:49], exec
	s_mov_b32 s8, 0
	s_waitcnt vmcnt(0) lgkmcnt(0)
	flat_load_dword v1, v[6:7] sc0 sc1
	s_waitcnt vmcnt(0) lgkmcnt(0)
	buffer_inv sc0 sc1
	v_cmp_eq_u32_e32 vcc, 0, v1
	s_and_b64 vcc, vcc, exec
	s_or_b64 s[48:49], s[48:49], vcc
	s_mov_b64 vcc, -1
	s_or_b64 s[38:39], s[38:39], exec
	s_and_saveexec_b64 s[50:51], s[48:49]
	s_cbranch_execz .LBB30_3154
.LBB30_3158:                            ;   in Loop: Header=BB30_3155 Depth=4
	s_sleep 1
	s_trap 2
	ds_read_b64 v[6:7], v0
	s_waitcnt lgkmcnt(0)
	s_andn2_b64 s[38:39], s[38:39], exec
	v_cmp_ge_u64_e32 vcc, v[6:7], v[46:47]
	s_orn2_b64 vcc, vcc, exec
	s_branch .LBB30_3154
.LBB30_3159:                            ;   in Loop: Header=BB30_2950 Depth=3
	s_or_b64 exec, exec, s[34:35]
	s_and_saveexec_b64 s[8:9], s[36:37]
	s_xor_b64 s[8:9], exec, s[8:9]
	s_cbranch_execz .LBB30_3161
; %bb.3160:                             ;   in Loop: Header=BB30_2950 Depth=3
	v_mov_b32_e32 v1, 1
	ds_write_b32 v0, v1
	s_trap 2
.LBB30_3161:                            ;   in Loop: Header=BB30_2950 Depth=3
	s_or_b64 exec, exec, s[30:31]
	;;#ASMSTART
	s_wakeup
	;;#ASMEND
.LBB30_3162:                            ;   in Loop: Header=BB30_2950 Depth=3
	s_or_b64 exec, exec, s[94:95]
.LBB30_3163:                            ;   in Loop: Header=BB30_2950 Depth=3
	s_andn2_saveexec_b64 s[26:27], s[26:27]
	s_cbranch_execz .LBB30_3165
; %bb.3164:                             ;   in Loop: Header=BB30_2950 Depth=3
	s_waitcnt lgkmcnt(0)
	s_barrier
.LBB30_3165:                            ;   in Loop: Header=BB30_2950 Depth=3
	s_or_b64 exec, exec, s[26:27]
	s_or_b64 exec, exec, s[24:25]
                                        ; implicit-def: $vgpr1
	s_and_saveexec_b64 s[8:9], s[20:21]
	s_xor_b64 s[24:25], exec, s[8:9]
	s_cbranch_execnz .LBB30_3034
.LBB30_3166:                            ;   in Loop: Header=BB30_2950 Depth=3
	s_andn2_saveexec_b64 s[22:23], s[24:25]
	s_cbranch_execz .LBB30_3185
.LBB30_3167:                            ;   in Loop: Header=BB30_2950 Depth=3
	s_and_saveexec_b64 s[8:9], s[44:45]
	s_xor_b64 s[24:25], exec, s[8:9]
	s_cbranch_execz .LBB30_3182
; %bb.3168:                             ;   in Loop: Header=BB30_2950 Depth=3
	s_and_saveexec_b64 s[26:27], s[12:13]
	s_cbranch_execz .LBB30_3181
; %bb.3169:                             ;   in Loop: Header=BB30_2950 Depth=3
	s_mov_b64 s[30:31], exec
	v_mbcnt_lo_u32_b32 v1, s30, 0
	v_mbcnt_hi_u32_b32 v1, s31, v1
	v_cmp_eq_u32_e32 vcc, 0, v1
	;;#ASMSTART
	s_waitcnt lgkmcnt(0) vmcnt(0)
	;;#ASMEND
	s_and_saveexec_b64 s[94:95], vcc
	s_cbranch_execz .LBB30_3171
; %bb.3170:                             ;   in Loop: Header=BB30_2950 Depth=3
	s_bcnt1_i32_b64 s8, s[30:31]
	s_waitcnt vmcnt(0)
	v_mov_b32_e32 v2, s8
	s_waitcnt lgkmcnt(0)
	ds_add_u64 v0, v[2:3]
	s_trap 2
.LBB30_3171:                            ;   in Loop: Header=BB30_2950 Depth=3
	s_or_b64 exec, exec, s[94:95]
	s_trap 2
	ds_read_b64 v[6:7], v0
	s_waitcnt lgkmcnt(0)
	v_lshl_add_u64 v[46:47], v[46:47], 0, v[60:61]
	v_cmp_lt_u64_e32 vcc, v[6:7], v[46:47]
	s_and_saveexec_b64 s[94:95], vcc
	s_cbranch_execz .LBB30_3180
; %bb.3172:                             ;   in Loop: Header=BB30_2950 Depth=3
	s_mov_b32 s8, 0
	s_mov_b64 s[30:31], 0
                                        ; implicit-def: $sgpr34_sgpr35
                                        ; implicit-def: $sgpr36_sgpr37
	s_branch .LBB30_3174
.LBB30_3173:                            ;   in Loop: Header=BB30_3174 Depth=4
	s_or_b64 exec, exec, s[48:49]
	s_and_b64 vcc, exec, vcc
	s_or_b64 s[30:31], vcc, s[30:31]
	s_andn2_b64 vcc, s[34:35], exec
	s_and_b64 s[34:35], s[36:37], exec
	s_or_b64 s[34:35], vcc, s[34:35]
	s_andn2_b64 exec, exec, s[30:31]
	s_cbranch_execz .LBB30_3178
.LBB30_3174:                            ;   Parent Loop BB30_47 Depth=1
                                        ;     Parent Loop BB30_2947 Depth=2
                                        ;       Parent Loop BB30_2950 Depth=3
                                        ; =>      This Inner Loop Header: Depth=4
	s_add_i32 s8, s8, 1
	s_cmpk_lg_i32 s8, 0x2710
	s_cselect_b64 s[38:39], -1, 0
	s_and_b64 vcc, exec, s[38:39]
	s_cbranch_vccz .LBB30_3176
; %bb.3175:                             ;   in Loop: Header=BB30_3174 Depth=4
	s_mov_b64 vcc, -1
	s_or_b64 s[36:37], s[36:37], exec
	s_and_saveexec_b64 s[48:49], s[38:39]
	s_cbranch_execz .LBB30_3173
	s_branch .LBB30_3177
.LBB30_3176:                            ;   in Loop: Header=BB30_3174 Depth=4
	s_trap 2
	ds_read_b64 v[6:7], v0
	s_andn2_b64 s[38:39], s[38:39], exec
	s_mov_b32 s8, 0
	s_waitcnt vmcnt(0) lgkmcnt(0)
	flat_load_dword v1, v[6:7] sc0 sc1
	s_waitcnt vmcnt(0) lgkmcnt(0)
	buffer_inv sc0 sc1
	v_cmp_eq_u32_e32 vcc, 0, v1
	s_and_b64 vcc, vcc, exec
	s_or_b64 s[38:39], s[38:39], vcc
	s_mov_b64 vcc, -1
	s_or_b64 s[36:37], s[36:37], exec
	s_and_saveexec_b64 s[48:49], s[38:39]
	s_cbranch_execz .LBB30_3173
.LBB30_3177:                            ;   in Loop: Header=BB30_3174 Depth=4
	s_sleep 1
	s_trap 2
	ds_read_b64 v[6:7], v0
	s_waitcnt lgkmcnt(0)
	s_andn2_b64 s[36:37], s[36:37], exec
	v_cmp_ge_u64_e32 vcc, v[6:7], v[46:47]
	s_orn2_b64 vcc, vcc, exec
	s_branch .LBB30_3173
.LBB30_3178:                            ;   in Loop: Header=BB30_2950 Depth=3
	s_or_b64 exec, exec, s[30:31]
	s_and_saveexec_b64 s[8:9], s[34:35]
	s_xor_b64 s[8:9], exec, s[8:9]
	s_cbranch_execz .LBB30_3180
; %bb.3179:                             ;   in Loop: Header=BB30_2950 Depth=3
	v_mov_b32_e32 v1, 1
	ds_write_b32 v0, v1
	s_trap 2
.LBB30_3180:                            ;   in Loop: Header=BB30_2950 Depth=3
	s_or_b64 exec, exec, s[94:95]
	;;#ASMSTART
	s_wakeup
	;;#ASMEND
.LBB30_3181:                            ;   in Loop: Header=BB30_2950 Depth=3
	s_or_b64 exec, exec, s[26:27]
.LBB30_3182:                            ;   in Loop: Header=BB30_2950 Depth=3
	s_andn2_saveexec_b64 s[24:25], s[24:25]
	s_cbranch_execz .LBB30_3184
; %bb.3183:                             ;   in Loop: Header=BB30_2950 Depth=3
	;;#ASMSTART
	s_waitcnt lgkmcnt(0) vmcnt(0)
	;;#ASMEND
	s_barrier
.LBB30_3184:                            ;   in Loop: Header=BB30_2950 Depth=3
	s_or_b64 exec, exec, s[24:25]
	v_and_b32_e32 v1, 16, v110
.LBB30_3185:                            ;   in Loop: Header=BB30_2950 Depth=3
	s_or_b64 exec, exec, s[22:23]
	v_cmp_ne_u32_e32 vcc, 0, v1
	s_xor_b64 s[8:9], s[6:7], -1
	s_and_b64 s[8:9], vcc, s[8:9]
	s_and_saveexec_b64 s[22:23], s[8:9]
	s_cbranch_execz .LBB30_3187
; %bb.3186:                             ;   in Loop: Header=BB30_2950 Depth=3
	scratch_load_dwordx2 v[6:7], off, s33 offset:304 ; 8-byte Folded Reload
	v_mov_b32_e32 v1, 1
	s_waitcnt vmcnt(0)
	flat_store_dword v[6:7], v1 sc0 sc1
.LBB30_3187:                            ;   in Loop: Header=BB30_2950 Depth=3
	s_or_b64 exec, exec, s[22:23]
	v_and_b32_e32 v1, 48, v110
	v_cmp_ne_u32_e32 vcc, 0, v1
	s_and_saveexec_b64 s[22:23], vcc
	s_cbranch_execz .LBB30_2949
; %bb.3188:                             ;   in Loop: Header=BB30_2950 Depth=3
	v_lshl_add_u64 v[124:125], v[124:125], 0, 2
	flat_store_dwordx2 v[40:41], v[124:125] sc0 sc1
	s_branch .LBB30_2949
.LBB30_3189:                            ;   in Loop: Header=BB30_2947 Depth=2
	s_or_b64 exec, exec, s[90:91]
.LBB30_3190:                            ;   in Loop: Header=BB30_2947 Depth=2
	s_or_b64 exec, exec, s[28:29]
	v_cmp_gt_i32_e32 vcc, 2, v1
	s_and_saveexec_b64 s[24:25], vcc
	s_cbranch_execz .LBB30_3266
; %bb.3191:                             ;   in Loop: Header=BB30_2947 Depth=2
	v_cmp_eq_u32_e64 s[28:29], 0, v1
	s_mov_b64 s[26:27], 0
	s_branch .LBB30_3193
.LBB30_3192:                            ;   in Loop: Header=BB30_3193 Depth=3
	s_or_b64 exec, exec, s[22:23]
	v_add_u32_e32 v28, v4, v28
	s_mov_b64 s[28:29], 0
	s_andn2_b64 exec, exec, s[26:27]
	s_cbranch_execz .LBB30_3265
.LBB30_3193:                            ;   Parent Loop BB30_47 Depth=1
                                        ;     Parent Loop BB30_2947 Depth=2
                                        ; =>    This Loop Header: Depth=3
                                        ;         Child Loop BB30_3199 Depth 4
                                        ;         Child Loop BB30_3227 Depth 4
	;; [unrolled: 1-line block ×3, first 2 shown]
	v_sub_u32_e32 v1, v0, v28
	v_min_i32_e32 v4, v4, v1
	v_and_b32_e32 v1, 12, v110
	v_cmp_ne_u32_e32 vcc, 0, v1
	s_and_saveexec_b64 s[90:91], vcc
	s_cbranch_execz .LBB30_3219
; %bb.3194:                             ;   in Loop: Header=BB30_3193 Depth=3
	s_waitcnt vmcnt(0)
	v_and_b32_e32 v2, 8, v110
	s_waitcnt lgkmcnt(0)
	v_lshl_add_u64 v[6:7], v[56:57], 0, v[2:3]
	v_lshl_add_u64 v[8:9], v[124:125], 0, 2
	v_cmp_lt_u64_e32 vcc, v[6:7], v[8:9]
	s_and_saveexec_b64 s[92:93], vcc
	s_cbranch_execz .LBB30_3206
; %bb.3195:                             ;   in Loop: Header=BB30_3193 Depth=3
	v_and_b32_e32 v1, 64, v110
	s_mov_b32 s8, 0
	v_cmp_eq_u32_e32 vcc, 0, v1
	s_mov_b64 s[94:95], 0
                                        ; implicit-def: $sgpr30_sgpr31
                                        ; implicit-def: $sgpr34_sgpr35
                                        ; implicit-def: $sgpr36_sgpr37
	s_branch .LBB30_3199
.LBB30_3196:                            ;   in Loop: Header=BB30_3199 Depth=4
	s_waitcnt vmcnt(0) lgkmcnt(0)
	v_lshl_add_u64 v[6:7], v[56:57], 0, v[2:3]
	v_cmp_ge_u64_e64 s[22:23], v[6:7], v[8:9]
	s_or_b64 s[50:51], s[50:51], exec
	s_orn2_b64 s[48:49], s[22:23], exec
.LBB30_3197:                            ;   in Loop: Header=BB30_3199 Depth=4
	s_or_b64 exec, exec, s[54:55]
	s_andn2_b64 s[22:23], s[36:37], exec
	s_and_b64 s[36:37], s[50:51], exec
	s_or_b64 s[36:37], s[22:23], s[36:37]
	s_andn2_b64 s[22:23], s[34:35], exec
	s_and_b64 s[34:35], s[48:49], exec
	s_or_b64 s[34:35], s[22:23], s[34:35]
.LBB30_3198:                            ;   in Loop: Header=BB30_3199 Depth=4
	s_or_b64 exec, exec, s[38:39]
	s_and_b64 s[22:23], exec, s[34:35]
	s_or_b64 s[94:95], s[22:23], s[94:95]
	s_andn2_b64 s[22:23], s[30:31], exec
	s_and_b64 s[30:31], s[36:37], exec
	s_or_b64 s[30:31], s[22:23], s[30:31]
	s_andn2_b64 exec, exec, s[94:95]
	s_cbranch_execz .LBB30_3203
.LBB30_3199:                            ;   Parent Loop BB30_47 Depth=1
                                        ;     Parent Loop BB30_2947 Depth=2
                                        ;       Parent Loop BB30_3193 Depth=3
                                        ; =>      This Inner Loop Header: Depth=4
	s_sleep 1
	s_waitcnt vmcnt(0) lgkmcnt(0)
	flat_load_dwordx2 v[56:57], v[40:41] sc0 sc1
	s_or_b64 s[36:37], s[36:37], exec
	s_or_b64 s[34:35], s[34:35], exec
                                        ; implicit-def: $vgpr1
	s_and_saveexec_b64 s[38:39], vcc
	s_cbranch_execz .LBB30_3198
; %bb.3200:                             ;   in Loop: Header=BB30_3199 Depth=4
	s_cmpk_lt_i32 s8, 0x270f
	s_cselect_b64 s[52:53], -1, 0
	s_cmpk_gt_i32 s8, 0x270e
	s_mov_b64 s[48:49], -1
	s_cbranch_scc0 .LBB30_3202
; %bb.3201:                             ;   in Loop: Header=BB30_3199 Depth=4
	s_trap 2
	ds_read_b64 v[6:7], v0
	s_andn2_b64 s[52:53], s[52:53], exec
	s_mov_b32 s8, 0
	s_mov_b64 s[50:51], 0
	s_waitcnt vmcnt(0) lgkmcnt(0)
	flat_load_dword v1, v[6:7] sc0 sc1
	s_waitcnt vmcnt(0) lgkmcnt(0)
	buffer_inv sc0 sc1
	v_cmp_eq_u32_e64 s[22:23], 0, v1
	s_and_b64 s[22:23], s[22:23], exec
	s_or_b64 s[52:53], s[52:53], s[22:23]
	s_and_saveexec_b64 s[54:55], s[52:53]
	s_cbranch_execz .LBB30_3197
	s_branch .LBB30_3196
.LBB30_3202:                            ;   in Loop: Header=BB30_3199 Depth=4
	s_add_i32 s8, s8, 1
	s_mov_b64 s[50:51], -1
                                        ; implicit-def: $vgpr1
	s_and_saveexec_b64 s[54:55], s[52:53]
	s_cbranch_execz .LBB30_3197
	s_branch .LBB30_3196
.LBB30_3203:                            ;   in Loop: Header=BB30_3193 Depth=3
	s_or_b64 exec, exec, s[94:95]
	s_xor_b64 s[8:9], s[30:31], -1
	s_and_saveexec_b64 s[22:23], s[8:9]
	s_xor_b64 s[22:23], exec, s[22:23]
	s_cbranch_execz .LBB30_3205
; %bb.3204:                             ;   in Loop: Header=BB30_3193 Depth=3
	v_or_b32_e32 v110, 64, v110
	s_waitcnt lgkmcnt(0)
	ds_write_b32 v0, v1
	s_trap 2
.LBB30_3205:                            ;   in Loop: Header=BB30_3193 Depth=3
	s_or_b64 exec, exec, s[22:23]
.LBB30_3206:                            ;   in Loop: Header=BB30_3193 Depth=3
	s_or_b64 exec, exec, s[92:93]
	v_and_b32_e32 v1, 0x108, v110
	v_cmp_ne_u32_e32 vcc, s42, v1
	;;#ASMSTART
	s_wakeup
	;;#ASMEND
                                        ; implicit-def: $vgpr10_vgpr11
	s_and_saveexec_b64 s[8:9], vcc
	s_xor_b64 s[22:23], exec, s[8:9]
; %bb.3207:                             ;   in Loop: Header=BB30_3193 Depth=3
	v_and_b32_e32 v10, 7, v124
	v_mov_b32_e32 v11, v3
                                        ; implicit-def: $vgpr124_vgpr125
; %bb.3208:                             ;   in Loop: Header=BB30_3193 Depth=3
	s_andn2_saveexec_b64 s[22:23], s[22:23]
	s_cbranch_execz .LBB30_3210
; %bb.3209:                             ;   in Loop: Header=BB30_3193 Depth=3
	scratch_load_dwordx4 v[12:15], off, s33 offset:288 ; 16-byte Folded Reload
	v_and_b32_e32 v10, 7, v124
	v_ashrrev_i32_e32 v5, 31, v4
	v_mov_b32_e32 v11, v3
	s_waitcnt vmcnt(0)
	v_mad_u64_u32 v[6:7], s[8:9], v10, 24, v[12:13]
	v_lshlrev_b64 v[12:13], 1, v[4:5]
	flat_store_dwordx2 v[6:7], v[12:13] offset:8
.LBB30_3210:                            ;   in Loop: Header=BB30_3193 Depth=3
	s_or_b64 exec, exec, s[22:23]
	v_and_b32_e32 v1, 0x100, v110
	v_cmp_ne_u32_e32 vcc, 0, v1
	s_mov_b64 s[22:23], -1
                                        ; implicit-def: $vgpr12_vgpr13
	s_and_saveexec_b64 s[92:93], vcc
	s_cbranch_execz .LBB30_3214
; %bb.3211:                             ;   in Loop: Header=BB30_3193 Depth=3
	scratch_load_dwordx4 v[12:15], off, s33 offset:288 ; 16-byte Folded Reload
	s_waitcnt vmcnt(0)
	v_mad_u64_u32 v[14:15], s[8:9], v10, 24, v[12:13]
	v_mov_b32_e32 v6, v15
	v_mad_u64_u32 v[6:7], s[8:9], v11, 24, v[6:7]
	v_mov_b32_e32 v15, v6
	flat_load_dword v1, v[14:15]
                                        ; implicit-def: $vgpr12_vgpr13
	s_waitcnt vmcnt(0) lgkmcnt(0)
	v_cmp_ne_u32_e32 vcc, 1, v1
	v_cmp_eq_u32_e64 s[22:23], 1, v1
	s_and_saveexec_b64 s[94:95], s[22:23]
	s_cbranch_execz .LBB30_3213
; %bb.3212:                             ;   in Loop: Header=BB30_3193 Depth=3
	flat_load_dword v6, v[14:15] offset:4 sc0 sc1
	s_waitcnt vmcnt(0) lgkmcnt(0)
	v_ashrrev_i32_e32 v7, 31, v6
	v_lshrrev_b64 v[12:13], 1, v[6:7]
.LBB30_3213:                            ;   in Loop: Header=BB30_3193 Depth=3
	s_or_b64 exec, exec, s[94:95]
	s_orn2_b64 s[22:23], vcc, exec
.LBB30_3214:                            ;   in Loop: Header=BB30_3193 Depth=3
	s_or_b64 exec, exec, s[92:93]
	s_and_saveexec_b64 s[92:93], s[22:23]
	s_cbranch_execz .LBB30_3216
; %bb.3215:                             ;   in Loop: Header=BB30_3193 Depth=3
	scratch_load_dwordx2 v[6:7], off, s33 offset:316 ; 8-byte Folded Reload
	scratch_load_dwordx2 v[12:13], off, s33 offset:324 ; 8-byte Folded Reload
	s_waitcnt vmcnt(0)
	v_mul_lo_u32 v1, v11, v6
	v_mul_lo_u32 v5, v10, v13
	v_mad_u64_u32 v[12:13], s[8:9], v10, v6, 0
	v_add3_u32 v13, v13, v5, v1
.LBB30_3216:                            ;   in Loop: Header=BB30_3193 Depth=3
	s_or_b64 exec, exec, s[92:93]
	scratch_load_dwordx2 v[6:7], off, s33 offset:280 ; 8-byte Folded Reload
	v_cmp_eq_u32_e32 vcc, 0, v2
	v_mov_b32_e32 v1, 0xd0
	v_mov_b32_e32 v2, 0x88
	v_cndmask_b32_e32 v1, v1, v2, vcc
	v_add_u32_e32 v1, v0, v1
	s_waitcnt vmcnt(0)
	v_lshl_add_u64 v[6:7], v[12:13], 1, v[6:7]
	ds_write_b64 v1, v[6:7] offset:584
	v_and_b32_e32 v1, 0x2000, v110
	v_cmp_ne_u32_e32 vcc, 0, v1
	s_and_saveexec_b64 s[22:23], vcc
	s_cbranch_execz .LBB30_3218
; %bb.3217:                             ;   in Loop: Header=BB30_3193 Depth=3
	ds_read_b64 v[6:7], v0 offset:872
	s_waitcnt lgkmcnt(0)
	v_lshl_add_u64 v[6:7], v[6:7], 0, 1
	ds_write_b64 v0, v[6:7] offset:872
.LBB30_3218:                            ;   in Loop: Header=BB30_3193 Depth=3
	s_or_b64 exec, exec, s[22:23]
	v_mov_b64_e32 v[124:125], v[8:9]
.LBB30_3219:                            ;   in Loop: Header=BB30_3193 Depth=3
	s_or_b64 exec, exec, s[90:91]
	s_xor_b64 s[8:9], s[28:29], -1
	s_and_b64 s[8:9], exec, s[8:9]
	s_or_b64 s[26:27], s[8:9], s[26:27]
	s_and_saveexec_b64 s[22:23], s[4:5]
	s_cbranch_execz .LBB30_3238
; %bb.3220:                             ;   in Loop: Header=BB30_3193 Depth=3
	s_and_saveexec_b64 s[8:9], s[44:45]
	s_xor_b64 s[28:29], exec, s[8:9]
	s_cbranch_execz .LBB30_3235
; %bb.3221:                             ;   in Loop: Header=BB30_3193 Depth=3
	s_and_saveexec_b64 s[90:91], s[12:13]
	s_cbranch_execz .LBB30_3234
; %bb.3222:                             ;   in Loop: Header=BB30_3193 Depth=3
	s_mov_b64 s[94:95], exec
	v_mbcnt_lo_u32_b32 v1, s94, 0
	v_mbcnt_hi_u32_b32 v1, s95, v1
	v_cmp_eq_u32_e32 vcc, 0, v1
	s_waitcnt lgkmcnt(0)
	s_and_saveexec_b64 s[92:93], vcc
	s_cbranch_execz .LBB30_3224
; %bb.3223:                             ;   in Loop: Header=BB30_3193 Depth=3
	s_bcnt1_i32_b64 s8, s[94:95]
	s_waitcnt vmcnt(0)
	v_mov_b32_e32 v2, s8
	ds_add_u64 v0, v[2:3]
	s_trap 2
.LBB30_3224:                            ;   in Loop: Header=BB30_3193 Depth=3
	s_or_b64 exec, exec, s[92:93]
	s_trap 2
	ds_read_b64 v[6:7], v0
	s_waitcnt lgkmcnt(0)
	v_lshl_add_u64 v[46:47], v[46:47], 0, v[60:61]
	v_cmp_lt_u64_e32 vcc, v[6:7], v[46:47]
	s_and_saveexec_b64 s[92:93], vcc
	s_cbranch_execz .LBB30_3233
; %bb.3225:                             ;   in Loop: Header=BB30_3193 Depth=3
	s_mov_b32 s8, 0
	s_mov_b64 s[94:95], 0
                                        ; implicit-def: $sgpr30_sgpr31
                                        ; implicit-def: $sgpr34_sgpr35
	s_branch .LBB30_3227
.LBB30_3226:                            ;   in Loop: Header=BB30_3227 Depth=4
	s_or_b64 exec, exec, s[38:39]
	s_and_b64 vcc, exec, vcc
	s_or_b64 s[94:95], vcc, s[94:95]
	s_andn2_b64 vcc, s[30:31], exec
	s_and_b64 s[30:31], s[34:35], exec
	s_or_b64 s[30:31], vcc, s[30:31]
	s_andn2_b64 exec, exec, s[94:95]
	s_cbranch_execz .LBB30_3231
.LBB30_3227:                            ;   Parent Loop BB30_47 Depth=1
                                        ;     Parent Loop BB30_2947 Depth=2
                                        ;       Parent Loop BB30_3193 Depth=3
                                        ; =>      This Inner Loop Header: Depth=4
	s_add_i32 s8, s8, 1
	s_cmpk_lg_i32 s8, 0x2710
	s_cselect_b64 s[36:37], -1, 0
	s_and_b64 vcc, exec, s[36:37]
	s_cbranch_vccz .LBB30_3229
; %bb.3228:                             ;   in Loop: Header=BB30_3227 Depth=4
	s_mov_b64 vcc, -1
	s_or_b64 s[34:35], s[34:35], exec
	s_and_saveexec_b64 s[38:39], s[36:37]
	s_cbranch_execz .LBB30_3226
	s_branch .LBB30_3230
.LBB30_3229:                            ;   in Loop: Header=BB30_3227 Depth=4
	s_trap 2
	ds_read_b64 v[6:7], v0
	s_andn2_b64 s[36:37], s[36:37], exec
	s_mov_b32 s8, 0
	s_waitcnt vmcnt(0) lgkmcnt(0)
	flat_load_dword v1, v[6:7] sc0 sc1
	s_waitcnt vmcnt(0) lgkmcnt(0)
	buffer_inv sc0 sc1
	v_cmp_eq_u32_e32 vcc, 0, v1
	s_and_b64 vcc, vcc, exec
	s_or_b64 s[36:37], s[36:37], vcc
	s_mov_b64 vcc, -1
	s_or_b64 s[34:35], s[34:35], exec
	s_and_saveexec_b64 s[38:39], s[36:37]
	s_cbranch_execz .LBB30_3226
.LBB30_3230:                            ;   in Loop: Header=BB30_3227 Depth=4
	s_sleep 1
	s_trap 2
	ds_read_b64 v[6:7], v0
	s_waitcnt lgkmcnt(0)
	s_andn2_b64 s[34:35], s[34:35], exec
	v_cmp_ge_u64_e32 vcc, v[6:7], v[46:47]
	s_orn2_b64 vcc, vcc, exec
	s_branch .LBB30_3226
.LBB30_3231:                            ;   in Loop: Header=BB30_3193 Depth=3
	s_or_b64 exec, exec, s[94:95]
	s_and_saveexec_b64 s[8:9], s[30:31]
	s_xor_b64 s[8:9], exec, s[8:9]
	s_cbranch_execz .LBB30_3233
; %bb.3232:                             ;   in Loop: Header=BB30_3193 Depth=3
	v_mov_b32_e32 v1, 1
	ds_write_b32 v0, v1
	s_trap 2
.LBB30_3233:                            ;   in Loop: Header=BB30_3193 Depth=3
	s_or_b64 exec, exec, s[92:93]
	;;#ASMSTART
	s_wakeup
	;;#ASMEND
.LBB30_3234:                            ;   in Loop: Header=BB30_3193 Depth=3
	s_or_b64 exec, exec, s[90:91]
.LBB30_3235:                            ;   in Loop: Header=BB30_3193 Depth=3
	s_andn2_saveexec_b64 s[28:29], s[28:29]
	s_cbranch_execz .LBB30_3237
; %bb.3236:                             ;   in Loop: Header=BB30_3193 Depth=3
	s_waitcnt lgkmcnt(0)
	s_barrier
.LBB30_3237:                            ;   in Loop: Header=BB30_3193 Depth=3
	s_or_b64 exec, exec, s[28:29]
.LBB30_3238:                            ;   in Loop: Header=BB30_3193 Depth=3
	s_or_b64 exec, exec, s[22:23]
                                        ; implicit-def: $vgpr1
	s_and_saveexec_b64 s[8:9], s[20:21]
	s_xor_b64 s[22:23], exec, s[8:9]
	s_cbranch_execz .LBB30_3242
; %bb.3239:                             ;   in Loop: Header=BB30_3193 Depth=3
	s_trap 2
	s_waitcnt vmcnt(0)
	ds_read_b32 v2, v0
	v_cmp_lt_i32_e32 vcc, 0, v4
	v_and_b32_e32 v5, 16, v110
	v_and_b32_e32 v1, 16, v110
	s_waitcnt lgkmcnt(0)
	v_readfirstlane_b32 s8, v2
	s_cmp_eq_u32 s8, 0
	s_cselect_b64 s[8:9], -1, 0
	s_and_b64 s[8:9], vcc, s[8:9]
	v_cmp_ne_u32_e32 vcc, 0, v5
	s_and_b64 s[8:9], vcc, s[8:9]
	s_and_saveexec_b64 s[28:29], s[8:9]
	s_cbranch_execz .LBB30_3241
; %bb.3240:                             ;   in Loop: Header=BB30_3193 Depth=3
	v_mov_b32_e32 v1, 1
	buffer_wbl2 sc1
	buffer_inv sc1
.LBB30_3241:                            ;   in Loop: Header=BB30_3193 Depth=3
	s_or_b64 exec, exec, s[28:29]
	s_andn2_saveexec_b64 s[22:23], s[22:23]
	s_cbranch_execz .LBB30_3261
	s_branch .LBB30_3243
.LBB30_3242:                            ;   in Loop: Header=BB30_3193 Depth=3
	s_andn2_saveexec_b64 s[22:23], s[22:23]
	s_cbranch_execz .LBB30_3261
.LBB30_3243:                            ;   in Loop: Header=BB30_3193 Depth=3
	s_and_saveexec_b64 s[8:9], s[44:45]
	s_xor_b64 s[28:29], exec, s[8:9]
	s_cbranch_execz .LBB30_3258
; %bb.3244:                             ;   in Loop: Header=BB30_3193 Depth=3
	s_and_saveexec_b64 s[90:91], s[12:13]
	s_cbranch_execz .LBB30_3257
; %bb.3245:                             ;   in Loop: Header=BB30_3193 Depth=3
	s_mov_b64 s[94:95], exec
	v_mbcnt_lo_u32_b32 v1, s94, 0
	v_mbcnt_hi_u32_b32 v1, s95, v1
	v_cmp_eq_u32_e32 vcc, 0, v1
	;;#ASMSTART
	s_waitcnt lgkmcnt(0) vmcnt(0)
	;;#ASMEND
	s_and_saveexec_b64 s[92:93], vcc
	s_cbranch_execz .LBB30_3247
; %bb.3246:                             ;   in Loop: Header=BB30_3193 Depth=3
	s_bcnt1_i32_b64 s8, s[94:95]
	s_waitcnt vmcnt(0)
	v_mov_b32_e32 v2, s8
	s_waitcnt lgkmcnt(0)
	ds_add_u64 v0, v[2:3]
	s_trap 2
.LBB30_3247:                            ;   in Loop: Header=BB30_3193 Depth=3
	s_or_b64 exec, exec, s[92:93]
	s_trap 2
	ds_read_b64 v[6:7], v0
	s_waitcnt lgkmcnt(0)
	v_lshl_add_u64 v[46:47], v[46:47], 0, v[60:61]
	v_cmp_lt_u64_e32 vcc, v[6:7], v[46:47]
	s_and_saveexec_b64 s[92:93], vcc
	s_cbranch_execz .LBB30_3256
; %bb.3248:                             ;   in Loop: Header=BB30_3193 Depth=3
	s_mov_b32 s8, 0
	s_mov_b64 s[94:95], 0
                                        ; implicit-def: $sgpr30_sgpr31
                                        ; implicit-def: $sgpr34_sgpr35
	s_branch .LBB30_3250
.LBB30_3249:                            ;   in Loop: Header=BB30_3250 Depth=4
	s_or_b64 exec, exec, s[38:39]
	s_and_b64 vcc, exec, vcc
	s_or_b64 s[94:95], vcc, s[94:95]
	s_andn2_b64 vcc, s[30:31], exec
	s_and_b64 s[30:31], s[34:35], exec
	s_or_b64 s[30:31], vcc, s[30:31]
	s_andn2_b64 exec, exec, s[94:95]
	s_cbranch_execz .LBB30_3254
.LBB30_3250:                            ;   Parent Loop BB30_47 Depth=1
                                        ;     Parent Loop BB30_2947 Depth=2
                                        ;       Parent Loop BB30_3193 Depth=3
                                        ; =>      This Inner Loop Header: Depth=4
	s_add_i32 s8, s8, 1
	s_cmpk_lg_i32 s8, 0x2710
	s_cselect_b64 s[36:37], -1, 0
	s_and_b64 vcc, exec, s[36:37]
	s_cbranch_vccz .LBB30_3252
; %bb.3251:                             ;   in Loop: Header=BB30_3250 Depth=4
	s_mov_b64 vcc, -1
	s_or_b64 s[34:35], s[34:35], exec
	s_and_saveexec_b64 s[38:39], s[36:37]
	s_cbranch_execz .LBB30_3249
	s_branch .LBB30_3253
.LBB30_3252:                            ;   in Loop: Header=BB30_3250 Depth=4
	s_trap 2
	ds_read_b64 v[6:7], v0
	s_andn2_b64 s[36:37], s[36:37], exec
	s_mov_b32 s8, 0
	s_waitcnt vmcnt(0) lgkmcnt(0)
	flat_load_dword v1, v[6:7] sc0 sc1
	s_waitcnt vmcnt(0) lgkmcnt(0)
	buffer_inv sc0 sc1
	v_cmp_eq_u32_e32 vcc, 0, v1
	s_and_b64 vcc, vcc, exec
	s_or_b64 s[36:37], s[36:37], vcc
	s_mov_b64 vcc, -1
	s_or_b64 s[34:35], s[34:35], exec
	s_and_saveexec_b64 s[38:39], s[36:37]
	s_cbranch_execz .LBB30_3249
.LBB30_3253:                            ;   in Loop: Header=BB30_3250 Depth=4
	s_sleep 1
	s_trap 2
	ds_read_b64 v[6:7], v0
	s_waitcnt lgkmcnt(0)
	s_andn2_b64 s[34:35], s[34:35], exec
	v_cmp_ge_u64_e32 vcc, v[6:7], v[46:47]
	s_orn2_b64 vcc, vcc, exec
	s_branch .LBB30_3249
.LBB30_3254:                            ;   in Loop: Header=BB30_3193 Depth=3
	s_or_b64 exec, exec, s[94:95]
	s_and_saveexec_b64 s[8:9], s[30:31]
	s_xor_b64 s[8:9], exec, s[8:9]
	s_cbranch_execz .LBB30_3256
; %bb.3255:                             ;   in Loop: Header=BB30_3193 Depth=3
	v_mov_b32_e32 v1, 1
	ds_write_b32 v0, v1
	s_trap 2
.LBB30_3256:                            ;   in Loop: Header=BB30_3193 Depth=3
	s_or_b64 exec, exec, s[92:93]
	;;#ASMSTART
	s_wakeup
	;;#ASMEND
.LBB30_3257:                            ;   in Loop: Header=BB30_3193 Depth=3
	s_or_b64 exec, exec, s[90:91]
.LBB30_3258:                            ;   in Loop: Header=BB30_3193 Depth=3
	s_andn2_saveexec_b64 s[28:29], s[28:29]
	s_cbranch_execz .LBB30_3260
; %bb.3259:                             ;   in Loop: Header=BB30_3193 Depth=3
	;;#ASMSTART
	s_waitcnt lgkmcnt(0) vmcnt(0)
	;;#ASMEND
	s_barrier
.LBB30_3260:                            ;   in Loop: Header=BB30_3193 Depth=3
	s_or_b64 exec, exec, s[28:29]
	v_and_b32_e32 v1, 16, v110
.LBB30_3261:                            ;   in Loop: Header=BB30_3193 Depth=3
	s_or_b64 exec, exec, s[22:23]
	v_cmp_ne_u32_e32 vcc, 0, v1
	s_xor_b64 s[8:9], s[6:7], -1
	s_and_b64 s[8:9], vcc, s[8:9]
	s_and_saveexec_b64 s[22:23], s[8:9]
	s_cbranch_execz .LBB30_3263
; %bb.3262:                             ;   in Loop: Header=BB30_3193 Depth=3
	scratch_load_dwordx2 v[6:7], off, s33 offset:304 ; 8-byte Folded Reload
	v_mov_b32_e32 v1, 1
	s_waitcnt vmcnt(0)
	flat_store_dword v[6:7], v1 sc0 sc1
.LBB30_3263:                            ;   in Loop: Header=BB30_3193 Depth=3
	s_or_b64 exec, exec, s[22:23]
	v_and_b32_e32 v1, 48, v110
	v_cmp_ne_u32_e32 vcc, 0, v1
	s_and_saveexec_b64 s[22:23], vcc
	s_cbranch_execz .LBB30_3192
; %bb.3264:                             ;   in Loop: Header=BB30_3193 Depth=3
	v_lshl_add_u64 v[124:125], v[124:125], 0, 2
	flat_store_dwordx2 v[40:41], v[124:125] sc0 sc1
	s_branch .LBB30_3192
.LBB30_3265:                            ;   in Loop: Header=BB30_2947 Depth=2
	s_or_b64 exec, exec, s[26:27]
.LBB30_3266:                            ;   in Loop: Header=BB30_2947 Depth=2
	s_or_b64 exec, exec, s[24:25]
	scratch_load_dwordx2 v[12:13], off, s33 offset:404 ; 8-byte Folded Reload
	scratch_load_dwordx2 v[14:15], off, s33 offset:396 ; 8-byte Folded Reload
	s_add_i32 s8, s74, 1
	s_cmp_eq_u32 s74, s96
	s_cbranch_scc1 .LBB30_3268
; %bb.3267:                             ;   in Loop: Header=BB30_2947 Depth=2
	s_mov_b32 s74, s8
	s_branch .LBB30_2947
.LBB30_3268:                            ;   in Loop: Header=BB30_47 Depth=1
	scratch_load_dwordx2 v[4:5], off, s33 offset:388 ; 8-byte Folded Reload
	s_waitcnt vmcnt(0)
	v_mul_lo_u32 v0, v5, s86
	v_mul_lo_u32 v1, v4, s87
	v_mad_u64_u32 v[8:9], s[8:9], v4, s86, 0
	v_add3_u32 v9, v9, v1, v0
	scratch_load_dwordx2 v[0:1], off, s33 offset:380 ; 8-byte Folded Reload
	s_waitcnt vmcnt(0)
	v_sub_co_u32_e32 v0, vcc, v0, v8
	s_nop 1
	v_subb_co_u32_e32 v1, vcc, v1, v9, vcc
	v_cmp_lt_i64_e32 vcc, v[4:5], v[0:1]
	s_nop 1
	v_cndmask_b32_e32 v1, v0, v4, vcc
	v_max_i32_e32 v72, 0, v1
	v_add_u32_e32 v2, 31, v72
	v_ashrrev_i32_e32 v4, 31, v2
	v_lshrrev_b32_e32 v4, 27, v4
	v_add_u32_e32 v2, v2, v4
	v_ashrrev_i32_e32 v2, 5, v2
	v_lshlrev_b32_e32 v2, 4, v2
	v_cmp_lt_i32_e32 vcc, 0, v1
	v_mov_b32_e32 v0, 0
	v_max_i32_e32 v73, s71, v2
	s_and_b64 s[8:9], s[88:89], vcc
	v_mov_b32_e32 v4, 0
	s_and_saveexec_b64 s[24:25], s[8:9]
	s_cbranch_execz .LBB30_3437
; %bb.3269:                             ;   in Loop: Header=BB30_47 Depth=1
	scratch_load_dwordx2 v[0:1], off, s33 offset:340 ; 8-byte Folded Reload
	s_mov_b32 s74, 1
	s_mov_b64 s[28:29], -1
	v_mov_b32_e32 v4, 0
	s_mov_b64 s[26:27], 0
	s_waitcnt vmcnt(0)
	v_lshl_add_u64 v[0:1], v[8:9], 0, v[0:1]
	v_lshlrev_b64 v[28:29], 1, v[0:1]
	s_branch .LBB30_3271
.LBB30_3270:                            ;   in Loop: Header=BB30_3271 Depth=2
	s_or_b64 exec, exec, s[22:23]
	v_add_u32_e32 v4, v73, v4
	v_cmp_ge_i32_e32 vcc, v4, v72
	s_xor_b64 s[8:9], s[28:29], -1
	s_or_b64 s[8:9], s[8:9], vcc
	s_and_b64 s[8:9], exec, s[8:9]
	s_or_b64 s[26:27], s[8:9], s[26:27]
	s_mov_b64 s[28:29], 0
	v_mov_b32_e32 v0, s74
	s_mov_b32 s74, 2
	s_andn2_b64 exec, exec, s[26:27]
	s_cbranch_execz .LBB30_3436
.LBB30_3271:                            ;   Parent Loop BB30_47 Depth=1
                                        ; =>  This Loop Header: Depth=2
                                        ;       Child Loop BB30_3279 Depth 3
                                        ;       Child Loop BB30_3303 Depth 3
	;; [unrolled: 1-line block ×9, first 2 shown]
	s_and_saveexec_b64 s[22:23], s[0:1]
	s_cbranch_execz .LBB30_3273
; %bb.3272:                             ;   in Loop: Header=BB30_3271 Depth=2
	s_trap 2
	ds_read_b128 v[6:9], v0
	s_waitcnt vmcnt(0)
	v_ashrrev_i32_e32 v5, 31, v4
	v_lshlrev_b64 v[0:1], 1, v[4:5]
	s_waitcnt lgkmcnt(0)
	v_lshl_add_u64 v[6:7], v[6:7], 0, v[28:29]
	v_lshl_add_u64 v[10:11], v[8:9], 0, v[28:29]
	;; [unrolled: 1-line block ×3, first 2 shown]
	ds_write_b64 v0, v[6:7]
	v_lshl_add_u64 v[0:1], v[10:11], 0, v[0:1]
	v_cmp_ne_u64_e32 vcc, 0, v[8:9]
	s_nop 1
	v_cndmask_b32_e32 v1, 0, v1, vcc
	v_cndmask_b32_e32 v0, 0, v0, vcc
	ds_write_b64 v0, v[0:1]
.LBB30_3273:                            ;   in Loop: Header=BB30_3271 Depth=2
	s_or_b64 exec, exec, s[22:23]
	v_and_b32_e32 v0, 4, v110
	v_cmp_ne_u32_e32 vcc, 0, v0
	s_and_saveexec_b64 s[90:91], vcc
	s_cbranch_execz .LBB30_3295
; %bb.3274:                             ;   in Loop: Header=BB30_3271 Depth=2
	v_lshl_add_u64 v[0:1], v[124:125], 0, 2
	s_waitcnt lgkmcnt(0)
	v_cmp_lt_u64_e32 vcc, v[56:57], v[0:1]
	s_and_saveexec_b64 s[92:93], vcc
	s_cbranch_execz .LBB30_3286
; %bb.3275:                             ;   in Loop: Header=BB30_3271 Depth=2
	v_and_b32_e32 v2, 64, v110
	s_mov_b32 s8, 0
	v_cmp_eq_u32_e32 vcc, 0, v2
	s_mov_b64 s[94:95], 0
                                        ; implicit-def: $sgpr30_sgpr31
                                        ; implicit-def: $sgpr34_sgpr35
                                        ; implicit-def: $sgpr36_sgpr37
	s_branch .LBB30_3279
.LBB30_3276:                            ;   in Loop: Header=BB30_3279 Depth=3
	s_waitcnt vmcnt(0) lgkmcnt(0)
	v_cmp_ge_u64_e64 s[22:23], v[56:57], v[0:1]
	s_or_b64 s[50:51], s[50:51], exec
	s_orn2_b64 s[48:49], s[22:23], exec
.LBB30_3277:                            ;   in Loop: Header=BB30_3279 Depth=3
	s_or_b64 exec, exec, s[54:55]
	s_andn2_b64 s[22:23], s[36:37], exec
	s_and_b64 s[36:37], s[50:51], exec
	s_or_b64 s[36:37], s[22:23], s[36:37]
	s_andn2_b64 s[22:23], s[34:35], exec
	s_and_b64 s[34:35], s[48:49], exec
	s_or_b64 s[34:35], s[22:23], s[34:35]
.LBB30_3278:                            ;   in Loop: Header=BB30_3279 Depth=3
	s_or_b64 exec, exec, s[38:39]
	s_and_b64 s[22:23], exec, s[34:35]
	s_or_b64 s[94:95], s[22:23], s[94:95]
	s_andn2_b64 s[22:23], s[30:31], exec
	s_and_b64 s[30:31], s[36:37], exec
	s_or_b64 s[30:31], s[22:23], s[30:31]
	s_andn2_b64 exec, exec, s[94:95]
	s_cbranch_execz .LBB30_3283
.LBB30_3279:                            ;   Parent Loop BB30_47 Depth=1
                                        ;     Parent Loop BB30_3271 Depth=2
                                        ; =>    This Inner Loop Header: Depth=3
	s_sleep 1
	s_waitcnt vmcnt(0) lgkmcnt(0)
	flat_load_dwordx2 v[56:57], v[40:41] sc0 sc1
	s_or_b64 s[36:37], s[36:37], exec
	s_or_b64 s[34:35], s[34:35], exec
                                        ; implicit-def: $vgpr2
	s_and_saveexec_b64 s[38:39], vcc
	s_cbranch_execz .LBB30_3278
; %bb.3280:                             ;   in Loop: Header=BB30_3279 Depth=3
	s_cmpk_lt_i32 s8, 0x270f
	s_cselect_b64 s[52:53], -1, 0
	s_cmpk_gt_i32 s8, 0x270e
	s_mov_b64 s[48:49], -1
	s_cbranch_scc0 .LBB30_3282
; %bb.3281:                             ;   in Loop: Header=BB30_3279 Depth=3
	s_trap 2
	ds_read_b64 v[6:7], v0
	s_andn2_b64 s[52:53], s[52:53], exec
	s_mov_b32 s8, 0
	s_mov_b64 s[50:51], 0
	s_waitcnt vmcnt(0) lgkmcnt(0)
	flat_load_dword v2, v[6:7] sc0 sc1
	s_waitcnt vmcnt(0) lgkmcnt(0)
	buffer_inv sc0 sc1
	v_cmp_eq_u32_e64 s[22:23], 0, v2
	s_and_b64 s[22:23], s[22:23], exec
	s_or_b64 s[52:53], s[52:53], s[22:23]
	s_and_saveexec_b64 s[54:55], s[52:53]
	s_cbranch_execz .LBB30_3277
	s_branch .LBB30_3276
.LBB30_3282:                            ;   in Loop: Header=BB30_3279 Depth=3
	s_add_i32 s8, s8, 1
	s_mov_b64 s[50:51], -1
                                        ; implicit-def: $vgpr2
	s_and_saveexec_b64 s[54:55], s[52:53]
	s_cbranch_execz .LBB30_3277
	s_branch .LBB30_3276
.LBB30_3283:                            ;   in Loop: Header=BB30_3271 Depth=2
	s_or_b64 exec, exec, s[94:95]
	s_xor_b64 s[8:9], s[30:31], -1
	s_and_saveexec_b64 s[22:23], s[8:9]
	s_xor_b64 s[22:23], exec, s[22:23]
	s_cbranch_execz .LBB30_3285
; %bb.3284:                             ;   in Loop: Header=BB30_3271 Depth=2
	v_or_b32_e32 v110, 64, v110
	s_waitcnt lgkmcnt(0)
	ds_write_b32 v0, v2
	s_trap 2
.LBB30_3285:                            ;   in Loop: Header=BB30_3271 Depth=2
	s_or_b64 exec, exec, s[22:23]
.LBB30_3286:                            ;   in Loop: Header=BB30_3271 Depth=2
	s_or_b64 exec, exec, s[92:93]
	v_and_b32_e32 v2, 0x100, v110
	v_cmp_ne_u32_e32 vcc, 0, v2
	v_and_b32_e32 v2, 7, v124
	s_mov_b64 s[22:23], -1
	;;#ASMSTART
	s_wakeup
	;;#ASMEND
                                        ; implicit-def: $vgpr8_vgpr9
	s_and_saveexec_b64 s[92:93], vcc
	s_cbranch_execz .LBB30_3290
; %bb.3287:                             ;   in Loop: Header=BB30_3271 Depth=2
	scratch_load_dwordx4 v[6:9], off, s33 offset:288 ; 16-byte Folded Reload
                                        ; implicit-def: $vgpr8_vgpr9
	s_waitcnt vmcnt(0)
	v_mad_u64_u32 v[10:11], s[8:9], v2, 24, v[6:7]
	flat_load_dword v5, v[10:11]
	s_waitcnt vmcnt(0) lgkmcnt(0)
	v_cmp_ne_u32_e32 vcc, 1, v5
	v_cmp_eq_u32_e64 s[22:23], 1, v5
	s_and_saveexec_b64 s[94:95], s[22:23]
	s_cbranch_execz .LBB30_3289
; %bb.3288:                             ;   in Loop: Header=BB30_3271 Depth=2
	flat_load_dword v6, v[10:11] offset:4 sc0 sc1
	s_waitcnt vmcnt(0) lgkmcnt(0)
	v_ashrrev_i32_e32 v7, 31, v6
	v_lshrrev_b64 v[8:9], 1, v[6:7]
.LBB30_3289:                            ;   in Loop: Header=BB30_3271 Depth=2
	s_or_b64 exec, exec, s[94:95]
	s_orn2_b64 s[22:23], vcc, exec
.LBB30_3290:                            ;   in Loop: Header=BB30_3271 Depth=2
	s_or_b64 exec, exec, s[92:93]
	s_and_saveexec_b64 s[92:93], s[22:23]
	s_cbranch_execz .LBB30_3292
; %bb.3291:                             ;   in Loop: Header=BB30_3271 Depth=2
	scratch_load_dwordx2 v[6:7], off, s33 offset:316 ; 8-byte Folded Reload
	s_waitcnt vmcnt(0)
	v_mad_i64_i32 v[8:9], s[8:9], v2, v6, 0
.LBB30_3292:                            ;   in Loop: Header=BB30_3271 Depth=2
	s_or_b64 exec, exec, s[92:93]
	scratch_load_dwordx2 v[6:7], off, s33 offset:280 ; 8-byte Folded Reload
	v_and_b32_e32 v2, 0x2000, v110
	v_cmp_ne_u32_e32 vcc, 0, v2
	s_waitcnt vmcnt(0)
	v_lshl_add_u64 v[6:7], v[8:9], 1, v[6:7]
	ds_write_b64 v0, v[6:7] offset:720
	s_and_saveexec_b64 s[22:23], vcc
	s_cbranch_execz .LBB30_3294
; %bb.3293:                             ;   in Loop: Header=BB30_3271 Depth=2
	ds_read_b64 v[6:7], v0 offset:872
	s_waitcnt lgkmcnt(0)
	v_lshl_add_u64 v[6:7], v[6:7], 0, 1
	ds_write_b64 v0, v[6:7] offset:872
.LBB30_3294:                            ;   in Loop: Header=BB30_3271 Depth=2
	s_or_b64 exec, exec, s[22:23]
	v_mov_b64_e32 v[124:125], v[0:1]
.LBB30_3295:                            ;   in Loop: Header=BB30_3271 Depth=2
	s_or_b64 exec, exec, s[90:91]
	s_and_saveexec_b64 s[22:23], s[4:5]
	s_cbranch_execz .LBB30_3314
; %bb.3296:                             ;   in Loop: Header=BB30_3271 Depth=2
	s_and_saveexec_b64 s[8:9], s[44:45]
	s_xor_b64 s[90:91], exec, s[8:9]
	s_cbranch_execz .LBB30_3311
; %bb.3297:                             ;   in Loop: Header=BB30_3271 Depth=2
	s_and_saveexec_b64 s[92:93], s[12:13]
	s_cbranch_execz .LBB30_3310
; %bb.3298:                             ;   in Loop: Header=BB30_3271 Depth=2
	s_mov_b64 s[30:31], exec
	v_mbcnt_lo_u32_b32 v0, s30, 0
	v_mbcnt_hi_u32_b32 v0, s31, v0
	v_cmp_eq_u32_e32 vcc, 0, v0
	s_waitcnt lgkmcnt(0)
	s_and_saveexec_b64 s[94:95], vcc
	s_cbranch_execz .LBB30_3300
; %bb.3299:                             ;   in Loop: Header=BB30_3271 Depth=2
	s_bcnt1_i32_b64 s8, s[30:31]
	v_mov_b32_e32 v2, s8
	ds_add_u64 v0, v[2:3]
	s_trap 2
.LBB30_3300:                            ;   in Loop: Header=BB30_3271 Depth=2
	s_or_b64 exec, exec, s[94:95]
	s_trap 2
	ds_read_b64 v[0:1], v0
	s_waitcnt lgkmcnt(0)
	v_lshl_add_u64 v[46:47], v[46:47], 0, v[60:61]
	v_cmp_lt_u64_e32 vcc, v[0:1], v[46:47]
	s_and_saveexec_b64 s[94:95], vcc
	s_cbranch_execz .LBB30_3309
; %bb.3301:                             ;   in Loop: Header=BB30_3271 Depth=2
	s_mov_b32 s8, 0
	s_mov_b64 s[30:31], 0
                                        ; implicit-def: $sgpr34_sgpr35
                                        ; implicit-def: $sgpr36_sgpr37
	s_branch .LBB30_3303
.LBB30_3302:                            ;   in Loop: Header=BB30_3303 Depth=3
	s_or_b64 exec, exec, s[48:49]
	s_and_b64 vcc, exec, vcc
	s_or_b64 s[30:31], vcc, s[30:31]
	s_andn2_b64 vcc, s[34:35], exec
	s_and_b64 s[34:35], s[36:37], exec
	s_or_b64 s[34:35], vcc, s[34:35]
	s_andn2_b64 exec, exec, s[30:31]
	s_cbranch_execz .LBB30_3307
.LBB30_3303:                            ;   Parent Loop BB30_47 Depth=1
                                        ;     Parent Loop BB30_3271 Depth=2
                                        ; =>    This Inner Loop Header: Depth=3
	s_add_i32 s8, s8, 1
	s_cmpk_lg_i32 s8, 0x2710
	s_cselect_b64 s[38:39], -1, 0
	s_and_b64 vcc, exec, s[38:39]
	s_cbranch_vccz .LBB30_3305
; %bb.3304:                             ;   in Loop: Header=BB30_3303 Depth=3
	s_mov_b64 vcc, -1
	s_or_b64 s[36:37], s[36:37], exec
	s_and_saveexec_b64 s[48:49], s[38:39]
	s_cbranch_execz .LBB30_3302
	s_branch .LBB30_3306
.LBB30_3305:                            ;   in Loop: Header=BB30_3303 Depth=3
	s_trap 2
	ds_read_b64 v[0:1], v0
	s_andn2_b64 s[38:39], s[38:39], exec
	s_mov_b32 s8, 0
	s_waitcnt lgkmcnt(0)
	flat_load_dword v0, v[0:1] sc0 sc1
	s_waitcnt vmcnt(0) lgkmcnt(0)
	buffer_inv sc0 sc1
	v_cmp_eq_u32_e32 vcc, 0, v0
	s_and_b64 vcc, vcc, exec
	s_or_b64 s[38:39], s[38:39], vcc
	s_mov_b64 vcc, -1
	s_or_b64 s[36:37], s[36:37], exec
	s_and_saveexec_b64 s[48:49], s[38:39]
	s_cbranch_execz .LBB30_3302
.LBB30_3306:                            ;   in Loop: Header=BB30_3303 Depth=3
	s_sleep 1
	s_trap 2
	ds_read_b64 v[0:1], v0
	s_waitcnt lgkmcnt(0)
	s_andn2_b64 s[36:37], s[36:37], exec
	v_cmp_ge_u64_e32 vcc, v[0:1], v[46:47]
	s_orn2_b64 vcc, vcc, exec
	s_branch .LBB30_3302
.LBB30_3307:                            ;   in Loop: Header=BB30_3271 Depth=2
	s_or_b64 exec, exec, s[30:31]
	s_and_saveexec_b64 s[8:9], s[34:35]
	s_xor_b64 s[8:9], exec, s[8:9]
	s_cbranch_execz .LBB30_3309
; %bb.3308:                             ;   in Loop: Header=BB30_3271 Depth=2
	v_mov_b32_e32 v0, 1
	ds_write_b32 v0, v0
	s_trap 2
.LBB30_3309:                            ;   in Loop: Header=BB30_3271 Depth=2
	s_or_b64 exec, exec, s[94:95]
	;;#ASMSTART
	s_wakeup
	;;#ASMEND
.LBB30_3310:                            ;   in Loop: Header=BB30_3271 Depth=2
	s_or_b64 exec, exec, s[92:93]
.LBB30_3311:                            ;   in Loop: Header=BB30_3271 Depth=2
	s_andn2_saveexec_b64 s[90:91], s[90:91]
	s_cbranch_execz .LBB30_3313
; %bb.3312:                             ;   in Loop: Header=BB30_3271 Depth=2
	s_waitcnt lgkmcnt(0)
	s_barrier
.LBB30_3313:                            ;   in Loop: Header=BB30_3271 Depth=2
	s_or_b64 exec, exec, s[90:91]
.LBB30_3314:                            ;   in Loop: Header=BB30_3271 Depth=2
	s_or_b64 exec, exec, s[22:23]
	s_trap 2
	s_waitcnt vmcnt(0)
	ds_read_b32 v5, v0
	v_and_b32_e32 v0, 0x4000, v110
	v_cmp_ne_u32_e32 vcc, 0, v0
	s_xor_b64 s[8:9], s[2:3], -1
	s_and_b64 s[8:9], s[8:9], vcc
	s_and_saveexec_b64 s[22:23], s[8:9]
	s_cbranch_execz .LBB30_3333
; %bb.3315:                             ;   in Loop: Header=BB30_3271 Depth=2
	s_and_saveexec_b64 s[8:9], s[44:45]
	s_xor_b64 s[90:91], exec, s[8:9]
	s_cbranch_execz .LBB30_3330
; %bb.3316:                             ;   in Loop: Header=BB30_3271 Depth=2
	s_and_saveexec_b64 s[92:93], s[12:13]
	s_cbranch_execz .LBB30_3329
; %bb.3317:                             ;   in Loop: Header=BB30_3271 Depth=2
	s_mov_b64 s[30:31], exec
	v_mbcnt_lo_u32_b32 v0, s30, 0
	v_mbcnt_hi_u32_b32 v0, s31, v0
	v_cmp_eq_u32_e32 vcc, 0, v0
	s_waitcnt lgkmcnt(0)
	s_and_saveexec_b64 s[94:95], vcc
	s_cbranch_execz .LBB30_3319
; %bb.3318:                             ;   in Loop: Header=BB30_3271 Depth=2
	s_bcnt1_i32_b64 s8, s[30:31]
	v_mov_b32_e32 v2, s8
	ds_add_u64 v0, v[2:3]
	s_trap 2
.LBB30_3319:                            ;   in Loop: Header=BB30_3271 Depth=2
	s_or_b64 exec, exec, s[94:95]
	s_trap 2
	ds_read_b64 v[0:1], v0
	s_waitcnt lgkmcnt(0)
	v_lshl_add_u64 v[46:47], v[46:47], 0, v[60:61]
	v_cmp_lt_u64_e32 vcc, v[0:1], v[46:47]
	s_and_saveexec_b64 s[94:95], vcc
	s_cbranch_execz .LBB30_3328
; %bb.3320:                             ;   in Loop: Header=BB30_3271 Depth=2
	s_mov_b32 s8, 0
	s_mov_b64 s[30:31], 0
                                        ; implicit-def: $sgpr34_sgpr35
                                        ; implicit-def: $sgpr36_sgpr37
	s_branch .LBB30_3322
.LBB30_3321:                            ;   in Loop: Header=BB30_3322 Depth=3
	s_or_b64 exec, exec, s[48:49]
	s_and_b64 vcc, exec, vcc
	s_or_b64 s[30:31], vcc, s[30:31]
	s_andn2_b64 vcc, s[34:35], exec
	s_and_b64 s[34:35], s[36:37], exec
	s_or_b64 s[34:35], vcc, s[34:35]
	s_andn2_b64 exec, exec, s[30:31]
	s_cbranch_execz .LBB30_3326
.LBB30_3322:                            ;   Parent Loop BB30_47 Depth=1
                                        ;     Parent Loop BB30_3271 Depth=2
                                        ; =>    This Inner Loop Header: Depth=3
	s_add_i32 s8, s8, 1
	s_cmpk_lg_i32 s8, 0x2710
	s_cselect_b64 s[38:39], -1, 0
	s_and_b64 vcc, exec, s[38:39]
	s_cbranch_vccz .LBB30_3324
; %bb.3323:                             ;   in Loop: Header=BB30_3322 Depth=3
	s_mov_b64 vcc, -1
	s_or_b64 s[36:37], s[36:37], exec
	s_and_saveexec_b64 s[48:49], s[38:39]
	s_cbranch_execz .LBB30_3321
	s_branch .LBB30_3325
.LBB30_3324:                            ;   in Loop: Header=BB30_3322 Depth=3
	s_trap 2
	ds_read_b64 v[0:1], v0
	s_andn2_b64 s[38:39], s[38:39], exec
	s_mov_b32 s8, 0
	s_waitcnt lgkmcnt(0)
	flat_load_dword v0, v[0:1] sc0 sc1
	s_waitcnt vmcnt(0) lgkmcnt(0)
	buffer_inv sc0 sc1
	v_cmp_eq_u32_e32 vcc, 0, v0
	s_and_b64 vcc, vcc, exec
	s_or_b64 s[38:39], s[38:39], vcc
	s_mov_b64 vcc, -1
	s_or_b64 s[36:37], s[36:37], exec
	s_and_saveexec_b64 s[48:49], s[38:39]
	s_cbranch_execz .LBB30_3321
.LBB30_3325:                            ;   in Loop: Header=BB30_3322 Depth=3
	s_sleep 1
	s_trap 2
	ds_read_b64 v[0:1], v0
	s_waitcnt lgkmcnt(0)
	s_andn2_b64 s[36:37], s[36:37], exec
	v_cmp_ge_u64_e32 vcc, v[0:1], v[46:47]
	s_orn2_b64 vcc, vcc, exec
	s_branch .LBB30_3321
.LBB30_3326:                            ;   in Loop: Header=BB30_3271 Depth=2
	s_or_b64 exec, exec, s[30:31]
	s_and_saveexec_b64 s[8:9], s[34:35]
	s_xor_b64 s[8:9], exec, s[8:9]
	s_cbranch_execz .LBB30_3328
; %bb.3327:                             ;   in Loop: Header=BB30_3271 Depth=2
	v_mov_b32_e32 v0, 1
	ds_write_b32 v0, v0
	s_trap 2
.LBB30_3328:                            ;   in Loop: Header=BB30_3271 Depth=2
	s_or_b64 exec, exec, s[94:95]
	;;#ASMSTART
	s_wakeup
	;;#ASMEND
.LBB30_3329:                            ;   in Loop: Header=BB30_3271 Depth=2
	s_or_b64 exec, exec, s[92:93]
.LBB30_3330:                            ;   in Loop: Header=BB30_3271 Depth=2
	s_andn2_saveexec_b64 s[90:91], s[90:91]
	s_cbranch_execz .LBB30_3332
; %bb.3331:                             ;   in Loop: Header=BB30_3271 Depth=2
	s_waitcnt lgkmcnt(0)
	s_barrier
.LBB30_3332:                            ;   in Loop: Header=BB30_3271 Depth=2
	s_or_b64 exec, exec, s[90:91]
.LBB30_3333:                            ;   in Loop: Header=BB30_3271 Depth=2
	s_or_b64 exec, exec, s[22:23]
	s_trap 2
	ds_read_b64 v[0:1], v0
	v_sub_u32_e32 v2, v72, v4
	v_min_i32_e32 v73, v73, v2
	s_waitcnt lgkmcnt(0)
	v_cmp_eq_u64_e32 vcc, 0, v[0:1]
	s_cbranch_vccnz .LBB30_3341
; %bb.3334:                             ;   in Loop: Header=BB30_3271 Depth=2
	s_trap 2
	ds_read_b64 v[116:117], v0
	s_waitcnt lgkmcnt(0)
	v_cmp_eq_u64_e32 vcc, 0, v[116:117]
	s_cbranch_vccnz .LBB30_3341
; %bb.3335:                             ;   in Loop: Header=BB30_3271 Depth=2
	s_mov_b64 s[90:91], -1
	s_and_saveexec_b64 s[22:23], s[16:17]
	s_cbranch_execz .LBB30_3337
; %bb.3336:                             ;   in Loop: Header=BB30_3271 Depth=2
	ds_read_b32 v2, v0 offset:720
	s_waitcnt lgkmcnt(0)
	v_and_b32_e32 v2, 15, v2
	v_cmp_eq_u32_e32 vcc, 0, v2
	s_orn2_b64 s[90:91], vcc, exec
.LBB30_3337:                            ;   in Loop: Header=BB30_3271 Depth=2
	s_or_b64 exec, exec, s[22:23]
	s_and_saveexec_b64 s[22:23], s[14:15]
	s_cbranch_execz .LBB30_3339
; %bb.3338:                             ;   in Loop: Header=BB30_3271 Depth=2
	ds_read_b32 v2, v0 offset:784
	s_waitcnt lgkmcnt(0)
	v_and_b32_e32 v2, 15, v2
	v_cmp_eq_u32_e32 vcc, 0, v2
	s_and_b64 s[8:9], s[90:91], vcc
	s_andn2_b64 s[90:91], s[90:91], exec
	s_and_b64 s[8:9], s[8:9], exec
	s_or_b64 s[90:91], s[90:91], s[8:9]
.LBB30_3339:                            ;   in Loop: Header=BB30_3271 Depth=2
	s_or_b64 exec, exec, s[22:23]
	s_xor_b64 s[8:9], s[90:91], -1
	v_cndmask_b32_e64 v2, 0, 1, s[8:9]
	v_cmp_eq_u32_e64 s[22:23], 0, v5
	s_mov_b64 s[92:93], -1
	v_cmp_ne_u32_e32 vcc, 0, v2
	s_cbranch_vccz .LBB30_3346
; %bb.3340:                             ;   in Loop: Header=BB30_3271 Depth=2
	s_mov_b64 s[92:93], 0
	s_mov_b64 s[90:91], -1
	s_branch .LBB30_3347
.LBB30_3341:                            ;   in Loop: Header=BB30_3271 Depth=2
	s_mov_b64 s[22:23], 0
	s_and_saveexec_b64 s[90:91], s[4:5]
	s_cbranch_execnz .LBB30_3397
.LBB30_3342:                            ;   in Loop: Header=BB30_3271 Depth=2
	s_or_b64 exec, exec, s[90:91]
	s_and_saveexec_b64 s[8:9], s[20:21]
	s_xor_b64 s[90:91], exec, s[8:9]
	s_cbranch_execz .LBB30_3415
.LBB30_3343:                            ;   in Loop: Header=BB30_3271 Depth=2
	v_and_b32_e32 v0, 16, v110
	v_cmp_ne_u32_e32 vcc, 0, v0
	s_and_b64 s[8:9], vcc, s[22:23]
	s_and_saveexec_b64 s[22:23], s[8:9]
	s_cbranch_execz .LBB30_3345
; %bb.3344:                             ;   in Loop: Header=BB30_3271 Depth=2
	buffer_wbl2 sc1
	s_waitcnt vmcnt(0) lgkmcnt(0)
	buffer_inv sc1
.LBB30_3345:                            ;   in Loop: Header=BB30_3271 Depth=2
	s_or_b64 exec, exec, s[22:23]
	s_andn2_saveexec_b64 s[22:23], s[90:91]
	s_cbranch_execz .LBB30_3434
	s_branch .LBB30_3416
.LBB30_3346:                            ;   in Loop: Header=BB30_3271 Depth=2
	s_mov_b64 s[90:91], 0
.LBB30_3347:                            ;   in Loop: Header=BB30_3271 Depth=2
	v_cndmask_b32_e64 v2, 0, v73, s[22:23]
	v_lshlrev_b32_e32 v5, 1, v2
	s_andn2_b64 vcc, exec, s[92:93]
	v_mov_b32_e32 v6, 0
	s_cbranch_vccnz .LBB30_3355
; %bb.3348:                             ;   in Loop: Header=BB30_3271 Depth=2
	scratch_load_dword v7, off, s33 offset:312 ; 4-byte Folded Reload
	scratch_load_dwordx2 v[8:9], off, s33 offset:372 ; 8-byte Folded Reload
	v_ashrrev_i32_e32 v6, 31, v5
	v_lshrrev_b32_e32 v6, 19, v6
	v_add_u32_e32 v6, v5, v6
	v_ashrrev_i32_e32 v6, 13, v6
	s_mov_b64 s[92:93], 0
                                        ; implicit-def: $vgpr12_vgpr13
                                        ; implicit-def: $vgpr16_vgpr17
                                        ; implicit-def: $vgpr20_vgpr21
                                        ; implicit-def: $vgpr24_vgpr25
                                        ; implicit-def: $vgpr32_vgpr33
                                        ; implicit-def: $vgpr36_vgpr37
                                        ; implicit-def: $vgpr48_vgpr49
	s_waitcnt vmcnt(1)
	v_lshrrev_b32_e32 v7, 6, v7
	v_sub_u32_e32 v30, v6, v7
	s_waitcnt vmcnt(0)
	v_lshl_add_u64 v[118:119], v[116:117], 0, v[8:9]
	v_cmp_lt_i32_e32 vcc, 0, v30
                                        ; implicit-def: $vgpr8_vgpr9
	s_and_saveexec_b64 s[22:23], vcc
	s_cbranch_execz .LBB30_3357
; %bb.3349:                             ;   in Loop: Header=BB30_3271 Depth=2
	scratch_load_dwordx2 v[8:9], off, s33 offset:372 ; 8-byte Folded Reload
	s_mov_b64 s[30:31], 0
                                        ; implicit-def: $sgpr94_sgpr95
                                        ; implicit-def: $vgpr12_vgpr13
                                        ; implicit-def: $vgpr16_vgpr17
                                        ; implicit-def: $vgpr20_vgpr21
                                        ; implicit-def: $vgpr24_vgpr25
                                        ; implicit-def: $vgpr32_vgpr33
                                        ; implicit-def: $vgpr36_vgpr37
                                        ; implicit-def: $vgpr48_vgpr49
	s_waitcnt vmcnt(0)
	v_lshl_add_u64 v[58:59], v[0:1], 0, v[8:9]
                                        ; implicit-def: $vgpr8_vgpr9
	s_branch .LBB30_3351
.LBB30_3350:                            ;   in Loop: Header=BB30_3351 Depth=3
	s_or_b64 exec, exec, s[34:35]
	global_store_dwordx4 v[118:119], v[52:55], off
	global_store_dwordx4 v[118:119], v[64:67], off offset:1024
	global_store_dwordx4 v[118:119], v[68:71], off offset:2048
	;; [unrolled: 1-line block ×3, first 2 shown]
	v_add_co_u32_e32 v52, vcc, s97, v118
	v_sub_u32_e32 v30, v7, v30
	s_nop 0
	v_addc_co_u32_e32 v53, vcc, 0, v119, vcc
	v_cmp_gt_i32_e32 vcc, 1, v30
	s_or_b64 s[92:93], vcc, s[92:93]
	global_store_dwordx4 v[52:53], v[84:87], off
	global_store_dwordx4 v[52:53], v[96:99], off offset:1024
	global_store_dwordx4 v[52:53], v[100:103], off offset:2048
	;; [unrolled: 1-line block ×3, first 2 shown]
	s_waitcnt vmcnt(8)
	v_lshl_add_u64 v[52:53], v[118:119], 0, v[62:63]
	s_andn2_b64 s[8:9], s[94:95], exec
	s_and_b64 s[94:95], s[30:31], exec
	v_lshl_add_u64 v[118:119], v[52:53], 0, s[46:47]
	v_lshl_add_u64 v[58:59], v[58:59], 0, v[62:63]
	s_or_b64 s[94:95], s[8:9], s[94:95]
	s_andn2_b64 exec, exec, s[92:93]
	s_cbranch_execz .LBB30_3356
.LBB30_3351:                            ;   Parent Loop BB30_47 Depth=1
                                        ;     Parent Loop BB30_3271 Depth=2
                                        ; =>    This Inner Loop Header: Depth=3
	v_add_co_u32_e32 v112, vcc, 0x1000, v58
	global_load_dwordx4 v[52:55], v[58:59], off nt
	global_load_dwordx4 v[64:67], v[58:59], off offset:1024 nt
	global_load_dwordx4 v[68:71], v[58:59], off offset:2048 nt
	;; [unrolled: 1-line block ×3, first 2 shown]
	v_addc_co_u32_e32 v113, vcc, 0, v59, vcc
	global_load_dwordx4 v[84:87], v[112:113], off nt
	global_load_dwordx4 v[96:99], v[112:113], off offset:1024 nt
	global_load_dwordx4 v[100:103], v[112:113], off offset:2048 nt
	s_nop 0
	global_load_dwordx4 v[112:115], v[112:113], off offset:3072 nt
	s_and_saveexec_b64 s[34:35], s[30:31]
	s_cbranch_execz .LBB30_3353
; %bb.3352:                             ;   in Loop: Header=BB30_3351 Depth=3
	v_add_co_u32_e32 v42, vcc, 0x1000, v118
	global_store_dwordx4 v[118:119], v[8:11], off
	global_store_dwordx4 v[118:119], v[12:15], off offset:1024
	global_store_dwordx4 v[118:119], v[16:19], off offset:2048
	;; [unrolled: 1-line block ×3, first 2 shown]
	v_addc_co_u32_e32 v43, vcc, 0, v119, vcc
	global_store_dwordx4 v[42:43], v[24:27], off
	global_store_dwordx4 v[42:43], v[32:35], off offset:1024
	global_store_dwordx4 v[42:43], v[36:39], off offset:2048
	;; [unrolled: 1-line block ×3, first 2 shown]
	scratch_load_dwordx2 v[42:43], off, s33 offset:272 ; 8-byte Folded Reload
	s_waitcnt vmcnt(0)
	v_lshl_add_u64 v[118:119], v[118:119], 0, v[42:43]
.LBB30_3353:                            ;   in Loop: Header=BB30_3351 Depth=3
	s_or_b64 exec, exec, s[34:35]
	scratch_load_dwordx2 v[42:43], off, s33 offset:272 ; 8-byte Folded Reload
	v_sub_u32_e32 v7, v30, v60
	v_mov_b32_e32 v30, 0
	v_cmp_lt_i32_e64 s[30:31], 0, v7
	v_mov_b64_e32 v[62:63], 0
	s_waitcnt vmcnt(0)
	v_lshl_add_u64 v[58:59], v[58:59], 0, v[42:43]
	s_and_saveexec_b64 s[34:35], s[30:31]
	s_cbranch_execz .LBB30_3350
; %bb.3354:                             ;   in Loop: Header=BB30_3351 Depth=3
	v_add_co_u32_e32 v48, vcc, s97, v58
	global_load_dwordx4 v[8:11], v[58:59], off nt
	global_load_dwordx4 v[12:15], v[58:59], off offset:1024 nt
	global_load_dwordx4 v[16:19], v[58:59], off offset:2048 nt
	;; [unrolled: 1-line block ×3, first 2 shown]
	v_addc_co_u32_e32 v49, vcc, 0, v59, vcc
	global_load_dwordx4 v[24:27], v[48:49], off nt
	global_load_dwordx4 v[32:35], v[48:49], off offset:1024 nt
	global_load_dwordx4 v[36:39], v[48:49], off offset:2048 nt
	s_nop 0
	global_load_dwordx4 v[48:51], v[48:49], off offset:3072 nt
	v_lshl_add_u64 v[58:59], v[58:59], 0, s[46:47]
	scratch_load_dwordx2 v[62:63], off, s33 offset:332 ; 8-byte Folded Reload
	v_mov_b32_e32 v30, v60
	s_branch .LBB30_3350
.LBB30_3355:                            ;   in Loop: Header=BB30_3271 Depth=2
	scratch_load_dword v7, off, s33 offset:312 ; 4-byte Folded Reload
	s_waitcnt vmcnt(0)
	v_mov_b32_e32 v8, v7
	v_and_b32_e32 v7, 63, v7
	s_and_saveexec_b64 s[22:23], s[90:91]
	s_cbranch_execnz .LBB30_3376
	s_branch .LBB30_3396
.LBB30_3356:                            ;   in Loop: Header=BB30_3271 Depth=2
	s_or_b64 exec, exec, s[92:93]
	s_and_b64 s[92:93], s[94:95], exec
.LBB30_3357:                            ;   in Loop: Header=BB30_3271 Depth=2
	s_or_b64 exec, exec, s[22:23]
	s_and_saveexec_b64 s[22:23], s[92:93]
	s_cbranch_execz .LBB30_3359
; %bb.3358:                             ;   in Loop: Header=BB30_3271 Depth=2
	global_store_dwordx4 v[118:119], v[8:11], off
	global_store_dwordx4 v[118:119], v[12:15], off offset:1024
	global_store_dwordx4 v[118:119], v[16:19], off offset:2048
	;; [unrolled: 1-line block ×3, first 2 shown]
	v_add_co_u32_e32 v8, vcc, 0x1000, v118
	s_nop 1
	v_addc_co_u32_e32 v9, vcc, 0, v119, vcc
	global_store_dwordx4 v[8:9], v[24:27], off
	global_store_dwordx4 v[8:9], v[32:35], off offset:1024
	global_store_dwordx4 v[8:9], v[36:39], off offset:2048
	;; [unrolled: 1-line block ×3, first 2 shown]
.LBB30_3359:                            ;   in Loop: Header=BB30_3271 Depth=2
	s_or_b64 exec, exec, s[22:23]
	v_lshlrev_b32_e32 v20, 13, v6
	v_cmp_ne_u32_e32 vcc, v5, v20
                                        ; implicit-def: $vgpr6
                                        ; implicit-def: $vgpr8
                                        ; implicit-def: $vgpr7
	s_and_saveexec_b64 s[92:93], vcc
	s_cbranch_execz .LBB30_3375
; %bb.3360:                             ;   in Loop: Header=BB30_3271 Depth=2
	scratch_load_dword v8, off, s33 offset:312 ; 4-byte Folded Reload
	v_lshlrev_b32_e32 v6, 6, v30
	v_sub_u32_e32 v7, v5, v20
	s_mov_b64 s[30:31], 0
	s_waitcnt vmcnt(0)
	v_and_b32_e32 v8, 63, v8
	v_sub_u32_e32 v6, v8, v6
	v_ashrrev_i32_e32 v8, 31, v6
	v_lshrrev_b32_e32 v8, 26, v8
	v_add_u32_e32 v8, v6, v8
	v_ashrrev_i32_e32 v9, 6, v8
	v_and_b32_e32 v8, 0xffffffc0, v8
	v_sub_u32_e32 v21, v6, v8
	v_ashrrev_i32_e32 v8, 31, v7
	v_lshrrev_b32_e32 v8, 22, v8
	v_add_u32_e32 v8, v7, v8
	v_lshlrev_b32_e32 v6, 4, v21
	v_and_b32_e32 v22, 0xfffffc00, v8
	v_lshl_add_u32 v6, v9, 10, v6
	v_sub_u32_e32 v24, v7, v22
	v_add_u32_e32 v10, v6, v20
	v_ashrrev_i32_e32 v11, 10, v8
	v_cmp_lt_i32_e32 vcc, 15, v24
	v_sub_u32_e32 v6, v7, v6
	s_nop 0
	v_addc_co_u32_e64 v7, s[22:23], 0, v11, vcc
	v_ashrrev_i32_e32 v11, 31, v10
	v_sub_u32_e32 v23, v7, v9
	v_lshl_add_u64 v[16:17], v[10:11], 0, v[116:117]
	v_cmp_lt_i32_e64 s[22:23], 15, v6
                                        ; implicit-def: $vgpr8_vgpr9
	s_and_saveexec_b64 s[94:95], s[22:23]
	s_cbranch_execz .LBB30_3370
; %bb.3361:                             ;   in Loop: Header=BB30_3271 Depth=2
	v_lshl_add_u64 v[18:19], v[10:11], 0, v[0:1]
	s_mov_b64 s[36:37], 0
                                        ; implicit-def: $sgpr34_sgpr35
                                        ; implicit-def: $vgpr8_vgpr9
	s_branch .LBB30_3363
.LBB30_3362:                            ;   in Loop: Header=BB30_3363 Depth=3
	s_or_b64 exec, exec, s[22:23]
	v_cmp_gt_i32_e64 s[22:23], 16, v6
	s_or_b64 s[30:31], s[22:23], s[30:31]
	s_andn2_b64 s[8:9], s[34:35], exec
	s_and_b64 s[22:23], s[36:37], exec
	s_or_b64 s[34:35], s[8:9], s[22:23]
	s_andn2_b64 exec, exec, s[30:31]
	s_cbranch_execz .LBB30_3369
.LBB30_3363:                            ;   Parent Loop BB30_47 Depth=1
                                        ;     Parent Loop BB30_3271 Depth=2
                                        ; =>    This Inner Loop Header: Depth=3
	global_load_dwordx4 v[12:15], v[18:19], off nt
	s_and_saveexec_b64 s[22:23], s[36:37]
	s_cbranch_execz .LBB30_3365
; %bb.3364:                             ;   in Loop: Header=BB30_3363 Depth=3
	scratch_load_dwordx2 v[26:27], off, s33 offset:264 ; 8-byte Folded Reload
	s_waitcnt vmcnt(0)
	v_lshl_add_u64 v[26:27], v[16:17], 0, v[26:27]
	global_store_dwordx4 v[16:17], v[8:11], off
	v_mov_b64_e32 v[16:17], v[26:27]
.LBB30_3365:                            ;   in Loop: Header=BB30_3363 Depth=3
	s_or_b64 exec, exec, s[22:23]
	scratch_load_dwordx2 v[26:27], off, s33 offset:264 ; 8-byte Folded Reload
	v_sub_u32_e32 v6, v6, v111
	v_cmp_lt_i32_e64 s[36:37], 15, v6
	s_waitcnt vmcnt(0)
	v_lshl_add_u64 v[18:19], v[18:19], 0, v[26:27]
	s_and_saveexec_b64 s[22:23], s[36:37]
	s_cbranch_execz .LBB30_3367
; %bb.3366:                             ;   in Loop: Header=BB30_3363 Depth=3
	global_load_dwordx4 v[8:11], v[18:19], off nt
	v_lshl_add_u64 v[18:19], v[18:19], 0, s[56:57]
.LBB30_3367:                            ;   in Loop: Header=BB30_3363 Depth=3
	s_or_b64 exec, exec, s[22:23]
	v_sub_u32_e32 v23, v23, v60
	global_store_dwordx4 v[16:17], v[12:15], off
	v_lshl_add_u64 v[16:17], v[16:17], 0, s[56:57]
	s_and_saveexec_b64 s[22:23], s[36:37]
	s_cbranch_execz .LBB30_3362
; %bb.3368:                             ;   in Loop: Header=BB30_3363 Depth=3
	v_sub_u32_e32 v23, v23, v60
	v_sub_u32_e32 v6, v6, v111
	v_lshl_add_u64 v[18:19], v[18:19], 0, v[90:91]
	v_lshl_add_u64 v[16:17], v[16:17], 0, v[90:91]
	s_branch .LBB30_3362
.LBB30_3369:                            ;   in Loop: Header=BB30_3271 Depth=2
	s_or_b64 exec, exec, s[30:31]
	s_and_b64 s[30:31], s[34:35], exec
.LBB30_3370:                            ;   in Loop: Header=BB30_3271 Depth=2
	s_or_b64 exec, exec, s[94:95]
	s_and_saveexec_b64 s[22:23], s[30:31]
	s_cbranch_execz .LBB30_3372
; %bb.3371:                             ;   in Loop: Header=BB30_3271 Depth=2
	s_waitcnt vmcnt(1)
	global_store_dwordx4 v[16:17], v[8:11], off
.LBB30_3372:                            ;   in Loop: Header=BB30_3271 Depth=2
	s_or_b64 exec, exec, s[22:23]
	s_waitcnt vmcnt(1)
	v_and_b32_e32 v9, 14, v5
	v_cndmask_b32_e32 v5, v24, v9, vcc
	v_cmp_ne_u32_e64 s[22:23], 0, v5
	s_mov_b64 s[30:31], s[90:91]
                                        ; implicit-def: $vgpr6
                                        ; implicit-def: $vgpr8
                                        ; implicit-def: $vgpr7
	s_and_saveexec_b64 s[94:95], s[22:23]
	s_cbranch_execz .LBB30_3374
; %bb.3373:                             ;   in Loop: Header=BB30_3271 Depth=2
	v_sub_u32_e32 v6, v24, v9
	v_cndmask_b32_e32 v6, 0, v6, vcc
	v_cmp_lt_i32_e32 vcc, 0, v23
	v_add3_u32 v6, v22, v20, v6
	s_or_b64 s[30:31], s[90:91], exec
	v_cndmask_b32_e32 v7, 0, v60, vcc
	v_sub_u32_e32 v7, v7, v23
	v_lshl_add_u32 v8, v7, 6, v21
	v_ashrrev_i32_e32 v7, 31, v8
	v_lshrrev_b32_e32 v7, 26, v7
	v_add_u32_e32 v7, v8, v7
	v_and_b32_e32 v7, 0xffffffc0, v7
	v_sub_u32_e32 v7, v8, v7
.LBB30_3374:                            ;   in Loop: Header=BB30_3271 Depth=2
	s_or_b64 exec, exec, s[94:95]
	s_andn2_b64 s[8:9], s[90:91], exec
	s_and_b64 s[22:23], s[30:31], exec
	s_or_b64 s[90:91], s[8:9], s[22:23]
.LBB30_3375:                            ;   in Loop: Header=BB30_3271 Depth=2
	s_or_b64 exec, exec, s[92:93]
	s_and_saveexec_b64 s[22:23], s[90:91]
	s_cbranch_execz .LBB30_3396
.LBB30_3376:                            ;   in Loop: Header=BB30_3271 Depth=2
	v_ashrrev_i32_e32 v9, 31, v8
	v_lshrrev_b32_e32 v9, 26, v9
	v_add_u32_e32 v8, v8, v9
	v_ashrrev_i32_e32 v8, 6, v8
	v_lshlrev_b32_e32 v9, 11, v8
	v_lshlrev_b32_e32 v10, 1, v7
	v_add3_u32 v10, v6, v10, v9
	v_ashrrev_i32_e32 v9, 31, v5
	v_lshrrev_b32_e32 v9, 21, v9
	v_add_u32_e32 v9, v5, v9
	v_ashrrev_i32_e32 v14, 11, v9
	v_sub_u32_e32 v12, v14, v8
	v_ashrrev_i32_e32 v11, 31, v10
	v_lshl_add_u64 v[8:9], v[116:117], 0, v[10:11]
	v_cmp_lt_i32_e32 vcc, 0, v12
	s_mov_b64 s[92:93], 0
                                        ; implicit-def: $vgpr15
                                        ; implicit-def: $vgpr16
                                        ; implicit-def: $vgpr17
                                        ; implicit-def: $vgpr18
                                        ; implicit-def: $vgpr19
                                        ; implicit-def: $vgpr20
                                        ; implicit-def: $vgpr21
                                        ; implicit-def: $vgpr22
                                        ; implicit-def: $vgpr23
                                        ; implicit-def: $vgpr24
                                        ; implicit-def: $vgpr25
                                        ; implicit-def: $vgpr26
                                        ; implicit-def: $vgpr27
                                        ; implicit-def: $vgpr30
                                        ; implicit-def: $vgpr32
                                        ; implicit-def: $vgpr33
	s_and_saveexec_b64 s[90:91], vcc
	s_cbranch_execz .LBB30_3384
; %bb.3377:                             ;   in Loop: Header=BB30_3271 Depth=2
	v_lshl_add_u64 v[10:11], v[10:11], 0, v[0:1]
	s_mov_b64 s[30:31], 0
                                        ; implicit-def: $sgpr94_sgpr95
                                        ; implicit-def: $vgpr15
                                        ; implicit-def: $vgpr16
                                        ; implicit-def: $vgpr17
                                        ; implicit-def: $vgpr18
                                        ; implicit-def: $vgpr19
                                        ; implicit-def: $vgpr20
                                        ; implicit-def: $vgpr21
                                        ; implicit-def: $vgpr22
                                        ; implicit-def: $vgpr23
                                        ; implicit-def: $vgpr24
                                        ; implicit-def: $vgpr25
                                        ; implicit-def: $vgpr26
                                        ; implicit-def: $vgpr27
                                        ; implicit-def: $vgpr30
                                        ; implicit-def: $vgpr32
                                        ; implicit-def: $vgpr33
	s_branch .LBB30_3379
.LBB30_3378:                            ;   in Loop: Header=BB30_3379 Depth=3
	s_or_b64 exec, exec, vcc
	s_waitcnt vmcnt(0) lgkmcnt(0)
	flat_store_short v[8:9], v34 nt
	flat_store_short v[8:9], v35 offset:128 nt
	flat_store_short v[8:9], v36 offset:256 nt
	;; [unrolled: 1-line block ×15, first 2 shown]
	v_lshl_add_u64 v[8:9], v[8:9], 0, v[12:13]
	v_lshl_add_u64 v[10:11], v[10:11], 0, v[12:13]
	v_sub_u32_e32 v12, v66, v67
	v_cmp_gt_i32_e32 vcc, 1, v12
	s_or_b64 s[92:93], vcc, s[92:93]
	s_andn2_b64 s[8:9], s[94:95], exec
	s_and_b64 s[94:95], s[30:31], exec
	v_lshl_add_u64 v[8:9], v[8:9], 0, s[58:59]
	s_or_b64 s[94:95], s[8:9], s[94:95]
	s_andn2_b64 exec, exec, s[92:93]
	s_cbranch_execz .LBB30_3383
.LBB30_3379:                            ;   Parent Loop BB30_47 Depth=1
                                        ;     Parent Loop BB30_3271 Depth=2
                                        ; =>    This Inner Loop Header: Depth=3
	flat_load_ushort v34, v[10:11] nt
	flat_load_ushort v35, v[10:11] offset:128 nt
	flat_load_ushort v36, v[10:11] offset:256 nt
	;; [unrolled: 1-line block ×15, first 2 shown]
	s_and_saveexec_b64 vcc, s[30:31]
	s_cbranch_execz .LBB30_3381
; %bb.3380:                             ;   in Loop: Header=BB30_3379 Depth=3
	flat_store_short v[8:9], v15 nt
	flat_store_short v[8:9], v16 offset:128 nt
	flat_store_short v[8:9], v17 offset:256 nt
	;; [unrolled: 1-line block ×15, first 2 shown]
	v_lshl_add_u64 v[8:9], v[8:9], 0, v[104:105]
.LBB30_3381:                            ;   in Loop: Header=BB30_3379 Depth=3
	s_or_b64 exec, exec, vcc
	v_sub_u32_e32 v66, v12, v60
	v_lshl_add_u64 v[10:11], v[10:11], 0, v[104:105]
	v_mov_b32_e32 v67, 0
	v_cmp_lt_i32_e64 s[30:31], 0, v66
	v_mov_b64_e32 v[12:13], 0
	s_and_saveexec_b64 vcc, s[30:31]
	s_cbranch_execz .LBB30_3378
; %bb.3382:                             ;   in Loop: Header=BB30_3379 Depth=3
	flat_load_ushort v15, v[10:11] nt
	flat_load_ushort v16, v[10:11] offset:128 nt
	flat_load_ushort v17, v[10:11] offset:256 nt
	;; [unrolled: 1-line block ×15, first 2 shown]
	v_lshl_add_u64 v[10:11], v[10:11], 0, s[58:59]
	v_mov_b32_e32 v67, v60
	v_mov_b64_e32 v[12:13], v[76:77]
	s_branch .LBB30_3378
.LBB30_3383:                            ;   in Loop: Header=BB30_3271 Depth=2
	s_or_b64 exec, exec, s[92:93]
	s_and_b64 s[92:93], s[94:95], exec
.LBB30_3384:                            ;   in Loop: Header=BB30_3271 Depth=2
	s_or_b64 exec, exec, s[90:91]
	s_and_saveexec_b64 s[90:91], s[92:93]
	s_cbranch_execz .LBB30_3386
; %bb.3385:                             ;   in Loop: Header=BB30_3271 Depth=2
	flat_store_short v[8:9], v15 nt
	flat_store_short v[8:9], v16 offset:128 nt
	flat_store_short v[8:9], v17 offset:256 nt
	;; [unrolled: 1-line block ×15, first 2 shown]
.LBB30_3386:                            ;   in Loop: Header=BB30_3271 Depth=2
	s_or_b64 exec, exec, s[90:91]
	v_lshlrev_b32_e32 v8, 11, v14
	v_cmp_ne_u32_e32 vcc, v5, v8
	s_and_b64 exec, exec, vcc
	s_cbranch_execz .LBB30_3396
; %bb.3387:                             ;   in Loop: Header=BB30_3271 Depth=2
	v_lshlrev_b32_e32 v9, 6, v12
	v_sub_u32_e32 v7, v7, v9
	v_ashrrev_i32_e32 v9, 31, v7
	v_lshrrev_b32_e32 v9, 26, v9
	v_add_u32_e32 v9, v7, v9
	v_and_b32_e32 v10, 0x7fffffc0, v9
	v_sub_u32_e32 v7, v7, v10
	v_lshlrev_b32_e32 v9, 1, v9
	v_and_b32_e32 v9, 0xffffff80, v9
	v_lshlrev_b32_e32 v7, 1, v7
	v_add3_u32 v8, v9, v7, v8
	v_sub_u32_e32 v7, v5, v8
	v_cmp_lt_i32_e32 vcc, 1, v7
	s_and_b64 exec, exec, vcc
	s_cbranch_execz .LBB30_3396
; %bb.3388:                             ;   in Loop: Header=BB30_3271 Depth=2
	v_add_u32_e32 v10, v8, v6
	v_ashrrev_i32_e32 v11, 31, v10
	v_lshl_add_u64 v[8:9], v[116:117], 0, v[10:11]
	v_lshl_add_u64 v[0:1], v[10:11], 0, v[0:1]
	s_mov_b64 s[94:95], 0
	s_mov_b64 s[90:91], 0
                                        ; implicit-def: $sgpr92_sgpr93
                                        ; implicit-def: $vgpr5
	s_branch .LBB30_3390
.LBB30_3389:                            ;   in Loop: Header=BB30_3390 Depth=3
	s_or_b64 exec, exec, vcc
	v_sub_u32_e32 v7, v7, v12
	v_cmp_gt_i32_e32 vcc, 2, v7
	s_or_b64 s[90:91], vcc, s[90:91]
	s_waitcnt lgkmcnt(0)
	flat_store_short v[8:9], v6 nt
	v_lshl_add_u64 v[8:9], v[8:9], 0, v[10:11]
	s_andn2_b64 s[8:9], s[92:93], exec
	s_and_b64 s[92:93], s[94:95], exec
	v_lshl_add_u64 v[0:1], v[0:1], 0, v[10:11]
	v_lshl_add_u64 v[8:9], v[8:9], 0, s[60:61]
	s_or_b64 s[92:93], s[8:9], s[92:93]
	s_andn2_b64 exec, exec, s[90:91]
	s_cbranch_execz .LBB30_3394
.LBB30_3390:                            ;   Parent Loop BB30_47 Depth=1
                                        ;     Parent Loop BB30_3271 Depth=2
                                        ; =>    This Inner Loop Header: Depth=3
	flat_load_ushort v6, v[0:1] nt
	s_and_saveexec_b64 vcc, s[94:95]
	s_cbranch_execz .LBB30_3392
; %bb.3391:                             ;   in Loop: Header=BB30_3390 Depth=3
	scratch_load_dwordx2 v[10:11], off, s33 offset:256 ; 8-byte Folded Reload
	s_waitcnt vmcnt(0)
	v_lshl_add_u64 v[10:11], v[8:9], 0, v[10:11]
	flat_store_short v[8:9], v5 nt
	v_mov_b64_e32 v[8:9], v[10:11]
.LBB30_3392:                            ;   in Loop: Header=BB30_3390 Depth=3
	s_or_b64 exec, exec, vcc
	scratch_load_dwordx2 v[10:11], off, s33 offset:256 ; 8-byte Folded Reload
	v_sub_u32_e32 v7, v7, v31
	v_cmp_lt_i32_e64 s[94:95], 1, v7
	v_mov_b32_e32 v12, 0
	s_waitcnt vmcnt(0)
	v_lshl_add_u64 v[0:1], v[0:1], 0, v[10:11]
	v_mov_b64_e32 v[10:11], 0
	s_and_saveexec_b64 vcc, s[94:95]
	s_cbranch_execz .LBB30_3389
; %bb.3393:                             ;   in Loop: Header=BB30_3390 Depth=3
	flat_load_ushort v5, v[0:1] nt
	v_lshl_add_u64 v[0:1], v[0:1], 0, s[60:61]
	v_mov_b32_e32 v12, v31
	v_mov_b64_e32 v[10:11], v[92:93]
	s_branch .LBB30_3389
.LBB30_3394:                            ;   in Loop: Header=BB30_3271 Depth=2
	s_or_b64 exec, exec, s[90:91]
	s_and_b64 exec, exec, s[92:93]
	s_cbranch_execz .LBB30_3396
; %bb.3395:                             ;   in Loop: Header=BB30_3271 Depth=2
	s_waitcnt vmcnt(0)
	flat_store_short v[8:9], v5 nt
.LBB30_3396:                            ;   in Loop: Header=BB30_3271 Depth=2
	s_or_b64 exec, exec, s[22:23]
	v_cmp_lt_i32_e64 s[22:23], 0, v2
	s_and_saveexec_b64 s[90:91], s[4:5]
	s_cbranch_execz .LBB30_3342
.LBB30_3397:                            ;   in Loop: Header=BB30_3271 Depth=2
	s_and_saveexec_b64 s[8:9], s[44:45]
	s_xor_b64 s[92:93], exec, s[8:9]
	s_cbranch_execz .LBB30_3412
; %bb.3398:                             ;   in Loop: Header=BB30_3271 Depth=2
	s_and_saveexec_b64 s[94:95], s[12:13]
	s_cbranch_execz .LBB30_3411
; %bb.3399:                             ;   in Loop: Header=BB30_3271 Depth=2
	s_mov_b64 s[34:35], exec
	v_mbcnt_lo_u32_b32 v0, s34, 0
	v_mbcnt_hi_u32_b32 v0, s35, v0
	v_cmp_eq_u32_e32 vcc, 0, v0
	s_waitcnt lgkmcnt(0)
	s_and_saveexec_b64 s[30:31], vcc
	s_cbranch_execz .LBB30_3401
; %bb.3400:                             ;   in Loop: Header=BB30_3271 Depth=2
	s_bcnt1_i32_b64 s8, s[34:35]
	v_mov_b32_e32 v2, s8
	ds_add_u64 v0, v[2:3]
	s_trap 2
.LBB30_3401:                            ;   in Loop: Header=BB30_3271 Depth=2
	s_or_b64 exec, exec, s[30:31]
	s_trap 2
	ds_read_b64 v[0:1], v0
	s_waitcnt lgkmcnt(0)
	v_lshl_add_u64 v[46:47], v[46:47], 0, v[60:61]
	v_cmp_lt_u64_e32 vcc, v[0:1], v[46:47]
	s_and_saveexec_b64 s[30:31], vcc
	s_cbranch_execz .LBB30_3410
; %bb.3402:                             ;   in Loop: Header=BB30_3271 Depth=2
	s_mov_b32 s8, 0
	s_mov_b64 s[34:35], 0
                                        ; implicit-def: $sgpr36_sgpr37
                                        ; implicit-def: $sgpr38_sgpr39
	s_branch .LBB30_3404
.LBB30_3403:                            ;   in Loop: Header=BB30_3404 Depth=3
	s_or_b64 exec, exec, s[50:51]
	s_and_b64 vcc, exec, vcc
	s_or_b64 s[34:35], vcc, s[34:35]
	s_andn2_b64 vcc, s[36:37], exec
	s_and_b64 s[36:37], s[38:39], exec
	s_or_b64 s[36:37], vcc, s[36:37]
	s_andn2_b64 exec, exec, s[34:35]
	s_cbranch_execz .LBB30_3408
.LBB30_3404:                            ;   Parent Loop BB30_47 Depth=1
                                        ;     Parent Loop BB30_3271 Depth=2
                                        ; =>    This Inner Loop Header: Depth=3
	s_add_i32 s8, s8, 1
	s_cmpk_lg_i32 s8, 0x2710
	s_cselect_b64 s[48:49], -1, 0
	s_and_b64 vcc, exec, s[48:49]
	s_cbranch_vccz .LBB30_3406
; %bb.3405:                             ;   in Loop: Header=BB30_3404 Depth=3
	s_mov_b64 vcc, -1
	s_or_b64 s[38:39], s[38:39], exec
	s_and_saveexec_b64 s[50:51], s[48:49]
	s_cbranch_execz .LBB30_3403
	s_branch .LBB30_3407
.LBB30_3406:                            ;   in Loop: Header=BB30_3404 Depth=3
	s_trap 2
	ds_read_b64 v[0:1], v0
	s_andn2_b64 s[48:49], s[48:49], exec
	s_mov_b32 s8, 0
	s_waitcnt vmcnt(0) lgkmcnt(0)
	flat_load_dword v0, v[0:1] sc0 sc1
	s_waitcnt vmcnt(0) lgkmcnt(0)
	buffer_inv sc0 sc1
	v_cmp_eq_u32_e32 vcc, 0, v0
	s_and_b64 vcc, vcc, exec
	s_or_b64 s[48:49], s[48:49], vcc
	s_mov_b64 vcc, -1
	s_or_b64 s[38:39], s[38:39], exec
	s_and_saveexec_b64 s[50:51], s[48:49]
	s_cbranch_execz .LBB30_3403
.LBB30_3407:                            ;   in Loop: Header=BB30_3404 Depth=3
	s_sleep 1
	s_trap 2
	ds_read_b64 v[0:1], v0
	s_waitcnt lgkmcnt(0)
	s_andn2_b64 s[38:39], s[38:39], exec
	v_cmp_ge_u64_e32 vcc, v[0:1], v[46:47]
	s_orn2_b64 vcc, vcc, exec
	s_branch .LBB30_3403
.LBB30_3408:                            ;   in Loop: Header=BB30_3271 Depth=2
	s_or_b64 exec, exec, s[34:35]
	s_and_saveexec_b64 s[8:9], s[36:37]
	s_xor_b64 s[8:9], exec, s[8:9]
	s_cbranch_execz .LBB30_3410
; %bb.3409:                             ;   in Loop: Header=BB30_3271 Depth=2
	v_mov_b32_e32 v0, 1
	ds_write_b32 v0, v0
	s_trap 2
.LBB30_3410:                            ;   in Loop: Header=BB30_3271 Depth=2
	s_or_b64 exec, exec, s[30:31]
	;;#ASMSTART
	s_wakeup
	;;#ASMEND
.LBB30_3411:                            ;   in Loop: Header=BB30_3271 Depth=2
	s_or_b64 exec, exec, s[94:95]
.LBB30_3412:                            ;   in Loop: Header=BB30_3271 Depth=2
	s_andn2_saveexec_b64 s[92:93], s[92:93]
	s_cbranch_execz .LBB30_3414
; %bb.3413:                             ;   in Loop: Header=BB30_3271 Depth=2
	s_waitcnt lgkmcnt(0)
	s_barrier
.LBB30_3414:                            ;   in Loop: Header=BB30_3271 Depth=2
	s_or_b64 exec, exec, s[92:93]
	s_or_b64 exec, exec, s[90:91]
	s_and_saveexec_b64 s[8:9], s[20:21]
	s_xor_b64 s[90:91], exec, s[8:9]
	s_cbranch_execnz .LBB30_3343
.LBB30_3415:                            ;   in Loop: Header=BB30_3271 Depth=2
	s_andn2_saveexec_b64 s[22:23], s[90:91]
	s_cbranch_execz .LBB30_3434
.LBB30_3416:                            ;   in Loop: Header=BB30_3271 Depth=2
	s_and_saveexec_b64 s[8:9], s[44:45]
	s_xor_b64 s[90:91], exec, s[8:9]
	s_cbranch_execz .LBB30_3431
; %bb.3417:                             ;   in Loop: Header=BB30_3271 Depth=2
	s_and_saveexec_b64 s[92:93], s[12:13]
	s_cbranch_execz .LBB30_3430
; %bb.3418:                             ;   in Loop: Header=BB30_3271 Depth=2
	s_mov_b64 s[30:31], exec
	v_mbcnt_lo_u32_b32 v0, s30, 0
	v_mbcnt_hi_u32_b32 v0, s31, v0
	v_cmp_eq_u32_e32 vcc, 0, v0
	;;#ASMSTART
	s_waitcnt lgkmcnt(0) vmcnt(0)
	;;#ASMEND
	s_and_saveexec_b64 s[94:95], vcc
	s_cbranch_execz .LBB30_3420
; %bb.3419:                             ;   in Loop: Header=BB30_3271 Depth=2
	s_bcnt1_i32_b64 s8, s[30:31]
	v_mov_b32_e32 v2, s8
	s_waitcnt lgkmcnt(0)
	ds_add_u64 v0, v[2:3]
	s_trap 2
.LBB30_3420:                            ;   in Loop: Header=BB30_3271 Depth=2
	s_or_b64 exec, exec, s[94:95]
	s_trap 2
	ds_read_b64 v[0:1], v0
	s_waitcnt lgkmcnt(0)
	v_lshl_add_u64 v[46:47], v[46:47], 0, v[60:61]
	v_cmp_lt_u64_e32 vcc, v[0:1], v[46:47]
	s_and_saveexec_b64 s[94:95], vcc
	s_cbranch_execz .LBB30_3429
; %bb.3421:                             ;   in Loop: Header=BB30_3271 Depth=2
	s_mov_b32 s8, 0
	s_mov_b64 s[30:31], 0
                                        ; implicit-def: $sgpr34_sgpr35
                                        ; implicit-def: $sgpr36_sgpr37
	s_branch .LBB30_3423
.LBB30_3422:                            ;   in Loop: Header=BB30_3423 Depth=3
	s_or_b64 exec, exec, s[48:49]
	s_and_b64 vcc, exec, vcc
	s_or_b64 s[30:31], vcc, s[30:31]
	s_andn2_b64 vcc, s[34:35], exec
	s_and_b64 s[34:35], s[36:37], exec
	s_or_b64 s[34:35], vcc, s[34:35]
	s_andn2_b64 exec, exec, s[30:31]
	s_cbranch_execz .LBB30_3427
.LBB30_3423:                            ;   Parent Loop BB30_47 Depth=1
                                        ;     Parent Loop BB30_3271 Depth=2
                                        ; =>    This Inner Loop Header: Depth=3
	s_add_i32 s8, s8, 1
	s_cmpk_lg_i32 s8, 0x2710
	s_cselect_b64 s[38:39], -1, 0
	s_and_b64 vcc, exec, s[38:39]
	s_cbranch_vccz .LBB30_3425
; %bb.3424:                             ;   in Loop: Header=BB30_3423 Depth=3
	s_mov_b64 vcc, -1
	s_or_b64 s[36:37], s[36:37], exec
	s_and_saveexec_b64 s[48:49], s[38:39]
	s_cbranch_execz .LBB30_3422
	s_branch .LBB30_3426
.LBB30_3425:                            ;   in Loop: Header=BB30_3423 Depth=3
	s_trap 2
	ds_read_b64 v[0:1], v0
	s_andn2_b64 s[38:39], s[38:39], exec
	s_mov_b32 s8, 0
	s_waitcnt vmcnt(0) lgkmcnt(0)
	flat_load_dword v0, v[0:1] sc0 sc1
	s_waitcnt vmcnt(0) lgkmcnt(0)
	buffer_inv sc0 sc1
	v_cmp_eq_u32_e32 vcc, 0, v0
	s_and_b64 vcc, vcc, exec
	s_or_b64 s[38:39], s[38:39], vcc
	s_mov_b64 vcc, -1
	s_or_b64 s[36:37], s[36:37], exec
	s_and_saveexec_b64 s[48:49], s[38:39]
	s_cbranch_execz .LBB30_3422
.LBB30_3426:                            ;   in Loop: Header=BB30_3423 Depth=3
	s_sleep 1
	s_trap 2
	ds_read_b64 v[0:1], v0
	s_waitcnt lgkmcnt(0)
	s_andn2_b64 s[36:37], s[36:37], exec
	v_cmp_ge_u64_e32 vcc, v[0:1], v[46:47]
	s_orn2_b64 vcc, vcc, exec
	s_branch .LBB30_3422
.LBB30_3427:                            ;   in Loop: Header=BB30_3271 Depth=2
	s_or_b64 exec, exec, s[30:31]
	s_and_saveexec_b64 s[8:9], s[34:35]
	s_xor_b64 s[8:9], exec, s[8:9]
	s_cbranch_execz .LBB30_3429
; %bb.3428:                             ;   in Loop: Header=BB30_3271 Depth=2
	v_mov_b32_e32 v0, 1
	ds_write_b32 v0, v0
	s_trap 2
.LBB30_3429:                            ;   in Loop: Header=BB30_3271 Depth=2
	s_or_b64 exec, exec, s[94:95]
	;;#ASMSTART
	s_wakeup
	;;#ASMEND
.LBB30_3430:                            ;   in Loop: Header=BB30_3271 Depth=2
	s_or_b64 exec, exec, s[92:93]
.LBB30_3431:                            ;   in Loop: Header=BB30_3271 Depth=2
	s_andn2_saveexec_b64 s[90:91], s[90:91]
	s_cbranch_execz .LBB30_3433
; %bb.3432:                             ;   in Loop: Header=BB30_3271 Depth=2
	;;#ASMSTART
	s_waitcnt lgkmcnt(0) vmcnt(0)
	;;#ASMEND
	s_barrier
.LBB30_3433:                            ;   in Loop: Header=BB30_3271 Depth=2
	s_or_b64 exec, exec, s[90:91]
.LBB30_3434:                            ;   in Loop: Header=BB30_3271 Depth=2
	s_or_b64 exec, exec, s[22:23]
	v_and_b32_e32 v0, 32, v110
	v_cmp_ne_u32_e32 vcc, 0, v0
	s_and_saveexec_b64 s[22:23], vcc
	s_cbranch_execz .LBB30_3270
; %bb.3435:                             ;   in Loop: Header=BB30_3271 Depth=2
	v_lshl_add_u64 v[124:125], v[124:125], 0, 2
	flat_store_dwordx2 v[40:41], v[124:125] sc0 sc1
	s_branch .LBB30_3270
.LBB30_3436:                            ;   in Loop: Header=BB30_47 Depth=1
	s_or_b64 exec, exec, s[26:27]
	scratch_load_dwordx2 v[12:13], off, s33 offset:404 ; 8-byte Folded Reload
	scratch_load_dwordx2 v[14:15], off, s33 offset:396 ; 8-byte Folded Reload
.LBB30_3437:                            ;   in Loop: Header=BB30_47 Depth=1
	s_or_b64 exec, exec, s[24:25]
	scratch_load_dwordx4 v[22:25], off, s33 offset:436 ; 16-byte Folded Reload
	v_cmp_gt_i32_e32 vcc, 2, v0
	s_and_saveexec_b64 s[24:25], vcc
	s_cbranch_execz .LBB30_46
; %bb.3438:                             ;   in Loop: Header=BB30_47 Depth=1
	v_cmp_eq_u32_e64 s[28:29], 0, v0
	s_mov_b64 s[26:27], 0
	s_branch .LBB30_3440
.LBB30_3439:                            ;   in Loop: Header=BB30_3440 Depth=2
	s_or_b64 exec, exec, s[22:23]
	v_add_u32_e32 v4, v73, v4
	s_mov_b64 s[28:29], 0
	s_andn2_b64 exec, exec, s[26:27]
	s_cbranch_execz .LBB30_45
.LBB30_3440:                            ;   Parent Loop BB30_47 Depth=1
                                        ; =>  This Loop Header: Depth=2
                                        ;       Child Loop BB30_3446 Depth 3
                                        ;       Child Loop BB30_3470 Depth 3
	;; [unrolled: 1-line block ×3, first 2 shown]
	v_and_b32_e32 v0, 4, v110
	v_cmp_ne_u32_e32 vcc, 0, v0
	s_and_saveexec_b64 s[90:91], vcc
	s_cbranch_execz .LBB30_3462
; %bb.3441:                             ;   in Loop: Header=BB30_3440 Depth=2
	v_lshl_add_u64 v[0:1], v[124:125], 0, 2
	s_waitcnt lgkmcnt(0)
	v_cmp_lt_u64_e32 vcc, v[56:57], v[0:1]
	s_and_saveexec_b64 s[92:93], vcc
	s_cbranch_execz .LBB30_3453
; %bb.3442:                             ;   in Loop: Header=BB30_3440 Depth=2
	v_and_b32_e32 v2, 64, v110
	s_mov_b32 s8, 0
	v_cmp_eq_u32_e32 vcc, 0, v2
	s_mov_b64 s[94:95], 0
                                        ; implicit-def: $sgpr30_sgpr31
                                        ; implicit-def: $sgpr34_sgpr35
                                        ; implicit-def: $sgpr36_sgpr37
	s_branch .LBB30_3446
.LBB30_3443:                            ;   in Loop: Header=BB30_3446 Depth=3
	s_waitcnt vmcnt(0) lgkmcnt(0)
	v_cmp_ge_u64_e64 s[22:23], v[56:57], v[0:1]
	s_or_b64 s[50:51], s[50:51], exec
	s_orn2_b64 s[48:49], s[22:23], exec
.LBB30_3444:                            ;   in Loop: Header=BB30_3446 Depth=3
	s_or_b64 exec, exec, s[54:55]
	s_andn2_b64 s[22:23], s[36:37], exec
	s_and_b64 s[74:75], s[50:51], exec
	s_or_b64 s[36:37], s[22:23], s[74:75]
	s_andn2_b64 s[22:23], s[34:35], exec
	s_and_b64 s[74:75], s[48:49], exec
	s_or_b64 s[34:35], s[22:23], s[74:75]
.LBB30_3445:                            ;   in Loop: Header=BB30_3446 Depth=3
	s_or_b64 exec, exec, s[38:39]
	s_and_b64 s[22:23], exec, s[34:35]
	s_or_b64 s[94:95], s[22:23], s[94:95]
	s_andn2_b64 s[22:23], s[30:31], exec
	s_and_b64 s[74:75], s[36:37], exec
	s_or_b64 s[30:31], s[22:23], s[74:75]
	s_andn2_b64 exec, exec, s[94:95]
	s_cbranch_execz .LBB30_3450
.LBB30_3446:                            ;   Parent Loop BB30_47 Depth=1
                                        ;     Parent Loop BB30_3440 Depth=2
                                        ; =>    This Inner Loop Header: Depth=3
	s_sleep 1
	s_waitcnt vmcnt(0) lgkmcnt(0)
	flat_load_dwordx2 v[56:57], v[40:41] sc0 sc1
	s_or_b64 s[36:37], s[36:37], exec
	s_or_b64 s[34:35], s[34:35], exec
                                        ; implicit-def: $vgpr2
	s_and_saveexec_b64 s[38:39], vcc
	s_cbranch_execz .LBB30_3445
; %bb.3447:                             ;   in Loop: Header=BB30_3446 Depth=3
	s_cmpk_lt_i32 s8, 0x270f
	s_cselect_b64 s[52:53], -1, 0
	s_cmpk_gt_i32 s8, 0x270e
	s_mov_b64 s[48:49], -1
	s_cbranch_scc0 .LBB30_3449
; %bb.3448:                             ;   in Loop: Header=BB30_3446 Depth=3
	s_trap 2
	ds_read_b64 v[6:7], v0
	s_andn2_b64 s[74:75], s[52:53], exec
	s_mov_b32 s8, 0
	s_mov_b64 s[50:51], 0
	s_waitcnt vmcnt(0) lgkmcnt(0)
	flat_load_dword v2, v[6:7] sc0 sc1
	s_waitcnt vmcnt(0) lgkmcnt(0)
	buffer_inv sc0 sc1
	v_cmp_eq_u32_e64 s[22:23], 0, v2
	s_and_b64 s[22:23], s[22:23], exec
	s_or_b64 s[52:53], s[74:75], s[22:23]
	s_and_saveexec_b64 s[54:55], s[52:53]
	s_cbranch_execz .LBB30_3444
	s_branch .LBB30_3443
.LBB30_3449:                            ;   in Loop: Header=BB30_3446 Depth=3
	s_add_i32 s8, s8, 1
	s_mov_b64 s[50:51], -1
                                        ; implicit-def: $vgpr2
	s_and_saveexec_b64 s[54:55], s[52:53]
	s_cbranch_execz .LBB30_3444
	s_branch .LBB30_3443
.LBB30_3450:                            ;   in Loop: Header=BB30_3440 Depth=2
	s_or_b64 exec, exec, s[94:95]
	s_xor_b64 s[8:9], s[30:31], -1
	s_and_saveexec_b64 s[22:23], s[8:9]
	s_xor_b64 s[22:23], exec, s[22:23]
	s_cbranch_execz .LBB30_3452
; %bb.3451:                             ;   in Loop: Header=BB30_3440 Depth=2
	v_or_b32_e32 v110, 64, v110
	s_waitcnt lgkmcnt(0)
	ds_write_b32 v0, v2
	s_trap 2
.LBB30_3452:                            ;   in Loop: Header=BB30_3440 Depth=2
	s_or_b64 exec, exec, s[22:23]
.LBB30_3453:                            ;   in Loop: Header=BB30_3440 Depth=2
	s_or_b64 exec, exec, s[92:93]
	v_and_b32_e32 v2, 0x100, v110
	v_cmp_ne_u32_e32 vcc, 0, v2
	v_and_b32_e32 v2, 7, v124
	s_mov_b64 s[22:23], -1
	;;#ASMSTART
	s_wakeup
	;;#ASMEND
                                        ; implicit-def: $vgpr8_vgpr9
	s_and_saveexec_b64 s[92:93], vcc
	s_cbranch_execz .LBB30_3457
; %bb.3454:                             ;   in Loop: Header=BB30_3440 Depth=2
	scratch_load_dwordx4 v[6:9], off, s33 offset:288 ; 16-byte Folded Reload
                                        ; implicit-def: $vgpr8_vgpr9
	s_waitcnt vmcnt(0)
	v_mad_u64_u32 v[10:11], s[8:9], v2, 24, v[6:7]
	flat_load_dword v5, v[10:11]
	s_waitcnt vmcnt(0) lgkmcnt(0)
	v_cmp_ne_u32_e32 vcc, 1, v5
	v_cmp_eq_u32_e64 s[22:23], 1, v5
	s_and_saveexec_b64 s[94:95], s[22:23]
	s_cbranch_execz .LBB30_3456
; %bb.3455:                             ;   in Loop: Header=BB30_3440 Depth=2
	flat_load_dword v6, v[10:11] offset:4 sc0 sc1
	s_waitcnt vmcnt(0) lgkmcnt(0)
	v_ashrrev_i32_e32 v7, 31, v6
	v_lshrrev_b64 v[8:9], 1, v[6:7]
.LBB30_3456:                            ;   in Loop: Header=BB30_3440 Depth=2
	s_or_b64 exec, exec, s[94:95]
	s_orn2_b64 s[22:23], vcc, exec
.LBB30_3457:                            ;   in Loop: Header=BB30_3440 Depth=2
	s_or_b64 exec, exec, s[92:93]
	s_and_saveexec_b64 s[92:93], s[22:23]
	s_cbranch_execz .LBB30_3459
; %bb.3458:                             ;   in Loop: Header=BB30_3440 Depth=2
	scratch_load_dwordx2 v[6:7], off, s33 offset:316 ; 8-byte Folded Reload
	s_waitcnt vmcnt(0)
	v_mad_i64_i32 v[8:9], s[8:9], v2, v6, 0
.LBB30_3459:                            ;   in Loop: Header=BB30_3440 Depth=2
	s_or_b64 exec, exec, s[92:93]
	scratch_load_dwordx2 v[6:7], off, s33 offset:280 ; 8-byte Folded Reload
	v_and_b32_e32 v2, 0x2000, v110
	v_cmp_ne_u32_e32 vcc, 0, v2
	s_waitcnt vmcnt(0)
	v_lshl_add_u64 v[6:7], v[8:9], 1, v[6:7]
	ds_write_b64 v0, v[6:7] offset:720
	s_and_saveexec_b64 s[22:23], vcc
	s_cbranch_execz .LBB30_3461
; %bb.3460:                             ;   in Loop: Header=BB30_3440 Depth=2
	ds_read_b64 v[6:7], v0 offset:872
	s_waitcnt lgkmcnt(0)
	v_lshl_add_u64 v[6:7], v[6:7], 0, 1
	ds_write_b64 v0, v[6:7] offset:872
.LBB30_3461:                            ;   in Loop: Header=BB30_3440 Depth=2
	s_or_b64 exec, exec, s[22:23]
	v_mov_b64_e32 v[124:125], v[0:1]
.LBB30_3462:                            ;   in Loop: Header=BB30_3440 Depth=2
	s_or_b64 exec, exec, s[90:91]
	s_xor_b64 s[8:9], s[28:29], -1
	s_and_b64 s[8:9], exec, s[8:9]
	s_or_b64 s[26:27], s[8:9], s[26:27]
	s_and_saveexec_b64 s[22:23], s[4:5]
	s_cbranch_execz .LBB30_3481
; %bb.3463:                             ;   in Loop: Header=BB30_3440 Depth=2
	s_and_saveexec_b64 s[8:9], s[44:45]
	s_xor_b64 s[28:29], exec, s[8:9]
	s_cbranch_execz .LBB30_3478
; %bb.3464:                             ;   in Loop: Header=BB30_3440 Depth=2
	s_and_saveexec_b64 s[90:91], s[12:13]
	s_cbranch_execz .LBB30_3477
; %bb.3465:                             ;   in Loop: Header=BB30_3440 Depth=2
	s_mov_b64 s[94:95], exec
	v_mbcnt_lo_u32_b32 v0, s94, 0
	v_mbcnt_hi_u32_b32 v0, s95, v0
	v_cmp_eq_u32_e32 vcc, 0, v0
	s_waitcnt lgkmcnt(0)
	s_and_saveexec_b64 s[92:93], vcc
	s_cbranch_execz .LBB30_3467
; %bb.3466:                             ;   in Loop: Header=BB30_3440 Depth=2
	s_bcnt1_i32_b64 s8, s[94:95]
	v_mov_b32_e32 v2, s8
	ds_add_u64 v0, v[2:3]
	s_trap 2
.LBB30_3467:                            ;   in Loop: Header=BB30_3440 Depth=2
	s_or_b64 exec, exec, s[92:93]
	s_trap 2
	ds_read_b64 v[0:1], v0
	s_waitcnt lgkmcnt(0)
	v_lshl_add_u64 v[46:47], v[46:47], 0, v[60:61]
	v_cmp_lt_u64_e32 vcc, v[0:1], v[46:47]
	s_and_saveexec_b64 s[92:93], vcc
	s_cbranch_execz .LBB30_3476
; %bb.3468:                             ;   in Loop: Header=BB30_3440 Depth=2
	s_mov_b32 s8, 0
	s_mov_b64 s[94:95], 0
                                        ; implicit-def: $sgpr30_sgpr31
                                        ; implicit-def: $sgpr34_sgpr35
	s_branch .LBB30_3470
.LBB30_3469:                            ;   in Loop: Header=BB30_3470 Depth=3
	s_or_b64 exec, exec, s[38:39]
	s_and_b64 s[74:75], exec, vcc
	s_or_b64 s[94:95], s[74:75], s[94:95]
	s_andn2_b64 s[74:75], s[30:31], exec
	s_and_b64 vcc, s[34:35], exec
	s_or_b64 s[30:31], s[74:75], vcc
	s_andn2_b64 exec, exec, s[94:95]
	s_cbranch_execz .LBB30_3474
.LBB30_3470:                            ;   Parent Loop BB30_47 Depth=1
                                        ;     Parent Loop BB30_3440 Depth=2
                                        ; =>    This Inner Loop Header: Depth=3
	s_add_i32 s8, s8, 1
	s_cmpk_lg_i32 s8, 0x2710
	s_cselect_b64 s[36:37], -1, 0
	s_and_b64 vcc, exec, s[36:37]
	s_cbranch_vccz .LBB30_3472
; %bb.3471:                             ;   in Loop: Header=BB30_3470 Depth=3
	s_mov_b64 vcc, -1
	s_or_b64 s[34:35], s[34:35], exec
	s_and_saveexec_b64 s[38:39], s[36:37]
	s_cbranch_execz .LBB30_3469
	s_branch .LBB30_3473
.LBB30_3472:                            ;   in Loop: Header=BB30_3470 Depth=3
	s_trap 2
	ds_read_b64 v[0:1], v0
	s_andn2_b64 s[74:75], s[36:37], exec
	s_mov_b32 s8, 0
	s_waitcnt vmcnt(0) lgkmcnt(0)
	flat_load_dword v0, v[0:1] sc0 sc1
	s_waitcnt vmcnt(0) lgkmcnt(0)
	buffer_inv sc0 sc1
	v_cmp_eq_u32_e32 vcc, 0, v0
	s_and_b64 vcc, vcc, exec
	s_or_b64 s[36:37], s[74:75], vcc
	s_mov_b64 vcc, -1
	s_or_b64 s[34:35], s[34:35], exec
	s_and_saveexec_b64 s[38:39], s[36:37]
	s_cbranch_execz .LBB30_3469
.LBB30_3473:                            ;   in Loop: Header=BB30_3470 Depth=3
	s_sleep 1
	s_trap 2
	ds_read_b64 v[0:1], v0
	s_waitcnt lgkmcnt(0)
	s_andn2_b64 s[34:35], s[34:35], exec
	v_cmp_ge_u64_e32 vcc, v[0:1], v[46:47]
	s_orn2_b64 vcc, vcc, exec
	s_branch .LBB30_3469
.LBB30_3474:                            ;   in Loop: Header=BB30_3440 Depth=2
	s_or_b64 exec, exec, s[94:95]
	s_and_saveexec_b64 s[8:9], s[30:31]
	s_xor_b64 s[8:9], exec, s[8:9]
	s_cbranch_execz .LBB30_3476
; %bb.3475:                             ;   in Loop: Header=BB30_3440 Depth=2
	v_mov_b32_e32 v0, 1
	ds_write_b32 v0, v0
	s_trap 2
.LBB30_3476:                            ;   in Loop: Header=BB30_3440 Depth=2
	s_or_b64 exec, exec, s[92:93]
	;;#ASMSTART
	s_wakeup
	;;#ASMEND
.LBB30_3477:                            ;   in Loop: Header=BB30_3440 Depth=2
	s_or_b64 exec, exec, s[90:91]
.LBB30_3478:                            ;   in Loop: Header=BB30_3440 Depth=2
	s_andn2_saveexec_b64 s[28:29], s[28:29]
	s_cbranch_execz .LBB30_3480
; %bb.3479:                             ;   in Loop: Header=BB30_3440 Depth=2
	s_waitcnt lgkmcnt(0)
	s_barrier
.LBB30_3480:                            ;   in Loop: Header=BB30_3440 Depth=2
	s_or_b64 exec, exec, s[28:29]
.LBB30_3481:                            ;   in Loop: Header=BB30_3440 Depth=2
	s_or_b64 exec, exec, s[22:23]
	v_sub_u32_e32 v0, v72, v4
	v_min_i32_e32 v73, v73, v0
	s_and_saveexec_b64 s[8:9], s[20:21]
	s_xor_b64 s[22:23], exec, s[8:9]
	s_cbranch_execz .LBB30_3485
; %bb.3482:                             ;   in Loop: Header=BB30_3440 Depth=2
	s_trap 2
	ds_read_b32 v0, v0
	v_cmp_lt_i32_e32 vcc, 0, v73
	v_and_b32_e32 v1, 16, v110
	s_waitcnt lgkmcnt(0)
	v_readfirstlane_b32 s8, v0
	s_cmp_eq_u32 s8, 0
	s_cselect_b64 s[8:9], -1, 0
	s_and_b64 s[8:9], vcc, s[8:9]
	v_cmp_ne_u32_e32 vcc, 0, v1
	s_and_b64 s[8:9], vcc, s[8:9]
	s_and_saveexec_b64 s[28:29], s[8:9]
	s_cbranch_execz .LBB30_3484
; %bb.3483:                             ;   in Loop: Header=BB30_3440 Depth=2
	buffer_wbl2 sc1
	s_waitcnt vmcnt(0)
	buffer_inv sc1
.LBB30_3484:                            ;   in Loop: Header=BB30_3440 Depth=2
	s_or_b64 exec, exec, s[28:29]
.LBB30_3485:                            ;   in Loop: Header=BB30_3440 Depth=2
	s_andn2_saveexec_b64 s[22:23], s[22:23]
	s_cbranch_execz .LBB30_3504
; %bb.3486:                             ;   in Loop: Header=BB30_3440 Depth=2
	s_and_saveexec_b64 s[8:9], s[44:45]
	s_xor_b64 s[28:29], exec, s[8:9]
	s_cbranch_execz .LBB30_3501
; %bb.3487:                             ;   in Loop: Header=BB30_3440 Depth=2
	s_and_saveexec_b64 s[90:91], s[12:13]
	s_cbranch_execz .LBB30_3500
; %bb.3488:                             ;   in Loop: Header=BB30_3440 Depth=2
	s_mov_b64 s[94:95], exec
	v_mbcnt_lo_u32_b32 v0, s94, 0
	v_mbcnt_hi_u32_b32 v0, s95, v0
	v_cmp_eq_u32_e32 vcc, 0, v0
	;;#ASMSTART
	s_waitcnt lgkmcnt(0) vmcnt(0)
	;;#ASMEND
	s_and_saveexec_b64 s[92:93], vcc
	s_cbranch_execz .LBB30_3490
; %bb.3489:                             ;   in Loop: Header=BB30_3440 Depth=2
	s_bcnt1_i32_b64 s8, s[94:95]
	v_mov_b32_e32 v2, s8
	s_waitcnt lgkmcnt(0)
	ds_add_u64 v0, v[2:3]
	s_trap 2
.LBB30_3490:                            ;   in Loop: Header=BB30_3440 Depth=2
	s_or_b64 exec, exec, s[92:93]
	s_trap 2
	ds_read_b64 v[0:1], v0
	s_waitcnt lgkmcnt(0)
	v_lshl_add_u64 v[46:47], v[46:47], 0, v[60:61]
	v_cmp_lt_u64_e32 vcc, v[0:1], v[46:47]
	s_and_saveexec_b64 s[92:93], vcc
	s_cbranch_execz .LBB30_3499
; %bb.3491:                             ;   in Loop: Header=BB30_3440 Depth=2
	s_mov_b32 s8, 0
	s_mov_b64 s[94:95], 0
                                        ; implicit-def: $sgpr30_sgpr31
                                        ; implicit-def: $sgpr34_sgpr35
	s_branch .LBB30_3493
.LBB30_3492:                            ;   in Loop: Header=BB30_3493 Depth=3
	s_or_b64 exec, exec, s[38:39]
	s_and_b64 s[74:75], exec, vcc
	s_or_b64 s[94:95], s[74:75], s[94:95]
	s_andn2_b64 s[74:75], s[30:31], exec
	s_and_b64 vcc, s[34:35], exec
	s_or_b64 s[30:31], s[74:75], vcc
	s_andn2_b64 exec, exec, s[94:95]
	s_cbranch_execz .LBB30_3497
.LBB30_3493:                            ;   Parent Loop BB30_47 Depth=1
                                        ;     Parent Loop BB30_3440 Depth=2
                                        ; =>    This Inner Loop Header: Depth=3
	s_add_i32 s8, s8, 1
	s_cmpk_lg_i32 s8, 0x2710
	s_cselect_b64 s[36:37], -1, 0
	s_and_b64 vcc, exec, s[36:37]
	s_cbranch_vccz .LBB30_3495
; %bb.3494:                             ;   in Loop: Header=BB30_3493 Depth=3
	s_mov_b64 vcc, -1
	s_or_b64 s[34:35], s[34:35], exec
	s_and_saveexec_b64 s[38:39], s[36:37]
	s_cbranch_execz .LBB30_3492
	s_branch .LBB30_3496
.LBB30_3495:                            ;   in Loop: Header=BB30_3493 Depth=3
	s_trap 2
	ds_read_b64 v[0:1], v0
	s_andn2_b64 s[74:75], s[36:37], exec
	s_mov_b32 s8, 0
	s_waitcnt vmcnt(0) lgkmcnt(0)
	flat_load_dword v0, v[0:1] sc0 sc1
	s_waitcnt vmcnt(0) lgkmcnt(0)
	buffer_inv sc0 sc1
	v_cmp_eq_u32_e32 vcc, 0, v0
	s_and_b64 vcc, vcc, exec
	s_or_b64 s[36:37], s[74:75], vcc
	s_mov_b64 vcc, -1
	s_or_b64 s[34:35], s[34:35], exec
	s_and_saveexec_b64 s[38:39], s[36:37]
	s_cbranch_execz .LBB30_3492
.LBB30_3496:                            ;   in Loop: Header=BB30_3493 Depth=3
	s_sleep 1
	s_trap 2
	ds_read_b64 v[0:1], v0
	s_waitcnt lgkmcnt(0)
	s_andn2_b64 s[34:35], s[34:35], exec
	v_cmp_ge_u64_e32 vcc, v[0:1], v[46:47]
	s_orn2_b64 vcc, vcc, exec
	s_branch .LBB30_3492
.LBB30_3497:                            ;   in Loop: Header=BB30_3440 Depth=2
	s_or_b64 exec, exec, s[94:95]
	s_and_saveexec_b64 s[8:9], s[30:31]
	s_xor_b64 s[8:9], exec, s[8:9]
	s_cbranch_execz .LBB30_3499
; %bb.3498:                             ;   in Loop: Header=BB30_3440 Depth=2
	v_mov_b32_e32 v0, 1
	ds_write_b32 v0, v0
	s_trap 2
.LBB30_3499:                            ;   in Loop: Header=BB30_3440 Depth=2
	s_or_b64 exec, exec, s[92:93]
	;;#ASMSTART
	s_wakeup
	;;#ASMEND
.LBB30_3500:                            ;   in Loop: Header=BB30_3440 Depth=2
	s_or_b64 exec, exec, s[90:91]
.LBB30_3501:                            ;   in Loop: Header=BB30_3440 Depth=2
	s_andn2_saveexec_b64 s[28:29], s[28:29]
	s_cbranch_execz .LBB30_3503
; %bb.3502:                             ;   in Loop: Header=BB30_3440 Depth=2
	;;#ASMSTART
	s_waitcnt lgkmcnt(0) vmcnt(0)
	;;#ASMEND
	s_barrier
.LBB30_3503:                            ;   in Loop: Header=BB30_3440 Depth=2
	s_or_b64 exec, exec, s[28:29]
.LBB30_3504:                            ;   in Loop: Header=BB30_3440 Depth=2
	s_or_b64 exec, exec, s[22:23]
	v_and_b32_e32 v0, 32, v110
	v_cmp_ne_u32_e32 vcc, 0, v0
	s_and_saveexec_b64 s[22:23], vcc
	s_cbranch_execz .LBB30_3439
; %bb.3505:                             ;   in Loop: Header=BB30_3440 Depth=2
	v_lshl_add_u64 v[124:125], v[124:125], 0, 2
	flat_store_dwordx2 v[40:41], v[124:125] sc0 sc1
	s_branch .LBB30_3439
.LBB30_3506:
	s_or_b64 exec, exec, s[62:63]
	scratch_load_dword v1, off, s33 offset:460 ; 4-byte Folded Reload
	scratch_load_dword v31, off, s33 offset:464 ; 4-byte Folded Reload
	;; [unrolled: 1-line block ×3, first 2 shown]
	v_readlane_b32 s24, v126, 4
	v_readlane_b32 s25, v126, 5
.LBB30_3507:
	v_readlane_b32 s0, v126, 2
	v_readlane_b32 s1, v126, 3
	s_or_b64 exec, exec, s[0:1]
	v_and_b32_e32 v0, 0x800, v110
	v_cmp_eq_u32_e32 vcc, 0, v0
	s_and_saveexec_b64 s[2:3], vcc
	s_cbranch_execz .LBB30_3540
; %bb.3508:
	v_and_b32_e32 v0, 48, v110
	v_cmp_ne_u32_e32 vcc, 0, v0
	s_and_saveexec_b64 s[0:1], vcc
	s_cbranch_execz .LBB30_3510
; %bb.3509:
	scratch_load_dwordx2 v[2:3], off, s33 offset:452 ; 8-byte Folded Reload
	s_waitcnt vmcnt(0)
	flat_store_dwordx2 v[2:3], v[124:125] offset:104
.LBB30_3510:
	s_or_b64 exec, exec, s[0:1]
	s_movk_i32 s0, 0x88
	v_and_b32_e32 v0, 0x88, v110
	v_cmp_eq_u32_e32 vcc, s0, v0
	s_and_saveexec_b64 s[4:5], vcc
	s_cbranch_execz .LBB30_3520
; %bb.3511:
	scratch_load_dwordx4 v[2:5], off, s33 offset:288 ; 16-byte Folded Reload
	v_add_u32_e32 v0, 6, v124
	v_and_b32_e32 v0, 7, v0
	s_waitcnt vmcnt(0)
	v_and_b32_e32 v4, 64, v110
	s_mov_b32 s8, 0
	v_mad_u64_u32 v[6:7], s[0:1], v0, 24, v[2:3]
	flat_load_dwordx2 v[2:3], v[6:7] offset:8 sc0 sc1
	s_waitcnt vmcnt(0)
	v_cmp_eq_u32_e64 s[0:1], 0, v4
	s_waitcnt lgkmcnt(0)
	v_cmp_ne_u64_e32 vcc, -1, v[2:3]
	s_and_b64 s[0:1], vcc, s[0:1]
	s_and_b64 exec, exec, s[0:1]
	s_cbranch_execz .LBB30_3520
; %bb.3512:
	s_mov_b64 s[0:1], 0
                                        ; implicit-def: $sgpr6_sgpr7
                                        ; implicit-def: $sgpr10_sgpr11
	s_branch .LBB30_3515
.LBB30_3513:                            ;   in Loop: Header=BB30_3515 Depth=1
	flat_load_dwordx2 v[4:5], v[6:7] offset:8 sc0 sc1
	s_waitcnt vmcnt(0)
	s_andn2_b64 s[10:11], s[10:11], exec
	s_waitcnt lgkmcnt(0)
	v_cmp_eq_u64_e32 vcc, -1, v[4:5]
	s_orn2_b64 s[14:15], vcc, exec
.LBB30_3514:                            ;   in Loop: Header=BB30_3515 Depth=1
	s_or_b64 exec, exec, s[16:17]
	s_and_b64 s[12:13], exec, s[14:15]
	s_or_b64 s[0:1], s[12:13], s[0:1]
	s_andn2_b64 s[6:7], s[6:7], exec
	s_and_b64 s[12:13], s[10:11], exec
	s_or_b64 s[6:7], s[6:7], s[12:13]
	s_andn2_b64 exec, exec, s[0:1]
	s_cbranch_execz .LBB30_3518
.LBB30_3515:                            ; =>This Inner Loop Header: Depth=1
	s_cmpk_lt_i32 s8, 0x270f
	s_cselect_b64 s[12:13], -1, 0
	s_and_b64 vcc, exec, s[12:13]
	s_cbranch_vccnz .LBB30_3517
; %bb.3516:                             ;   in Loop: Header=BB30_3515 Depth=1
	s_trap 2
	ds_read_b64 v[2:3], v0
	s_andn2_b64 s[12:13], s[12:13], exec
	s_mov_b32 s8, 0
	s_waitcnt lgkmcnt(0)
	flat_load_dword v2, v[2:3] sc0 sc1
	s_waitcnt vmcnt(0) lgkmcnt(0)
	buffer_inv sc0 sc1
	v_cmp_eq_u32_e32 vcc, 0, v2
	s_and_b64 s[14:15], vcc, exec
	s_or_b64 s[12:13], s[12:13], s[14:15]
	s_mov_b64 s[14:15], -1
	s_or_b64 s[10:11], s[10:11], exec
	s_and_saveexec_b64 s[16:17], s[12:13]
	s_cbranch_execz .LBB30_3514
	s_branch .LBB30_3513
.LBB30_3517:                            ;   in Loop: Header=BB30_3515 Depth=1
	s_add_i32 s8, s8, 1
                                        ; implicit-def: $vgpr2
	s_mov_b64 s[14:15], -1
	s_or_b64 s[10:11], s[10:11], exec
	s_and_saveexec_b64 s[16:17], s[12:13]
	s_cbranch_execz .LBB30_3514
	s_branch .LBB30_3513
.LBB30_3518:
	s_or_b64 exec, exec, s[0:1]
	s_and_saveexec_b64 s[0:1], s[6:7]
	s_xor_b64 s[0:1], exec, s[0:1]
	s_cbranch_execz .LBB30_3520
; %bb.3519:
	ds_write_b32 v0, v2
	s_trap 2
.LBB30_3520:
	s_or_b64 exec, exec, s[4:5]
	v_and_b32_e32 v0, 0x2000, v110
	v_cmp_ne_u32_e32 vcc, 0, v0
	s_and_saveexec_b64 s[0:1], vcc
	s_cbranch_execz .LBB30_3522
; %bb.3521:
	s_trap 2
	scratch_load_dwordx2 v[4:5], off, s33 offset:472 ; 8-byte Folded Reload
	ds_read_b64 v[2:3], v0
	s_waitcnt vmcnt(0) lgkmcnt(0)
	flat_store_dwordx2 v[4:5], v[2:3] offset:16
.LBB30_3522:
	s_or_b64 exec, exec, s[0:1]
	s_waitcnt vmcnt(0)
	v_cmp_ne_u32_e32 vcc, 64, v1
	s_and_b64 exec, exec, vcc
	s_cbranch_execz .LBB30_3540
; %bb.3523:
	v_cmp_ne_u32_sdwa s[0:1], v1, v20 src0_sel:DWORD src1_sel:WORD_0
	s_and_saveexec_b64 s[4:5], s[0:1]
	s_xor_b64 s[0:1], exec, s[4:5]
	s_cbranch_execz .LBB30_3538
; %bb.3524:
	v_and_b32_e32 v0, 63, v31
	v_cmp_eq_u32_e32 vcc, 0, v0
	s_and_saveexec_b64 s[4:5], vcc
	s_cbranch_execz .LBB30_3537
; %bb.3525:
	s_mov_b64 s[10:11], exec
	v_mbcnt_lo_u32_b32 v0, s10, 0
	v_mbcnt_hi_u32_b32 v0, s11, v0
	v_cmp_eq_u32_e32 vcc, 0, v0
	s_waitcnt lgkmcnt(0)
	s_and_saveexec_b64 s[6:7], vcc
	s_cbranch_execz .LBB30_3527
; %bb.3526:
	s_bcnt1_i32_b64 s8, s[10:11]
	v_mov_b32_e32 v2, s8
	v_mov_b32_e32 v3, 0
	ds_add_u64 v0, v[2:3]
	s_trap 2
.LBB30_3527:
	s_or_b64 exec, exec, s[6:7]
	s_trap 2
	ds_read_b64 v[2:3], v0
	s_waitcnt lgkmcnt(0)
	v_lshrrev_b32_e32 v0, 6, v1
	v_mov_b32_e32 v1, 0
	v_lshl_add_u64 v[0:1], v[46:47], 0, v[0:1]
	v_cmp_lt_u64_e32 vcc, v[2:3], v[0:1]
	s_and_saveexec_b64 s[6:7], vcc
	s_cbranch_execz .LBB30_3536
; %bb.3528:
	s_mov_b32 s8, 0
	s_mov_b64 s[10:11], 0
                                        ; implicit-def: $sgpr12_sgpr13
                                        ; implicit-def: $sgpr14_sgpr15
	s_branch .LBB30_3530
.LBB30_3529:                            ;   in Loop: Header=BB30_3530 Depth=1
	s_or_b64 exec, exec, s[18:19]
	s_and_b64 s[16:17], exec, s[20:21]
	s_or_b64 s[10:11], s[16:17], s[10:11]
	s_andn2_b64 s[12:13], s[12:13], exec
	s_and_b64 s[16:17], s[14:15], exec
	s_or_b64 s[12:13], s[12:13], s[16:17]
	s_andn2_b64 exec, exec, s[10:11]
	s_cbranch_execz .LBB30_3534
.LBB30_3530:                            ; =>This Inner Loop Header: Depth=1
	s_add_i32 s8, s8, 1
	s_cmpk_lg_i32 s8, 0x2710
	s_cselect_b64 s[16:17], -1, 0
	s_and_b64 vcc, exec, s[16:17]
	s_cbranch_vccz .LBB30_3532
; %bb.3531:                             ;   in Loop: Header=BB30_3530 Depth=1
	s_mov_b64 s[20:21], -1
	s_or_b64 s[14:15], s[14:15], exec
	s_and_saveexec_b64 s[18:19], s[16:17]
	s_cbranch_execz .LBB30_3529
	s_branch .LBB30_3533
.LBB30_3532:                            ;   in Loop: Header=BB30_3530 Depth=1
	s_trap 2
	ds_read_b64 v[2:3], v0
	s_andn2_b64 s[16:17], s[16:17], exec
	s_mov_b32 s8, 0
	s_waitcnt lgkmcnt(0)
	flat_load_dword v2, v[2:3] sc0 sc1
	s_waitcnt vmcnt(0) lgkmcnt(0)
	buffer_inv sc0 sc1
	v_cmp_eq_u32_e32 vcc, 0, v2
	s_and_b64 s[18:19], vcc, exec
	s_or_b64 s[16:17], s[16:17], s[18:19]
	s_mov_b64 s[20:21], -1
	s_or_b64 s[14:15], s[14:15], exec
	s_and_saveexec_b64 s[18:19], s[16:17]
	s_cbranch_execz .LBB30_3529
.LBB30_3533:                            ;   in Loop: Header=BB30_3530 Depth=1
	s_sleep 1
	s_trap 2
	ds_read_b64 v[2:3], v0
	s_waitcnt lgkmcnt(0)
	s_andn2_b64 s[14:15], s[14:15], exec
	v_cmp_ge_u64_e32 vcc, v[2:3], v[0:1]
	s_orn2_b64 s[20:21], vcc, exec
	s_branch .LBB30_3529
.LBB30_3534:
	s_or_b64 exec, exec, s[10:11]
	s_and_saveexec_b64 s[8:9], s[12:13]
	s_xor_b64 s[8:9], exec, s[8:9]
	s_cbranch_execz .LBB30_3536
; %bb.3535:
	v_mov_b32_e32 v0, 1
	ds_write_b32 v0, v0
	s_trap 2
.LBB30_3536:
	s_or_b64 exec, exec, s[6:7]
	;;#ASMSTART
	s_wakeup
	;;#ASMEND
.LBB30_3537:
	s_or_b64 exec, exec, s[4:5]
.LBB30_3538:
	s_andn2_saveexec_b64 s[0:1], s[0:1]
	s_cbranch_execz .LBB30_3540
; %bb.3539:
	s_waitcnt lgkmcnt(0)
	s_barrier
.LBB30_3540:
	s_or_b64 exec, exec, s[2:3]
.LBB30_3541:
	v_readlane_b32 s0, v126, 0
	v_readlane_b32 s1, v126, 1
	s_andn2_saveexec_b64 s[22:23], s[0:1]
	s_cbranch_execz .LBB30_3543
; %bb.3542:
	s_getpc_b64 s[0:1]
	s_add_u32 s0, s0, __PRETTY_FUNCTION__._ZN10PrimitivesI12hip_bfloat1610FuncMinMaxIS0_E12FanSymmetricILi1EELi0E11ProtoSimpleILi2ELi2ELi0ELi4ELi0ELi0EELi0ELb0ELi0ELi1ELi0EEC2EiiPKiS9_PKvPvmhhhP15ncclDevWorkCollP14ncclDevWorkP2pii@rel32@lo+4
	s_addc_u32 s1, s1, __PRETTY_FUNCTION__._ZN10PrimitivesI12hip_bfloat1610FuncMinMaxIS0_E12FanSymmetricILi1EELi0E11ProtoSimpleILi2ELi2ELi0ELi4ELi0ELi0EELi0ELb0ELi0ELi1ELi0EEC2EiiPKiS9_PKvPvmhhhP15ncclDevWorkCollP14ncclDevWorkP2pii@rel32@hi+12
	s_getpc_b64 s[2:3]
	s_add_u32 s2, s2, __assert_fail@rel32@lo+4
	s_addc_u32 s3, s3, __assert_fail@rel32@hi+12
	s_mov_b64 s[8:9], s[24:25]
	v_mov_b32_e32 v0, s0
	s_waitcnt vmcnt(0)
	v_mov_b32_e32 v1, s1
	s_swappc_b64 s[30:31], s[2:3]
	; divergent unreachable
.LBB30_3543:
	s_or_b64 exec, exec, s[22:23]
	scratch_load_dword v125, off, s33       ; 4-byte Folded Reload
	scratch_load_dword v124, off, s33 offset:4 ; 4-byte Folded Reload
	scratch_load_dword v123, off, s33 offset:8 ; 4-byte Folded Reload
	;; [unrolled: 1-line block ×35, first 2 shown]
	s_waitcnt lgkmcnt(0)
	scratch_load_dword v57, off, s33 offset:144 ; 4-byte Folded Reload
	scratch_load_dword v56, off, s33 offset:148 ; 4-byte Folded Reload
	;; [unrolled: 1-line block ×10, first 2 shown]
	v_readlane_b32 s30, v127, 32
	v_readlane_b32 s31, v127, 33
	;; [unrolled: 1-line block ×34, first 2 shown]
	s_mov_b32 s32, s33
	v_readlane_b32 s0, v127, 34
	s_or_saveexec_b64 s[2:3], -1
	scratch_load_dword v127, off, s33 offset:480 ; 4-byte Folded Reload
	scratch_load_dword v126, off, s33 offset:484 ; 4-byte Folded Reload
	s_mov_b64 exec, s[2:3]
	s_mov_b32 s33, s0
	s_waitcnt vmcnt(0)
	s_setpc_b64 s[30:31]
.Lfunc_end30:
	.size	_ZN12_GLOBAL__N_17runRingI12hip_bfloat1610FuncMinMaxIS1_E11ProtoSimpleILi2ELi2ELi0ELi4ELi0ELi0EELi0ELi0ELi4ELi1EEEviiP15ncclDevWorkColl, .Lfunc_end30-_ZN12_GLOBAL__N_17runRingI12hip_bfloat1610FuncMinMaxIS1_E11ProtoSimpleILi2ELi2ELi0ELi4ELi0ELi0EELi0ELi0ELi4ELi1EEEviiP15ncclDevWorkColl
                                        ; -- End function
	.set .L_ZN12_GLOBAL__N_17runRingI12hip_bfloat1610FuncMinMaxIS1_E11ProtoSimpleILi2ELi2ELi0ELi4ELi0ELi0EELi0ELi0ELi4ELi1EEEviiP15ncclDevWorkColl.num_vgpr, max(128, .L__assert_fail.num_vgpr)
	.set .L_ZN12_GLOBAL__N_17runRingI12hip_bfloat1610FuncMinMaxIS1_E11ProtoSimpleILi2ELi2ELi0ELi4ELi0ELi0EELi0ELi0ELi4ELi1EEEviiP15ncclDevWorkColl.num_agpr, max(0, .L__assert_fail.num_agpr)
	.set .L_ZN12_GLOBAL__N_17runRingI12hip_bfloat1610FuncMinMaxIS1_E11ProtoSimpleILi2ELi2ELi0ELi4ELi0ELi0EELi0ELi0ELi4ELi1EEEviiP15ncclDevWorkColl.numbered_sgpr, max(98, .L__assert_fail.numbered_sgpr)
	.set .L_ZN12_GLOBAL__N_17runRingI12hip_bfloat1610FuncMinMaxIS1_E11ProtoSimpleILi2ELi2ELi0ELi4ELi0ELi0EELi0ELi0ELi4ELi1EEEviiP15ncclDevWorkColl.num_named_barrier, max(0, .L__assert_fail.num_named_barrier)
	.set .L_ZN12_GLOBAL__N_17runRingI12hip_bfloat1610FuncMinMaxIS1_E11ProtoSimpleILi2ELi2ELi0ELi4ELi0ELi0EELi0ELi0ELi4ELi1EEEviiP15ncclDevWorkColl.private_seg_size, 496+max(.L__assert_fail.private_seg_size)
	.set .L_ZN12_GLOBAL__N_17runRingI12hip_bfloat1610FuncMinMaxIS1_E11ProtoSimpleILi2ELi2ELi0ELi4ELi0ELi0EELi0ELi0ELi4ELi1EEEviiP15ncclDevWorkColl.uses_vcc, or(1, .L__assert_fail.uses_vcc)
	.set .L_ZN12_GLOBAL__N_17runRingI12hip_bfloat1610FuncMinMaxIS1_E11ProtoSimpleILi2ELi2ELi0ELi4ELi0ELi0EELi0ELi0ELi4ELi1EEEviiP15ncclDevWorkColl.uses_flat_scratch, or(0, .L__assert_fail.uses_flat_scratch)
	.set .L_ZN12_GLOBAL__N_17runRingI12hip_bfloat1610FuncMinMaxIS1_E11ProtoSimpleILi2ELi2ELi0ELi4ELi0ELi0EELi0ELi0ELi4ELi1EEEviiP15ncclDevWorkColl.has_dyn_sized_stack, or(0, .L__assert_fail.has_dyn_sized_stack)
	.set .L_ZN12_GLOBAL__N_17runRingI12hip_bfloat1610FuncMinMaxIS1_E11ProtoSimpleILi2ELi2ELi0ELi4ELi0ELi0EELi0ELi0ELi4ELi1EEEviiP15ncclDevWorkColl.has_recursion, or(1, .L__assert_fail.has_recursion)
	.set .L_ZN12_GLOBAL__N_17runRingI12hip_bfloat1610FuncMinMaxIS1_E11ProtoSimpleILi2ELi2ELi0ELi4ELi0ELi0EELi0ELi0ELi4ELi1EEEviiP15ncclDevWorkColl.has_indirect_call, or(0, .L__assert_fail.has_indirect_call)
	.section	.AMDGPU.csdata,"",@progbits
; Function info:
; codeLenInByte = 110988
; TotalNumSgprs: 104
; NumVgprs: 128
; NumAgprs: 0
; TotalNumVgprs: 128
; ScratchSize: 560
; MemoryBound: 1
	.text
	.p2align	2                               ; -- Begin function _Z51ncclDevFunc_AllReduce_RING_SIMPLE_MinMax_bf16_0_1_4v
	.type	_Z51ncclDevFunc_AllReduce_RING_SIMPLE_MinMax_bf16_0_1_4v,@function
_Z51ncclDevFunc_AllReduce_RING_SIMPLE_MinMax_bf16_0_1_4v: ; @_Z51ncclDevFunc_AllReduce_RING_SIMPLE_MinMax_bf16_0_1_4v
; %bb.0:
	s_waitcnt vmcnt(0) expcnt(0) lgkmcnt(0)
	s_mov_b32 s0, s33
	s_mov_b32 s33, s32
	s_or_saveexec_b64 s[2:3], -1
	scratch_store_dword off, v44, s33 offset:24 ; 4-byte Folded Spill
	scratch_store_dword off, v45, s33 offset:28 ; 4-byte Folded Spill
	s_mov_b64 exec, s[2:3]
	v_writelane_b32 v45, s0, 38
	v_writelane_b32 v45, s100, 36
	;; [unrolled: 1-line block ×3, first 2 shown]
	s_add_i32 s32, s32, 48
	scratch_store_dword off, v40, s33 offset:16 ; 4-byte Folded Spill
	scratch_store_dword off, v41, s33 offset:12 ; 4-byte Folded Spill
	;; [unrolled: 1-line block ×4, first 2 shown]
	scratch_store_dword off, v126, s33      ; 4-byte Folded Spill
	v_writelane_b32 v45, s34, 0
	v_writelane_b32 v45, s35, 1
	;; [unrolled: 1-line block ×35, first 2 shown]
	s_nop 1
	v_writelane_b32 v45, s31, 35
	s_trap 2
	ds_read_b32 v0, v0
	v_mov_b32_e32 v40, v31
                                        ; implicit-def: $vgpr44 : SGPR spill to VGPR lane
	v_and_b32_e32 v41, 0x3ff, v40
	s_mov_b32 s99, s12
	v_writelane_b32 v44, s8, 0
	s_waitcnt lgkmcnt(0)
	v_cmp_lt_i32_e32 vcc, v41, v0
	v_writelane_b32 v44, s9, 1
	s_and_saveexec_b64 s[0:1], vcc
	s_cbranch_execz .LBB31_5
; %bb.1:
	v_readlane_b32 s4, v44, 0
	v_readlane_b32 s5, v44, 1
	s_load_dword s2, s[4:5], 0x0
	v_mov_b32_e32 v1, 0
	s_mov_b32 s6, 0
	v_mov_b32_e32 v4, v41
                                        ; implicit-def: $vgpr2
	s_waitcnt lgkmcnt(0)
	s_cmp_lt_u32 s99, s2
	s_cselect_b32 s2, 12, 18
	s_add_u32 s2, s4, s2
	s_addc_u32 s3, s5, 0
	global_load_ushort v1, v1, s[2:3]
	s_trap 2
	ds_read_b32 v3, v0
	s_mov_b64 s[2:3], 0
	s_waitcnt vmcnt(0) lgkmcnt(0)
	v_mul_lo_u32 v3, v3, v1
	s_branch .LBB31_3
.LBB31_2:                               ;   in Loop: Header=BB31_3 Depth=1
	s_or_b64 exec, exec, s[4:5]
	v_add_u32_e32 v4, v4, v1
	v_cmp_ge_i32_e32 vcc, v4, v0
	s_or_b64 s[2:3], vcc, s[2:3]
	v_add_u32_e32 v2, v2, v3
	s_andn2_b64 exec, exec, s[2:3]
	s_cbranch_execz .LBB31_5
.LBB31_3:                               ; =>This Inner Loop Header: Depth=1
	ds_read_b32 v5, v2
	s_waitcnt lgkmcnt(0)
	v_and_b32_e32 v5, 0x1000000, v5
	v_cmp_ne_u32_e32 vcc, 0, v5
	s_and_saveexec_b64 s[4:5], vcc
	s_cbranch_execz .LBB31_2
; %bb.4:                                ;   in Loop: Header=BB31_3 Depth=1
	ds_read_b64 v[6:7], v2 offset:104
	s_waitcnt lgkmcnt(0)
	flat_load_ushort v5, v[6:7]
	v_mov_b32_e32 v7, s6
	s_waitcnt vmcnt(0) lgkmcnt(0)
	v_and_b32_e32 v6, 0xffff, v5
	ds_write_b64 v2, v[6:7] offset:104
	s_branch .LBB31_2
.LBB31_5:
	s_or_b64 exec, exec, s[0:1]
	s_waitcnt lgkmcnt(0)
	s_barrier
	s_trap 2
	ds_read_b32 v0, v0
	s_waitcnt lgkmcnt(0)
	v_cmp_gt_i32_e32 vcc, 1, v0
	s_cbranch_vccnz .LBB31_16
; %bb.6:
	s_mov_b32 s98, 0
	v_mov_b32_e32 v43, 6
	s_branch .LBB31_8
.LBB31_7:                               ;   in Loop: Header=BB31_8 Depth=1
	s_or_b64 exec, exec, s[2:3]
	s_trap 2
	ds_read_b32 v0, v0
	s_add_i32 s98, s98, 1
	s_waitcnt lgkmcnt(0)
	v_cmp_lt_i32_e32 vcc, s98, v0
	s_cbranch_vccz .LBB31_16
.LBB31_8:                               ; =>This Inner Loop Header: Depth=1
	s_trap 2
	ds_read_b32 v0, v0
	s_cmp_eq_u32 s98, 0
	s_cbranch_scc1 .LBB31_11
; %bb.9:                                ;   in Loop: Header=BB31_8 Depth=1
	s_trap 2
	s_waitcnt lgkmcnt(0)
	ds_read_b32 v1, v0
	s_waitcnt lgkmcnt(0)
	v_xor_b32_e32 v1, v1, v0
	v_and_b32_e32 v1, 0xff0000, v1
	v_cmp_eq_u32_e32 vcc, 0, v1
	s_cbranch_vccnz .LBB31_11
; %bb.10:                               ;   in Loop: Header=BB31_8 Depth=1
	s_barrier
	ds_read_b32 v0, v0
.LBB31_11:                              ;   in Loop: Header=BB31_8 Depth=1
	s_waitcnt lgkmcnt(0)
	v_lshlrev_b32_sdwa v42, v43, v0 dst_sel:DWORD dst_unused:UNUSED_PAD src0_sel:DWORD src1_sel:BYTE_2
	v_cmp_lt_u32_e32 vcc, v41, v42
	s_and_saveexec_b64 s[2:3], vcc
	s_cbranch_execz .LBB31_7
; %bb.12:                               ;   in Loop: Header=BB31_8 Depth=1
	v_cmp_lt_i32_e32 vcc, -1, v0
	s_mov_b64 s[4:5], src_shared_base
	s_mov_b64 s[0:1], -1
	v_writelane_b32 v44, s2, 2
	s_nop 1
	v_writelane_b32 v44, s3, 3
	s_cbranch_vccnz .LBB31_14
; %bb.13:                               ;   in Loop: Header=BB31_8 Depth=1
	v_readlane_b32 s8, v44, 0
	v_readlane_b32 s9, v44, 1
	v_mov_b32_e32 v3, s5
	v_writelane_b32 v44, s4, 4
	s_getpc_b64 s[0:1]
	s_add_u32 s0, s0, _ZN12_GLOBAL__N_17runRingI12hip_bfloat1610FuncMinMaxIS1_E11ProtoSimpleILi1ELi4ELi0ELi4ELi0ELi0EELi0ELi0ELi4ELi1EEEviiP15ncclDevWorkColl@rel32@lo+4
	s_addc_u32 s1, s1, _ZN12_GLOBAL__N_17runRingI12hip_bfloat1610FuncMinMaxIS1_E11ProtoSimpleILi1ELi4ELi0ELi4ELi0ELi0EELi0ELi0ELi4ELi1EEEviiP15ncclDevWorkColl@rel32@hi+12
	s_mov_b32 s12, s99
	v_mov_b32_e32 v31, v40
	v_mov_b32_e32 v0, v41
	;; [unrolled: 1-line block ×3, first 2 shown]
	v_writelane_b32 v44, s5, 5
	s_or_saveexec_b64 s[100:101], -1
	scratch_store_dword off, v44, s33 offset:20 ; 4-byte Folded Spill
	s_mov_b64 exec, s[100:101]
	s_swappc_b64 s[30:31], s[0:1]
	s_or_saveexec_b64 s[100:101], -1
	scratch_load_dword v44, off, s33 offset:20 ; 4-byte Folded Reload
	s_mov_b64 exec, s[100:101]
	s_waitcnt vmcnt(0)
	v_readlane_b32 s4, v44, 4
	v_readlane_b32 s2, v44, 2
	;; [unrolled: 1-line block ×4, first 2 shown]
	s_mov_b64 s[0:1], 0
.LBB31_14:                              ;   in Loop: Header=BB31_8 Depth=1
	s_andn2_b64 vcc, exec, s[0:1]
	s_cbranch_vccnz .LBB31_7
; %bb.15:                               ;   in Loop: Header=BB31_8 Depth=1
	v_readlane_b32 s8, v44, 0
	s_getpc_b64 s[0:1]
	s_add_u32 s0, s0, _ZN12_GLOBAL__N_17runRingI12hip_bfloat1610FuncMinMaxIS1_E11ProtoSimpleILi2ELi2ELi0ELi4ELi0ELi0EELi0ELi0ELi4ELi1EEEviiP15ncclDevWorkColl@rel32@lo+4
	s_addc_u32 s1, s1, _ZN12_GLOBAL__N_17runRingI12hip_bfloat1610FuncMinMaxIS1_E11ProtoSimpleILi2ELi2ELi0ELi4ELi0ELi0EELi0ELi0ELi4ELi1EEEviiP15ncclDevWorkColl@rel32@hi+12
	v_readlane_b32 s9, v44, 1
	s_mov_b32 s12, s99
	v_mov_b32_e32 v31, v40
	v_mov_b32_e32 v0, v41
	;; [unrolled: 1-line block ×4, first 2 shown]
	s_or_saveexec_b64 s[100:101], -1
	scratch_store_dword off, v44, s33 offset:20 ; 4-byte Folded Spill
	s_mov_b64 exec, s[100:101]
	s_swappc_b64 s[30:31], s[0:1]
	s_or_saveexec_b64 s[100:101], -1
	scratch_load_dword v44, off, s33 offset:20 ; 4-byte Folded Reload
	s_mov_b64 exec, s[100:101]
	s_waitcnt vmcnt(0)
	v_readlane_b32 s2, v44, 2
	v_readlane_b32 s3, v44, 3
	s_branch .LBB31_7
.LBB31_16:
	scratch_load_dword v126, off, s33       ; 4-byte Folded Reload
	scratch_load_dword v43, off, s33 offset:4 ; 4-byte Folded Reload
	scratch_load_dword v42, off, s33 offset:8 ; 4-byte Folded Reload
	;; [unrolled: 1-line block ×4, first 2 shown]
	v_readlane_b32 s30, v45, 34
	v_readlane_b32 s31, v45, 35
	v_readlane_b32 s99, v45, 33
	v_readlane_b32 s98, v45, 32
	v_readlane_b32 s97, v45, 31
	v_readlane_b32 s96, v45, 30
	v_readlane_b32 s87, v45, 29
	v_readlane_b32 s86, v45, 28
	v_readlane_b32 s85, v45, 27
	v_readlane_b32 s84, v45, 26
	v_readlane_b32 s83, v45, 25
	v_readlane_b32 s82, v45, 24
	v_readlane_b32 s81, v45, 23
	v_readlane_b32 s80, v45, 22
	v_readlane_b32 s71, v45, 21
	v_readlane_b32 s70, v45, 20
	v_readlane_b32 s69, v45, 19
	v_readlane_b32 s68, v45, 18
	v_readlane_b32 s67, v45, 17
	v_readlane_b32 s66, v45, 16
	v_readlane_b32 s65, v45, 15
	v_readlane_b32 s64, v45, 14
	v_readlane_b32 s55, v45, 13
	v_readlane_b32 s54, v45, 12
	v_readlane_b32 s53, v45, 11
	v_readlane_b32 s52, v45, 10
	v_readlane_b32 s51, v45, 9
	v_readlane_b32 s50, v45, 8
	v_readlane_b32 s49, v45, 7
	v_readlane_b32 s48, v45, 6
	v_readlane_b32 s39, v45, 5
	v_readlane_b32 s38, v45, 4
	v_readlane_b32 s37, v45, 3
	v_readlane_b32 s36, v45, 2
	v_readlane_b32 s35, v45, 1
	v_readlane_b32 s34, v45, 0
	s_mov_b32 s32, s33
	v_readlane_b32 s0, v45, 38
	v_readlane_b32 s100, v45, 36
	v_readlane_b32 s101, v45, 37
	s_or_saveexec_b64 s[2:3], -1
	scratch_load_dword v44, off, s33 offset:24 ; 4-byte Folded Reload
	scratch_load_dword v45, off, s33 offset:28 ; 4-byte Folded Reload
	s_mov_b64 exec, s[2:3]
	s_mov_b32 s33, s0
	s_waitcnt vmcnt(0)
	s_setpc_b64 s[30:31]
.Lfunc_end31:
	.size	_Z51ncclDevFunc_AllReduce_RING_SIMPLE_MinMax_bf16_0_1_4v, .Lfunc_end31-_Z51ncclDevFunc_AllReduce_RING_SIMPLE_MinMax_bf16_0_1_4v
                                        ; -- End function
	.set .L_Z51ncclDevFunc_AllReduce_RING_SIMPLE_MinMax_bf16_0_1_4v.num_vgpr, max(127, .L_ZN12_GLOBAL__N_17runRingI12hip_bfloat1610FuncMinMaxIS1_E11ProtoSimpleILi1ELi4ELi0ELi4ELi0ELi0EELi0ELi0ELi4ELi1EEEviiP15ncclDevWorkColl.num_vgpr, .L_ZN12_GLOBAL__N_17runRingI12hip_bfloat1610FuncMinMaxIS1_E11ProtoSimpleILi2ELi2ELi0ELi4ELi0ELi0EELi0ELi0ELi4ELi1EEEviiP15ncclDevWorkColl.num_vgpr)
	.set .L_Z51ncclDevFunc_AllReduce_RING_SIMPLE_MinMax_bf16_0_1_4v.num_agpr, max(0, .L_ZN12_GLOBAL__N_17runRingI12hip_bfloat1610FuncMinMaxIS1_E11ProtoSimpleILi1ELi4ELi0ELi4ELi0ELi0EELi0ELi0ELi4ELi1EEEviiP15ncclDevWorkColl.num_agpr, .L_ZN12_GLOBAL__N_17runRingI12hip_bfloat1610FuncMinMaxIS1_E11ProtoSimpleILi2ELi2ELi0ELi4ELi0ELi0EELi0ELi0ELi4ELi1EEEviiP15ncclDevWorkColl.num_agpr)
	.set .L_Z51ncclDevFunc_AllReduce_RING_SIMPLE_MinMax_bf16_0_1_4v.numbered_sgpr, max(102, .L_ZN12_GLOBAL__N_17runRingI12hip_bfloat1610FuncMinMaxIS1_E11ProtoSimpleILi1ELi4ELi0ELi4ELi0ELi0EELi0ELi0ELi4ELi1EEEviiP15ncclDevWorkColl.numbered_sgpr, .L_ZN12_GLOBAL__N_17runRingI12hip_bfloat1610FuncMinMaxIS1_E11ProtoSimpleILi2ELi2ELi0ELi4ELi0ELi0EELi0ELi0ELi4ELi1EEEviiP15ncclDevWorkColl.numbered_sgpr)
	.set .L_Z51ncclDevFunc_AllReduce_RING_SIMPLE_MinMax_bf16_0_1_4v.num_named_barrier, max(0, .L_ZN12_GLOBAL__N_17runRingI12hip_bfloat1610FuncMinMaxIS1_E11ProtoSimpleILi1ELi4ELi0ELi4ELi0ELi0EELi0ELi0ELi4ELi1EEEviiP15ncclDevWorkColl.num_named_barrier, .L_ZN12_GLOBAL__N_17runRingI12hip_bfloat1610FuncMinMaxIS1_E11ProtoSimpleILi2ELi2ELi0ELi4ELi0ELi0EELi0ELi0ELi4ELi1EEEviiP15ncclDevWorkColl.num_named_barrier)
	.set .L_Z51ncclDevFunc_AllReduce_RING_SIMPLE_MinMax_bf16_0_1_4v.private_seg_size, 48+max(.L_ZN12_GLOBAL__N_17runRingI12hip_bfloat1610FuncMinMaxIS1_E11ProtoSimpleILi1ELi4ELi0ELi4ELi0ELi0EELi0ELi0ELi4ELi1EEEviiP15ncclDevWorkColl.private_seg_size, .L_ZN12_GLOBAL__N_17runRingI12hip_bfloat1610FuncMinMaxIS1_E11ProtoSimpleILi2ELi2ELi0ELi4ELi0ELi0EELi0ELi0ELi4ELi1EEEviiP15ncclDevWorkColl.private_seg_size)
	.set .L_Z51ncclDevFunc_AllReduce_RING_SIMPLE_MinMax_bf16_0_1_4v.uses_vcc, or(1, .L_ZN12_GLOBAL__N_17runRingI12hip_bfloat1610FuncMinMaxIS1_E11ProtoSimpleILi1ELi4ELi0ELi4ELi0ELi0EELi0ELi0ELi4ELi1EEEviiP15ncclDevWorkColl.uses_vcc, .L_ZN12_GLOBAL__N_17runRingI12hip_bfloat1610FuncMinMaxIS1_E11ProtoSimpleILi2ELi2ELi0ELi4ELi0ELi0EELi0ELi0ELi4ELi1EEEviiP15ncclDevWorkColl.uses_vcc)
	.set .L_Z51ncclDevFunc_AllReduce_RING_SIMPLE_MinMax_bf16_0_1_4v.uses_flat_scratch, or(0, .L_ZN12_GLOBAL__N_17runRingI12hip_bfloat1610FuncMinMaxIS1_E11ProtoSimpleILi1ELi4ELi0ELi4ELi0ELi0EELi0ELi0ELi4ELi1EEEviiP15ncclDevWorkColl.uses_flat_scratch, .L_ZN12_GLOBAL__N_17runRingI12hip_bfloat1610FuncMinMaxIS1_E11ProtoSimpleILi2ELi2ELi0ELi4ELi0ELi0EELi0ELi0ELi4ELi1EEEviiP15ncclDevWorkColl.uses_flat_scratch)
	.set .L_Z51ncclDevFunc_AllReduce_RING_SIMPLE_MinMax_bf16_0_1_4v.has_dyn_sized_stack, or(0, .L_ZN12_GLOBAL__N_17runRingI12hip_bfloat1610FuncMinMaxIS1_E11ProtoSimpleILi1ELi4ELi0ELi4ELi0ELi0EELi0ELi0ELi4ELi1EEEviiP15ncclDevWorkColl.has_dyn_sized_stack, .L_ZN12_GLOBAL__N_17runRingI12hip_bfloat1610FuncMinMaxIS1_E11ProtoSimpleILi2ELi2ELi0ELi4ELi0ELi0EELi0ELi0ELi4ELi1EEEviiP15ncclDevWorkColl.has_dyn_sized_stack)
	.set .L_Z51ncclDevFunc_AllReduce_RING_SIMPLE_MinMax_bf16_0_1_4v.has_recursion, or(1, .L_ZN12_GLOBAL__N_17runRingI12hip_bfloat1610FuncMinMaxIS1_E11ProtoSimpleILi1ELi4ELi0ELi4ELi0ELi0EELi0ELi0ELi4ELi1EEEviiP15ncclDevWorkColl.has_recursion, .L_ZN12_GLOBAL__N_17runRingI12hip_bfloat1610FuncMinMaxIS1_E11ProtoSimpleILi2ELi2ELi0ELi4ELi0ELi0EELi0ELi0ELi4ELi1EEEviiP15ncclDevWorkColl.has_recursion)
	.set .L_Z51ncclDevFunc_AllReduce_RING_SIMPLE_MinMax_bf16_0_1_4v.has_indirect_call, or(0, .L_ZN12_GLOBAL__N_17runRingI12hip_bfloat1610FuncMinMaxIS1_E11ProtoSimpleILi1ELi4ELi0ELi4ELi0ELi0EELi0ELi0ELi4ELi1EEEviiP15ncclDevWorkColl.has_indirect_call, .L_ZN12_GLOBAL__N_17runRingI12hip_bfloat1610FuncMinMaxIS1_E11ProtoSimpleILi2ELi2ELi0ELi4ELi0ELi0EELi0ELi0ELi4ELi1EEEviiP15ncclDevWorkColl.has_indirect_call)
	.section	.AMDGPU.csdata,"",@progbits
; Function info:
; codeLenInByte = 1536
; TotalNumSgprs: 108
; NumVgprs: 128
; NumAgprs: 0
; TotalNumVgprs: 128
; ScratchSize: 608
; MemoryBound: 0
	.text
	.p2align	2                               ; -- Begin function _ZN12_GLOBAL__N_17runRingI12hip_bfloat1610FuncMinMaxIS1_E11ProtoSimpleILi1ELi4ELi1ELi4ELi0ELi0EELi0ELi1ELi4ELi0EEEviiP15ncclDevWorkColl
	.type	_ZN12_GLOBAL__N_17runRingI12hip_bfloat1610FuncMinMaxIS1_E11ProtoSimpleILi1ELi4ELi1ELi4ELi0ELi0EELi0ELi1ELi4ELi0EEEviiP15ncclDevWorkColl,@function
_ZN12_GLOBAL__N_17runRingI12hip_bfloat1610FuncMinMaxIS1_E11ProtoSimpleILi1ELi4ELi1ELi4ELi0ELi0EELi0ELi1ELi4ELi0EEEviiP15ncclDevWorkColl: ; @_ZN12_GLOBAL__N_17runRingI12hip_bfloat1610FuncMinMaxIS1_E11ProtoSimpleILi1ELi4ELi1ELi4ELi0ELi0EELi0ELi1ELi4ELi0EEEviiP15ncclDevWorkColl
; %bb.0:
	s_waitcnt vmcnt(0) expcnt(0) lgkmcnt(0)
	s_mov_b32 s0, s33
	s_mov_b32 s33, s32
	s_or_saveexec_b64 s[2:3], -1
	scratch_store_dword off, v127, s33 offset:320 ; 4-byte Folded Spill
	s_mov_b64 exec, s[2:3]
	v_writelane_b32 v127, s0, 34
	s_addk_i32 s32, 0x150
	scratch_store_dword off, v40, s33 offset:184 ; 4-byte Folded Spill
	scratch_store_dword off, v41, s33 offset:180 ; 4-byte Folded Spill
	;; [unrolled: 1-line block ×46, first 2 shown]
	scratch_store_dword off, v126, s33      ; 4-byte Folded Spill
	v_writelane_b32 v127, s34, 0
	v_writelane_b32 v127, s35, 1
	v_writelane_b32 v127, s36, 2
	v_writelane_b32 v127, s37, 3
	v_writelane_b32 v127, s38, 4
	v_writelane_b32 v127, s39, 5
	v_writelane_b32 v127, s48, 6
	v_writelane_b32 v127, s49, 7
	v_writelane_b32 v127, s50, 8
	v_writelane_b32 v127, s51, 9
	v_writelane_b32 v127, s52, 10
	v_writelane_b32 v127, s53, 11
	v_writelane_b32 v127, s54, 12
	v_writelane_b32 v127, s55, 13
	v_writelane_b32 v127, s64, 14
	v_writelane_b32 v127, s65, 15
	v_writelane_b32 v127, s66, 16
	v_writelane_b32 v127, s67, 17
	v_writelane_b32 v127, s68, 18
	v_writelane_b32 v127, s69, 19
	v_writelane_b32 v127, s70, 20
	v_writelane_b32 v127, s71, 21
	v_writelane_b32 v127, s80, 22
	v_writelane_b32 v127, s81, 23
	v_writelane_b32 v127, s82, 24
	v_writelane_b32 v127, s83, 25
	v_writelane_b32 v127, s84, 26
	v_writelane_b32 v127, s85, 27
	v_writelane_b32 v127, s86, 28
	v_writelane_b32 v127, s87, 29
	v_writelane_b32 v127, s96, 30
	v_writelane_b32 v127, s97, 31
	v_writelane_b32 v127, s30, 32
	s_nop 1
	v_writelane_b32 v127, s31, 33
	v_mov_b32_e32 v18, v1
	scratch_store_dword off, v0, s33 offset:188 ; 4-byte Folded Spill
	s_trap 2
	flat_load_dword v1, v[2:3]
	ds_read_b32 v6, v0
                                        ; implicit-def: $vgpr4_vgpr5
                                        ; implicit-def: $vgpr112_vgpr113
                                        ; implicit-def: $vgpr114_vgpr115
	s_waitcnt lgkmcnt(0)
	v_readfirstlane_b32 s64, v6
	s_waitcnt vmcnt(0)
	v_cmp_ne_u32_sdwa s[0:1], v6, v1 src0_sel:DWORD src1_sel:BYTE_0
	s_and_saveexec_b64 s[2:3], s[0:1]
	s_xor_b64 s[0:1], exec, s[2:3]
	s_cbranch_execz .LBB32_6
; %bb.1:
	v_not_b32_sdwa v0, v1 dst_sel:DWORD dst_unused:UNUSED_PAD src0_sel:BYTE_0
	v_cmp_ne_u32_sdwa s[2:3], v6, v1 src0_sel:DWORD src1_sel:BYTE_1
                                        ; implicit-def: $vgpr4_vgpr5
                                        ; implicit-def: $vgpr112_vgpr113
                                        ; implicit-def: $vgpr114_vgpr115
	s_and_saveexec_b64 s[4:5], s[2:3]
	s_xor_b64 s[2:3], exec, s[4:5]
	s_cbranch_execz .LBB32_3
; %bb.2:
	flat_load_dwordx4 v[8:11], v[2:3] offset:72
	flat_load_dwordx2 v[4:5], v[2:3] offset:96
	v_add_u32_e32 v0, v6, v0
	v_ashrrev_i32_e32 v1, 31, v0
	s_waitcnt vmcnt(0) lgkmcnt(0)
	v_mul_lo_u32 v1, v10, v1
	v_mad_u64_u32 v[112:113], s[4:5], v10, v0, v[8:9]
	v_mul_lo_u32 v0, v11, v0
	v_lshrrev_b64 v[4:5], 13, v[4:5]
	v_add3_u32 v113, v0, v113, v1
	v_mov_b64_e32 v[114:115], v[10:11]
                                        ; implicit-def: $vgpr1
                                        ; implicit-def: $vgpr0
.LBB32_3:
	s_andn2_saveexec_b64 s[2:3], s[2:3]
	s_cbranch_execz .LBB32_5
; %bb.4:
	flat_load_dwordx4 v[4:7], v[2:3] offset:72
	flat_load_dwordx4 v[114:117], v[2:3] offset:88
	v_add_u32_sdwa v0, v1, v0 dst_sel:DWORD dst_unused:UNUSED_PAD src0_sel:BYTE_1 src1_sel:DWORD
	v_ashrrev_i32_e32 v1, 31, v0
	s_waitcnt vmcnt(0) lgkmcnt(0)
	v_mul_lo_u32 v1, v6, v1
	v_mad_u64_u32 v[112:113], s[4:5], v6, v0, v[4:5]
	v_mul_lo_u32 v0, v7, v0
	v_add3_u32 v113, v0, v113, v1
	v_lshrrev_b32_e32 v4, 2, v117
.LBB32_5:
	s_or_b64 exec, exec, s[2:3]
.LBB32_6:
	s_andn2_saveexec_b64 s[0:1], s[0:1]
	s_cbranch_execz .LBB32_8
; %bb.7:
	flat_load_dwordx2 v[0:1], v[2:3] offset:96
	flat_load_dwordx2 v[114:115], v[2:3] offset:72
	v_mov_b64_e32 v[112:113], 0
	s_waitcnt vmcnt(0) lgkmcnt(0)
	v_lshlrev_b64 v[4:5], 8, v[0:1]
.LBB32_8:
	s_or_b64 exec, exec, s[0:1]
	s_trap 2
	ds_read_b64 v[0:1], v0
	s_waitcnt lgkmcnt(0)
	v_cmp_ne_u32_e32 vcc, -1, v0
	s_nop 1
	v_cndmask_b32_e64 v0, 0, 1, vcc
	v_cmp_ne_u32_e32 vcc, -1, v1
	s_nop 1
	v_addc_co_u32_e64 v1, s[0:1], 0, v0, vcc
	v_lshlrev_b32_e32 v5, 1, v1
	v_cmp_le_u32_e64 s[0:1], v5, v18
	s_and_saveexec_b64 s[2:3], s[0:1]
	s_xor_b64 s[72:73], exec, s[2:3]
	s_cbranch_execz .LBB32_3123
; %bb.9:
	flat_load_dwordx4 v[10:13], v[2:3] offset:16
	flat_load_dwordx2 v[14:15], v[2:3] offset:104
	flat_load_ushort v7, v[2:3] offset:8
	flat_load_dword v6, v[2:3] offset:4
	s_trap 2
	s_load_dword s0, s[8:9], 0x0
	v_mov_b32_e32 v5, 0
	v_mov_b32_e32 v126, 4
	s_waitcnt lgkmcnt(0)
	s_cmp_lt_u32 s12, s0
	s_cselect_b32 s0, 12, 18
	s_add_u32 s0, s8, s0
	s_addc_u32 s1, s9, 0
	global_load_ushort v19, v5, s[0:1]
	ds_read_b32 v5, v0
	s_waitcnt lgkmcnt(0)
	v_readfirstlane_b32 s22, v5
	scratch_load_dword v5, off, s33 offset:188 ; 4-byte Folded Reload
	s_waitcnt vmcnt(0)
	v_cmp_ge_u32_e64 s[0:1], v5, v0
	s_and_saveexec_b64 s[2:3], s[0:1]
	s_cbranch_execz .LBB32_19
; %bb.10:
	scratch_load_dword v5, off, s33 offset:188 ; 4-byte Folded Reload
                                        ; implicit-def: $vgpr126
	s_waitcnt vmcnt(0)
	v_cmp_ge_u32_e64 s[0:1], v5, v1
	s_and_saveexec_b64 s[4:5], s[0:1]
	s_xor_b64 s[0:1], exec, s[4:5]
	s_cbranch_execz .LBB32_16
; %bb.11:
	scratch_load_dword v8, off, s33 offset:188 ; 4-byte Folded Reload
	v_cndmask_b32_e64 v5, 0, 1, vcc
	v_sub_u32_e32 v5, v18, v5
	s_waitcnt vmcnt(0)
	v_cmp_ge_u32_e32 vcc, v8, v5
	s_and_saveexec_b64 s[4:5], vcc
	s_xor_b64 s[4:5], exec, s[4:5]
; %bb.12:
                                        ; implicit-def: $vgpr1
; %bb.13:
	s_or_saveexec_b64 s[4:5], s[4:5]
	v_mov_b32_e32 v126, 16
	s_xor_b64 exec, exec, s[4:5]
	s_cbranch_execz .LBB32_15
; %bb.14:
	scratch_load_dword v5, off, s33 offset:188 ; 4-byte Folded Reload
	v_sub_u32_e32 v1, v18, v1
	s_waitcnt vmcnt(0)
	v_cmp_lt_i32_e32 vcc, v5, v1
	s_nop 1
	v_cndmask_b32_e64 v126, 32, 0, vcc
.LBB32_15:
	s_or_b64 exec, exec, s[4:5]
.LBB32_16:
	s_andn2_saveexec_b64 s[0:1], s[0:1]
; %bb.17:
	v_mov_b32_e32 v126, 8
; %bb.18:
	s_or_b64 exec, exec, s[0:1]
.LBB32_19:
	s_or_b64 exec, exec, s[2:3]
	v_and_b32_e32 v1, 36, v126
	v_cmp_ne_u32_e32 vcc, 0, v1
	v_mov_b32_e32 v8, -1
	s_and_saveexec_b64 s[0:1], vcc
	s_cbranch_execz .LBB32_21
; %bb.20:
	s_trap 2
	ds_read_b32 v8, v0
.LBB32_21:
	s_or_b64 exec, exec, s[0:1]
	v_and_b32_e32 v1, 24, v126
	v_cmp_ne_u32_e64 s[0:1], 0, v1
	s_and_saveexec_b64 s[2:3], s[0:1]
	s_cbranch_execz .LBB32_23
; %bb.22:
	s_trap 2
	s_waitcnt lgkmcnt(0)
	ds_read_b32 v8, v0
.LBB32_23:
	s_or_b64 exec, exec, s[2:3]
	v_lshrrev_b64 v[6:7], 31, v[6:7]
	v_and_b32_e32 v1, 3, v6
                                        ; implicit-def: $vgpr6_vgpr7
	v_mov_b64_e32 v[20:21], 0
	s_waitcnt lgkmcnt(0)
	v_ashrrev_i32_e32 v9, 31, v8
                                        ; kill: killed $vgpr6_vgpr7
	v_mov_b64_e32 v[6:7], 0
                                        ; implicit-def: $vgpr30
                                        ; implicit-def: $vgpr116_vgpr117
                                        ; implicit-def: $vgpr42_vgpr43
                                        ; implicit-def: $vgpr56_vgpr57
                                        ; implicit-def: $vgpr40_vgpr41
	s_and_saveexec_b64 s[0:1], vcc
	s_cbranch_execz .LBB32_33
; %bb.24:
	s_trap 2
	ds_read_b64 v[6:7], v0
	v_and_b32_e32 v5, 0xffff, v1
	s_movk_i32 s2, 0xa8
	s_waitcnt lgkmcnt(0)
	v_lshl_add_u64 v[6:7], v[8:9], 3, v[6:7]
	flat_load_dwordx2 v[6:7], v[6:7]
	s_waitcnt vmcnt(0) lgkmcnt(0)
	v_mad_u64_u32 v[16:17], s[2:3], v5, s2, v[6:7]
	flat_load_dword v5, v[16:17] offset:640
                                        ; implicit-def: $vgpr6_vgpr7
                                        ; kill: killed $vgpr6_vgpr7
	s_waitcnt vmcnt(0) lgkmcnt(0)
	v_cmp_eq_u32_e32 vcc, 1, v5
	s_and_saveexec_b64 s[2:3], vcc
	s_cbranch_execz .LBB32_26
; %bb.25:
	flat_load_dwordx2 v[20:21], v[16:17] offset:648
	v_or_b32_e32 v126, 0x2000, v126
	s_waitcnt vmcnt(0) lgkmcnt(0)
	flat_load_dwordx2 v[6:7], v[20:21]
	s_trap 2
	scratch_store_dwordx2 off, v[20:21], s33 offset:312 ; 8-byte Folded Spill
	s_waitcnt vmcnt(0) lgkmcnt(0)
	ds_write_b64 v0, v[6:7]
	flat_load_dwordx2 v[6:7], v[20:21] offset:8
	s_waitcnt vmcnt(0) lgkmcnt(0)
	ds_write_b64 v0, v[6:7]
	flat_load_dwordx2 v[6:7], v[20:21] offset:16
	s_waitcnt vmcnt(0) lgkmcnt(0)
	ds_write_b64 v0, v[6:7]
.LBB32_26:
	s_or_b64 exec, exec, s[2:3]
	flat_load_dwordx2 v[6:7], v[16:17] offset:608
	v_and_b32_e32 v5, 32, v126
	v_cmp_ne_u32_e32 vcc, 0, v5
                                        ; implicit-def: $vgpr40_vgpr41
	s_waitcnt vmcnt(0) lgkmcnt(0)
	v_lshl_add_u64 v[116:117], v[6:7], 0, 3
	v_and_b32_e32 v116, -4, v116
	s_and_saveexec_b64 s[2:3], vcc
	s_cbranch_execz .LBB32_28
; %bb.27:
	flat_load_dwordx2 v[40:41], v[16:17] offset:560
	s_waitcnt vmcnt(0) lgkmcnt(0)
	flat_store_dwordx2 v[40:41], v[116:117] sc0 sc1
.LBB32_28:
	s_or_b64 exec, exec, s[2:3]
	s_mov_b64 s[2:3], 0x1f8
	v_and_b32_e32 v5, 4, v126
	v_lshl_add_u64 v[20:21], v[16:17], 0, s[2:3]
	v_cmp_ne_u32_e32 vcc, 0, v5
	v_mov_b64_e32 v[6:7], 0
                                        ; implicit-def: $vgpr30
                                        ; implicit-def: $vgpr42_vgpr43
                                        ; implicit-def: $vgpr56_vgpr57
	s_and_saveexec_b64 s[2:3], vcc
	s_cbranch_execz .LBB32_32
; %bb.29:
	v_and_b32_e32 v5, 0x800, v126
	v_cmp_eq_u32_e32 vcc, 0, v5
	s_and_saveexec_b64 s[4:5], vcc
	s_cbranch_execz .LBB32_31
; %bb.30:
	s_trap 2
	ds_write_b64 v0, v[20:21]
.LBB32_31:
	s_or_b64 exec, exec, s[4:5]
	flat_load_dwordx2 v[40:41], v[16:17] offset:552
	s_waitcnt vmcnt(0) lgkmcnt(0)
	flat_load_dwordx2 v[56:57], v[40:41] sc0 sc1
	flat_load_dword v5, v[16:17] offset:576
	flat_load_dwordx2 v[6:7], v[16:17] offset:600
	flat_load_dwordx2 v[42:43], v[16:17] offset:520
	v_or_b32_e32 v16, 0x100, v126
	s_waitcnt vmcnt(0) lgkmcnt(0)
	v_ashrrev_i32_e32 v30, 1, v5
	v_cmp_eq_u64_e32 vcc, 0, v[6:7]
	s_nop 1
	v_cndmask_b32_e32 v126, v16, v126, vcc
.LBB32_32:
	s_or_b64 exec, exec, s[2:3]
.LBB32_33:
	s_or_b64 exec, exec, s[0:1]
	v_and_b32_e32 v5, 24, v126
	v_cmp_ne_u32_e32 vcc, 0, v5
                                        ; implicit-def: $vgpr44_vgpr45
	s_and_saveexec_b64 s[0:1], vcc
	s_cbranch_execz .LBB32_41
; %bb.34:
	s_trap 2
	ds_read_b64 v[6:7], v0
	v_and_b32_e32 v1, 0xffff, v1
	s_movk_i32 s2, 0xa8
                                        ; implicit-def: $vgpr44_vgpr45
	s_waitcnt lgkmcnt(0)
	v_lshl_add_u64 v[6:7], v[8:9], 3, v[6:7]
	flat_load_dwordx2 v[6:7], v[6:7]
	s_waitcnt vmcnt(0) lgkmcnt(0)
	v_mad_u64_u32 v[20:21], s[2:3], v1, s2, v[6:7]
	flat_load_dwordx4 v[6:9], v[20:21] offset:96
	v_or_b32_e32 v1, 0x100, v126
	s_waitcnt vmcnt(0) lgkmcnt(0)
	v_cmp_eq_u64_e32 vcc, 0, v[6:7]
	s_nop 1
	v_cndmask_b32_e32 v126, v1, v126, vcc
	v_and_b32_e32 v1, 16, v126
	v_cmp_ne_u32_e32 vcc, 0, v1
	s_and_saveexec_b64 s[2:3], vcc
	s_cbranch_execz .LBB32_36
; %bb.35:
	flat_load_dwordx2 v[40:41], v[20:21] offset:48
	flat_load_dwordx2 v[44:45], v[20:21] offset:120
	;; [unrolled: 1-line block ×3, first 2 shown]
.LBB32_36:
	s_or_b64 exec, exec, s[2:3]
	v_lshl_add_u64 v[116:117], v[8:9], 0, 3
	v_and_b32_e32 v1, 8, v126
	v_and_b32_e32 v116, -4, v116
	v_cmp_ne_u32_e32 vcc, 0, v1
	s_and_saveexec_b64 s[2:3], vcc
	s_cbranch_execz .LBB32_40
; %bb.37:
	v_and_b32_e32 v1, 0x800, v126
	v_cmp_eq_u32_e32 vcc, 0, v1
	s_and_saveexec_b64 s[4:5], vcc
	s_cbranch_execz .LBB32_39
; %bb.38:
	s_trap 2
	ds_write_b64 v0, v[20:21]
.LBB32_39:
	s_or_b64 exec, exec, s[4:5]
	s_waitcnt vmcnt(0) lgkmcnt(0)
	flat_load_dwordx2 v[40:41], v[20:21] offset:56
	s_waitcnt vmcnt(0) lgkmcnt(0)
	flat_load_dwordx2 v[56:57], v[40:41] sc0 sc1
	flat_load_dword v1, v[20:21] offset:72
	flat_load_dwordx2 v[42:43], v[20:21] offset:16
	s_waitcnt vmcnt(0) lgkmcnt(0)
	v_ashrrev_i32_e32 v30, 1, v1
.LBB32_40:
	s_or_b64 exec, exec, s[2:3]
.LBB32_41:
	s_or_b64 exec, exec, s[0:1]
	scratch_load_dword v1, off, s33 offset:188 ; 4-byte Folded Reload
	s_waitcnt vmcnt(0)
	v_cmp_eq_u32_e64 s[0:1], 0, v1
	s_and_saveexec_b64 s[2:3], s[0:1]
	s_cbranch_execz .LBB32_43
; %bb.42:
	flat_load_dwordx2 v[8:9], v[2:3] offset:32
	ds_write2_b64 v0, v[12:13], v[10:11] offset1:1
	s_trap 2
	s_waitcnt vmcnt(0) lgkmcnt(0)
	ds_write_b64 v0, v[8:9]
	ds_write_b64 v0, v[14:15]
.LBB32_43:
	s_or_b64 exec, exec, s[2:3]
	v_mov_b64_e32 v[46:47], 0
	v_cmp_lt_i64_e32 vcc, 0, v[114:115]
	s_trap 2
	s_and_saveexec_b64 s[74:75], vcc
	s_cbranch_execz .LBB32_3089
; %bb.44:
	scratch_load_dword v5, off, s33 offset:188 ; 4-byte Folded Reload
	flat_load_dword v1, v[2:3] offset:4
	s_ashr_i32 s16, s22, 31
	s_lshr_b32 s23, s16, 29
	s_add_i32 s22, s22, s23
	s_ashr_i32 s65, s64, 31
	s_ashr_i32 s23, s22, 4
	s_add_u32 s94, s64, -1
	s_addc_u32 s95, s65, -1
	s_add_i32 s68, s64, s64
	s_not_b32 s24, s64
	s_cmp_gt_i32 s64, 0
	s_cselect_b32 s24, s24, -1
	s_ashr_i32 s22, s22, 31
	s_lshr_b32 s22, s22, 29
	s_add_i32 s69, s24, s68
	s_add_i32 s23, s23, s22
	s_ashr_i32 s70, s69, 31
	s_ashr_i32 s71, s23, 3
	s_cmp_gt_i32 s64, 2
	v_and_b32_e32 v2, 0x1fffff00, v4
	v_lshrrev_b32_e32 v60, 6, v18
	s_cselect_b64 s[30:31], -1, 0
	s_add_i32 s24, s64, 1
	v_and_b32_e32 v4, 63, v31
	v_mad_i64_i32 v[14:15], s[14:15], v2, s64, 0
	v_lshlrev_b32_e32 v76, 10, v60
	v_cmp_eq_u32_e64 s[14:15], 0, v4
	v_add_u32_e32 v98, 0xfffffc00, v76
	v_mov_b32_e32 v3, 0
	s_mov_b64 s[90:91], 0x400
	s_mov_b64 s[92:93], 0x80
	v_ashrrev_i32_e32 v99, 31, v98
	scratch_store_dwordx2 off, v[20:21], s33 offset:296 ; 8-byte Folded Spill
	s_mov_b32 s77, 0
	v_ashrrev_i32_e32 v119, 31, v30
	v_cmp_eq_u32_e64 s[4:5], 64, v18
	v_cmp_ne_u32_e64 s[6:7], 64, v18
	scratch_store_dword off, v19, s33 offset:292 ; 4-byte Folded Spill
	v_cmp_ne_u32_sdwa s[78:79], v18, v19 src0_sel:DWORD src1_sel:WORD_0
	scratch_store_dword off, v31, s33 offset:288 ; 4-byte Folded Spill
	s_trap 2
	s_mov_b64 s[88:89], 0
	s_waitcnt lgkmcnt(0)
	v_cmp_eq_u64_e64 s[10:11], 0, v[44:45]
	v_cmp_ne_u64_e64 s[12:13], 0, v[44:45]
	s_movk_i32 s66, 0xfc00
	s_movk_i32 s67, 0xff80
	v_mov_b64_e32 v[102:103], 0
	v_mov_b64_e32 v[46:47], 0
	v_mov_b32_e32 v31, 1
	v_mov_b32_e32 v61, v3
	v_lshlrev_b32_e32 v62, 13, v60
	v_mov_b32_e32 v63, v3
	v_mov_b32_e32 v77, v3
	v_lshlrev_b32_e32 v78, 11, v60
	v_mov_b32_e32 v79, v3
	v_mov_b32_e32 v89, v3
	;; [unrolled: 1-line block ×3, first 2 shown]
	v_lshlrev_b32_e32 v92, 12, v60
	v_mov_b32_e32 v93, v3
	v_mov_b32_e32 v9, v3
	v_lshl_add_u64 v[86:87], v[98:99], 0, s[90:91]
	s_movk_i32 s83, 0x1000
	s_movk_i32 s84, 0x108
	s_mov_b32 s85, 0x7f800000
	s_movk_i32 s86, 0x7fff
	s_mov_b32 s87, 0xffff0000
	s_mov_b64 s[36:37], 0x780
	s_movk_i32 s96, 0xf880
	v_mov_b32_e32 v84, v3
	v_mov_b32_e32 v85, v3
	;; [unrolled: 1-line block ×3, first 2 shown]
	v_mov_b64_e32 v[124:125], v[2:3]
	scratch_store_dword off, v18, s33 offset:284 ; 4-byte Folded Spill
	v_mov_b32_e32 v17, v3
	scratch_store_dwordx2 off, v[112:113], s33 offset:256 ; 8-byte Folded Spill
	s_waitcnt vmcnt(0)
	v_and_b32_e32 v8, 63, v5
	v_cmp_lt_u32_e64 s[18:19], v8, v0
	v_cmp_le_u32_e64 s[20:21], v8, v0
	v_and_b32_e32 v0, 1, v1
	v_cmp_eq_u32_e64 s[22:23], 1, v0
	v_cmp_ge_u32_e64 s[2:3], v5, v18
	v_lshrrev_b32_e32 v100, 6, v5
	v_lshlrev_b32_e32 v5, 1, v18
	s_xor_b64 s[34:35], s[22:23], -1
	v_and_b32_e32 v88, 0x7f80, v5
	s_cmp_ge_i32 s24, s64
	v_lshlrev_b32_e32 v4, 4, v8
	v_add_u32_e32 v110, 0xffffff80, v88
	s_cselect_b32 s25, s64, 0
	v_lshl_or_b32 v90, v100, 12, v4
	v_lshl_or_b32 v16, v100, 13, v4
	v_ashrrev_i32_e32 v111, 31, v110
	s_sub_i32 s81, s24, s25
	v_cmp_eq_u32_e64 s[16:17], 0, v8
	scratch_store_dword off, v8, s33 offset:208 ; 4-byte Folded Spill
	v_mov_b32_e32 v5, v3
	v_or_b32_e32 v4, 0xc00, v90
	v_or_b32_e32 v8, 0x1c00, v16
	v_lshl_add_u64 v[122:123], v[110:111], 0, s[92:93]
	s_add_i32 s80, s64, -2
	s_ashr_i32 s82, s81, 31
	v_mov_b64_e32 v[0:1], v[114:115]
	scratch_store_dwordx2 off, v[4:5], s33 offset:304 ; 8-byte Folded Spill
	scratch_store_dwordx2 off, v[8:9], s33 offset:264 ; 8-byte Folded Spill
	scratch_store_dwordx4 off, v[0:3], s33 offset:236 ; 16-byte Folded Spill
	scratch_store_dword off, v100, s33 offset:252 ; 4-byte Folded Spill
	scratch_store_dwordx2 off, v[98:99], s33 offset:228 ; 8-byte Folded Spill
	scratch_store_dwordx2 off, v[86:87], s33 offset:212 ; 8-byte Folded Spill
	;; [unrolled: 1-line block ×5, first 2 shown]
	s_branch .LBB32_47
.LBB32_45:                              ;   in Loop: Header=BB32_47 Depth=1
	s_or_b64 exec, exec, s[24:25]
.LBB32_46:                              ;   in Loop: Header=BB32_47 Depth=1
	s_or_b64 exec, exec, s[26:27]
	s_waitcnt vmcnt(0)
	v_lshl_add_u64 v[102:103], v[102:103], 0, v[14:15]
	v_cmp_ge_i64_e32 vcc, v[102:103], v[114:115]
	s_or_b64 s[88:89], vcc, s[88:89]
	s_andn2_b64 exec, exec, s[88:89]
	s_cbranch_execz .LBB32_3088
.LBB32_47:                              ; =>This Loop Header: Depth=1
                                        ;     Child Loop BB32_62 Depth 2
                                        ;     Child Loop BB32_86 Depth 2
	;; [unrolled: 1-line block ×13, first 2 shown]
                                        ;       Child Loop BB32_274 Depth 3
                                        ;       Child Loop BB32_302 Depth 3
	;; [unrolled: 1-line block ×12, first 2 shown]
                                        ;     Child Loop BB32_721 Depth 2
                                        ;     Child Loop BB32_761 Depth 2
	;; [unrolled: 1-line block ×9, first 2 shown]
                                        ;       Child Loop BB32_1162 Depth 3
                                        ;     Child Loop BB32_1170 Depth 2
                                        ;     Child Loop BB32_1302 Depth 2
                                        ;       Child Loop BB32_1307 Depth 3
                                        ;     Child Loop BB32_1763 Depth 2
                                        ;     Child Loop BB32_1782 Depth 2
	;; [unrolled: 1-line block ×6, first 2 shown]
                                        ;       Child Loop BB32_1813 Depth 3
                                        ;       Child Loop BB32_1853 Depth 3
	;; [unrolled: 1-line block ×9, first 2 shown]
                                        ;         Child Loop BB32_2093 Depth 4
                                        ;       Child Loop BB32_2101 Depth 3
                                        ;       Child Loop BB32_2169 Depth 3
                                        ;         Child Loop BB32_2170 Depth 4
                                        ;       Child Loop BB32_2526 Depth 3
                                        ;       Child Loop BB32_2545 Depth 3
	;; [unrolled: 1-line block ×5, first 2 shown]
                                        ;     Child Loop BB32_2572 Depth 2
                                        ;     Child Loop BB32_2596 Depth 2
	;; [unrolled: 1-line block ×12, first 2 shown]
	v_sub_co_u32_e32 v104, vcc, v114, v102
	s_nop 1
	v_subb_co_u32_e32 v105, vcc, v115, v103, vcc
	v_cmp_lt_i64_e32 vcc, v[104:105], v[14:15]
	s_and_saveexec_b64 s[26:27], vcc
	s_cbranch_execz .LBB32_53
; %bb.48:                               ;   in Loop: Header=BB32_47 Depth=1
	v_lshl_add_u64 v[4:5], s[94:95], 0, v[104:105]
	v_or_b32_e32 v1, s65, v5
	v_mov_b32_e32 v0, v3
	v_cmp_ne_u64_e32 vcc, 0, v[0:1]
                                        ; implicit-def: $vgpr8_vgpr9
	s_and_saveexec_b64 s[24:25], vcc
	s_xor_b64 s[28:29], exec, s[24:25]
	s_cbranch_execz .LBB32_50
; %bb.49:                               ;   in Loop: Header=BB32_47 Depth=1
	s_ashr_i32 s40, s65, 31
	s_add_u32 s24, s64, s40
	s_mov_b32 s41, s40
	s_addc_u32 s25, s65, s40
	s_xor_b64 s[42:43], s[24:25], s[40:41]
	v_cvt_f32_u32_e32 v0, s42
	v_cvt_f32_u32_e32 v1, s43
	s_sub_u32 s41, 0, s42
	s_subb_u32 s44, 0, s43
	v_fmac_f32_e32 v0, 0x4f800000, v1
	v_rcp_f32_e32 v0, v0
	s_nop 0
	v_mul_f32_e32 v0, 0x5f7ffffc, v0
	v_mul_f32_e32 v1, 0x2f800000, v0
	v_trunc_f32_e32 v1, v1
	v_fmac_f32_e32 v0, 0xcf800000, v1
	v_cvt_u32_f32_e32 v1, v1
	v_cvt_u32_f32_e32 v0, v0
	v_readfirstlane_b32 s45, v1
	v_readfirstlane_b32 s24, v0
	s_mul_i32 s25, s41, s45
	s_mul_hi_u32 s47, s41, s24
	s_mul_i32 s46, s44, s24
	s_add_i32 s25, s47, s25
	s_add_i32 s25, s25, s46
	s_mul_i32 s56, s41, s24
	s_mul_i32 s47, s24, s25
	s_mul_hi_u32 s57, s24, s56
	s_mul_hi_u32 s46, s24, s25
	s_add_u32 s47, s57, s47
	s_addc_u32 s46, 0, s46
	s_mul_hi_u32 s58, s45, s56
	s_mul_i32 s56, s45, s56
	s_add_u32 s47, s47, s56
	s_mul_hi_u32 s57, s45, s25
	s_addc_u32 s46, s46, s58
	s_addc_u32 s47, s57, 0
	s_mul_i32 s25, s45, s25
	s_add_u32 s25, s46, s25
	s_addc_u32 s46, 0, s47
	s_add_u32 s47, s24, s25
	s_cselect_b64 s[24:25], -1, 0
	s_cmp_lg_u64 s[24:25], 0
	s_addc_u32 s45, s45, s46
	s_mul_i32 s24, s41, s45
	s_mul_hi_u32 s25, s41, s47
	s_add_i32 s24, s25, s24
	s_mul_i32 s44, s44, s47
	s_add_i32 s24, s24, s44
	s_mul_i32 s41, s41, s47
	s_mul_hi_u32 s44, s45, s41
	s_mul_i32 s46, s45, s41
	s_mul_i32 s57, s47, s24
	s_mul_hi_u32 s41, s47, s41
	s_mul_hi_u32 s56, s47, s24
	s_add_u32 s41, s41, s57
	s_addc_u32 s56, 0, s56
	s_add_u32 s41, s41, s46
	s_mul_hi_u32 s25, s45, s24
	s_addc_u32 s41, s56, s44
	s_addc_u32 s25, s25, 0
	s_mul_i32 s24, s45, s24
	s_add_u32 s24, s41, s24
	s_addc_u32 s41, 0, s25
	s_add_u32 s44, s47, s24
	v_ashrrev_i32_e32 v0, 31, v5
	s_cselect_b64 s[24:25], -1, 0
	v_mov_b32_e32 v1, v0
	s_cmp_lg_u64 s[24:25], 0
	v_lshl_add_u64 v[4:5], v[4:5], 0, v[0:1]
	s_addc_u32 s41, s45, s41
	v_xor_b32_e32 v12, v4, v0
	v_xor_b32_e32 v1, v5, v0
	v_mad_u64_u32 v[4:5], s[24:25], v12, s41, 0
	v_mul_hi_u32 v2, v12, s44
	v_lshl_add_u64 v[4:5], v[2:3], 0, v[4:5]
	v_mad_u64_u32 v[10:11], s[24:25], v1, s44, 0
	v_add_co_u32_e32 v2, vcc, v4, v10
	v_mad_u64_u32 v[8:9], s[24:25], v1, s41, 0
	s_nop 0
	v_addc_co_u32_e32 v2, vcc, v5, v11, vcc
	v_xor_b32_e32 v0, s40, v0
	s_nop 0
	v_addc_co_u32_e32 v9, vcc, 0, v9, vcc
	v_lshl_add_u64 v[4:5], v[2:3], 0, v[8:9]
	v_mul_lo_u32 v2, s43, v4
	v_mul_lo_u32 v10, s42, v5
	v_mad_u64_u32 v[8:9], s[24:25], s42, v4, 0
	v_add3_u32 v2, v9, v10, v2
	v_sub_u32_e32 v9, v1, v2
	v_mov_b32_e32 v10, s43
	v_sub_co_u32_e32 v12, vcc, v12, v8
	s_nop 1
	v_subb_co_u32_e64 v8, s[24:25], v9, v10, vcc
	v_subrev_co_u32_e64 v9, s[24:25], s42, v12
	v_subb_co_u32_e32 v1, vcc, v1, v2, vcc
	s_nop 0
	v_subbrev_co_u32_e64 v8, s[24:25], 0, v8, s[24:25]
	v_cmp_le_u32_e64 s[24:25], s43, v8
	v_cmp_le_u32_e32 vcc, s43, v1
	s_nop 0
	v_cndmask_b32_e64 v10, 0, -1, s[24:25]
	v_cmp_le_u32_e64 s[24:25], s42, v9
	v_cndmask_b32_e64 v2, 0, -1, vcc
	v_cmp_le_u32_e32 vcc, s42, v12
	v_cndmask_b32_e64 v9, 0, -1, s[24:25]
	v_cmp_eq_u32_e64 s[24:25], s43, v8
	s_nop 1
	v_cndmask_b32_e64 v13, v10, v9, s[24:25]
	v_lshl_add_u64 v[8:9], v[4:5], 0, 2
	v_lshl_add_u64 v[10:11], v[4:5], 0, 1
	v_cmp_ne_u32_e64 s[24:25], 0, v13
	s_nop 1
	v_cndmask_b32_e64 v9, v11, v9, s[24:25]
	v_cndmask_b32_e64 v11, 0, -1, vcc
	v_cmp_eq_u32_e32 vcc, s43, v1
	s_nop 1
	v_cndmask_b32_e32 v1, v2, v11, vcc
	v_cmp_ne_u32_e32 vcc, 0, v1
	v_cndmask_b32_e64 v2, v10, v8, s[24:25]
	s_nop 0
	v_cndmask_b32_e32 v2, v4, v2, vcc
	v_cndmask_b32_e32 v1, v5, v9, vcc
	v_xor_b32_e32 v2, v2, v0
	v_xor_b32_e32 v1, v1, v0
	v_sub_co_u32_e32 v8, vcc, v2, v0
                                        ; implicit-def: $vgpr4_vgpr5
	s_nop 1
	v_subb_co_u32_e32 v9, vcc, v1, v0, vcc
.LBB32_50:                              ;   in Loop: Header=BB32_47 Depth=1
	s_andn2_saveexec_b64 s[24:25], s[28:29]
	s_cbranch_execz .LBB32_52
; %bb.51:                               ;   in Loop: Header=BB32_47 Depth=1
	v_cvt_f32_u32_e32 v0, s64
	s_sub_i32 s28, 0, s64
	v_rcp_iflag_f32_e32 v0, v0
	s_nop 0
	v_mul_f32_e32 v0, 0x4f7ffffe, v0
	v_cvt_u32_f32_e32 v0, v0
	v_mul_lo_u32 v1, s28, v0
	v_mul_hi_u32 v1, v0, v1
	v_add_u32_e32 v0, v0, v1
	v_mul_hi_u32 v0, v4, v0
	v_mul_lo_u32 v1, v0, s64
	v_sub_u32_e32 v1, v4, v1
	v_add_u32_e32 v2, 1, v0
	v_subrev_u32_e32 v4, s64, v1
	v_cmp_le_u32_e32 vcc, s64, v1
	s_nop 1
	v_cndmask_b32_e32 v1, v1, v4, vcc
	v_cndmask_b32_e32 v0, v0, v2, vcc
	v_add_u32_e32 v2, 1, v0
	v_cmp_le_u32_e32 vcc, s64, v1
	s_nop 1
	v_cndmask_b32_e32 v2, v0, v2, vcc
	v_mov_b64_e32 v[8:9], v[2:3]
.LBB32_52:                              ;   in Loop: Header=BB32_47 Depth=1
	s_or_b64 exec, exec, s[24:25]
	v_lshl_add_u64 v[124:125], v[8:9], 0, 7
	v_and_b32_e32 v124, -8, v124
.LBB32_53:                              ;   in Loop: Header=BB32_47 Depth=1
	s_or_b64 exec, exec, s[26:27]
	v_mul_lo_u32 v0, v125, s69
	v_mul_lo_u32 v1, v124, s70
	v_mad_u64_u32 v[8:9], s[24:25], v124, s69, 0
	v_add3_u32 v9, v9, v1, v0
	v_sub_co_u32_e32 v0, vcc, v104, v8
	v_lshl_add_u64 v[74:75], v[102:103], 0, v[112:113]
	s_nop 0
	v_subb_co_u32_e32 v1, vcc, v105, v9, vcc
	v_cmp_lt_i64_e32 vcc, v[124:125], v[0:1]
	v_mov_b32_e32 v1, 0
	s_nop 0
	v_cndmask_b32_e32 v2, v0, v124, vcc
	v_max_i32_e32 v0, 0, v2
	v_add_u32_e32 v4, 15, v0
	v_ashrrev_i32_e32 v5, 31, v4
	v_lshrrev_b32_e32 v5, 28, v5
	v_add_u32_e32 v4, v4, v5
	v_cmp_gt_i32_e32 vcc, 1, v2
	v_and_b32_e32 v4, -16, v4
	s_or_b64 s[26:27], s[2:3], vcc
	v_max_i32_e32 v4, s71, v4
	s_xor_b64 s[24:25], s[26:27], -1
	s_and_saveexec_b64 s[28:29], s[24:25]
	s_cbranch_execz .LBB32_191
; %bb.54:                               ;   in Loop: Header=BB32_47 Depth=1
	s_and_saveexec_b64 s[24:25], s[0:1]
	s_cbranch_execz .LBB32_56
; %bb.55:                               ;   in Loop: Header=BB32_47 Depth=1
	s_trap 2
	ds_read_b64 v[10:11], v0
	s_waitcnt lgkmcnt(0)
	v_lshl_add_u64 v[10:11], v[74:75], 1, v[10:11]
	v_lshl_add_u64 v[8:9], v[8:9], 1, v[10:11]
	ds_write_b64 v0, v[8:9]
	ds_write_b64 v0, v[84:85]
.LBB32_56:                              ;   in Loop: Header=BB32_47 Depth=1
	s_or_b64 exec, exec, s[24:25]
	v_and_b32_e32 v1, 8, v126
	v_min_i32_e32 v4, v4, v0
	v_cmp_ne_u32_e32 vcc, 0, v1
	s_and_saveexec_b64 s[40:41], vcc
	s_cbranch_execz .LBB32_78
; %bb.57:                               ;   in Loop: Header=BB32_47 Depth=1
	s_waitcnt lgkmcnt(0)
	v_lshl_add_u64 v[10:11], v[56:57], 0, 8
	v_lshl_add_u64 v[8:9], v[116:117], 0, 4
	v_cmp_lt_u64_e32 vcc, v[10:11], v[8:9]
	s_and_saveexec_b64 s[42:43], vcc
	s_cbranch_execz .LBB32_69
; %bb.58:                               ;   in Loop: Header=BB32_47 Depth=1
	v_and_b32_e32 v1, 64, v126
	s_mov_b32 s76, 0
	v_cmp_eq_u32_e32 vcc, 0, v1
	s_mov_b64 s[44:45], 0
                                        ; implicit-def: $sgpr46_sgpr47
                                        ; implicit-def: $sgpr56_sgpr57
                                        ; implicit-def: $sgpr58_sgpr59
	s_branch .LBB32_62
.LBB32_59:                              ;   in Loop: Header=BB32_62 Depth=2
	s_waitcnt vmcnt(0) lgkmcnt(0)
	v_lshl_add_u64 v[10:11], v[56:57], 0, 8
	v_cmp_ge_u64_e64 s[24:25], v[10:11], v[8:9]
	s_or_b64 s[38:39], s[38:39], exec
	s_orn2_b64 s[62:63], s[24:25], exec
.LBB32_60:                              ;   in Loop: Header=BB32_62 Depth=2
	s_or_b64 exec, exec, s[50:51]
	s_andn2_b64 s[24:25], s[58:59], exec
	s_and_b64 s[58:59], s[38:39], exec
	s_or_b64 s[58:59], s[24:25], s[58:59]
	s_andn2_b64 s[24:25], s[56:57], exec
	s_and_b64 s[56:57], s[62:63], exec
	s_or_b64 s[56:57], s[24:25], s[56:57]
.LBB32_61:                              ;   in Loop: Header=BB32_62 Depth=2
	s_or_b64 exec, exec, s[60:61]
	s_and_b64 s[24:25], exec, s[56:57]
	s_or_b64 s[44:45], s[24:25], s[44:45]
	s_andn2_b64 s[24:25], s[46:47], exec
	s_and_b64 s[46:47], s[58:59], exec
	s_or_b64 s[46:47], s[24:25], s[46:47]
	s_andn2_b64 exec, exec, s[44:45]
	s_cbranch_execz .LBB32_66
.LBB32_62:                              ;   Parent Loop BB32_47 Depth=1
                                        ; =>  This Inner Loop Header: Depth=2
	s_sleep 1
	s_waitcnt vmcnt(0) lgkmcnt(0)
	flat_load_dwordx2 v[56:57], v[40:41] sc0 sc1
	s_or_b64 s[58:59], s[58:59], exec
	s_or_b64 s[56:57], s[56:57], exec
                                        ; implicit-def: $vgpr1
	s_and_saveexec_b64 s[60:61], vcc
	s_cbranch_execz .LBB32_61
; %bb.63:                               ;   in Loop: Header=BB32_62 Depth=2
	s_cmpk_lt_i32 s76, 0x270f
	s_cselect_b64 s[48:49], -1, 0
	s_cmpk_gt_i32 s76, 0x270e
	s_mov_b64 s[62:63], -1
	s_cbranch_scc0 .LBB32_65
; %bb.64:                               ;   in Loop: Header=BB32_62 Depth=2
	s_trap 2
	ds_read_b64 v[10:11], v0
	s_andn2_b64 s[48:49], s[48:49], exec
	s_mov_b32 s76, 0
	s_mov_b64 s[38:39], 0
	s_waitcnt vmcnt(0) lgkmcnt(0)
	flat_load_dword v1, v[10:11] sc0 sc1
	s_waitcnt vmcnt(0) lgkmcnt(0)
	buffer_inv sc0 sc1
	v_cmp_eq_u32_e64 s[24:25], 0, v1
	s_and_b64 s[24:25], s[24:25], exec
	s_or_b64 s[48:49], s[48:49], s[24:25]
	s_and_saveexec_b64 s[50:51], s[48:49]
	s_cbranch_execz .LBB32_60
	s_branch .LBB32_59
.LBB32_65:                              ;   in Loop: Header=BB32_62 Depth=2
	s_add_i32 s76, s76, 1
	s_mov_b64 s[38:39], -1
                                        ; implicit-def: $vgpr1
	s_and_saveexec_b64 s[50:51], s[48:49]
	s_cbranch_execz .LBB32_60
	s_branch .LBB32_59
.LBB32_66:                              ;   in Loop: Header=BB32_47 Depth=1
	s_or_b64 exec, exec, s[44:45]
	s_xor_b64 s[24:25], s[46:47], -1
	s_and_saveexec_b64 s[44:45], s[24:25]
	s_xor_b64 s[24:25], exec, s[44:45]
	s_cbranch_execz .LBB32_68
; %bb.67:                               ;   in Loop: Header=BB32_47 Depth=1
	v_or_b32_e32 v126, 64, v126
	s_waitcnt lgkmcnt(0)
	ds_write_b32 v0, v1
	s_trap 2
.LBB32_68:                              ;   in Loop: Header=BB32_47 Depth=1
	s_or_b64 exec, exec, s[24:25]
.LBB32_69:                              ;   in Loop: Header=BB32_47 Depth=1
	s_or_b64 exec, exec, s[42:43]
	v_and_b32_e32 v1, 0x100, v126
	v_cmp_ne_u32_e32 vcc, 0, v1
	v_and_b32_e32 v1, 7, v116
	s_mov_b64 s[24:25], -1
	;;#ASMSTART
	s_wakeup
	;;#ASMEND
                                        ; implicit-def: $vgpr10_vgpr11
	s_and_saveexec_b64 s[42:43], vcc
	s_cbranch_execz .LBB32_73
; %bb.70:                               ;   in Loop: Header=BB32_47 Depth=1
	v_mad_u64_u32 v[12:13], s[24:25], v1, 24, v[6:7]
	flat_load_dword v2, v[12:13]
	v_ashrrev_i32_e32 v5, 31, v4
	v_lshlrev_b64 v[10:11], 1, v[4:5]
	flat_store_dwordx2 v[12:13], v[10:11] offset:8
                                        ; implicit-def: $vgpr10_vgpr11
	s_waitcnt vmcnt(0) lgkmcnt(0)
	v_cmp_ne_u32_e32 vcc, 1, v2
	v_cmp_eq_u32_e64 s[24:25], 1, v2
	s_and_saveexec_b64 s[44:45], s[24:25]
	s_cbranch_execz .LBB32_72
; %bb.71:                               ;   in Loop: Header=BB32_47 Depth=1
	flat_load_dword v10, v[12:13] offset:4 sc0 sc1
	s_waitcnt vmcnt(0) lgkmcnt(0)
	v_ashrrev_i32_e32 v11, 31, v10
	v_lshrrev_b64 v[10:11], 1, v[10:11]
.LBB32_72:                              ;   in Loop: Header=BB32_47 Depth=1
	s_or_b64 exec, exec, s[44:45]
	s_orn2_b64 s[24:25], vcc, exec
.LBB32_73:                              ;   in Loop: Header=BB32_47 Depth=1
	s_or_b64 exec, exec, s[42:43]
	s_and_saveexec_b64 s[42:43], s[24:25]
; %bb.74:                               ;   in Loop: Header=BB32_47 Depth=1
	v_mad_i64_i32 v[10:11], s[24:25], v1, v30, 0
; %bb.75:                               ;   in Loop: Header=BB32_47 Depth=1
	s_or_b64 exec, exec, s[42:43]
	v_and_b32_e32 v1, 0x2000, v126
	v_lshl_add_u64 v[10:11], v[10:11], 1, v[42:43]
	v_cmp_ne_u32_e32 vcc, 0, v1
	ds_write_b64 v0, v[10:11] offset:784
	s_and_saveexec_b64 s[24:25], vcc
	s_cbranch_execz .LBB32_77
; %bb.76:                               ;   in Loop: Header=BB32_47 Depth=1
	ds_read_b64 v[10:11], v0 offset:872
	s_waitcnt lgkmcnt(0)
	v_lshl_add_u64 v[10:11], v[10:11], 0, 1
	ds_write_b64 v0, v[10:11] offset:872
.LBB32_77:                              ;   in Loop: Header=BB32_47 Depth=1
	s_or_b64 exec, exec, s[24:25]
	v_mov_b64_e32 v[116:117], v[8:9]
.LBB32_78:                              ;   in Loop: Header=BB32_47 Depth=1
	s_or_b64 exec, exec, s[40:41]
	s_and_saveexec_b64 s[24:25], s[6:7]
	s_cbranch_execz .LBB32_97
; %bb.79:                               ;   in Loop: Header=BB32_47 Depth=1
	s_and_saveexec_b64 s[40:41], s[78:79]
	s_xor_b64 s[40:41], exec, s[40:41]
	s_cbranch_execz .LBB32_94
; %bb.80:                               ;   in Loop: Header=BB32_47 Depth=1
	s_and_saveexec_b64 s[42:43], s[14:15]
	s_cbranch_execz .LBB32_93
; %bb.81:                               ;   in Loop: Header=BB32_47 Depth=1
	s_mov_b64 s[46:47], exec
	v_mbcnt_lo_u32_b32 v1, s46, 0
	v_mbcnt_hi_u32_b32 v1, s47, v1
	v_cmp_eq_u32_e32 vcc, 0, v1
	s_waitcnt lgkmcnt(0)
	s_and_saveexec_b64 s[44:45], vcc
	s_cbranch_execz .LBB32_83
; %bb.82:                               ;   in Loop: Header=BB32_47 Depth=1
	s_bcnt1_i32_b64 s46, s[46:47]
	v_mov_b32_e32 v2, s46
	ds_add_u64 v0, v[2:3]
	s_trap 2
.LBB32_83:                              ;   in Loop: Header=BB32_47 Depth=1
	s_or_b64 exec, exec, s[44:45]
	s_trap 2
	ds_read_b64 v[8:9], v0
	s_waitcnt lgkmcnt(0)
	v_lshl_add_u64 v[46:47], v[46:47], 0, v[60:61]
	v_cmp_lt_u64_e32 vcc, v[8:9], v[46:47]
	s_and_saveexec_b64 s[44:45], vcc
	s_cbranch_execz .LBB32_92
; %bb.84:                               ;   in Loop: Header=BB32_47 Depth=1
	s_mov_b32 s76, 0
	s_mov_b64 s[46:47], 0
                                        ; implicit-def: $sgpr56_sgpr57
                                        ; implicit-def: $sgpr58_sgpr59
	s_branch .LBB32_86
.LBB32_85:                              ;   in Loop: Header=BB32_86 Depth=2
	s_or_b64 exec, exec, s[62:63]
	s_and_b64 s[60:61], exec, vcc
	s_or_b64 s[46:47], s[60:61], s[46:47]
	s_andn2_b64 s[56:57], s[56:57], exec
	s_and_b64 s[60:61], s[58:59], exec
	s_or_b64 s[56:57], s[56:57], s[60:61]
	s_andn2_b64 exec, exec, s[46:47]
	s_cbranch_execz .LBB32_90
.LBB32_86:                              ;   Parent Loop BB32_47 Depth=1
                                        ; =>  This Inner Loop Header: Depth=2
	s_add_i32 s76, s76, 1
	s_cmpk_lg_i32 s76, 0x2710
	s_cselect_b64 s[60:61], -1, 0
	s_and_b64 vcc, exec, s[60:61]
	s_cbranch_vccz .LBB32_88
; %bb.87:                               ;   in Loop: Header=BB32_86 Depth=2
	s_mov_b64 vcc, -1
	s_or_b64 s[58:59], s[58:59], exec
	s_and_saveexec_b64 s[62:63], s[60:61]
	s_cbranch_execz .LBB32_85
	s_branch .LBB32_89
.LBB32_88:                              ;   in Loop: Header=BB32_86 Depth=2
	s_trap 2
	ds_read_b64 v[8:9], v0
	s_andn2_b64 s[60:61], s[60:61], exec
	s_mov_b32 s76, 0
	s_waitcnt vmcnt(0) lgkmcnt(0)
	flat_load_dword v1, v[8:9] sc0 sc1
	s_waitcnt vmcnt(0) lgkmcnt(0)
	buffer_inv sc0 sc1
	v_cmp_eq_u32_e32 vcc, 0, v1
	s_and_b64 s[62:63], vcc, exec
	s_or_b64 s[60:61], s[60:61], s[62:63]
	s_mov_b64 vcc, -1
	s_or_b64 s[58:59], s[58:59], exec
	s_and_saveexec_b64 s[62:63], s[60:61]
	s_cbranch_execz .LBB32_85
.LBB32_89:                              ;   in Loop: Header=BB32_86 Depth=2
	s_sleep 1
	s_trap 2
	ds_read_b64 v[8:9], v0
	s_waitcnt lgkmcnt(0)
	s_andn2_b64 s[58:59], s[58:59], exec
	v_cmp_ge_u64_e32 vcc, v[8:9], v[46:47]
	s_orn2_b64 vcc, vcc, exec
	s_branch .LBB32_85
.LBB32_90:                              ;   in Loop: Header=BB32_47 Depth=1
	s_or_b64 exec, exec, s[46:47]
	s_and_saveexec_b64 s[46:47], s[56:57]
	s_xor_b64 s[46:47], exec, s[46:47]
	s_cbranch_execz .LBB32_92
; %bb.91:                               ;   in Loop: Header=BB32_47 Depth=1
	ds_write_b32 v0, v31
	s_trap 2
.LBB32_92:                              ;   in Loop: Header=BB32_47 Depth=1
	s_or_b64 exec, exec, s[44:45]
	;;#ASMSTART
	s_wakeup
	;;#ASMEND
.LBB32_93:                              ;   in Loop: Header=BB32_47 Depth=1
	s_or_b64 exec, exec, s[42:43]
.LBB32_94:                              ;   in Loop: Header=BB32_47 Depth=1
	s_andn2_saveexec_b64 s[40:41], s[40:41]
	s_cbranch_execz .LBB32_96
; %bb.95:                               ;   in Loop: Header=BB32_47 Depth=1
	s_waitcnt lgkmcnt(0)
	s_barrier
.LBB32_96:                              ;   in Loop: Header=BB32_47 Depth=1
	s_or_b64 exec, exec, s[40:41]
.LBB32_97:                              ;   in Loop: Header=BB32_47 Depth=1
	s_or_b64 exec, exec, s[24:25]
	s_trap 2
	ds_read_b32 v1, v0
	v_and_b32_e32 v2, 0x4000, v126
	v_cmp_ne_u32_e32 vcc, 0, v2
	s_xor_b64 s[24:25], s[4:5], -1
	s_and_b64 s[40:41], s[24:25], vcc
	s_and_saveexec_b64 s[24:25], s[40:41]
	s_cbranch_execz .LBB32_116
; %bb.98:                               ;   in Loop: Header=BB32_47 Depth=1
	s_and_saveexec_b64 s[40:41], s[78:79]
	s_xor_b64 s[40:41], exec, s[40:41]
	s_cbranch_execz .LBB32_113
; %bb.99:                               ;   in Loop: Header=BB32_47 Depth=1
	s_and_saveexec_b64 s[42:43], s[14:15]
	s_cbranch_execz .LBB32_112
; %bb.100:                              ;   in Loop: Header=BB32_47 Depth=1
	s_mov_b64 s[46:47], exec
	v_mbcnt_lo_u32_b32 v2, s46, 0
	v_mbcnt_hi_u32_b32 v2, s47, v2
	v_cmp_eq_u32_e32 vcc, 0, v2
	s_waitcnt lgkmcnt(0)
	s_and_saveexec_b64 s[44:45], vcc
	s_cbranch_execz .LBB32_102
; %bb.101:                              ;   in Loop: Header=BB32_47 Depth=1
	s_bcnt1_i32_b64 s46, s[46:47]
	v_mov_b32_e32 v2, s46
	ds_add_u64 v0, v[2:3]
	s_trap 2
.LBB32_102:                             ;   in Loop: Header=BB32_47 Depth=1
	s_or_b64 exec, exec, s[44:45]
	s_trap 2
	ds_read_b64 v[8:9], v0
	s_waitcnt lgkmcnt(0)
	v_lshl_add_u64 v[46:47], v[46:47], 0, v[60:61]
	v_cmp_lt_u64_e32 vcc, v[8:9], v[46:47]
	s_and_saveexec_b64 s[44:45], vcc
	s_cbranch_execz .LBB32_111
; %bb.103:                              ;   in Loop: Header=BB32_47 Depth=1
	s_mov_b32 s76, 0
	s_mov_b64 s[46:47], 0
                                        ; implicit-def: $sgpr56_sgpr57
                                        ; implicit-def: $sgpr58_sgpr59
	s_branch .LBB32_105
.LBB32_104:                             ;   in Loop: Header=BB32_105 Depth=2
	s_or_b64 exec, exec, s[62:63]
	s_and_b64 s[60:61], exec, vcc
	s_or_b64 s[46:47], s[60:61], s[46:47]
	s_andn2_b64 s[56:57], s[56:57], exec
	s_and_b64 s[60:61], s[58:59], exec
	s_or_b64 s[56:57], s[56:57], s[60:61]
	s_andn2_b64 exec, exec, s[46:47]
	s_cbranch_execz .LBB32_109
.LBB32_105:                             ;   Parent Loop BB32_47 Depth=1
                                        ; =>  This Inner Loop Header: Depth=2
	s_add_i32 s76, s76, 1
	s_cmpk_lg_i32 s76, 0x2710
	s_cselect_b64 s[60:61], -1, 0
	s_and_b64 vcc, exec, s[60:61]
	s_cbranch_vccz .LBB32_107
; %bb.106:                              ;   in Loop: Header=BB32_105 Depth=2
	s_mov_b64 vcc, -1
	s_or_b64 s[58:59], s[58:59], exec
	s_and_saveexec_b64 s[62:63], s[60:61]
	s_cbranch_execz .LBB32_104
	s_branch .LBB32_108
.LBB32_107:                             ;   in Loop: Header=BB32_105 Depth=2
	s_trap 2
	ds_read_b64 v[8:9], v0
	s_andn2_b64 s[60:61], s[60:61], exec
	s_mov_b32 s76, 0
	s_waitcnt vmcnt(0) lgkmcnt(0)
	flat_load_dword v2, v[8:9] sc0 sc1
	s_waitcnt vmcnt(0) lgkmcnt(0)
	buffer_inv sc0 sc1
	v_cmp_eq_u32_e32 vcc, 0, v2
	s_and_b64 s[62:63], vcc, exec
	s_or_b64 s[60:61], s[60:61], s[62:63]
	s_mov_b64 vcc, -1
	s_or_b64 s[58:59], s[58:59], exec
	s_and_saveexec_b64 s[62:63], s[60:61]
	s_cbranch_execz .LBB32_104
.LBB32_108:                             ;   in Loop: Header=BB32_105 Depth=2
	s_sleep 1
	s_trap 2
	ds_read_b64 v[8:9], v0
	s_waitcnt lgkmcnt(0)
	s_andn2_b64 s[58:59], s[58:59], exec
	v_cmp_ge_u64_e32 vcc, v[8:9], v[46:47]
	s_orn2_b64 vcc, vcc, exec
	s_branch .LBB32_104
.LBB32_109:                             ;   in Loop: Header=BB32_47 Depth=1
	s_or_b64 exec, exec, s[46:47]
	s_and_saveexec_b64 s[46:47], s[56:57]
	s_xor_b64 s[46:47], exec, s[46:47]
	s_cbranch_execz .LBB32_111
; %bb.110:                              ;   in Loop: Header=BB32_47 Depth=1
	ds_write_b32 v0, v31
	s_trap 2
.LBB32_111:                             ;   in Loop: Header=BB32_47 Depth=1
	s_or_b64 exec, exec, s[44:45]
	;;#ASMSTART
	s_wakeup
	;;#ASMEND
.LBB32_112:                             ;   in Loop: Header=BB32_47 Depth=1
	s_or_b64 exec, exec, s[42:43]
.LBB32_113:                             ;   in Loop: Header=BB32_47 Depth=1
	s_andn2_saveexec_b64 s[40:41], s[40:41]
	s_cbranch_execz .LBB32_115
; %bb.114:                              ;   in Loop: Header=BB32_47 Depth=1
	s_waitcnt lgkmcnt(0)
	s_barrier
.LBB32_115:                             ;   in Loop: Header=BB32_47 Depth=1
	s_or_b64 exec, exec, s[40:41]
.LBB32_116:                             ;   in Loop: Header=BB32_47 Depth=1
	s_or_b64 exec, exec, s[24:25]
	s_trap 2
	ds_read_b64 v[8:9], v0
	s_waitcnt lgkmcnt(0)
	v_cmp_eq_u64_e32 vcc, 0, v[8:9]
	s_cbranch_vccnz .LBB32_124
; %bb.117:                              ;   in Loop: Header=BB32_47 Depth=1
	s_trap 2
	ds_read_b64 v[10:11], v0
	s_waitcnt lgkmcnt(0)
	v_cmp_eq_u64_e32 vcc, 0, v[10:11]
	s_cbranch_vccnz .LBB32_124
; %bb.118:                              ;   in Loop: Header=BB32_47 Depth=1
	s_mov_b64 s[24:25], -1
	s_and_saveexec_b64 s[40:41], s[16:17]
	s_cbranch_execz .LBB32_120
; %bb.119:                              ;   in Loop: Header=BB32_47 Depth=1
	ds_read_b32 v2, v0 offset:720
	s_waitcnt lgkmcnt(0)
	v_and_b32_e32 v2, 15, v2
	v_cmp_eq_u32_e32 vcc, 0, v2
	s_orn2_b64 s[24:25], vcc, exec
.LBB32_120:                             ;   in Loop: Header=BB32_47 Depth=1
	s_or_b64 exec, exec, s[40:41]
	s_and_saveexec_b64 s[40:41], s[18:19]
	s_cbranch_execz .LBB32_122
; %bb.121:                              ;   in Loop: Header=BB32_47 Depth=1
	ds_read_b32 v2, v0 offset:784
	s_waitcnt lgkmcnt(0)
	v_and_b32_e32 v2, 15, v2
	v_cmp_eq_u32_e32 vcc, 0, v2
	s_and_b64 s[42:43], s[24:25], vcc
	s_andn2_b64 s[24:25], s[24:25], exec
	s_and_b64 s[42:43], s[42:43], exec
	s_or_b64 s[24:25], s[24:25], s[42:43]
.LBB32_122:                             ;   in Loop: Header=BB32_47 Depth=1
	s_or_b64 exec, exec, s[40:41]
	v_cmp_eq_u32_e32 vcc, 0, v1
	s_xor_b64 s[24:25], s[24:25], -1
	v_cndmask_b32_e64 v5, 0, 1, s[24:25]
	v_cndmask_b32_e32 v1, 0, v4, vcc
	v_lshlrev_b32_e32 v2, 1, v1
	s_mov_b64 s[42:43], -1
	v_cmp_ne_u32_e32 vcc, 0, v5
	v_mov_b32_e32 v5, 0
	s_cbranch_vccz .LBB32_130
; %bb.123:                              ;   in Loop: Header=BB32_47 Depth=1
	scratch_load_dword v18, off, s33 offset:188 ; 4-byte Folded Reload
	s_and_saveexec_b64 s[24:25], s[42:43]
	s_cbranch_execnz .LBB32_141
	s_branch .LBB32_149
.LBB32_124:                             ;   in Loop: Header=BB32_47 Depth=1
	s_mov_b64 s[24:25], 0
	s_and_saveexec_b64 s[40:41], s[6:7]
	s_cbranch_execnz .LBB32_150
.LBB32_125:                             ;   in Loop: Header=BB32_47 Depth=1
	s_or_b64 exec, exec, s[40:41]
                                        ; implicit-def: $vgpr1
	s_and_saveexec_b64 s[40:41], s[22:23]
	s_xor_b64 s[40:41], exec, s[40:41]
	s_cbranch_execz .LBB32_168
.LBB32_126:                             ;   in Loop: Header=BB32_47 Depth=1
	v_and_b32_e32 v2, 16, v126
	v_cmp_ne_u32_e32 vcc, 0, v2
	v_and_b32_e32 v1, 16, v126
	s_and_b64 s[42:43], vcc, s[24:25]
	s_and_saveexec_b64 s[24:25], s[42:43]
	s_cbranch_execz .LBB32_128
; %bb.127:                              ;   in Loop: Header=BB32_47 Depth=1
	v_mov_b32_e32 v1, 1
	buffer_wbl2 sc1
	s_waitcnt vmcnt(0) lgkmcnt(0)
	buffer_inv sc1
.LBB32_128:                             ;   in Loop: Header=BB32_47 Depth=1
	s_or_b64 exec, exec, s[24:25]
	s_andn2_saveexec_b64 s[24:25], s[40:41]
	s_cbranch_execnz .LBB32_169
.LBB32_129:                             ;   in Loop: Header=BB32_47 Depth=1
	s_or_b64 exec, exec, s[24:25]
	v_cmp_ne_u32_e32 vcc, 0, v1
	s_and_saveexec_b64 s[24:25], vcc
	s_cbranch_execnz .LBB32_187
	s_branch .LBB32_190
.LBB32_130:                             ;   in Loop: Header=BB32_47 Depth=1
	v_ashrrev_i32_e32 v5, 31, v2
	v_lshrrev_b32_e32 v5, 19, v5
	v_add_u32_e32 v5, v2, v5
	v_ashrrev_i32_e32 v5, 13, v5
	v_sub_u32_e32 v16, v5, v100
	v_cmp_lt_i32_e32 vcc, 0, v16
	s_and_saveexec_b64 s[40:41], vcc
	s_cbranch_execz .LBB32_134
; %bb.131:                              ;   in Loop: Header=BB32_47 Depth=1
	scratch_load_dwordx2 v[80:81], off, s33 offset:192 ; 8-byte Folded Reload
	v_mov_b32_e32 v17, 0xc8
	s_mov_b64 s[42:43], 0
	v_mov_b64_e32 v[12:13], v[10:11]
	v_mov_b64_e32 v[14:15], v[8:9]
.LBB32_132:                             ;   Parent Loop BB32_47 Depth=1
                                        ; =>  This Inner Loop Header: Depth=2
	s_waitcnt vmcnt(0)
	v_lshl_add_u64 v[36:37], v[80:81], 0, v[14:15]
	v_add_co_u32_e32 v64, vcc, 0x1000, v36
	global_load_dwordx4 v[18:21], v[36:37], off nt
	global_load_dwordx4 v[22:25], v[36:37], off offset:1024 nt
	global_load_dwordx4 v[26:29], v[36:37], off offset:2048 nt
	;; [unrolled: 1-line block ×3, first 2 shown]
	v_addc_co_u32_e32 v65, vcc, 0, v37, vcc
	global_load_dwordx4 v[36:39], v[64:65], off nt
	global_load_dwordx4 v[48:51], v[64:65], off offset:1024 nt
	global_load_dwordx4 v[52:55], v[64:65], off offset:2048 nt
	s_nop 0
	global_load_dwordx4 v[64:67], v[64:65], off offset:3072 nt
	v_sub_u32_e32 v16, v16, v60
	v_lshl_add_u64 v[68:69], v[80:81], 0, v[12:13]
	v_cmp_gt_i32_e64 s[24:25], 1, v16
	v_lshl_add_u64 v[14:15], v[14:15], 0, v[62:63]
	v_lshl_add_u64 v[12:13], v[12:13], 0, v[62:63]
	v_add_co_u32_e32 v70, vcc, 0x1000, v68
	s_or_b64 s[42:43], s[24:25], s[42:43]
	s_nop 0
	v_addc_co_u32_e32 v71, vcc, 0, v69, vcc
	s_waitcnt vmcnt(7)
	global_store_dwordx4 v[68:69], v[18:21], off
	s_waitcnt vmcnt(7)
	global_store_dwordx4 v[68:69], v[22:25], off offset:1024
	s_waitcnt vmcnt(7)
	global_store_dwordx4 v[68:69], v[26:29], off offset:2048
	;; [unrolled: 2-line block ×3, first 2 shown]
	s_waitcnt vmcnt(7)
	global_store_dwordx4 v[70:71], v[36:39], off
	s_waitcnt vmcnt(7)
	global_store_dwordx4 v[70:71], v[48:51], off offset:1024
	s_waitcnt vmcnt(7)
	global_store_dwordx4 v[70:71], v[52:55], off offset:2048
	s_waitcnt vmcnt(7)
	global_store_dwordx4 v[70:71], v[64:67], off offset:3072
	s_andn2_b64 exec, exec, s[42:43]
	s_cbranch_execnz .LBB32_132
; %bb.133:                              ;   in Loop: Header=BB32_47 Depth=1
	s_or_b64 exec, exec, s[42:43]
	v_mov_b32_e32 v80, v17
.LBB32_134:                             ;   in Loop: Header=BB32_47 Depth=1
	s_or_b64 exec, exec, s[40:41]
	v_lshlrev_b32_e32 v14, 13, v5
	v_cmp_ne_u32_e32 vcc, v2, v14
	s_mov_b64 s[42:43], 0
	v_mov_b32_e32 v5, 0
                                        ; implicit-def: $vgpr18
	s_and_saveexec_b64 s[40:41], vcc
	s_cbranch_execz .LBB32_140
; %bb.135:                              ;   in Loop: Header=BB32_47 Depth=1
	scratch_load_dword v12, off, s33 offset:208 ; 4-byte Folded Reload
	v_lshlrev_b32_e32 v5, 6, v16
	v_sub_u32_e32 v13, v2, v14
	s_waitcnt vmcnt(0)
	v_sub_u32_e32 v5, v12, v5
	v_ashrrev_i32_e32 v12, 31, v5
	v_lshrrev_b32_e32 v12, 26, v12
	v_add_u32_e32 v12, v5, v12
	v_ashrrev_i32_e32 v17, 6, v12
	v_and_b32_e32 v12, 0xffffffc0, v12
	v_sub_u32_e32 v15, v5, v12
	v_lshlrev_b32_e32 v5, 4, v15
	v_lshl_add_u32 v12, v17, 10, v5
	v_ashrrev_i32_e32 v5, 31, v13
	v_lshrrev_b32_e32 v5, 22, v5
	v_add_u32_e32 v5, v13, v5
	v_ashrrev_i32_e32 v19, 10, v5
	v_and_b32_e32 v5, 0xfffffc00, v5
	v_sub_u32_e32 v16, v13, v5
	v_cmp_lt_i32_e32 vcc, 15, v16
	v_sub_u32_e32 v18, v13, v12
	s_nop 0
	v_addc_co_u32_e64 v13, s[24:25], 0, v19, vcc
	v_sub_u32_e32 v17, v13, v17
	v_cmp_lt_i32_e64 s[24:25], 15, v18
	s_and_saveexec_b64 s[42:43], s[24:25]
	s_cbranch_execz .LBB32_139
; %bb.136:                              ;   in Loop: Header=BB32_47 Depth=1
	v_add_u32_e32 v12, v12, v14
	v_ashrrev_i32_e32 v13, 31, v12
	s_mov_b64 s[44:45], 0
.LBB32_137:                             ;   Parent Loop BB32_47 Depth=1
                                        ; =>  This Inner Loop Header: Depth=2
	v_lshl_add_u64 v[20:21], v[8:9], 0, v[12:13]
	global_load_dwordx4 v[20:23], v[20:21], off nt
	v_sub_u32_e32 v18, v18, v76
	v_cmp_gt_i32_e64 s[24:25], 16, v18
	v_lshl_add_u64 v[24:25], v[10:11], 0, v[12:13]
	v_sub_u32_e32 v17, v17, v60
	v_lshl_add_u64 v[12:13], v[12:13], 0, v[76:77]
	s_or_b64 s[44:45], s[24:25], s[44:45]
	s_waitcnt vmcnt(0)
	global_store_dwordx4 v[24:25], v[20:23], off
	s_andn2_b64 exec, exec, s[44:45]
	s_cbranch_execnz .LBB32_137
; %bb.138:                              ;   in Loop: Header=BB32_47 Depth=1
	s_or_b64 exec, exec, s[44:45]
.LBB32_139:                             ;   in Loop: Header=BB32_47 Depth=1
	s_or_b64 exec, exec, s[42:43]
	v_and_b32_e32 v2, 14, v2
	v_sub_u32_e32 v12, v16, v2
	v_cndmask_b32_e32 v12, 0, v12, vcc
	v_cndmask_b32_e32 v2, v16, v2, vcc
	v_cmp_lt_i32_e32 vcc, 0, v17
	v_add3_u32 v5, v5, v14, v12
	s_nop 0
	v_cndmask_b32_e32 v12, 0, v60, vcc
	v_sub_u32_e32 v12, v12, v17
	v_cmp_ne_u32_e32 vcc, 0, v2
	v_lshl_add_u32 v18, v12, 6, v15
	s_and_b64 s[42:43], vcc, exec
.LBB32_140:                             ;   in Loop: Header=BB32_47 Depth=1
	s_or_b64 exec, exec, s[40:41]
	s_and_saveexec_b64 s[24:25], s[42:43]
	s_cbranch_execz .LBB32_149
.LBB32_141:                             ;   in Loop: Header=BB32_47 Depth=1
	s_waitcnt vmcnt(0)
	v_ashrrev_i32_e32 v12, 31, v18
	v_ashrrev_i32_e32 v13, 31, v2
	v_lshrrev_b32_e32 v12, 26, v12
	v_lshrrev_b32_e32 v13, 21, v13
	v_add_u32_e32 v12, v18, v12
	v_add_u32_e32 v13, v2, v13
	v_ashrrev_i32_e32 v19, 6, v12
	v_ashrrev_i32_e32 v21, 11, v13
	v_sub_u32_e32 v20, v21, v19
	v_cmp_lt_i32_e32 vcc, 0, v20
	s_and_saveexec_b64 s[40:41], vcc
	s_cbranch_execz .LBB32_145
; %bb.142:                              ;   in Loop: Header=BB32_47 Depth=1
	v_and_b32_e32 v12, 0x7fffffc0, v12
	v_sub_u32_e32 v12, v18, v12
	v_lshlrev_b32_e32 v12, 1, v12
	v_lshlrev_b32_e32 v13, 11, v19
	v_add3_u32 v12, v12, v5, v13
	v_ashrrev_i32_e32 v13, 31, v12
	s_mov_b64 s[42:43], 0
	v_mov_b64_e32 v[14:15], v[10:11]
	v_mov_b64_e32 v[16:17], v[8:9]
.LBB32_143:                             ;   Parent Loop BB32_47 Depth=1
                                        ; =>  This Inner Loop Header: Depth=2
	v_lshl_add_u64 v[22:23], v[12:13], 0, v[16:17]
	flat_load_ushort v24, v[22:23] nt
	flat_load_ushort v25, v[22:23] offset:128 nt
	flat_load_ushort v26, v[22:23] offset:256 nt
	;; [unrolled: 1-line block ×15, first 2 shown]
	v_sub_u32_e32 v20, v20, v60
	v_cmp_gt_i32_e32 vcc, 1, v20
	v_lshl_add_u64 v[22:23], v[12:13], 0, v[14:15]
	v_lshl_add_u64 v[16:17], v[16:17], 0, v[78:79]
	;; [unrolled: 1-line block ×3, first 2 shown]
	s_or_b64 s[42:43], vcc, s[42:43]
	s_waitcnt vmcnt(0) lgkmcnt(0)
	flat_store_short v[22:23], v24 nt
	flat_store_short v[22:23], v25 offset:128 nt
	flat_store_short v[22:23], v26 offset:256 nt
	flat_store_short v[22:23], v27 offset:384 nt
	flat_store_short v[22:23], v28 offset:512 nt
	flat_store_short v[22:23], v29 offset:640 nt
	flat_store_short v[22:23], v32 offset:768 nt
	flat_store_short v[22:23], v33 offset:896 nt
	flat_store_short v[22:23], v34 offset:1024 nt
	flat_store_short v[22:23], v35 offset:1152 nt
	flat_store_short v[22:23], v36 offset:1280 nt
	flat_store_short v[22:23], v37 offset:1408 nt
	flat_store_short v[22:23], v38 offset:1536 nt
	flat_store_short v[22:23], v39 offset:1664 nt
	flat_store_short v[22:23], v48 offset:1792 nt
	flat_store_short v[22:23], v49 offset:1920 nt
	s_andn2_b64 exec, exec, s[42:43]
	s_cbranch_execnz .LBB32_143
; %bb.144:                              ;   in Loop: Header=BB32_47 Depth=1
	s_or_b64 exec, exec, s[42:43]
.LBB32_145:                             ;   in Loop: Header=BB32_47 Depth=1
	s_or_b64 exec, exec, s[40:41]
	v_lshlrev_b32_e32 v12, 11, v21
	v_cmp_ne_u32_e32 vcc, v2, v12
	s_and_b64 exec, exec, vcc
	s_cbranch_execz .LBB32_149
; %bb.146:                              ;   in Loop: Header=BB32_47 Depth=1
	v_lshlrev_b32_e32 v13, 6, v19
	v_sub_u32_e32 v13, v18, v13
	v_lshlrev_b32_e32 v14, 6, v20
	v_sub_u32_e32 v13, v13, v14
	v_ashrrev_i32_e32 v14, 31, v13
	v_lshrrev_b32_e32 v14, 26, v14
	v_add_u32_e32 v14, v13, v14
	v_and_b32_e32 v15, 0x7fffffc0, v14
	v_sub_u32_e32 v13, v13, v15
	v_lshlrev_b32_e32 v14, 1, v14
	v_and_b32_e32 v14, 0xffffff80, v14
	v_lshlrev_b32_e32 v13, 1, v13
	v_add3_u32 v12, v14, v13, v12
	v_sub_u32_e32 v2, v2, v12
	v_cmp_lt_i32_e32 vcc, 1, v2
	s_and_b64 exec, exec, vcc
	s_cbranch_execz .LBB32_149
; %bb.147:                              ;   in Loop: Header=BB32_47 Depth=1
	v_add_u32_e32 v12, v12, v5
	v_ashrrev_i32_e32 v13, 31, v12
	s_mov_b64 s[40:41], 0
.LBB32_148:                             ;   Parent Loop BB32_47 Depth=1
                                        ; =>  This Inner Loop Header: Depth=2
	v_lshl_add_u64 v[14:15], v[8:9], 0, v[12:13]
	flat_load_ushort v5, v[14:15] nt
	v_sub_u32_e32 v2, v2, v88
	v_cmp_gt_i32_e32 vcc, 2, v2
	v_lshl_add_u64 v[14:15], v[10:11], 0, v[12:13]
	v_lshl_add_u64 v[12:13], v[12:13], 0, v[88:89]
	s_or_b64 s[40:41], vcc, s[40:41]
	s_waitcnt vmcnt(0) lgkmcnt(0)
	flat_store_short v[14:15], v5 nt
	s_andn2_b64 exec, exec, s[40:41]
	s_cbranch_execnz .LBB32_148
.LBB32_149:                             ;   in Loop: Header=BB32_47 Depth=1
	s_or_b64 exec, exec, s[24:25]
	v_cmp_lt_i32_e64 s[24:25], 0, v1
	s_and_saveexec_b64 s[40:41], s[6:7]
	s_cbranch_execz .LBB32_125
.LBB32_150:                             ;   in Loop: Header=BB32_47 Depth=1
	s_and_saveexec_b64 s[42:43], s[78:79]
	s_xor_b64 s[42:43], exec, s[42:43]
	s_cbranch_execz .LBB32_165
; %bb.151:                              ;   in Loop: Header=BB32_47 Depth=1
	s_and_saveexec_b64 s[44:45], s[14:15]
	s_cbranch_execz .LBB32_164
; %bb.152:                              ;   in Loop: Header=BB32_47 Depth=1
	s_mov_b64 s[56:57], exec
	v_mbcnt_lo_u32_b32 v1, s56, 0
	v_mbcnt_hi_u32_b32 v1, s57, v1
	v_cmp_eq_u32_e32 vcc, 0, v1
	s_waitcnt lgkmcnt(0)
	s_and_saveexec_b64 s[46:47], vcc
	s_cbranch_execz .LBB32_154
; %bb.153:                              ;   in Loop: Header=BB32_47 Depth=1
	s_bcnt1_i32_b64 s56, s[56:57]
	v_mov_b32_e32 v2, s56
	ds_add_u64 v0, v[2:3]
	s_trap 2
.LBB32_154:                             ;   in Loop: Header=BB32_47 Depth=1
	s_or_b64 exec, exec, s[46:47]
	s_trap 2
	ds_read_b64 v[8:9], v0
	s_waitcnt lgkmcnt(0)
	v_lshl_add_u64 v[46:47], v[46:47], 0, v[60:61]
	v_cmp_lt_u64_e32 vcc, v[8:9], v[46:47]
	s_and_saveexec_b64 s[46:47], vcc
	s_cbranch_execz .LBB32_163
; %bb.155:                              ;   in Loop: Header=BB32_47 Depth=1
	s_mov_b32 s76, 0
	s_mov_b64 s[56:57], 0
                                        ; implicit-def: $sgpr58_sgpr59
                                        ; implicit-def: $sgpr60_sgpr61
	s_branch .LBB32_157
.LBB32_156:                             ;   in Loop: Header=BB32_157 Depth=2
	s_or_b64 exec, exec, s[38:39]
	s_and_b64 s[62:63], exec, vcc
	s_or_b64 s[56:57], s[62:63], s[56:57]
	s_andn2_b64 s[58:59], s[58:59], exec
	s_and_b64 s[62:63], s[60:61], exec
	s_or_b64 s[58:59], s[58:59], s[62:63]
	s_andn2_b64 exec, exec, s[56:57]
	s_cbranch_execz .LBB32_161
.LBB32_157:                             ;   Parent Loop BB32_47 Depth=1
                                        ; =>  This Inner Loop Header: Depth=2
	s_add_i32 s76, s76, 1
	s_cmpk_lg_i32 s76, 0x2710
	s_cselect_b64 s[62:63], -1, 0
	s_and_b64 vcc, exec, s[62:63]
	s_cbranch_vccz .LBB32_159
; %bb.158:                              ;   in Loop: Header=BB32_157 Depth=2
	s_mov_b64 vcc, -1
	s_or_b64 s[60:61], s[60:61], exec
	s_and_saveexec_b64 s[38:39], s[62:63]
	s_cbranch_execz .LBB32_156
	s_branch .LBB32_160
.LBB32_159:                             ;   in Loop: Header=BB32_157 Depth=2
	s_trap 2
	ds_read_b64 v[8:9], v0
	s_andn2_b64 s[62:63], s[62:63], exec
	s_mov_b32 s76, 0
	s_waitcnt vmcnt(0) lgkmcnt(0)
	flat_load_dword v1, v[8:9] sc0 sc1
	s_waitcnt vmcnt(0) lgkmcnt(0)
	buffer_inv sc0 sc1
	v_cmp_eq_u32_e32 vcc, 0, v1
	s_and_b64 vcc, vcc, exec
	s_or_b64 s[62:63], s[62:63], vcc
	s_mov_b64 vcc, -1
	s_or_b64 s[60:61], s[60:61], exec
	s_and_saveexec_b64 s[38:39], s[62:63]
	s_cbranch_execz .LBB32_156
.LBB32_160:                             ;   in Loop: Header=BB32_157 Depth=2
	s_sleep 1
	s_trap 2
	ds_read_b64 v[8:9], v0
	s_waitcnt lgkmcnt(0)
	s_andn2_b64 s[60:61], s[60:61], exec
	v_cmp_ge_u64_e32 vcc, v[8:9], v[46:47]
	s_orn2_b64 vcc, vcc, exec
	s_branch .LBB32_156
.LBB32_161:                             ;   in Loop: Header=BB32_47 Depth=1
	s_or_b64 exec, exec, s[56:57]
	s_and_saveexec_b64 s[56:57], s[58:59]
	s_xor_b64 s[56:57], exec, s[56:57]
	s_cbranch_execz .LBB32_163
; %bb.162:                              ;   in Loop: Header=BB32_47 Depth=1
	ds_write_b32 v0, v31
	s_trap 2
.LBB32_163:                             ;   in Loop: Header=BB32_47 Depth=1
	s_or_b64 exec, exec, s[46:47]
	;;#ASMSTART
	s_wakeup
	;;#ASMEND
.LBB32_164:                             ;   in Loop: Header=BB32_47 Depth=1
	s_or_b64 exec, exec, s[44:45]
.LBB32_165:                             ;   in Loop: Header=BB32_47 Depth=1
	s_andn2_saveexec_b64 s[42:43], s[42:43]
	s_cbranch_execz .LBB32_167
; %bb.166:                              ;   in Loop: Header=BB32_47 Depth=1
	s_waitcnt lgkmcnt(0)
	s_barrier
.LBB32_167:                             ;   in Loop: Header=BB32_47 Depth=1
	s_or_b64 exec, exec, s[42:43]
	s_or_b64 exec, exec, s[40:41]
                                        ; implicit-def: $vgpr1
	s_and_saveexec_b64 s[40:41], s[22:23]
	s_xor_b64 s[40:41], exec, s[40:41]
	s_cbranch_execnz .LBB32_126
.LBB32_168:                             ;   in Loop: Header=BB32_47 Depth=1
	s_andn2_saveexec_b64 s[24:25], s[40:41]
	s_cbranch_execz .LBB32_129
.LBB32_169:                             ;   in Loop: Header=BB32_47 Depth=1
	s_and_saveexec_b64 s[40:41], s[78:79]
	s_xor_b64 s[40:41], exec, s[40:41]
	s_cbranch_execz .LBB32_184
; %bb.170:                              ;   in Loop: Header=BB32_47 Depth=1
	s_and_saveexec_b64 s[42:43], s[14:15]
	s_cbranch_execz .LBB32_183
; %bb.171:                              ;   in Loop: Header=BB32_47 Depth=1
	s_mov_b64 s[46:47], exec
	v_mbcnt_lo_u32_b32 v1, s46, 0
	v_mbcnt_hi_u32_b32 v1, s47, v1
	v_cmp_eq_u32_e32 vcc, 0, v1
	;;#ASMSTART
	s_waitcnt lgkmcnt(0) vmcnt(0)
	;;#ASMEND
	s_and_saveexec_b64 s[44:45], vcc
	s_cbranch_execz .LBB32_173
; %bb.172:                              ;   in Loop: Header=BB32_47 Depth=1
	s_bcnt1_i32_b64 s46, s[46:47]
	v_mov_b32_e32 v2, s46
	s_waitcnt lgkmcnt(0)
	ds_add_u64 v0, v[2:3]
	s_trap 2
.LBB32_173:                             ;   in Loop: Header=BB32_47 Depth=1
	s_or_b64 exec, exec, s[44:45]
	s_trap 2
	ds_read_b64 v[8:9], v0
	s_waitcnt lgkmcnt(0)
	v_lshl_add_u64 v[46:47], v[46:47], 0, v[60:61]
	v_cmp_lt_u64_e32 vcc, v[8:9], v[46:47]
	s_and_saveexec_b64 s[44:45], vcc
	s_cbranch_execz .LBB32_182
; %bb.174:                              ;   in Loop: Header=BB32_47 Depth=1
	s_mov_b32 s76, 0
	s_mov_b64 s[46:47], 0
                                        ; implicit-def: $sgpr56_sgpr57
                                        ; implicit-def: $sgpr58_sgpr59
	s_branch .LBB32_176
.LBB32_175:                             ;   in Loop: Header=BB32_176 Depth=2
	s_or_b64 exec, exec, s[62:63]
	s_and_b64 s[60:61], exec, vcc
	s_or_b64 s[46:47], s[60:61], s[46:47]
	s_andn2_b64 s[56:57], s[56:57], exec
	s_and_b64 s[60:61], s[58:59], exec
	s_or_b64 s[56:57], s[56:57], s[60:61]
	s_andn2_b64 exec, exec, s[46:47]
	s_cbranch_execz .LBB32_180
.LBB32_176:                             ;   Parent Loop BB32_47 Depth=1
                                        ; =>  This Inner Loop Header: Depth=2
	s_add_i32 s76, s76, 1
	s_cmpk_lg_i32 s76, 0x2710
	s_cselect_b64 s[60:61], -1, 0
	s_and_b64 vcc, exec, s[60:61]
	s_cbranch_vccz .LBB32_178
; %bb.177:                              ;   in Loop: Header=BB32_176 Depth=2
	s_mov_b64 vcc, -1
	s_or_b64 s[58:59], s[58:59], exec
	s_and_saveexec_b64 s[62:63], s[60:61]
	s_cbranch_execz .LBB32_175
	s_branch .LBB32_179
.LBB32_178:                             ;   in Loop: Header=BB32_176 Depth=2
	s_trap 2
	ds_read_b64 v[8:9], v0
	s_andn2_b64 s[60:61], s[60:61], exec
	s_mov_b32 s76, 0
	s_waitcnt vmcnt(0) lgkmcnt(0)
	flat_load_dword v1, v[8:9] sc0 sc1
	s_waitcnt vmcnt(0) lgkmcnt(0)
	buffer_inv sc0 sc1
	v_cmp_eq_u32_e32 vcc, 0, v1
	s_and_b64 s[62:63], vcc, exec
	s_or_b64 s[60:61], s[60:61], s[62:63]
	s_mov_b64 vcc, -1
	s_or_b64 s[58:59], s[58:59], exec
	s_and_saveexec_b64 s[62:63], s[60:61]
	s_cbranch_execz .LBB32_175
.LBB32_179:                             ;   in Loop: Header=BB32_176 Depth=2
	s_sleep 1
	s_trap 2
	ds_read_b64 v[8:9], v0
	s_waitcnt lgkmcnt(0)
	s_andn2_b64 s[58:59], s[58:59], exec
	v_cmp_ge_u64_e32 vcc, v[8:9], v[46:47]
	s_orn2_b64 vcc, vcc, exec
	s_branch .LBB32_175
.LBB32_180:                             ;   in Loop: Header=BB32_47 Depth=1
	s_or_b64 exec, exec, s[46:47]
	s_and_saveexec_b64 s[46:47], s[56:57]
	s_xor_b64 s[46:47], exec, s[46:47]
	s_cbranch_execz .LBB32_182
; %bb.181:                              ;   in Loop: Header=BB32_47 Depth=1
	ds_write_b32 v0, v31
	s_trap 2
.LBB32_182:                             ;   in Loop: Header=BB32_47 Depth=1
	s_or_b64 exec, exec, s[44:45]
	;;#ASMSTART
	s_wakeup
	;;#ASMEND
.LBB32_183:                             ;   in Loop: Header=BB32_47 Depth=1
	s_or_b64 exec, exec, s[42:43]
.LBB32_184:                             ;   in Loop: Header=BB32_47 Depth=1
	s_andn2_saveexec_b64 s[40:41], s[40:41]
	s_cbranch_execz .LBB32_186
; %bb.185:                              ;   in Loop: Header=BB32_47 Depth=1
	;;#ASMSTART
	s_waitcnt lgkmcnt(0) vmcnt(0)
	;;#ASMEND
	s_barrier
.LBB32_186:                             ;   in Loop: Header=BB32_47 Depth=1
	s_or_b64 exec, exec, s[40:41]
	v_and_b32_e32 v1, 16, v126
	s_or_b64 exec, exec, s[24:25]
	v_cmp_ne_u32_e32 vcc, 0, v1
	s_and_saveexec_b64 s[24:25], vcc
	s_cbranch_execz .LBB32_190
.LBB32_187:                             ;   in Loop: Header=BB32_47 Depth=1
	s_and_saveexec_b64 s[40:41], s[12:13]
	s_cbranch_execz .LBB32_189
; %bb.188:                              ;   in Loop: Header=BB32_47 Depth=1
	flat_store_dword v[44:45], v31 sc0 sc1
.LBB32_189:                             ;   in Loop: Header=BB32_47 Depth=1
	s_or_b64 exec, exec, s[40:41]
	v_lshl_add_u64 v[116:117], v[116:117], 0, 4
	flat_store_dwordx2 v[40:41], v[116:117] sc0 sc1
.LBB32_190:                             ;   in Loop: Header=BB32_47 Depth=1
	s_or_b64 exec, exec, s[24:25]
	v_mov_b32_e32 v1, v4
.LBB32_191:                             ;   in Loop: Header=BB32_47 Depth=1
	s_or_b64 exec, exec, s[28:29]
	s_and_saveexec_b64 s[28:29], s[26:27]
	s_cbranch_execz .LBB32_261
; %bb.192:                              ;   in Loop: Header=BB32_47 Depth=1
	v_sub_u32_e32 v0, v0, v1
	v_min_i32_e32 v4, v4, v0
	v_and_b32_e32 v0, 8, v126
	v_cmp_ne_u32_e32 vcc, 0, v0
	s_and_saveexec_b64 s[26:27], vcc
	s_cbranch_execz .LBB32_202
; %bb.193:                              ;   in Loop: Header=BB32_47 Depth=1
	s_waitcnt vmcnt(0) lgkmcnt(0)
	v_lshl_add_u64 v[0:1], v[56:57], 0, 8
	v_lshl_add_u64 v[8:9], v[116:117], 0, 4
	v_cmp_lt_u64_e32 vcc, v[0:1], v[8:9]
	s_and_saveexec_b64 s[40:41], vcc
	s_cbranch_execz .LBB32_211
; %bb.194:                              ;   in Loop: Header=BB32_47 Depth=1
	v_and_b32_e32 v0, 64, v126
	s_mov_b32 s76, 0
	v_cmp_eq_u32_e32 vcc, 0, v0
	s_mov_b64 s[42:43], 0
                                        ; implicit-def: $sgpr44_sgpr45
                                        ; implicit-def: $sgpr46_sgpr47
                                        ; implicit-def: $sgpr56_sgpr57
	s_branch .LBB32_198
.LBB32_195:                             ;   in Loop: Header=BB32_198 Depth=2
	s_waitcnt vmcnt(0) lgkmcnt(0)
	v_lshl_add_u64 v[10:11], v[56:57], 0, 8
	v_cmp_ge_u64_e64 s[24:25], v[10:11], v[8:9]
	s_or_b64 s[62:63], s[62:63], exec
	s_orn2_b64 s[60:61], s[24:25], exec
.LBB32_196:                             ;   in Loop: Header=BB32_198 Depth=2
	s_or_b64 exec, exec, s[48:49]
	s_andn2_b64 s[24:25], s[56:57], exec
	s_and_b64 s[56:57], s[62:63], exec
	s_or_b64 s[56:57], s[24:25], s[56:57]
	s_andn2_b64 s[24:25], s[46:47], exec
	s_and_b64 s[46:47], s[60:61], exec
	s_or_b64 s[46:47], s[24:25], s[46:47]
.LBB32_197:                             ;   in Loop: Header=BB32_198 Depth=2
	s_or_b64 exec, exec, s[58:59]
	s_and_b64 s[24:25], exec, s[46:47]
	s_or_b64 s[42:43], s[24:25], s[42:43]
	s_andn2_b64 s[24:25], s[44:45], exec
	s_and_b64 s[44:45], s[56:57], exec
	s_or_b64 s[44:45], s[24:25], s[44:45]
	s_andn2_b64 exec, exec, s[42:43]
	s_cbranch_execz .LBB32_208
.LBB32_198:                             ;   Parent Loop BB32_47 Depth=1
                                        ; =>  This Inner Loop Header: Depth=2
	s_sleep 1
	s_waitcnt vmcnt(0) lgkmcnt(0)
	flat_load_dwordx2 v[56:57], v[40:41] sc0 sc1
	s_or_b64 s[56:57], s[56:57], exec
	s_or_b64 s[46:47], s[46:47], exec
                                        ; implicit-def: $vgpr0
	s_and_saveexec_b64 s[58:59], vcc
	s_cbranch_execz .LBB32_197
; %bb.199:                              ;   in Loop: Header=BB32_198 Depth=2
	s_cmpk_lt_i32 s76, 0x270f
	s_cselect_b64 s[38:39], -1, 0
	s_cmpk_gt_i32 s76, 0x270e
	s_mov_b64 s[60:61], -1
	s_cbranch_scc0 .LBB32_201
; %bb.200:                              ;   in Loop: Header=BB32_198 Depth=2
	s_trap 2
	ds_read_b64 v[0:1], v0
	s_andn2_b64 s[38:39], s[38:39], exec
	s_mov_b32 s76, 0
	s_mov_b64 s[62:63], 0
	s_waitcnt vmcnt(0) lgkmcnt(0)
	flat_load_dword v0, v[0:1] sc0 sc1
	s_waitcnt vmcnt(0) lgkmcnt(0)
	buffer_inv sc0 sc1
	v_cmp_eq_u32_e64 s[24:25], 0, v0
	s_and_b64 s[24:25], s[24:25], exec
	s_or_b64 s[38:39], s[38:39], s[24:25]
	s_and_saveexec_b64 s[48:49], s[38:39]
	s_cbranch_execz .LBB32_196
	s_branch .LBB32_195
.LBB32_201:                             ;   in Loop: Header=BB32_198 Depth=2
	s_add_i32 s76, s76, 1
	s_mov_b64 s[62:63], -1
                                        ; implicit-def: $vgpr0
	s_and_saveexec_b64 s[48:49], s[38:39]
	s_cbranch_execz .LBB32_196
	s_branch .LBB32_195
.LBB32_202:                             ;   in Loop: Header=BB32_47 Depth=1
	s_or_b64 exec, exec, s[26:27]
	s_and_saveexec_b64 s[24:25], s[6:7]
	s_cbranch_execnz .LBB32_220
.LBB32_203:                             ;   in Loop: Header=BB32_47 Depth=1
	s_or_b64 exec, exec, s[24:25]
                                        ; implicit-def: $vgpr0
	s_and_saveexec_b64 s[24:25], s[22:23]
	s_xor_b64 s[24:25], exec, s[24:25]
	s_cbranch_execz .LBB32_238
.LBB32_204:                             ;   in Loop: Header=BB32_47 Depth=1
	s_trap 2
	ds_read_b32 v1, v0
	v_cmp_lt_i32_e32 vcc, 0, v4
	v_and_b32_e32 v2, 16, v126
	v_and_b32_e32 v0, 16, v126
	s_waitcnt lgkmcnt(0)
	v_readfirstlane_b32 s26, v1
	s_cmp_eq_u32 s26, 0
	s_cselect_b64 s[26:27], -1, 0
	s_and_b64 s[26:27], vcc, s[26:27]
	v_cmp_ne_u32_e32 vcc, 0, v2
	s_and_b64 s[40:41], vcc, s[26:27]
	s_and_saveexec_b64 s[26:27], s[40:41]
	s_cbranch_execz .LBB32_206
; %bb.205:                              ;   in Loop: Header=BB32_47 Depth=1
	v_mov_b32_e32 v0, 1
	buffer_wbl2 sc1
	s_waitcnt vmcnt(0)
	buffer_inv sc1
.LBB32_206:                             ;   in Loop: Header=BB32_47 Depth=1
	s_or_b64 exec, exec, s[26:27]
	s_andn2_saveexec_b64 s[24:25], s[24:25]
	s_cbranch_execnz .LBB32_239
.LBB32_207:                             ;   in Loop: Header=BB32_47 Depth=1
	s_or_b64 exec, exec, s[24:25]
	v_cmp_ne_u32_e32 vcc, 0, v0
	s_and_saveexec_b64 s[24:25], vcc
	s_cbranch_execnz .LBB32_257
	s_branch .LBB32_260
.LBB32_208:                             ;   in Loop: Header=BB32_47 Depth=1
	s_or_b64 exec, exec, s[42:43]
	s_xor_b64 s[24:25], s[44:45], -1
	s_and_saveexec_b64 s[42:43], s[24:25]
	s_xor_b64 s[24:25], exec, s[42:43]
	s_cbranch_execz .LBB32_210
; %bb.209:                              ;   in Loop: Header=BB32_47 Depth=1
	v_or_b32_e32 v126, 64, v126
	s_waitcnt lgkmcnt(0)
	ds_write_b32 v0, v0
	s_trap 2
.LBB32_210:                             ;   in Loop: Header=BB32_47 Depth=1
	s_or_b64 exec, exec, s[24:25]
.LBB32_211:                             ;   in Loop: Header=BB32_47 Depth=1
	s_or_b64 exec, exec, s[40:41]
	v_and_b32_e32 v0, 0x100, v126
	v_cmp_ne_u32_e32 vcc, 0, v0
	v_and_b32_e32 v0, 7, v116
	s_mov_b64 s[24:25], -1
	;;#ASMSTART
	s_wakeup
	;;#ASMEND
                                        ; implicit-def: $vgpr10_vgpr11
	s_and_saveexec_b64 s[40:41], vcc
	s_cbranch_execz .LBB32_215
; %bb.212:                              ;   in Loop: Header=BB32_47 Depth=1
	v_mad_u64_u32 v[12:13], s[24:25], v0, 24, v[6:7]
	flat_load_dword v1, v[12:13]
	v_ashrrev_i32_e32 v5, 31, v4
	v_lshlrev_b64 v[10:11], 1, v[4:5]
	flat_store_dwordx2 v[12:13], v[10:11] offset:8
                                        ; implicit-def: $vgpr10_vgpr11
	s_waitcnt vmcnt(0) lgkmcnt(0)
	v_cmp_ne_u32_e32 vcc, 1, v1
	v_cmp_eq_u32_e64 s[24:25], 1, v1
	s_and_saveexec_b64 s[42:43], s[24:25]
	s_cbranch_execz .LBB32_214
; %bb.213:                              ;   in Loop: Header=BB32_47 Depth=1
	flat_load_dword v10, v[12:13] offset:4 sc0 sc1
	s_waitcnt vmcnt(0) lgkmcnt(0)
	v_ashrrev_i32_e32 v11, 31, v10
	v_lshrrev_b64 v[10:11], 1, v[10:11]
.LBB32_214:                             ;   in Loop: Header=BB32_47 Depth=1
	s_or_b64 exec, exec, s[42:43]
	s_orn2_b64 s[24:25], vcc, exec
.LBB32_215:                             ;   in Loop: Header=BB32_47 Depth=1
	s_or_b64 exec, exec, s[40:41]
	s_and_saveexec_b64 s[40:41], s[24:25]
; %bb.216:                              ;   in Loop: Header=BB32_47 Depth=1
	v_mad_i64_i32 v[10:11], s[24:25], v0, v30, 0
; %bb.217:                              ;   in Loop: Header=BB32_47 Depth=1
	s_or_b64 exec, exec, s[40:41]
	v_lshl_add_u64 v[0:1], v[10:11], 1, v[42:43]
	ds_write_b64 v0, v[0:1] offset:784
	v_and_b32_e32 v0, 0x2000, v126
	v_cmp_ne_u32_e32 vcc, 0, v0
	s_and_saveexec_b64 s[24:25], vcc
	s_cbranch_execz .LBB32_219
; %bb.218:                              ;   in Loop: Header=BB32_47 Depth=1
	ds_read_b64 v[0:1], v0 offset:872
	s_waitcnt lgkmcnt(0)
	v_lshl_add_u64 v[0:1], v[0:1], 0, 1
	ds_write_b64 v0, v[0:1] offset:872
.LBB32_219:                             ;   in Loop: Header=BB32_47 Depth=1
	s_or_b64 exec, exec, s[24:25]
	v_mov_b64_e32 v[116:117], v[8:9]
	s_or_b64 exec, exec, s[26:27]
	s_and_saveexec_b64 s[24:25], s[6:7]
	s_cbranch_execz .LBB32_203
.LBB32_220:                             ;   in Loop: Header=BB32_47 Depth=1
	s_and_saveexec_b64 s[26:27], s[78:79]
	s_xor_b64 s[26:27], exec, s[26:27]
	s_cbranch_execz .LBB32_235
; %bb.221:                              ;   in Loop: Header=BB32_47 Depth=1
	s_and_saveexec_b64 s[40:41], s[14:15]
	s_cbranch_execz .LBB32_234
; %bb.222:                              ;   in Loop: Header=BB32_47 Depth=1
	s_mov_b64 s[44:45], exec
	v_mbcnt_lo_u32_b32 v0, s44, 0
	v_mbcnt_hi_u32_b32 v0, s45, v0
	v_cmp_eq_u32_e32 vcc, 0, v0
	s_waitcnt lgkmcnt(0)
	s_and_saveexec_b64 s[42:43], vcc
	s_cbranch_execz .LBB32_224
; %bb.223:                              ;   in Loop: Header=BB32_47 Depth=1
	s_bcnt1_i32_b64 s44, s[44:45]
	v_mov_b32_e32 v2, s44
	ds_add_u64 v0, v[2:3]
	s_trap 2
.LBB32_224:                             ;   in Loop: Header=BB32_47 Depth=1
	s_or_b64 exec, exec, s[42:43]
	s_trap 2
	ds_read_b64 v[0:1], v0
	s_waitcnt lgkmcnt(0)
	v_lshl_add_u64 v[46:47], v[46:47], 0, v[60:61]
	v_cmp_lt_u64_e32 vcc, v[0:1], v[46:47]
	s_and_saveexec_b64 s[42:43], vcc
	s_cbranch_execz .LBB32_233
; %bb.225:                              ;   in Loop: Header=BB32_47 Depth=1
	s_mov_b32 s76, 0
	s_mov_b64 s[44:45], 0
                                        ; implicit-def: $sgpr46_sgpr47
                                        ; implicit-def: $sgpr56_sgpr57
	s_branch .LBB32_227
.LBB32_226:                             ;   in Loop: Header=BB32_227 Depth=2
	s_or_b64 exec, exec, s[60:61]
	s_and_b64 s[58:59], exec, s[62:63]
	s_or_b64 s[44:45], s[58:59], s[44:45]
	s_andn2_b64 s[46:47], s[46:47], exec
	s_and_b64 s[58:59], s[56:57], exec
	s_or_b64 s[46:47], s[46:47], s[58:59]
	s_andn2_b64 exec, exec, s[44:45]
	s_cbranch_execz .LBB32_231
.LBB32_227:                             ;   Parent Loop BB32_47 Depth=1
                                        ; =>  This Inner Loop Header: Depth=2
	s_add_i32 s76, s76, 1
	s_cmpk_lg_i32 s76, 0x2710
	s_cselect_b64 s[58:59], -1, 0
	s_and_b64 vcc, exec, s[58:59]
	s_cbranch_vccz .LBB32_229
; %bb.228:                              ;   in Loop: Header=BB32_227 Depth=2
	s_mov_b64 s[62:63], -1
	s_or_b64 s[56:57], s[56:57], exec
	s_and_saveexec_b64 s[60:61], s[58:59]
	s_cbranch_execz .LBB32_226
	s_branch .LBB32_230
.LBB32_229:                             ;   in Loop: Header=BB32_227 Depth=2
	s_trap 2
	ds_read_b64 v[0:1], v0
	s_andn2_b64 s[58:59], s[58:59], exec
	s_mov_b32 s76, 0
	s_waitcnt vmcnt(0) lgkmcnt(0)
	flat_load_dword v0, v[0:1] sc0 sc1
	s_waitcnt vmcnt(0) lgkmcnt(0)
	buffer_inv sc0 sc1
	v_cmp_eq_u32_e32 vcc, 0, v0
	s_and_b64 s[60:61], vcc, exec
	s_or_b64 s[58:59], s[58:59], s[60:61]
	s_mov_b64 s[62:63], -1
	s_or_b64 s[56:57], s[56:57], exec
	s_and_saveexec_b64 s[60:61], s[58:59]
	s_cbranch_execz .LBB32_226
.LBB32_230:                             ;   in Loop: Header=BB32_227 Depth=2
	s_sleep 1
	s_trap 2
	ds_read_b64 v[0:1], v0
	s_waitcnt lgkmcnt(0)
	s_andn2_b64 s[56:57], s[56:57], exec
	v_cmp_ge_u64_e32 vcc, v[0:1], v[46:47]
	s_orn2_b64 s[62:63], vcc, exec
	s_branch .LBB32_226
.LBB32_231:                             ;   in Loop: Header=BB32_47 Depth=1
	s_or_b64 exec, exec, s[44:45]
	s_and_saveexec_b64 s[44:45], s[46:47]
	s_xor_b64 s[44:45], exec, s[44:45]
	s_cbranch_execz .LBB32_233
; %bb.232:                              ;   in Loop: Header=BB32_47 Depth=1
	ds_write_b32 v0, v31
	s_trap 2
.LBB32_233:                             ;   in Loop: Header=BB32_47 Depth=1
	s_or_b64 exec, exec, s[42:43]
	;;#ASMSTART
	s_wakeup
	;;#ASMEND
.LBB32_234:                             ;   in Loop: Header=BB32_47 Depth=1
	s_or_b64 exec, exec, s[40:41]
.LBB32_235:                             ;   in Loop: Header=BB32_47 Depth=1
	s_andn2_saveexec_b64 s[26:27], s[26:27]
	s_cbranch_execz .LBB32_237
; %bb.236:                              ;   in Loop: Header=BB32_47 Depth=1
	s_waitcnt lgkmcnt(0)
	s_barrier
.LBB32_237:                             ;   in Loop: Header=BB32_47 Depth=1
	s_or_b64 exec, exec, s[26:27]
	s_or_b64 exec, exec, s[24:25]
                                        ; implicit-def: $vgpr0
	s_and_saveexec_b64 s[24:25], s[22:23]
	s_xor_b64 s[24:25], exec, s[24:25]
	s_cbranch_execnz .LBB32_204
.LBB32_238:                             ;   in Loop: Header=BB32_47 Depth=1
	s_andn2_saveexec_b64 s[24:25], s[24:25]
	s_cbranch_execz .LBB32_207
.LBB32_239:                             ;   in Loop: Header=BB32_47 Depth=1
	s_and_saveexec_b64 s[26:27], s[78:79]
	s_xor_b64 s[26:27], exec, s[26:27]
	s_cbranch_execz .LBB32_254
; %bb.240:                              ;   in Loop: Header=BB32_47 Depth=1
	s_and_saveexec_b64 s[40:41], s[14:15]
	s_cbranch_execz .LBB32_253
; %bb.241:                              ;   in Loop: Header=BB32_47 Depth=1
	s_mov_b64 s[44:45], exec
	v_mbcnt_lo_u32_b32 v0, s44, 0
	v_mbcnt_hi_u32_b32 v0, s45, v0
	v_cmp_eq_u32_e32 vcc, 0, v0
	;;#ASMSTART
	s_waitcnt lgkmcnt(0) vmcnt(0)
	;;#ASMEND
	s_and_saveexec_b64 s[42:43], vcc
	s_cbranch_execz .LBB32_243
; %bb.242:                              ;   in Loop: Header=BB32_47 Depth=1
	s_bcnt1_i32_b64 s44, s[44:45]
	v_mov_b32_e32 v2, s44
	s_waitcnt lgkmcnt(0)
	ds_add_u64 v0, v[2:3]
	s_trap 2
.LBB32_243:                             ;   in Loop: Header=BB32_47 Depth=1
	s_or_b64 exec, exec, s[42:43]
	s_trap 2
	ds_read_b64 v[0:1], v0
	s_waitcnt lgkmcnt(0)
	v_lshl_add_u64 v[46:47], v[46:47], 0, v[60:61]
	v_cmp_lt_u64_e32 vcc, v[0:1], v[46:47]
	s_and_saveexec_b64 s[42:43], vcc
	s_cbranch_execz .LBB32_252
; %bb.244:                              ;   in Loop: Header=BB32_47 Depth=1
	s_mov_b32 s76, 0
	s_mov_b64 s[44:45], 0
                                        ; implicit-def: $sgpr46_sgpr47
                                        ; implicit-def: $sgpr56_sgpr57
	s_branch .LBB32_246
.LBB32_245:                             ;   in Loop: Header=BB32_246 Depth=2
	s_or_b64 exec, exec, s[60:61]
	s_and_b64 s[58:59], exec, s[62:63]
	s_or_b64 s[44:45], s[58:59], s[44:45]
	s_andn2_b64 s[46:47], s[46:47], exec
	s_and_b64 s[58:59], s[56:57], exec
	s_or_b64 s[46:47], s[46:47], s[58:59]
	s_andn2_b64 exec, exec, s[44:45]
	s_cbranch_execz .LBB32_250
.LBB32_246:                             ;   Parent Loop BB32_47 Depth=1
                                        ; =>  This Inner Loop Header: Depth=2
	s_add_i32 s76, s76, 1
	s_cmpk_lg_i32 s76, 0x2710
	s_cselect_b64 s[58:59], -1, 0
	s_and_b64 vcc, exec, s[58:59]
	s_cbranch_vccz .LBB32_248
; %bb.247:                              ;   in Loop: Header=BB32_246 Depth=2
	s_mov_b64 s[62:63], -1
	s_or_b64 s[56:57], s[56:57], exec
	s_and_saveexec_b64 s[60:61], s[58:59]
	s_cbranch_execz .LBB32_245
	s_branch .LBB32_249
.LBB32_248:                             ;   in Loop: Header=BB32_246 Depth=2
	s_trap 2
	ds_read_b64 v[0:1], v0
	s_andn2_b64 s[58:59], s[58:59], exec
	s_mov_b32 s76, 0
	s_waitcnt vmcnt(0) lgkmcnt(0)
	flat_load_dword v0, v[0:1] sc0 sc1
	s_waitcnt vmcnt(0) lgkmcnt(0)
	buffer_inv sc0 sc1
	v_cmp_eq_u32_e32 vcc, 0, v0
	s_and_b64 s[60:61], vcc, exec
	s_or_b64 s[58:59], s[58:59], s[60:61]
	s_mov_b64 s[62:63], -1
	s_or_b64 s[56:57], s[56:57], exec
	s_and_saveexec_b64 s[60:61], s[58:59]
	s_cbranch_execz .LBB32_245
.LBB32_249:                             ;   in Loop: Header=BB32_246 Depth=2
	s_sleep 1
	s_trap 2
	ds_read_b64 v[0:1], v0
	s_waitcnt lgkmcnt(0)
	s_andn2_b64 s[56:57], s[56:57], exec
	v_cmp_ge_u64_e32 vcc, v[0:1], v[46:47]
	s_orn2_b64 s[62:63], vcc, exec
	s_branch .LBB32_245
.LBB32_250:                             ;   in Loop: Header=BB32_47 Depth=1
	s_or_b64 exec, exec, s[44:45]
	s_and_saveexec_b64 s[44:45], s[46:47]
	s_xor_b64 s[44:45], exec, s[44:45]
	s_cbranch_execz .LBB32_252
; %bb.251:                              ;   in Loop: Header=BB32_47 Depth=1
	ds_write_b32 v0, v31
	s_trap 2
.LBB32_252:                             ;   in Loop: Header=BB32_47 Depth=1
	s_or_b64 exec, exec, s[42:43]
	;;#ASMSTART
	s_wakeup
	;;#ASMEND
.LBB32_253:                             ;   in Loop: Header=BB32_47 Depth=1
	s_or_b64 exec, exec, s[40:41]
.LBB32_254:                             ;   in Loop: Header=BB32_47 Depth=1
	s_andn2_saveexec_b64 s[26:27], s[26:27]
	s_cbranch_execz .LBB32_256
; %bb.255:                              ;   in Loop: Header=BB32_47 Depth=1
	;;#ASMSTART
	s_waitcnt lgkmcnt(0) vmcnt(0)
	;;#ASMEND
	s_barrier
.LBB32_256:                             ;   in Loop: Header=BB32_47 Depth=1
	s_or_b64 exec, exec, s[26:27]
	v_and_b32_e32 v0, 16, v126
	s_or_b64 exec, exec, s[24:25]
	v_cmp_ne_u32_e32 vcc, 0, v0
	s_and_saveexec_b64 s[24:25], vcc
	s_cbranch_execz .LBB32_260
.LBB32_257:                             ;   in Loop: Header=BB32_47 Depth=1
	s_and_saveexec_b64 s[26:27], s[12:13]
	s_cbranch_execz .LBB32_259
; %bb.258:                              ;   in Loop: Header=BB32_47 Depth=1
	flat_store_dword v[44:45], v31 sc0 sc1
.LBB32_259:                             ;   in Loop: Header=BB32_47 Depth=1
	s_or_b64 exec, exec, s[26:27]
	v_lshl_add_u64 v[116:117], v[116:117], 0, 4
	flat_store_dwordx2 v[40:41], v[116:117] sc0 sc1
.LBB32_260:                             ;   in Loop: Header=BB32_47 Depth=1
	s_or_b64 exec, exec, s[24:25]
.LBB32_261:                             ;   in Loop: Header=BB32_47 Depth=1
	s_or_b64 exec, exec, s[28:29]
	v_cndmask_b32_e64 v0, 0, 1, s[30:31]
	v_cmp_ne_u32_e64 s[24:25], 1, v0
	s_andn2_b64 vcc, exec, s[30:31]
	s_cbranch_vccnz .LBB32_708
; %bb.262:                              ;   in Loop: Header=BB32_47 Depth=1
	s_mov_b32 s54, 2
	s_branch .LBB32_265
.LBB32_263:                             ;   in Loop: Header=BB32_265 Depth=2
	s_or_b64 exec, exec, s[26:27]
.LBB32_264:                             ;   in Loop: Header=BB32_265 Depth=2
	s_or_b64 exec, exec, s[28:29]
	s_add_i32 s54, s54, 1
	s_cmp_eq_u32 s54, s64
	s_cbranch_scc1 .LBB32_708
.LBB32_265:                             ;   Parent Loop BB32_47 Depth=1
                                        ; =>  This Loop Header: Depth=2
                                        ;       Child Loop BB32_274 Depth 3
                                        ;       Child Loop BB32_302 Depth 3
	;; [unrolled: 1-line block ×12, first 2 shown]
	s_sub_i32 s26, s68, s54
	s_cmp_ge_i32 s26, s64
	s_cselect_b32 s27, s64, 0
	s_sub_i32 s26, s26, s27
	s_ashr_i32 s27, s26, 31
	v_mul_lo_u32 v0, v124, s27
	v_mul_lo_u32 v1, v125, s26
	v_mad_u64_u32 v[4:5], s[26:27], v124, s26, 0
	v_add3_u32 v5, v5, v0, v1
	v_sub_co_u32_e32 v0, vcc, v104, v4
	s_nop 1
	v_subb_co_u32_e32 v1, vcc, v105, v5, vcc
	v_cmp_lt_i64_e32 vcc, v[124:125], v[0:1]
	s_nop 1
	v_cndmask_b32_e32 v0, v0, v124, vcc
	v_max_i32_e32 v68, 0, v0
	v_add_u32_e32 v1, 15, v68
	v_ashrrev_i32_e32 v2, 31, v1
	v_lshrrev_b32_e32 v2, 28, v2
	v_add_u32_e32 v1, v1, v2
	v_cmp_gt_i32_e32 vcc, 1, v0
	v_and_b32_e32 v1, -16, v1
	s_or_b64 s[40:41], s[2:3], vcc
	v_max_i32_e32 v28, s71, v1
	s_xor_b64 s[26:27], s[40:41], -1
	v_mov_b32_e32 v0, 0
	s_and_saveexec_b64 s[42:43], s[26:27]
	s_cbranch_execz .LBB32_635
; %bb.266:                              ;   in Loop: Header=BB32_265 Depth=2
	s_and_saveexec_b64 s[26:27], s[0:1]
	s_cbranch_execz .LBB32_268
; %bb.267:                              ;   in Loop: Header=BB32_265 Depth=2
	s_trap 2
	ds_read_b64 v[0:1], v0
	s_waitcnt lgkmcnt(0)
	v_lshl_add_u64 v[0:1], v[74:75], 1, v[0:1]
	v_lshl_add_u64 v[0:1], v[4:5], 1, v[0:1]
	ds_write_b64 v0, v[0:1]
	ds_write_b64 v0, v[84:85]
.LBB32_268:                             ;   in Loop: Header=BB32_265 Depth=2
	s_or_b64 exec, exec, s[26:27]
	v_and_b32_e32 v0, 12, v126
	v_min_i32_e32 v28, v28, v68
	v_cmp_ne_u32_e32 vcc, 0, v0
	s_and_saveexec_b64 s[28:29], vcc
	s_cbranch_execz .LBB32_294
; %bb.269:                              ;   in Loop: Header=BB32_265 Depth=2
	v_and_b32_e32 v2, 8, v126
	s_waitcnt vmcnt(0) lgkmcnt(0)
	v_lshl_add_u64 v[0:1], v[56:57], 0, v[2:3]
	v_lshl_add_u64 v[4:5], v[116:117], 0, 4
	v_cmp_lt_u64_e32 vcc, v[0:1], v[4:5]
	s_and_saveexec_b64 s[44:45], vcc
	s_cbranch_execz .LBB32_281
; %bb.270:                              ;   in Loop: Header=BB32_265 Depth=2
	v_and_b32_e32 v0, 64, v126
	s_mov_b32 s76, 0
	v_cmp_eq_u32_e32 vcc, 0, v0
	s_mov_b64 s[46:47], 0
                                        ; implicit-def: $sgpr56_sgpr57
                                        ; implicit-def: $sgpr58_sgpr59
                                        ; implicit-def: $sgpr60_sgpr61
	s_branch .LBB32_274
.LBB32_271:                             ;   in Loop: Header=BB32_274 Depth=3
	s_waitcnt vmcnt(0) lgkmcnt(0)
	v_lshl_add_u64 v[8:9], v[56:57], 0, v[2:3]
	v_cmp_ge_u64_e64 s[26:27], v[8:9], v[4:5]
	s_or_b64 s[48:49], s[48:49], exec
	s_orn2_b64 s[38:39], s[26:27], exec
.LBB32_272:                             ;   in Loop: Header=BB32_274 Depth=3
	s_or_b64 exec, exec, s[52:53]
	s_andn2_b64 s[26:27], s[60:61], exec
	s_and_b64 s[60:61], s[48:49], exec
	s_or_b64 s[60:61], s[26:27], s[60:61]
	s_andn2_b64 s[26:27], s[58:59], exec
	s_and_b64 s[58:59], s[38:39], exec
	s_or_b64 s[58:59], s[26:27], s[58:59]
.LBB32_273:                             ;   in Loop: Header=BB32_274 Depth=3
	s_or_b64 exec, exec, s[62:63]
	s_and_b64 s[26:27], exec, s[58:59]
	s_or_b64 s[46:47], s[26:27], s[46:47]
	s_andn2_b64 s[26:27], s[56:57], exec
	s_and_b64 s[56:57], s[60:61], exec
	s_or_b64 s[56:57], s[26:27], s[56:57]
	s_andn2_b64 exec, exec, s[46:47]
	s_cbranch_execz .LBB32_278
.LBB32_274:                             ;   Parent Loop BB32_47 Depth=1
                                        ;     Parent Loop BB32_265 Depth=2
                                        ; =>    This Inner Loop Header: Depth=3
	s_sleep 1
	s_waitcnt vmcnt(0) lgkmcnt(0)
	flat_load_dwordx2 v[56:57], v[40:41] sc0 sc1
	s_or_b64 s[60:61], s[60:61], exec
	s_or_b64 s[58:59], s[58:59], exec
                                        ; implicit-def: $vgpr0
	s_and_saveexec_b64 s[62:63], vcc
	s_cbranch_execz .LBB32_273
; %bb.275:                              ;   in Loop: Header=BB32_274 Depth=3
	s_cmpk_lt_i32 s76, 0x270f
	s_cselect_b64 s[50:51], -1, 0
	s_cmpk_gt_i32 s76, 0x270e
	s_mov_b64 s[38:39], -1
	s_cbranch_scc0 .LBB32_277
; %bb.276:                              ;   in Loop: Header=BB32_274 Depth=3
	s_trap 2
	ds_read_b64 v[0:1], v0
	s_andn2_b64 s[50:51], s[50:51], exec
	s_mov_b32 s76, 0
	s_mov_b64 s[48:49], 0
	s_waitcnt vmcnt(0) lgkmcnt(0)
	flat_load_dword v0, v[0:1] sc0 sc1
	s_waitcnt vmcnt(0) lgkmcnt(0)
	buffer_inv sc0 sc1
	v_cmp_eq_u32_e64 s[26:27], 0, v0
	s_and_b64 s[26:27], s[26:27], exec
	s_or_b64 s[50:51], s[50:51], s[26:27]
	s_and_saveexec_b64 s[52:53], s[50:51]
	s_cbranch_execz .LBB32_272
	s_branch .LBB32_271
.LBB32_277:                             ;   in Loop: Header=BB32_274 Depth=3
	s_add_i32 s76, s76, 1
	s_mov_b64 s[48:49], -1
                                        ; implicit-def: $vgpr0
	s_and_saveexec_b64 s[52:53], s[50:51]
	s_cbranch_execz .LBB32_272
	s_branch .LBB32_271
.LBB32_278:                             ;   in Loop: Header=BB32_265 Depth=2
	s_or_b64 exec, exec, s[46:47]
	s_xor_b64 s[26:27], s[56:57], -1
	s_and_saveexec_b64 s[46:47], s[26:27]
	s_xor_b64 s[26:27], exec, s[46:47]
	s_cbranch_execz .LBB32_280
; %bb.279:                              ;   in Loop: Header=BB32_265 Depth=2
	v_or_b32_e32 v126, 64, v126
	s_waitcnt lgkmcnt(0)
	ds_write_b32 v0, v0
	s_trap 2
.LBB32_280:                             ;   in Loop: Header=BB32_265 Depth=2
	s_or_b64 exec, exec, s[26:27]
.LBB32_281:                             ;   in Loop: Header=BB32_265 Depth=2
	s_or_b64 exec, exec, s[44:45]
	v_and_b32_e32 v0, 0x108, v126
	v_cmp_ne_u32_e32 vcc, s84, v0
	;;#ASMSTART
	s_wakeup
	;;#ASMEND
                                        ; implicit-def: $vgpr8_vgpr9
	s_and_saveexec_b64 s[26:27], vcc
	s_xor_b64 s[26:27], exec, s[26:27]
; %bb.282:                              ;   in Loop: Header=BB32_265 Depth=2
	v_and_b32_e32 v8, 7, v116
	v_mov_b32_e32 v9, v3
                                        ; implicit-def: $vgpr116_vgpr117
; %bb.283:                              ;   in Loop: Header=BB32_265 Depth=2
	s_andn2_saveexec_b64 s[26:27], s[26:27]
	s_cbranch_execz .LBB32_285
; %bb.284:                              ;   in Loop: Header=BB32_265 Depth=2
	v_and_b32_e32 v8, 7, v116
	v_ashrrev_i32_e32 v29, 31, v28
	v_mov_b32_e32 v9, v3
	v_mad_u64_u32 v[0:1], s[44:45], v8, 24, v[6:7]
	v_lshlrev_b64 v[10:11], 1, v[28:29]
	flat_store_dwordx2 v[0:1], v[10:11] offset:8
.LBB32_285:                             ;   in Loop: Header=BB32_265 Depth=2
	s_or_b64 exec, exec, s[26:27]
	v_and_b32_e32 v0, 0x100, v126
	v_cmp_ne_u32_e32 vcc, 0, v0
	s_mov_b64 s[26:27], -1
                                        ; implicit-def: $vgpr10_vgpr11
	s_and_saveexec_b64 s[44:45], vcc
	s_cbranch_execz .LBB32_289
; %bb.286:                              ;   in Loop: Header=BB32_265 Depth=2
	v_mad_u64_u32 v[12:13], s[26:27], v8, 24, v[6:7]
	v_mov_b32_e32 v0, v13
	v_mad_u64_u32 v[0:1], s[26:27], v9, 24, v[0:1]
	v_mov_b32_e32 v13, v0
	flat_load_dword v0, v[12:13]
                                        ; implicit-def: $vgpr10_vgpr11
	s_waitcnt vmcnt(0) lgkmcnt(0)
	v_cmp_ne_u32_e32 vcc, 1, v0
	v_cmp_eq_u32_e64 s[26:27], 1, v0
	s_and_saveexec_b64 s[46:47], s[26:27]
	s_cbranch_execz .LBB32_288
; %bb.287:                              ;   in Loop: Header=BB32_265 Depth=2
	flat_load_dword v0, v[12:13] offset:4 sc0 sc1
	s_waitcnt vmcnt(0) lgkmcnt(0)
	v_ashrrev_i32_e32 v1, 31, v0
	v_lshrrev_b64 v[10:11], 1, v[0:1]
.LBB32_288:                             ;   in Loop: Header=BB32_265 Depth=2
	s_or_b64 exec, exec, s[46:47]
	s_orn2_b64 s[26:27], vcc, exec
.LBB32_289:                             ;   in Loop: Header=BB32_265 Depth=2
	s_or_b64 exec, exec, s[44:45]
	s_and_saveexec_b64 s[44:45], s[26:27]
; %bb.290:                              ;   in Loop: Header=BB32_265 Depth=2
	v_mul_lo_u32 v0, v9, v30
	v_mul_lo_u32 v1, v8, v119
	v_mad_u64_u32 v[10:11], s[26:27], v8, v30, 0
	v_add3_u32 v11, v11, v1, v0
; %bb.291:                              ;   in Loop: Header=BB32_265 Depth=2
	s_or_b64 exec, exec, s[44:45]
	v_cmp_eq_u32_e32 vcc, 0, v2
	v_mov_b32_e32 v0, 0x90
	s_nop 0
	v_cndmask_b32_e32 v2, v80, v0, vcc
	v_lshl_add_u64 v[0:1], v[10:11], 1, v[42:43]
	v_add_u32_e32 v2, v0, v2
	ds_write_b64 v2, v[0:1] offset:584
	v_and_b32_e32 v0, 0x2000, v126
	v_cmp_ne_u32_e32 vcc, 0, v0
	s_and_saveexec_b64 s[26:27], vcc
	s_cbranch_execz .LBB32_293
; %bb.292:                              ;   in Loop: Header=BB32_265 Depth=2
	ds_read_b64 v[0:1], v0 offset:872
	s_waitcnt lgkmcnt(0)
	v_lshl_add_u64 v[0:1], v[0:1], 0, 1
	ds_write_b64 v0, v[0:1] offset:872
.LBB32_293:                             ;   in Loop: Header=BB32_265 Depth=2
	s_or_b64 exec, exec, s[26:27]
	v_mov_b64_e32 v[116:117], v[4:5]
.LBB32_294:                             ;   in Loop: Header=BB32_265 Depth=2
	s_or_b64 exec, exec, s[28:29]
	s_and_saveexec_b64 s[26:27], s[6:7]
	s_cbranch_execz .LBB32_313
; %bb.295:                              ;   in Loop: Header=BB32_265 Depth=2
	s_and_saveexec_b64 s[28:29], s[78:79]
	s_xor_b64 s[28:29], exec, s[28:29]
	s_cbranch_execz .LBB32_310
; %bb.296:                              ;   in Loop: Header=BB32_265 Depth=2
	s_and_saveexec_b64 s[44:45], s[14:15]
	s_cbranch_execz .LBB32_309
; %bb.297:                              ;   in Loop: Header=BB32_265 Depth=2
	s_mov_b64 s[56:57], exec
	v_mbcnt_lo_u32_b32 v0, s56, 0
	v_mbcnt_hi_u32_b32 v0, s57, v0
	v_cmp_eq_u32_e32 vcc, 0, v0
	s_waitcnt lgkmcnt(0)
	s_and_saveexec_b64 s[46:47], vcc
	s_cbranch_execz .LBB32_299
; %bb.298:                              ;   in Loop: Header=BB32_265 Depth=2
	s_bcnt1_i32_b64 s56, s[56:57]
	v_mov_b32_e32 v2, s56
	ds_add_u64 v0, v[2:3]
	s_trap 2
.LBB32_299:                             ;   in Loop: Header=BB32_265 Depth=2
	s_or_b64 exec, exec, s[46:47]
	s_trap 2
	ds_read_b64 v[0:1], v0
	s_waitcnt lgkmcnt(0)
	v_lshl_add_u64 v[46:47], v[46:47], 0, v[60:61]
	v_cmp_lt_u64_e32 vcc, v[0:1], v[46:47]
	s_and_saveexec_b64 s[46:47], vcc
	s_cbranch_execz .LBB32_308
; %bb.300:                              ;   in Loop: Header=BB32_265 Depth=2
	s_mov_b32 s76, 0
	s_mov_b64 s[56:57], 0
                                        ; implicit-def: $sgpr58_sgpr59
                                        ; implicit-def: $sgpr60_sgpr61
	s_branch .LBB32_302
.LBB32_301:                             ;   in Loop: Header=BB32_302 Depth=3
	s_or_b64 exec, exec, s[38:39]
	s_and_b64 s[62:63], exec, vcc
	s_or_b64 s[56:57], s[62:63], s[56:57]
	s_andn2_b64 s[58:59], s[58:59], exec
	s_and_b64 s[62:63], s[60:61], exec
	s_or_b64 s[58:59], s[58:59], s[62:63]
	s_andn2_b64 exec, exec, s[56:57]
	s_cbranch_execz .LBB32_306
.LBB32_302:                             ;   Parent Loop BB32_47 Depth=1
                                        ;     Parent Loop BB32_265 Depth=2
                                        ; =>    This Inner Loop Header: Depth=3
	s_add_i32 s76, s76, 1
	s_cmpk_lg_i32 s76, 0x2710
	s_cselect_b64 s[62:63], -1, 0
	s_and_b64 vcc, exec, s[62:63]
	s_cbranch_vccz .LBB32_304
; %bb.303:                              ;   in Loop: Header=BB32_302 Depth=3
	s_mov_b64 vcc, -1
	s_or_b64 s[60:61], s[60:61], exec
	s_and_saveexec_b64 s[38:39], s[62:63]
	s_cbranch_execz .LBB32_301
	s_branch .LBB32_305
.LBB32_304:                             ;   in Loop: Header=BB32_302 Depth=3
	s_trap 2
	ds_read_b64 v[0:1], v0
	s_andn2_b64 s[62:63], s[62:63], exec
	s_mov_b32 s76, 0
	s_waitcnt vmcnt(0) lgkmcnt(0)
	flat_load_dword v0, v[0:1] sc0 sc1
	s_waitcnt vmcnt(0) lgkmcnt(0)
	buffer_inv sc0 sc1
	v_cmp_eq_u32_e32 vcc, 0, v0
	s_and_b64 vcc, vcc, exec
	s_or_b64 s[62:63], s[62:63], vcc
	s_mov_b64 vcc, -1
	s_or_b64 s[60:61], s[60:61], exec
	s_and_saveexec_b64 s[38:39], s[62:63]
	s_cbranch_execz .LBB32_301
.LBB32_305:                             ;   in Loop: Header=BB32_302 Depth=3
	s_sleep 1
	s_trap 2
	ds_read_b64 v[0:1], v0
	s_waitcnt lgkmcnt(0)
	s_andn2_b64 s[60:61], s[60:61], exec
	v_cmp_ge_u64_e32 vcc, v[0:1], v[46:47]
	s_orn2_b64 vcc, vcc, exec
	s_branch .LBB32_301
.LBB32_306:                             ;   in Loop: Header=BB32_265 Depth=2
	s_or_b64 exec, exec, s[56:57]
	s_and_saveexec_b64 s[56:57], s[58:59]
	s_xor_b64 s[56:57], exec, s[56:57]
	s_cbranch_execz .LBB32_308
; %bb.307:                              ;   in Loop: Header=BB32_265 Depth=2
	ds_write_b32 v0, v31
	s_trap 2
.LBB32_308:                             ;   in Loop: Header=BB32_265 Depth=2
	s_or_b64 exec, exec, s[46:47]
	;;#ASMSTART
	s_wakeup
	;;#ASMEND
.LBB32_309:                             ;   in Loop: Header=BB32_265 Depth=2
	s_or_b64 exec, exec, s[44:45]
.LBB32_310:                             ;   in Loop: Header=BB32_265 Depth=2
	s_andn2_saveexec_b64 s[28:29], s[28:29]
	s_cbranch_execz .LBB32_312
; %bb.311:                              ;   in Loop: Header=BB32_265 Depth=2
	s_waitcnt lgkmcnt(0)
	s_barrier
.LBB32_312:                             ;   in Loop: Header=BB32_265 Depth=2
	s_or_b64 exec, exec, s[28:29]
.LBB32_313:                             ;   in Loop: Header=BB32_265 Depth=2
	s_or_b64 exec, exec, s[26:27]
	s_trap 2
	ds_read_b32 v0, v0
	v_and_b32_e32 v1, 0x4000, v126
	v_cmp_ne_u32_e32 vcc, 0, v1
	s_xor_b64 s[26:27], s[4:5], -1
	s_and_b64 s[28:29], s[26:27], vcc
	s_and_saveexec_b64 s[26:27], s[28:29]
	s_cbranch_execz .LBB32_332
; %bb.314:                              ;   in Loop: Header=BB32_265 Depth=2
	s_and_saveexec_b64 s[28:29], s[78:79]
	s_xor_b64 s[28:29], exec, s[28:29]
	s_cbranch_execz .LBB32_329
; %bb.315:                              ;   in Loop: Header=BB32_265 Depth=2
	s_and_saveexec_b64 s[44:45], s[14:15]
	s_cbranch_execz .LBB32_328
; %bb.316:                              ;   in Loop: Header=BB32_265 Depth=2
	s_mov_b64 s[56:57], exec
	v_mbcnt_lo_u32_b32 v1, s56, 0
	v_mbcnt_hi_u32_b32 v1, s57, v1
	v_cmp_eq_u32_e32 vcc, 0, v1
	s_waitcnt lgkmcnt(0)
	s_and_saveexec_b64 s[46:47], vcc
	s_cbranch_execz .LBB32_318
; %bb.317:                              ;   in Loop: Header=BB32_265 Depth=2
	s_bcnt1_i32_b64 s56, s[56:57]
	v_mov_b32_e32 v2, s56
	ds_add_u64 v0, v[2:3]
	s_trap 2
.LBB32_318:                             ;   in Loop: Header=BB32_265 Depth=2
	s_or_b64 exec, exec, s[46:47]
	s_trap 2
	ds_read_b64 v[4:5], v0
	s_waitcnt lgkmcnt(0)
	v_lshl_add_u64 v[46:47], v[46:47], 0, v[60:61]
	v_cmp_lt_u64_e32 vcc, v[4:5], v[46:47]
	s_and_saveexec_b64 s[46:47], vcc
	s_cbranch_execz .LBB32_327
; %bb.319:                              ;   in Loop: Header=BB32_265 Depth=2
	s_mov_b32 s76, 0
	s_mov_b64 s[56:57], 0
                                        ; implicit-def: $sgpr58_sgpr59
                                        ; implicit-def: $sgpr60_sgpr61
	s_branch .LBB32_321
.LBB32_320:                             ;   in Loop: Header=BB32_321 Depth=3
	s_or_b64 exec, exec, s[38:39]
	s_and_b64 s[62:63], exec, vcc
	s_or_b64 s[56:57], s[62:63], s[56:57]
	s_andn2_b64 s[58:59], s[58:59], exec
	s_and_b64 s[62:63], s[60:61], exec
	s_or_b64 s[58:59], s[58:59], s[62:63]
	s_andn2_b64 exec, exec, s[56:57]
	s_cbranch_execz .LBB32_325
.LBB32_321:                             ;   Parent Loop BB32_47 Depth=1
                                        ;     Parent Loop BB32_265 Depth=2
                                        ; =>    This Inner Loop Header: Depth=3
	s_add_i32 s76, s76, 1
	s_cmpk_lg_i32 s76, 0x2710
	s_cselect_b64 s[62:63], -1, 0
	s_and_b64 vcc, exec, s[62:63]
	s_cbranch_vccz .LBB32_323
; %bb.322:                              ;   in Loop: Header=BB32_321 Depth=3
	s_mov_b64 vcc, -1
	s_or_b64 s[60:61], s[60:61], exec
	s_and_saveexec_b64 s[38:39], s[62:63]
	s_cbranch_execz .LBB32_320
	s_branch .LBB32_324
.LBB32_323:                             ;   in Loop: Header=BB32_321 Depth=3
	s_trap 2
	ds_read_b64 v[4:5], v0
	s_andn2_b64 s[62:63], s[62:63], exec
	s_mov_b32 s76, 0
	s_waitcnt vmcnt(0) lgkmcnt(0)
	flat_load_dword v1, v[4:5] sc0 sc1
	s_waitcnt vmcnt(0) lgkmcnt(0)
	buffer_inv sc0 sc1
	v_cmp_eq_u32_e32 vcc, 0, v1
	s_and_b64 vcc, vcc, exec
	s_or_b64 s[62:63], s[62:63], vcc
	s_mov_b64 vcc, -1
	s_or_b64 s[60:61], s[60:61], exec
	s_and_saveexec_b64 s[38:39], s[62:63]
	s_cbranch_execz .LBB32_320
.LBB32_324:                             ;   in Loop: Header=BB32_321 Depth=3
	s_sleep 1
	s_trap 2
	ds_read_b64 v[4:5], v0
	s_waitcnt lgkmcnt(0)
	s_andn2_b64 s[60:61], s[60:61], exec
	v_cmp_ge_u64_e32 vcc, v[4:5], v[46:47]
	s_orn2_b64 vcc, vcc, exec
	s_branch .LBB32_320
.LBB32_325:                             ;   in Loop: Header=BB32_265 Depth=2
	s_or_b64 exec, exec, s[56:57]
	s_and_saveexec_b64 s[56:57], s[58:59]
	s_xor_b64 s[56:57], exec, s[56:57]
	s_cbranch_execz .LBB32_327
; %bb.326:                              ;   in Loop: Header=BB32_265 Depth=2
	ds_write_b32 v0, v31
	s_trap 2
.LBB32_327:                             ;   in Loop: Header=BB32_265 Depth=2
	s_or_b64 exec, exec, s[46:47]
	;;#ASMSTART
	s_wakeup
	;;#ASMEND
.LBB32_328:                             ;   in Loop: Header=BB32_265 Depth=2
	s_or_b64 exec, exec, s[44:45]
.LBB32_329:                             ;   in Loop: Header=BB32_265 Depth=2
	s_andn2_saveexec_b64 s[28:29], s[28:29]
	s_cbranch_execz .LBB32_331
; %bb.330:                              ;   in Loop: Header=BB32_265 Depth=2
	s_waitcnt lgkmcnt(0)
	s_barrier
.LBB32_331:                             ;   in Loop: Header=BB32_265 Depth=2
	s_or_b64 exec, exec, s[28:29]
.LBB32_332:                             ;   in Loop: Header=BB32_265 Depth=2
	s_or_b64 exec, exec, s[26:27]
	s_trap 2
	s_waitcnt lgkmcnt(0)
	ds_read_b64 v[52:53], v0
	s_waitcnt lgkmcnt(0)
	v_cmp_eq_u64_e32 vcc, 0, v[52:53]
	s_cbranch_vccnz .LBB32_340
; %bb.333:                              ;   in Loop: Header=BB32_265 Depth=2
	s_trap 2
	ds_read_b64 v[54:55], v0
	s_waitcnt lgkmcnt(0)
	v_cmp_eq_u64_e32 vcc, 0, v[54:55]
	s_cbranch_vccnz .LBB32_340
; %bb.334:                              ;   in Loop: Header=BB32_265 Depth=2
	s_trap 2
	ds_read_b64 v[4:5], v0
	s_mov_b64 s[28:29], -1
	s_waitcnt lgkmcnt(0)
	v_readfirstlane_b32 s60, v4
	s_and_saveexec_b64 s[26:27], s[20:21]
	s_cbranch_execz .LBB32_336
; %bb.335:                              ;   in Loop: Header=BB32_265 Depth=2
	ds_read_b32 v1, v0 offset:720
	s_waitcnt lgkmcnt(0)
	v_and_b32_e32 v1, 15, v1
	v_cmp_eq_u32_e32 vcc, 0, v1
	s_orn2_b64 s[28:29], vcc, exec
.LBB32_336:                             ;   in Loop: Header=BB32_265 Depth=2
	s_or_b64 exec, exec, s[26:27]
	s_and_saveexec_b64 s[26:27], s[18:19]
	s_cbranch_execz .LBB32_338
; %bb.337:                              ;   in Loop: Header=BB32_265 Depth=2
	ds_read_b32 v1, v0 offset:784
	s_waitcnt lgkmcnt(0)
	v_and_b32_e32 v1, 15, v1
	v_cmp_eq_u32_e32 vcc, 0, v1
	s_and_b64 s[44:45], s[28:29], vcc
	s_andn2_b64 s[28:29], s[28:29], exec
	s_and_b64 s[44:45], s[44:45], exec
	s_or_b64 s[28:29], s[28:29], s[44:45]
.LBB32_338:                             ;   in Loop: Header=BB32_265 Depth=2
	s_or_b64 exec, exec, s[26:27]
	v_cmp_eq_u32_e32 vcc, 0, v0
	s_xor_b64 s[28:29], s[28:29], -1
	v_cndmask_b32_e64 v2, 0, 1, s[28:29]
	v_cndmask_b32_e32 v1, 0, v28, vcc
	v_lshlrev_b32_e32 v0, 1, v1
	s_mov_b64 s[26:27], -1
	v_cmp_ne_u32_e32 vcc, 0, v2
	v_mov_b32_e32 v12, 0
	s_cbranch_vccz .LBB32_345
; %bb.339:                              ;   in Loop: Header=BB32_265 Depth=2
	scratch_load_dword v13, off, s33 offset:188 ; 4-byte Folded Reload
	s_and_saveexec_b64 s[28:29], s[26:27]
	s_cbranch_execnz .LBB32_516
	s_branch .LBB32_592
.LBB32_340:                             ;   in Loop: Header=BB32_265 Depth=2
	s_mov_b64 s[26:27], 0
	s_and_saveexec_b64 s[28:29], s[6:7]
	s_cbranch_execnz .LBB32_593
.LBB32_341:                             ;   in Loop: Header=BB32_265 Depth=2
	s_or_b64 exec, exec, s[28:29]
                                        ; implicit-def: $vgpr0
	s_and_saveexec_b64 s[28:29], s[22:23]
	s_xor_b64 s[28:29], exec, s[28:29]
	s_cbranch_execz .LBB32_611
.LBB32_342:                             ;   in Loop: Header=BB32_265 Depth=2
	v_and_b32_e32 v1, 16, v126
	v_cmp_ne_u32_e32 vcc, 0, v1
	v_and_b32_e32 v0, 16, v126
	s_and_b64 s[44:45], vcc, s[26:27]
	s_and_saveexec_b64 s[26:27], s[44:45]
	s_cbranch_execz .LBB32_344
; %bb.343:                              ;   in Loop: Header=BB32_265 Depth=2
	v_mov_b32_e32 v0, 1
	buffer_wbl2 sc1
	s_waitcnt vmcnt(0) lgkmcnt(0)
	buffer_inv sc1
.LBB32_344:                             ;   in Loop: Header=BB32_265 Depth=2
	s_or_b64 exec, exec, s[26:27]
	s_andn2_saveexec_b64 s[26:27], s[28:29]
	s_cbranch_execz .LBB32_630
	s_branch .LBB32_612
.LBB32_345:                             ;   in Loop: Header=BB32_265 Depth=2
	v_ashrrev_i32_e32 v2, 31, v0
	v_lshrrev_b32_e32 v2, 20, v2
	v_add_u32_e32 v2, v0, v2
	v_ashrrev_i32_e32 v29, 12, v2
	v_sub_u32_e32 v2, v29, v100
	v_cmp_lt_i32_e32 vcc, 0, v2
	s_and_saveexec_b64 s[28:29], vcc
	s_cbranch_execz .LBB32_477
; %bb.346:                              ;   in Loop: Header=BB32_265 Depth=2
	s_trap 2
	ds_read_b64 v[8:9], v0
	s_and_b32 s76, s60, 1
	s_cmp_eq_u64 s[76:77], 0
	v_lshl_add_u64 v[4:5], v[52:53], 0, v[90:91]
	v_lshl_add_u64 v[64:65], v[54:55], 0, v[90:91]
	s_waitcnt lgkmcnt(0)
	v_lshl_add_u64 v[66:67], v[8:9], 0, v[90:91]
	s_mov_b64 s[44:45], 0
	s_cselect_b64 vcc, -1, 0
	s_branch .LBB32_348
.LBB32_347:                             ;   in Loop: Header=BB32_348 Depth=3
	s_or_b64 exec, exec, s[46:47]
	v_lshrrev_b32_e32 v15, 16, v20
	v_and_or_b32 v17, v17, s87, v15
	v_lshrrev_b32_e32 v15, 16, v35
	v_and_or_b32 v16, v16, s87, v15
	;; [unrolled: 2-line block ×9, first 2 shown]
	v_lshrrev_b32_e32 v15, 16, v69
	v_lshrrev_b32_e32 v12, 16, v12
	v_and_or_b32 v32, v36, s87, v15
	v_lshrrev_b32_e32 v15, 16, v49
	v_and_or_b32 v9, v9, s87, v12
	;; [unrolled: 2-line block ×4, first 2 shown]
	v_lshrrev_b32_e32 v12, 16, v13
	v_sub_u32_e32 v2, v2, v60
	v_and_or_b32 v35, v39, s87, v15
	v_and_or_b32 v10, v10, s87, v12
	v_lshrrev_b32_e32 v12, 16, v14
	v_cmp_gt_i32_e64 s[26:27], 1, v2
	v_and_or_b32 v11, v11, s87, v12
	global_store_dwordx4 v[64:65], v[32:35], off
	global_store_dwordx4 v[64:65], v[24:27], off offset:1024
	global_store_dwordx4 v[64:65], v[16:19], off offset:2048
	;; [unrolled: 1-line block ×3, first 2 shown]
	v_lshl_add_u64 v[4:5], v[4:5], 0, v[92:93]
	v_lshl_add_u64 v[66:67], v[66:67], 0, v[92:93]
	s_or_b64 s[44:45], s[26:27], s[44:45]
	v_lshl_add_u64 v[64:65], v[64:65], 0, v[92:93]
	s_andn2_b64 exec, exec, s[44:45]
	s_cbranch_execz .LBB32_476
.LBB32_348:                             ;   Parent Loop BB32_47 Depth=1
                                        ;     Parent Loop BB32_265 Depth=2
                                        ; =>    This Inner Loop Header: Depth=3
	global_load_dwordx4 v[36:39], v[4:5], off nt
	global_load_dwordx4 v[48:51], v[66:67], off nt
	global_load_dwordx4 v[24:27], v[4:5], off offset:1024 nt
	global_load_dwordx4 v[16:19], v[4:5], off offset:2048 nt
	;; [unrolled: 1-line block ×6, first 2 shown]
	s_waitcnt vmcnt(0)
	v_lshlrev_b32_e32 v69, 16, v36
	v_lshlrev_b32_e32 v70, 16, v48
	v_max_f32_e32 v70, v70, v70
	v_max_f32_e32 v69, v69, v69
	v_min_f32_e32 v71, v69, v70
	v_max_f32_e32 v69, v69, v70
	v_cndmask_b32_e32 v70, v69, v71, vcc
	v_and_b32_e32 v69, 0x7f800000, v70
	v_cmp_ne_u32_e64 s[26:27], s85, v69
                                        ; implicit-def: $vgpr69
	s_and_saveexec_b64 s[46:47], s[26:27]
	s_xor_b64 s[26:27], exec, s[46:47]
; %bb.349:                              ;   in Loop: Header=BB32_348 Depth=3
	v_bfe_u32 v69, v70, 16, 1
	v_add3_u32 v69, v70, v69, s86
                                        ; implicit-def: $vgpr70
; %bb.350:                              ;   in Loop: Header=BB32_348 Depth=3
	s_andn2_saveexec_b64 s[46:47], s[26:27]
; %bb.351:                              ;   in Loop: Header=BB32_348 Depth=3
	v_or_b32_e32 v69, 0x10000, v70
	v_cmp_eq_u32_sdwa s[26:27], v70, v3 src0_sel:WORD_0 src1_sel:DWORD
	s_nop 1
	v_cndmask_b32_e64 v69, v69, v70, s[26:27]
; %bb.352:                              ;   in Loop: Header=BB32_348 Depth=3
	s_or_b64 exec, exec, s[46:47]
	v_and_b32_e32 v36, 0xffff0000, v36
	v_and_b32_e32 v48, 0xffff0000, v48
	v_max_f32_e32 v48, v48, v48
	v_max_f32_e32 v36, v36, v36
	v_min_f32_e32 v70, v36, v48
	v_max_f32_e32 v36, v36, v48
	v_cndmask_b32_e32 v48, v36, v70, vcc
	v_and_b32_e32 v36, 0x7f800000, v48
	v_cmp_ne_u32_e64 s[26:27], s85, v36
                                        ; implicit-def: $vgpr36
	s_and_saveexec_b64 s[46:47], s[26:27]
	s_xor_b64 s[26:27], exec, s[46:47]
; %bb.353:                              ;   in Loop: Header=BB32_348 Depth=3
	v_bfe_u32 v36, v48, 16, 1
	v_add3_u32 v36, v48, v36, s86
                                        ; implicit-def: $vgpr48
; %bb.354:                              ;   in Loop: Header=BB32_348 Depth=3
	s_andn2_saveexec_b64 s[46:47], s[26:27]
; %bb.355:                              ;   in Loop: Header=BB32_348 Depth=3
	v_or_b32_e32 v36, 0x10000, v48
	v_cmp_eq_u32_sdwa s[26:27], v48, v3 src0_sel:WORD_0 src1_sel:DWORD
	s_nop 1
	v_cndmask_b32_e64 v36, v36, v48, s[26:27]
; %bb.356:                              ;   in Loop: Header=BB32_348 Depth=3
	s_or_b64 exec, exec, s[46:47]
	v_lshlrev_b32_e32 v48, 16, v37
	v_lshlrev_b32_e32 v70, 16, v49
	v_max_f32_e32 v70, v70, v70
	v_max_f32_e32 v48, v48, v48
	v_min_f32_e32 v71, v48, v70
	v_max_f32_e32 v48, v48, v70
	v_cndmask_b32_e32 v70, v48, v71, vcc
	v_and_b32_e32 v48, 0x7f800000, v70
	v_cmp_ne_u32_e64 s[26:27], s85, v48
                                        ; implicit-def: $vgpr48
	s_and_saveexec_b64 s[46:47], s[26:27]
	s_xor_b64 s[26:27], exec, s[46:47]
; %bb.357:                              ;   in Loop: Header=BB32_348 Depth=3
	v_bfe_u32 v48, v70, 16, 1
	v_add3_u32 v48, v70, v48, s86
                                        ; implicit-def: $vgpr70
; %bb.358:                              ;   in Loop: Header=BB32_348 Depth=3
	s_andn2_saveexec_b64 s[46:47], s[26:27]
; %bb.359:                              ;   in Loop: Header=BB32_348 Depth=3
	v_or_b32_e32 v48, 0x10000, v70
	v_cmp_eq_u32_sdwa s[26:27], v70, v3 src0_sel:WORD_0 src1_sel:DWORD
	s_nop 1
	v_cndmask_b32_e64 v48, v48, v70, s[26:27]
; %bb.360:                              ;   in Loop: Header=BB32_348 Depth=3
	s_or_b64 exec, exec, s[46:47]
	v_and_b32_e32 v37, 0xffff0000, v37
	v_and_b32_e32 v49, 0xffff0000, v49
	v_max_f32_e32 v49, v49, v49
	v_max_f32_e32 v37, v37, v37
	v_min_f32_e32 v70, v37, v49
	v_max_f32_e32 v37, v37, v49
	v_cndmask_b32_e32 v49, v37, v70, vcc
	v_and_b32_e32 v37, 0x7f800000, v49
	v_cmp_ne_u32_e64 s[26:27], s85, v37
                                        ; implicit-def: $vgpr37
	s_and_saveexec_b64 s[46:47], s[26:27]
	s_xor_b64 s[26:27], exec, s[46:47]
; %bb.361:                              ;   in Loop: Header=BB32_348 Depth=3
	v_bfe_u32 v37, v49, 16, 1
	v_add3_u32 v37, v49, v37, s86
                                        ; implicit-def: $vgpr49
; %bb.362:                              ;   in Loop: Header=BB32_348 Depth=3
	s_andn2_saveexec_b64 s[46:47], s[26:27]
; %bb.363:                              ;   in Loop: Header=BB32_348 Depth=3
	v_or_b32_e32 v37, 0x10000, v49
	v_cmp_eq_u32_sdwa s[26:27], v49, v3 src0_sel:WORD_0 src1_sel:DWORD
	s_nop 1
	v_cndmask_b32_e64 v37, v37, v49, s[26:27]
; %bb.364:                              ;   in Loop: Header=BB32_348 Depth=3
	s_or_b64 exec, exec, s[46:47]
	v_lshlrev_b32_e32 v49, 16, v38
	v_lshlrev_b32_e32 v70, 16, v50
	v_max_f32_e32 v70, v70, v70
	v_max_f32_e32 v49, v49, v49
	v_min_f32_e32 v71, v49, v70
	v_max_f32_e32 v49, v49, v70
	v_cndmask_b32_e32 v70, v49, v71, vcc
	v_and_b32_e32 v49, 0x7f800000, v70
	v_cmp_ne_u32_e64 s[26:27], s85, v49
                                        ; implicit-def: $vgpr49
	s_and_saveexec_b64 s[46:47], s[26:27]
	s_xor_b64 s[26:27], exec, s[46:47]
; %bb.365:                              ;   in Loop: Header=BB32_348 Depth=3
	v_bfe_u32 v49, v70, 16, 1
	v_add3_u32 v49, v70, v49, s86
                                        ; implicit-def: $vgpr70
; %bb.366:                              ;   in Loop: Header=BB32_348 Depth=3
	s_andn2_saveexec_b64 s[46:47], s[26:27]
; %bb.367:                              ;   in Loop: Header=BB32_348 Depth=3
	v_or_b32_e32 v49, 0x10000, v70
	v_cmp_eq_u32_sdwa s[26:27], v70, v3 src0_sel:WORD_0 src1_sel:DWORD
	s_nop 1
	v_cndmask_b32_e64 v49, v49, v70, s[26:27]
; %bb.368:                              ;   in Loop: Header=BB32_348 Depth=3
	s_or_b64 exec, exec, s[46:47]
	v_and_b32_e32 v38, 0xffff0000, v38
	v_and_b32_e32 v50, 0xffff0000, v50
	v_max_f32_e32 v50, v50, v50
	v_max_f32_e32 v38, v38, v38
	v_min_f32_e32 v70, v38, v50
	v_max_f32_e32 v38, v38, v50
	v_cndmask_b32_e32 v50, v38, v70, vcc
	v_and_b32_e32 v38, 0x7f800000, v50
	v_cmp_ne_u32_e64 s[26:27], s85, v38
                                        ; implicit-def: $vgpr38
	s_and_saveexec_b64 s[46:47], s[26:27]
	s_xor_b64 s[26:27], exec, s[46:47]
; %bb.369:                              ;   in Loop: Header=BB32_348 Depth=3
	v_bfe_u32 v38, v50, 16, 1
	v_add3_u32 v38, v50, v38, s86
                                        ; implicit-def: $vgpr50
; %bb.370:                              ;   in Loop: Header=BB32_348 Depth=3
	s_andn2_saveexec_b64 s[46:47], s[26:27]
; %bb.371:                              ;   in Loop: Header=BB32_348 Depth=3
	v_or_b32_e32 v38, 0x10000, v50
	v_cmp_eq_u32_sdwa s[26:27], v50, v3 src0_sel:WORD_0 src1_sel:DWORD
	s_nop 1
	v_cndmask_b32_e64 v38, v38, v50, s[26:27]
; %bb.372:                              ;   in Loop: Header=BB32_348 Depth=3
	s_or_b64 exec, exec, s[46:47]
	v_lshlrev_b32_e32 v50, 16, v39
	v_lshlrev_b32_e32 v70, 16, v51
	v_max_f32_e32 v70, v70, v70
	v_max_f32_e32 v50, v50, v50
	v_min_f32_e32 v71, v50, v70
	v_max_f32_e32 v50, v50, v70
	v_cndmask_b32_e32 v70, v50, v71, vcc
	v_and_b32_e32 v50, 0x7f800000, v70
	v_cmp_ne_u32_e64 s[26:27], s85, v50
                                        ; implicit-def: $vgpr50
	s_and_saveexec_b64 s[46:47], s[26:27]
	s_xor_b64 s[26:27], exec, s[46:47]
; %bb.373:                              ;   in Loop: Header=BB32_348 Depth=3
	v_bfe_u32 v50, v70, 16, 1
	v_add3_u32 v50, v70, v50, s86
                                        ; implicit-def: $vgpr70
; %bb.374:                              ;   in Loop: Header=BB32_348 Depth=3
	s_andn2_saveexec_b64 s[46:47], s[26:27]
; %bb.375:                              ;   in Loop: Header=BB32_348 Depth=3
	v_or_b32_e32 v50, 0x10000, v70
	v_cmp_eq_u32_sdwa s[26:27], v70, v3 src0_sel:WORD_0 src1_sel:DWORD
	s_nop 1
	v_cndmask_b32_e64 v50, v50, v70, s[26:27]
; %bb.376:                              ;   in Loop: Header=BB32_348 Depth=3
	s_or_b64 exec, exec, s[46:47]
	v_and_b32_e32 v39, 0xffff0000, v39
	v_and_b32_e32 v51, 0xffff0000, v51
	v_max_f32_e32 v51, v51, v51
	v_max_f32_e32 v39, v39, v39
	v_min_f32_e32 v70, v39, v51
	v_max_f32_e32 v39, v39, v51
	v_cndmask_b32_e32 v51, v39, v70, vcc
	v_and_b32_e32 v39, 0x7f800000, v51
	v_cmp_ne_u32_e64 s[26:27], s85, v39
                                        ; implicit-def: $vgpr39
	s_and_saveexec_b64 s[46:47], s[26:27]
	s_xor_b64 s[26:27], exec, s[46:47]
; %bb.377:                              ;   in Loop: Header=BB32_348 Depth=3
	v_bfe_u32 v39, v51, 16, 1
	v_add3_u32 v39, v51, v39, s86
                                        ; implicit-def: $vgpr51
; %bb.378:                              ;   in Loop: Header=BB32_348 Depth=3
	s_andn2_saveexec_b64 s[46:47], s[26:27]
; %bb.379:                              ;   in Loop: Header=BB32_348 Depth=3
	v_or_b32_e32 v39, 0x10000, v51
	v_cmp_eq_u32_sdwa s[26:27], v51, v3 src0_sel:WORD_0 src1_sel:DWORD
	s_nop 1
	v_cndmask_b32_e64 v39, v39, v51, s[26:27]
; %bb.380:                              ;   in Loop: Header=BB32_348 Depth=3
	s_or_b64 exec, exec, s[46:47]
	v_lshlrev_b32_e32 v51, 16, v24
	v_lshlrev_b32_e32 v70, 16, v32
	v_max_f32_e32 v70, v70, v70
	v_max_f32_e32 v51, v51, v51
	v_min_f32_e32 v71, v51, v70
	v_max_f32_e32 v51, v51, v70
	v_cndmask_b32_e32 v70, v51, v71, vcc
	v_and_b32_e32 v51, 0x7f800000, v70
	v_cmp_ne_u32_e64 s[26:27], s85, v51
                                        ; implicit-def: $vgpr51
	s_and_saveexec_b64 s[46:47], s[26:27]
	s_xor_b64 s[26:27], exec, s[46:47]
; %bb.381:                              ;   in Loop: Header=BB32_348 Depth=3
	v_bfe_u32 v51, v70, 16, 1
	v_add3_u32 v51, v70, v51, s86
                                        ; implicit-def: $vgpr70
; %bb.382:                              ;   in Loop: Header=BB32_348 Depth=3
	s_andn2_saveexec_b64 s[46:47], s[26:27]
; %bb.383:                              ;   in Loop: Header=BB32_348 Depth=3
	v_or_b32_e32 v51, 0x10000, v70
	v_cmp_eq_u32_sdwa s[26:27], v70, v3 src0_sel:WORD_0 src1_sel:DWORD
	s_nop 1
	v_cndmask_b32_e64 v51, v51, v70, s[26:27]
; %bb.384:                              ;   in Loop: Header=BB32_348 Depth=3
	s_or_b64 exec, exec, s[46:47]
	v_and_b32_e32 v24, 0xffff0000, v24
	v_and_b32_e32 v32, 0xffff0000, v32
	v_max_f32_e32 v32, v32, v32
	v_max_f32_e32 v24, v24, v24
	v_min_f32_e32 v70, v24, v32
	v_max_f32_e32 v24, v24, v32
	v_cndmask_b32_e32 v32, v24, v70, vcc
	v_and_b32_e32 v24, 0x7f800000, v32
	v_cmp_ne_u32_e64 s[26:27], s85, v24
                                        ; implicit-def: $vgpr24
	s_and_saveexec_b64 s[46:47], s[26:27]
	s_xor_b64 s[26:27], exec, s[46:47]
; %bb.385:                              ;   in Loop: Header=BB32_348 Depth=3
	v_bfe_u32 v24, v32, 16, 1
	v_add3_u32 v24, v32, v24, s86
                                        ; implicit-def: $vgpr32
; %bb.386:                              ;   in Loop: Header=BB32_348 Depth=3
	s_andn2_saveexec_b64 s[46:47], s[26:27]
; %bb.387:                              ;   in Loop: Header=BB32_348 Depth=3
	v_or_b32_e32 v24, 0x10000, v32
	v_cmp_eq_u32_sdwa s[26:27], v32, v3 src0_sel:WORD_0 src1_sel:DWORD
	s_nop 1
	v_cndmask_b32_e64 v24, v24, v32, s[26:27]
; %bb.388:                              ;   in Loop: Header=BB32_348 Depth=3
	s_or_b64 exec, exec, s[46:47]
	v_lshlrev_b32_e32 v32, 16, v25
	v_lshlrev_b32_e32 v70, 16, v33
	v_max_f32_e32 v70, v70, v70
	v_max_f32_e32 v32, v32, v32
	v_min_f32_e32 v71, v32, v70
	v_max_f32_e32 v32, v32, v70
	v_cndmask_b32_e32 v70, v32, v71, vcc
	v_and_b32_e32 v32, 0x7f800000, v70
	v_cmp_ne_u32_e64 s[26:27], s85, v32
                                        ; implicit-def: $vgpr32
	s_and_saveexec_b64 s[46:47], s[26:27]
	s_xor_b64 s[26:27], exec, s[46:47]
; %bb.389:                              ;   in Loop: Header=BB32_348 Depth=3
	v_bfe_u32 v32, v70, 16, 1
	v_add3_u32 v32, v70, v32, s86
                                        ; implicit-def: $vgpr70
; %bb.390:                              ;   in Loop: Header=BB32_348 Depth=3
	s_andn2_saveexec_b64 s[46:47], s[26:27]
; %bb.391:                              ;   in Loop: Header=BB32_348 Depth=3
	v_or_b32_e32 v32, 0x10000, v70
	v_cmp_eq_u32_sdwa s[26:27], v70, v3 src0_sel:WORD_0 src1_sel:DWORD
	s_nop 1
	v_cndmask_b32_e64 v32, v32, v70, s[26:27]
; %bb.392:                              ;   in Loop: Header=BB32_348 Depth=3
	s_or_b64 exec, exec, s[46:47]
	v_and_b32_e32 v25, 0xffff0000, v25
	v_and_b32_e32 v33, 0xffff0000, v33
	v_max_f32_e32 v33, v33, v33
	v_max_f32_e32 v25, v25, v25
	v_min_f32_e32 v70, v25, v33
	v_max_f32_e32 v25, v25, v33
	v_cndmask_b32_e32 v33, v25, v70, vcc
	v_and_b32_e32 v25, 0x7f800000, v33
	v_cmp_ne_u32_e64 s[26:27], s85, v25
                                        ; implicit-def: $vgpr25
	s_and_saveexec_b64 s[46:47], s[26:27]
	s_xor_b64 s[26:27], exec, s[46:47]
; %bb.393:                              ;   in Loop: Header=BB32_348 Depth=3
	v_bfe_u32 v25, v33, 16, 1
	v_add3_u32 v25, v33, v25, s86
                                        ; implicit-def: $vgpr33
; %bb.394:                              ;   in Loop: Header=BB32_348 Depth=3
	s_andn2_saveexec_b64 s[46:47], s[26:27]
; %bb.395:                              ;   in Loop: Header=BB32_348 Depth=3
	v_or_b32_e32 v25, 0x10000, v33
	v_cmp_eq_u32_sdwa s[26:27], v33, v3 src0_sel:WORD_0 src1_sel:DWORD
	s_nop 1
	v_cndmask_b32_e64 v25, v25, v33, s[26:27]
; %bb.396:                              ;   in Loop: Header=BB32_348 Depth=3
	s_or_b64 exec, exec, s[46:47]
	v_lshlrev_b32_e32 v33, 16, v26
	v_lshlrev_b32_e32 v70, 16, v34
	v_max_f32_e32 v70, v70, v70
	v_max_f32_e32 v33, v33, v33
	v_min_f32_e32 v71, v33, v70
	v_max_f32_e32 v33, v33, v70
	v_cndmask_b32_e32 v70, v33, v71, vcc
	v_and_b32_e32 v33, 0x7f800000, v70
	v_cmp_ne_u32_e64 s[26:27], s85, v33
                                        ; implicit-def: $vgpr33
	s_and_saveexec_b64 s[46:47], s[26:27]
	s_xor_b64 s[26:27], exec, s[46:47]
; %bb.397:                              ;   in Loop: Header=BB32_348 Depth=3
	v_bfe_u32 v33, v70, 16, 1
	v_add3_u32 v33, v70, v33, s86
                                        ; implicit-def: $vgpr70
; %bb.398:                              ;   in Loop: Header=BB32_348 Depth=3
	s_andn2_saveexec_b64 s[46:47], s[26:27]
; %bb.399:                              ;   in Loop: Header=BB32_348 Depth=3
	v_or_b32_e32 v33, 0x10000, v70
	v_cmp_eq_u32_sdwa s[26:27], v70, v3 src0_sel:WORD_0 src1_sel:DWORD
	s_nop 1
	v_cndmask_b32_e64 v33, v33, v70, s[26:27]
; %bb.400:                              ;   in Loop: Header=BB32_348 Depth=3
	s_or_b64 exec, exec, s[46:47]
	v_and_b32_e32 v26, 0xffff0000, v26
	v_and_b32_e32 v34, 0xffff0000, v34
	v_max_f32_e32 v34, v34, v34
	v_max_f32_e32 v26, v26, v26
	v_min_f32_e32 v70, v26, v34
	v_max_f32_e32 v26, v26, v34
	v_cndmask_b32_e32 v34, v26, v70, vcc
	v_and_b32_e32 v26, 0x7f800000, v34
	v_cmp_ne_u32_e64 s[26:27], s85, v26
                                        ; implicit-def: $vgpr26
	s_and_saveexec_b64 s[46:47], s[26:27]
	s_xor_b64 s[26:27], exec, s[46:47]
; %bb.401:                              ;   in Loop: Header=BB32_348 Depth=3
	v_bfe_u32 v26, v34, 16, 1
	v_add3_u32 v26, v34, v26, s86
                                        ; implicit-def: $vgpr34
; %bb.402:                              ;   in Loop: Header=BB32_348 Depth=3
	s_andn2_saveexec_b64 s[46:47], s[26:27]
; %bb.403:                              ;   in Loop: Header=BB32_348 Depth=3
	v_or_b32_e32 v26, 0x10000, v34
	v_cmp_eq_u32_sdwa s[26:27], v34, v3 src0_sel:WORD_0 src1_sel:DWORD
	s_nop 1
	v_cndmask_b32_e64 v26, v26, v34, s[26:27]
; %bb.404:                              ;   in Loop: Header=BB32_348 Depth=3
	s_or_b64 exec, exec, s[46:47]
	v_lshlrev_b32_e32 v34, 16, v27
	v_lshlrev_b32_e32 v70, 16, v35
	v_max_f32_e32 v70, v70, v70
	v_max_f32_e32 v34, v34, v34
	v_min_f32_e32 v71, v34, v70
	v_max_f32_e32 v34, v34, v70
	v_cndmask_b32_e32 v70, v34, v71, vcc
	v_and_b32_e32 v34, 0x7f800000, v70
	v_cmp_ne_u32_e64 s[26:27], s85, v34
                                        ; implicit-def: $vgpr34
	s_and_saveexec_b64 s[46:47], s[26:27]
	s_xor_b64 s[26:27], exec, s[46:47]
; %bb.405:                              ;   in Loop: Header=BB32_348 Depth=3
	v_bfe_u32 v34, v70, 16, 1
	v_add3_u32 v34, v70, v34, s86
                                        ; implicit-def: $vgpr70
; %bb.406:                              ;   in Loop: Header=BB32_348 Depth=3
	s_andn2_saveexec_b64 s[46:47], s[26:27]
; %bb.407:                              ;   in Loop: Header=BB32_348 Depth=3
	v_or_b32_e32 v34, 0x10000, v70
	v_cmp_eq_u32_sdwa s[26:27], v70, v3 src0_sel:WORD_0 src1_sel:DWORD
	s_nop 1
	v_cndmask_b32_e64 v34, v34, v70, s[26:27]
; %bb.408:                              ;   in Loop: Header=BB32_348 Depth=3
	s_or_b64 exec, exec, s[46:47]
	v_and_b32_e32 v27, 0xffff0000, v27
	v_and_b32_e32 v35, 0xffff0000, v35
	v_max_f32_e32 v35, v35, v35
	v_max_f32_e32 v27, v27, v27
	v_min_f32_e32 v70, v27, v35
	v_max_f32_e32 v27, v27, v35
	v_cndmask_b32_e32 v35, v27, v70, vcc
	v_and_b32_e32 v27, 0x7f800000, v35
	v_cmp_ne_u32_e64 s[26:27], s85, v27
                                        ; implicit-def: $vgpr27
	s_and_saveexec_b64 s[46:47], s[26:27]
	s_xor_b64 s[26:27], exec, s[46:47]
; %bb.409:                              ;   in Loop: Header=BB32_348 Depth=3
	v_bfe_u32 v27, v35, 16, 1
	v_add3_u32 v27, v35, v27, s86
                                        ; implicit-def: $vgpr35
; %bb.410:                              ;   in Loop: Header=BB32_348 Depth=3
	s_andn2_saveexec_b64 s[46:47], s[26:27]
; %bb.411:                              ;   in Loop: Header=BB32_348 Depth=3
	v_or_b32_e32 v27, 0x10000, v35
	v_cmp_eq_u32_sdwa s[26:27], v35, v3 src0_sel:WORD_0 src1_sel:DWORD
	s_nop 1
	v_cndmask_b32_e64 v27, v27, v35, s[26:27]
; %bb.412:                              ;   in Loop: Header=BB32_348 Depth=3
	s_or_b64 exec, exec, s[46:47]
	v_lshlrev_b32_e32 v35, 16, v16
	v_lshlrev_b32_e32 v70, 16, v20
	v_max_f32_e32 v70, v70, v70
	v_max_f32_e32 v35, v35, v35
	v_min_f32_e32 v71, v35, v70
	v_max_f32_e32 v35, v35, v70
	v_cndmask_b32_e32 v70, v35, v71, vcc
	v_and_b32_e32 v35, 0x7f800000, v70
	v_cmp_ne_u32_e64 s[26:27], s85, v35
                                        ; implicit-def: $vgpr35
	s_and_saveexec_b64 s[46:47], s[26:27]
	s_xor_b64 s[26:27], exec, s[46:47]
; %bb.413:                              ;   in Loop: Header=BB32_348 Depth=3
	v_bfe_u32 v35, v70, 16, 1
	v_add3_u32 v35, v70, v35, s86
                                        ; implicit-def: $vgpr70
; %bb.414:                              ;   in Loop: Header=BB32_348 Depth=3
	s_andn2_saveexec_b64 s[46:47], s[26:27]
; %bb.415:                              ;   in Loop: Header=BB32_348 Depth=3
	v_or_b32_e32 v35, 0x10000, v70
	v_cmp_eq_u32_sdwa s[26:27], v70, v3 src0_sel:WORD_0 src1_sel:DWORD
	s_nop 1
	v_cndmask_b32_e64 v35, v35, v70, s[26:27]
; %bb.416:                              ;   in Loop: Header=BB32_348 Depth=3
	s_or_b64 exec, exec, s[46:47]
	v_and_b32_e32 v16, 0xffff0000, v16
	v_and_b32_e32 v20, 0xffff0000, v20
	v_max_f32_e32 v20, v20, v20
	v_max_f32_e32 v16, v16, v16
	v_min_f32_e32 v70, v16, v20
	v_max_f32_e32 v16, v16, v20
	v_cndmask_b32_e32 v20, v16, v70, vcc
	v_and_b32_e32 v16, 0x7f800000, v20
	v_cmp_ne_u32_e64 s[26:27], s85, v16
                                        ; implicit-def: $vgpr16
	s_and_saveexec_b64 s[46:47], s[26:27]
	s_xor_b64 s[26:27], exec, s[46:47]
; %bb.417:                              ;   in Loop: Header=BB32_348 Depth=3
	v_bfe_u32 v16, v20, 16, 1
	v_add3_u32 v16, v20, v16, s86
                                        ; implicit-def: $vgpr20
; %bb.418:                              ;   in Loop: Header=BB32_348 Depth=3
	s_andn2_saveexec_b64 s[46:47], s[26:27]
; %bb.419:                              ;   in Loop: Header=BB32_348 Depth=3
	v_or_b32_e32 v16, 0x10000, v20
	v_cmp_eq_u32_sdwa s[26:27], v20, v3 src0_sel:WORD_0 src1_sel:DWORD
	s_nop 1
	v_cndmask_b32_e64 v16, v16, v20, s[26:27]
; %bb.420:                              ;   in Loop: Header=BB32_348 Depth=3
	s_or_b64 exec, exec, s[46:47]
	v_lshlrev_b32_e32 v20, 16, v17
	v_lshlrev_b32_e32 v70, 16, v21
	v_max_f32_e32 v70, v70, v70
	v_max_f32_e32 v20, v20, v20
	v_min_f32_e32 v71, v20, v70
	v_max_f32_e32 v20, v20, v70
	v_cndmask_b32_e32 v70, v20, v71, vcc
	v_and_b32_e32 v20, 0x7f800000, v70
	v_cmp_ne_u32_e64 s[26:27], s85, v20
                                        ; implicit-def: $vgpr20
	s_and_saveexec_b64 s[46:47], s[26:27]
	s_xor_b64 s[26:27], exec, s[46:47]
; %bb.421:                              ;   in Loop: Header=BB32_348 Depth=3
	v_bfe_u32 v20, v70, 16, 1
	v_add3_u32 v20, v70, v20, s86
                                        ; implicit-def: $vgpr70
; %bb.422:                              ;   in Loop: Header=BB32_348 Depth=3
	s_andn2_saveexec_b64 s[46:47], s[26:27]
; %bb.423:                              ;   in Loop: Header=BB32_348 Depth=3
	v_or_b32_e32 v20, 0x10000, v70
	v_cmp_eq_u32_sdwa s[26:27], v70, v3 src0_sel:WORD_0 src1_sel:DWORD
	s_nop 1
	v_cndmask_b32_e64 v20, v20, v70, s[26:27]
; %bb.424:                              ;   in Loop: Header=BB32_348 Depth=3
	s_or_b64 exec, exec, s[46:47]
	v_and_b32_e32 v17, 0xffff0000, v17
	v_and_b32_e32 v21, 0xffff0000, v21
	v_max_f32_e32 v21, v21, v21
	v_max_f32_e32 v17, v17, v17
	v_min_f32_e32 v70, v17, v21
	v_max_f32_e32 v17, v17, v21
	v_cndmask_b32_e32 v21, v17, v70, vcc
	v_and_b32_e32 v17, 0x7f800000, v21
	v_cmp_ne_u32_e64 s[26:27], s85, v17
                                        ; implicit-def: $vgpr17
	s_and_saveexec_b64 s[46:47], s[26:27]
	s_xor_b64 s[26:27], exec, s[46:47]
; %bb.425:                              ;   in Loop: Header=BB32_348 Depth=3
	v_bfe_u32 v17, v21, 16, 1
	v_add3_u32 v17, v21, v17, s86
                                        ; implicit-def: $vgpr21
; %bb.426:                              ;   in Loop: Header=BB32_348 Depth=3
	s_andn2_saveexec_b64 s[46:47], s[26:27]
; %bb.427:                              ;   in Loop: Header=BB32_348 Depth=3
	v_or_b32_e32 v17, 0x10000, v21
	v_cmp_eq_u32_sdwa s[26:27], v21, v3 src0_sel:WORD_0 src1_sel:DWORD
	s_nop 1
	v_cndmask_b32_e64 v17, v17, v21, s[26:27]
; %bb.428:                              ;   in Loop: Header=BB32_348 Depth=3
	s_or_b64 exec, exec, s[46:47]
	v_lshlrev_b32_e32 v21, 16, v18
	v_lshlrev_b32_e32 v70, 16, v22
	v_max_f32_e32 v70, v70, v70
	v_max_f32_e32 v21, v21, v21
	v_min_f32_e32 v71, v21, v70
	v_max_f32_e32 v21, v21, v70
	v_cndmask_b32_e32 v70, v21, v71, vcc
	v_and_b32_e32 v21, 0x7f800000, v70
	v_cmp_ne_u32_e64 s[26:27], s85, v21
                                        ; implicit-def: $vgpr21
	s_and_saveexec_b64 s[46:47], s[26:27]
	s_xor_b64 s[26:27], exec, s[46:47]
; %bb.429:                              ;   in Loop: Header=BB32_348 Depth=3
	v_bfe_u32 v21, v70, 16, 1
	v_add3_u32 v21, v70, v21, s86
                                        ; implicit-def: $vgpr70
; %bb.430:                              ;   in Loop: Header=BB32_348 Depth=3
	s_andn2_saveexec_b64 s[46:47], s[26:27]
; %bb.431:                              ;   in Loop: Header=BB32_348 Depth=3
	v_or_b32_e32 v21, 0x10000, v70
	v_cmp_eq_u32_sdwa s[26:27], v70, v3 src0_sel:WORD_0 src1_sel:DWORD
	s_nop 1
	v_cndmask_b32_e64 v21, v21, v70, s[26:27]
; %bb.432:                              ;   in Loop: Header=BB32_348 Depth=3
	s_or_b64 exec, exec, s[46:47]
	v_and_b32_e32 v18, 0xffff0000, v18
	v_and_b32_e32 v22, 0xffff0000, v22
	v_max_f32_e32 v22, v22, v22
	v_max_f32_e32 v18, v18, v18
	v_min_f32_e32 v70, v18, v22
	v_max_f32_e32 v18, v18, v22
	v_cndmask_b32_e32 v22, v18, v70, vcc
	v_and_b32_e32 v18, 0x7f800000, v22
	v_cmp_ne_u32_e64 s[26:27], s85, v18
                                        ; implicit-def: $vgpr18
	s_and_saveexec_b64 s[46:47], s[26:27]
	s_xor_b64 s[26:27], exec, s[46:47]
; %bb.433:                              ;   in Loop: Header=BB32_348 Depth=3
	v_bfe_u32 v18, v22, 16, 1
	v_add3_u32 v18, v22, v18, s86
                                        ; implicit-def: $vgpr22
; %bb.434:                              ;   in Loop: Header=BB32_348 Depth=3
	s_andn2_saveexec_b64 s[46:47], s[26:27]
; %bb.435:                              ;   in Loop: Header=BB32_348 Depth=3
	v_or_b32_e32 v18, 0x10000, v22
	v_cmp_eq_u32_sdwa s[26:27], v22, v3 src0_sel:WORD_0 src1_sel:DWORD
	s_nop 1
	v_cndmask_b32_e64 v18, v18, v22, s[26:27]
; %bb.436:                              ;   in Loop: Header=BB32_348 Depth=3
	s_or_b64 exec, exec, s[46:47]
	v_lshlrev_b32_e32 v22, 16, v19
	v_lshlrev_b32_e32 v70, 16, v23
	v_max_f32_e32 v70, v70, v70
	v_max_f32_e32 v22, v22, v22
	v_min_f32_e32 v71, v22, v70
	v_max_f32_e32 v22, v22, v70
	v_cndmask_b32_e32 v70, v22, v71, vcc
	v_and_b32_e32 v22, 0x7f800000, v70
	v_cmp_ne_u32_e64 s[26:27], s85, v22
                                        ; implicit-def: $vgpr22
	s_and_saveexec_b64 s[46:47], s[26:27]
	s_xor_b64 s[26:27], exec, s[46:47]
; %bb.437:                              ;   in Loop: Header=BB32_348 Depth=3
	v_bfe_u32 v22, v70, 16, 1
	v_add3_u32 v22, v70, v22, s86
                                        ; implicit-def: $vgpr70
; %bb.438:                              ;   in Loop: Header=BB32_348 Depth=3
	s_andn2_saveexec_b64 s[46:47], s[26:27]
; %bb.439:                              ;   in Loop: Header=BB32_348 Depth=3
	v_or_b32_e32 v22, 0x10000, v70
	v_cmp_eq_u32_sdwa s[26:27], v70, v3 src0_sel:WORD_0 src1_sel:DWORD
	s_nop 1
	v_cndmask_b32_e64 v22, v22, v70, s[26:27]
; %bb.440:                              ;   in Loop: Header=BB32_348 Depth=3
	s_or_b64 exec, exec, s[46:47]
	v_and_b32_e32 v19, 0xffff0000, v19
	v_and_b32_e32 v23, 0xffff0000, v23
	v_max_f32_e32 v23, v23, v23
	v_max_f32_e32 v19, v19, v19
	v_min_f32_e32 v70, v19, v23
	v_max_f32_e32 v19, v19, v23
	v_cndmask_b32_e32 v23, v19, v70, vcc
	v_and_b32_e32 v19, 0x7f800000, v23
	v_cmp_ne_u32_e64 s[26:27], s85, v19
                                        ; implicit-def: $vgpr19
	s_and_saveexec_b64 s[46:47], s[26:27]
	s_xor_b64 s[26:27], exec, s[46:47]
; %bb.441:                              ;   in Loop: Header=BB32_348 Depth=3
	v_bfe_u32 v19, v23, 16, 1
	v_add3_u32 v19, v23, v19, s86
                                        ; implicit-def: $vgpr23
; %bb.442:                              ;   in Loop: Header=BB32_348 Depth=3
	s_andn2_saveexec_b64 s[46:47], s[26:27]
; %bb.443:                              ;   in Loop: Header=BB32_348 Depth=3
	v_or_b32_e32 v19, 0x10000, v23
	v_cmp_eq_u32_sdwa s[26:27], v23, v3 src0_sel:WORD_0 src1_sel:DWORD
	s_nop 1
	v_cndmask_b32_e64 v19, v19, v23, s[26:27]
; %bb.444:                              ;   in Loop: Header=BB32_348 Depth=3
	s_or_b64 exec, exec, s[46:47]
	v_lshlrev_b32_e32 v23, 16, v8
	v_lshlrev_b32_e32 v70, 16, v12
	v_max_f32_e32 v70, v70, v70
	v_max_f32_e32 v23, v23, v23
	v_min_f32_e32 v71, v23, v70
	v_max_f32_e32 v23, v23, v70
	v_cndmask_b32_e32 v70, v23, v71, vcc
	v_and_b32_e32 v23, 0x7f800000, v70
	v_cmp_ne_u32_e64 s[26:27], s85, v23
                                        ; implicit-def: $vgpr23
	s_and_saveexec_b64 s[46:47], s[26:27]
	s_xor_b64 s[26:27], exec, s[46:47]
; %bb.445:                              ;   in Loop: Header=BB32_348 Depth=3
	v_bfe_u32 v23, v70, 16, 1
	v_add3_u32 v23, v70, v23, s86
                                        ; implicit-def: $vgpr70
; %bb.446:                              ;   in Loop: Header=BB32_348 Depth=3
	s_andn2_saveexec_b64 s[46:47], s[26:27]
; %bb.447:                              ;   in Loop: Header=BB32_348 Depth=3
	v_or_b32_e32 v23, 0x10000, v70
	v_cmp_eq_u32_sdwa s[26:27], v70, v3 src0_sel:WORD_0 src1_sel:DWORD
	s_nop 1
	v_cndmask_b32_e64 v23, v23, v70, s[26:27]
; %bb.448:                              ;   in Loop: Header=BB32_348 Depth=3
	s_or_b64 exec, exec, s[46:47]
	v_and_b32_e32 v8, 0xffff0000, v8
	v_and_b32_e32 v12, 0xffff0000, v12
	v_max_f32_e32 v12, v12, v12
	v_max_f32_e32 v8, v8, v8
	v_min_f32_e32 v70, v8, v12
	v_max_f32_e32 v8, v8, v12
	v_cndmask_b32_e32 v12, v8, v70, vcc
	v_and_b32_e32 v8, 0x7f800000, v12
	v_cmp_ne_u32_e64 s[26:27], s85, v8
                                        ; implicit-def: $vgpr8
	s_and_saveexec_b64 s[46:47], s[26:27]
	s_xor_b64 s[26:27], exec, s[46:47]
; %bb.449:                              ;   in Loop: Header=BB32_348 Depth=3
	v_bfe_u32 v8, v12, 16, 1
	v_add3_u32 v8, v12, v8, s86
                                        ; implicit-def: $vgpr12
; %bb.450:                              ;   in Loop: Header=BB32_348 Depth=3
	s_andn2_saveexec_b64 s[46:47], s[26:27]
; %bb.451:                              ;   in Loop: Header=BB32_348 Depth=3
	v_or_b32_e32 v8, 0x10000, v12
	v_cmp_eq_u32_sdwa s[26:27], v12, v3 src0_sel:WORD_0 src1_sel:DWORD
	s_nop 1
	v_cndmask_b32_e64 v8, v8, v12, s[26:27]
; %bb.452:                              ;   in Loop: Header=BB32_348 Depth=3
	s_or_b64 exec, exec, s[46:47]
	v_lshlrev_b32_e32 v12, 16, v9
	v_lshlrev_b32_e32 v70, 16, v13
	v_max_f32_e32 v70, v70, v70
	v_max_f32_e32 v12, v12, v12
	v_min_f32_e32 v71, v12, v70
	v_max_f32_e32 v12, v12, v70
	v_cndmask_b32_e32 v70, v12, v71, vcc
	v_and_b32_e32 v12, 0x7f800000, v70
	v_cmp_ne_u32_e64 s[26:27], s85, v12
                                        ; implicit-def: $vgpr12
	s_and_saveexec_b64 s[46:47], s[26:27]
	s_xor_b64 s[26:27], exec, s[46:47]
; %bb.453:                              ;   in Loop: Header=BB32_348 Depth=3
	v_bfe_u32 v12, v70, 16, 1
	v_add3_u32 v12, v70, v12, s86
                                        ; implicit-def: $vgpr70
; %bb.454:                              ;   in Loop: Header=BB32_348 Depth=3
	s_andn2_saveexec_b64 s[46:47], s[26:27]
; %bb.455:                              ;   in Loop: Header=BB32_348 Depth=3
	v_or_b32_e32 v12, 0x10000, v70
	v_cmp_eq_u32_sdwa s[26:27], v70, v3 src0_sel:WORD_0 src1_sel:DWORD
	s_nop 1
	v_cndmask_b32_e64 v12, v12, v70, s[26:27]
; %bb.456:                              ;   in Loop: Header=BB32_348 Depth=3
	s_or_b64 exec, exec, s[46:47]
	v_and_b32_e32 v9, 0xffff0000, v9
	v_and_b32_e32 v13, 0xffff0000, v13
	v_max_f32_e32 v13, v13, v13
	v_max_f32_e32 v9, v9, v9
	v_min_f32_e32 v70, v9, v13
	v_max_f32_e32 v9, v9, v13
	v_cndmask_b32_e32 v13, v9, v70, vcc
	v_and_b32_e32 v9, 0x7f800000, v13
	v_cmp_ne_u32_e64 s[26:27], s85, v9
                                        ; implicit-def: $vgpr9
	s_and_saveexec_b64 s[46:47], s[26:27]
	s_xor_b64 s[26:27], exec, s[46:47]
; %bb.457:                              ;   in Loop: Header=BB32_348 Depth=3
	v_bfe_u32 v9, v13, 16, 1
	v_add3_u32 v9, v13, v9, s86
                                        ; implicit-def: $vgpr13
; %bb.458:                              ;   in Loop: Header=BB32_348 Depth=3
	s_andn2_saveexec_b64 s[46:47], s[26:27]
; %bb.459:                              ;   in Loop: Header=BB32_348 Depth=3
	v_or_b32_e32 v9, 0x10000, v13
	v_cmp_eq_u32_sdwa s[26:27], v13, v3 src0_sel:WORD_0 src1_sel:DWORD
	s_nop 1
	v_cndmask_b32_e64 v9, v9, v13, s[26:27]
; %bb.460:                              ;   in Loop: Header=BB32_348 Depth=3
	s_or_b64 exec, exec, s[46:47]
	v_lshlrev_b32_e32 v13, 16, v10
	v_lshlrev_b32_e32 v70, 16, v14
	v_max_f32_e32 v70, v70, v70
	v_max_f32_e32 v13, v13, v13
	v_min_f32_e32 v71, v13, v70
	v_max_f32_e32 v13, v13, v70
	v_cndmask_b32_e32 v70, v13, v71, vcc
	v_and_b32_e32 v13, 0x7f800000, v70
	v_cmp_ne_u32_e64 s[26:27], s85, v13
                                        ; implicit-def: $vgpr13
	s_and_saveexec_b64 s[46:47], s[26:27]
	s_xor_b64 s[26:27], exec, s[46:47]
; %bb.461:                              ;   in Loop: Header=BB32_348 Depth=3
	v_bfe_u32 v13, v70, 16, 1
	v_add3_u32 v13, v70, v13, s86
                                        ; implicit-def: $vgpr70
; %bb.462:                              ;   in Loop: Header=BB32_348 Depth=3
	s_andn2_saveexec_b64 s[46:47], s[26:27]
; %bb.463:                              ;   in Loop: Header=BB32_348 Depth=3
	v_or_b32_e32 v13, 0x10000, v70
	v_cmp_eq_u32_sdwa s[26:27], v70, v3 src0_sel:WORD_0 src1_sel:DWORD
	s_nop 1
	v_cndmask_b32_e64 v13, v13, v70, s[26:27]
; %bb.464:                              ;   in Loop: Header=BB32_348 Depth=3
	s_or_b64 exec, exec, s[46:47]
	v_and_b32_e32 v10, 0xffff0000, v10
	v_and_b32_e32 v14, 0xffff0000, v14
	v_max_f32_e32 v14, v14, v14
	v_max_f32_e32 v10, v10, v10
	v_min_f32_e32 v70, v10, v14
	v_max_f32_e32 v10, v10, v14
	v_cndmask_b32_e32 v14, v10, v70, vcc
	v_and_b32_e32 v10, 0x7f800000, v14
	v_cmp_ne_u32_e64 s[26:27], s85, v10
                                        ; implicit-def: $vgpr10
	s_and_saveexec_b64 s[46:47], s[26:27]
	s_xor_b64 s[26:27], exec, s[46:47]
; %bb.465:                              ;   in Loop: Header=BB32_348 Depth=3
	v_bfe_u32 v10, v14, 16, 1
	v_add3_u32 v10, v14, v10, s86
                                        ; implicit-def: $vgpr14
; %bb.466:                              ;   in Loop: Header=BB32_348 Depth=3
	s_andn2_saveexec_b64 s[46:47], s[26:27]
; %bb.467:                              ;   in Loop: Header=BB32_348 Depth=3
	v_or_b32_e32 v10, 0x10000, v14
	v_cmp_eq_u32_sdwa s[26:27], v14, v3 src0_sel:WORD_0 src1_sel:DWORD
	s_nop 1
	v_cndmask_b32_e64 v10, v10, v14, s[26:27]
; %bb.468:                              ;   in Loop: Header=BB32_348 Depth=3
	s_or_b64 exec, exec, s[46:47]
	v_lshlrev_b32_e32 v14, 16, v11
	v_lshlrev_b32_e32 v70, 16, v15
	v_max_f32_e32 v70, v70, v70
	v_max_f32_e32 v14, v14, v14
	v_min_f32_e32 v71, v14, v70
	v_max_f32_e32 v14, v14, v70
	v_cndmask_b32_e32 v70, v14, v71, vcc
	v_and_b32_e32 v14, 0x7f800000, v70
	v_cmp_ne_u32_e64 s[26:27], s85, v14
                                        ; implicit-def: $vgpr14
	s_and_saveexec_b64 s[46:47], s[26:27]
	s_xor_b64 s[26:27], exec, s[46:47]
; %bb.469:                              ;   in Loop: Header=BB32_348 Depth=3
	v_bfe_u32 v14, v70, 16, 1
	v_add3_u32 v14, v70, v14, s86
                                        ; implicit-def: $vgpr70
; %bb.470:                              ;   in Loop: Header=BB32_348 Depth=3
	s_andn2_saveexec_b64 s[46:47], s[26:27]
; %bb.471:                              ;   in Loop: Header=BB32_348 Depth=3
	v_or_b32_e32 v14, 0x10000, v70
	v_cmp_eq_u32_sdwa s[26:27], v70, v3 src0_sel:WORD_0 src1_sel:DWORD
	s_nop 1
	v_cndmask_b32_e64 v14, v14, v70, s[26:27]
; %bb.472:                              ;   in Loop: Header=BB32_348 Depth=3
	s_or_b64 exec, exec, s[46:47]
	v_and_b32_e32 v11, 0xffff0000, v11
	v_and_b32_e32 v15, 0xffff0000, v15
	v_max_f32_e32 v15, v15, v15
	v_max_f32_e32 v11, v11, v11
	v_min_f32_e32 v70, v11, v15
	v_max_f32_e32 v11, v11, v15
	v_cndmask_b32_e32 v15, v11, v70, vcc
	v_and_b32_e32 v11, 0x7f800000, v15
	v_cmp_ne_u32_e64 s[26:27], s85, v11
                                        ; implicit-def: $vgpr11
	s_and_saveexec_b64 s[46:47], s[26:27]
	s_xor_b64 s[26:27], exec, s[46:47]
; %bb.473:                              ;   in Loop: Header=BB32_348 Depth=3
	v_bfe_u32 v11, v15, 16, 1
	v_add3_u32 v11, v15, v11, s86
                                        ; implicit-def: $vgpr15
; %bb.474:                              ;   in Loop: Header=BB32_348 Depth=3
	s_andn2_saveexec_b64 s[46:47], s[26:27]
	s_cbranch_execz .LBB32_347
; %bb.475:                              ;   in Loop: Header=BB32_348 Depth=3
	v_or_b32_e32 v11, 0x10000, v15
	v_cmp_eq_u32_sdwa s[26:27], v15, v3 src0_sel:WORD_0 src1_sel:DWORD
	s_nop 1
	v_cndmask_b32_e64 v11, v11, v15, s[26:27]
	s_branch .LBB32_347
.LBB32_476:                             ;   in Loop: Header=BB32_265 Depth=2
	s_or_b64 exec, exec, s[44:45]
.LBB32_477:                             ;   in Loop: Header=BB32_265 Depth=2
	s_or_b64 exec, exec, s[28:29]
	v_lshlrev_b32_e32 v20, 12, v29
	v_cmp_ne_u32_e32 vcc, v0, v20
	s_mov_b64 s[26:27], 0
	v_mov_b32_e32 v12, 0
                                        ; implicit-def: $vgpr13
	s_and_saveexec_b64 s[44:45], vcc
	s_cbranch_execz .LBB32_515
; %bb.478:                              ;   in Loop: Header=BB32_265 Depth=2
	scratch_load_dword v4, off, s33 offset:208 ; 4-byte Folded Reload
	v_lshlrev_b32_e32 v2, 6, v2
	v_sub_u32_e32 v5, v0, v20
	v_ashrrev_i32_e32 v9, 31, v5
	v_lshrrev_b32_e32 v9, 22, v9
	v_add_u32_e32 v9, v5, v9
	v_and_b32_e32 v21, 0xfffffc00, v9
	v_sub_u32_e32 v22, v5, v21
	v_ashrrev_i32_e32 v10, 10, v9
	v_cmp_lt_i32_e32 vcc, 15, v22
	s_waitcnt vmcnt(0)
	v_sub_u32_e32 v2, v4, v2
	v_ashrrev_i32_e32 v4, 31, v2
	v_lshrrev_b32_e32 v4, 26, v4
	v_add_u32_e32 v4, v2, v4
	v_ashrrev_i32_e32 v8, 6, v4
	v_and_b32_e32 v4, 0xffffffc0, v4
	v_sub_u32_e32 v2, v2, v4
	v_lshlrev_b32_e32 v4, 4, v2
	v_lshl_add_u32 v4, v8, 10, v4
	v_sub_u32_e32 v24, v5, v4
	v_addc_co_u32_e64 v5, s[26:27], 0, v10, vcc
	v_sub_u32_e32 v23, v5, v8
	v_cmp_lt_i32_e64 s[26:27], 15, v24
	s_and_saveexec_b64 s[46:47], s[26:27]
	s_cbranch_execz .LBB32_514
; %bb.479:                              ;   in Loop: Header=BB32_265 Depth=2
	s_trap 2
	ds_read_b64 v[8:9], v0
	v_add_u32_e32 v10, v4, v20
	s_and_b32 s76, s60, 1
	v_ashrrev_i32_e32 v11, 31, v10
	s_cmp_eq_u64 s[76:77], 0
	v_lshl_add_u64 v[4:5], v[10:11], 0, v[52:53]
	s_waitcnt lgkmcnt(0)
	v_lshl_add_u64 v[16:17], v[8:9], 0, v[10:11]
	v_lshl_add_u64 v[18:19], v[10:11], 0, v[54:55]
	s_mov_b64 s[56:57], 0
	s_cselect_b64 s[26:27], -1, 0
	s_branch .LBB32_481
.LBB32_480:                             ;   in Loop: Header=BB32_481 Depth=3
	s_or_b64 exec, exec, s[58:59]
	v_lshrrev_b32_e32 v12, 16, v12
	v_and_or_b32 v9, v9, s87, v12
	v_lshrrev_b32_e32 v12, 16, v25
	v_and_or_b32 v8, v8, s87, v12
	;; [unrolled: 2-line block ×3, first 2 shown]
	v_lshrrev_b32_e32 v12, 16, v14
	v_sub_u32_e32 v24, v24, v76
	v_and_or_b32 v11, v11, s87, v12
	v_cmp_gt_i32_e64 s[28:29], 16, v24
	global_store_dwordx4 v[18:19], v[8:11], off
	v_lshl_add_u64 v[4:5], v[4:5], 0, v[76:77]
	v_lshl_add_u64 v[16:17], v[16:17], 0, v[76:77]
	;; [unrolled: 1-line block ×3, first 2 shown]
	s_or_b64 s[56:57], s[28:29], s[56:57]
	v_sub_u32_e32 v23, v23, v60
	s_andn2_b64 exec, exec, s[56:57]
	s_cbranch_execz .LBB32_513
.LBB32_481:                             ;   Parent Loop BB32_47 Depth=1
                                        ;     Parent Loop BB32_265 Depth=2
                                        ; =>    This Inner Loop Header: Depth=3
	global_load_dwordx4 v[8:11], v[16:17], off nt
	global_load_dwordx4 v[12:15], v[4:5], off nt
	s_waitcnt vmcnt(1)
	v_lshlrev_b32_e32 v25, 16, v8
	s_waitcnt vmcnt(0)
	v_lshlrev_b32_e32 v26, 16, v12
	v_max_f32_e32 v25, v25, v25
	v_max_f32_e32 v26, v26, v26
	v_min_f32_e32 v27, v26, v25
	v_max_f32_e32 v25, v26, v25
	v_cndmask_b32_e64 v26, v25, v27, s[26:27]
	v_and_b32_e32 v25, 0x7f800000, v26
	v_cmp_ne_u32_e64 s[28:29], s85, v25
                                        ; implicit-def: $vgpr25
	s_and_saveexec_b64 s[58:59], s[28:29]
	s_xor_b64 s[28:29], exec, s[58:59]
; %bb.482:                              ;   in Loop: Header=BB32_481 Depth=3
	v_bfe_u32 v25, v26, 16, 1
	v_add3_u32 v25, v26, v25, s86
                                        ; implicit-def: $vgpr26
; %bb.483:                              ;   in Loop: Header=BB32_481 Depth=3
	s_andn2_saveexec_b64 s[58:59], s[28:29]
; %bb.484:                              ;   in Loop: Header=BB32_481 Depth=3
	v_or_b32_e32 v25, 0x10000, v26
	v_cmp_eq_u32_sdwa s[28:29], v26, v3 src0_sel:WORD_0 src1_sel:DWORD
	s_nop 1
	v_cndmask_b32_e64 v25, v25, v26, s[28:29]
; %bb.485:                              ;   in Loop: Header=BB32_481 Depth=3
	s_or_b64 exec, exec, s[58:59]
	v_and_b32_e32 v8, 0xffff0000, v8
	v_and_b32_e32 v12, 0xffff0000, v12
	v_max_f32_e32 v8, v8, v8
	v_max_f32_e32 v12, v12, v12
	v_min_f32_e32 v26, v12, v8
	v_max_f32_e32 v8, v12, v8
	v_cndmask_b32_e64 v12, v8, v26, s[26:27]
	v_and_b32_e32 v8, 0x7f800000, v12
	v_cmp_ne_u32_e64 s[28:29], s85, v8
                                        ; implicit-def: $vgpr8
	s_and_saveexec_b64 s[58:59], s[28:29]
	s_xor_b64 s[28:29], exec, s[58:59]
; %bb.486:                              ;   in Loop: Header=BB32_481 Depth=3
	v_bfe_u32 v8, v12, 16, 1
	v_add3_u32 v8, v12, v8, s86
                                        ; implicit-def: $vgpr12
; %bb.487:                              ;   in Loop: Header=BB32_481 Depth=3
	s_andn2_saveexec_b64 s[58:59], s[28:29]
; %bb.488:                              ;   in Loop: Header=BB32_481 Depth=3
	v_or_b32_e32 v8, 0x10000, v12
	v_cmp_eq_u32_sdwa s[28:29], v12, v3 src0_sel:WORD_0 src1_sel:DWORD
	s_nop 1
	v_cndmask_b32_e64 v8, v8, v12, s[28:29]
; %bb.489:                              ;   in Loop: Header=BB32_481 Depth=3
	s_or_b64 exec, exec, s[58:59]
	v_lshlrev_b32_e32 v12, 16, v9
	v_lshlrev_b32_e32 v26, 16, v13
	v_max_f32_e32 v12, v12, v12
	v_max_f32_e32 v26, v26, v26
	v_min_f32_e32 v27, v26, v12
	v_max_f32_e32 v12, v26, v12
	v_cndmask_b32_e64 v26, v12, v27, s[26:27]
	v_and_b32_e32 v12, 0x7f800000, v26
	v_cmp_ne_u32_e64 s[28:29], s85, v12
                                        ; implicit-def: $vgpr12
	s_and_saveexec_b64 s[58:59], s[28:29]
	s_xor_b64 s[28:29], exec, s[58:59]
; %bb.490:                              ;   in Loop: Header=BB32_481 Depth=3
	v_bfe_u32 v12, v26, 16, 1
	v_add3_u32 v12, v26, v12, s86
                                        ; implicit-def: $vgpr26
; %bb.491:                              ;   in Loop: Header=BB32_481 Depth=3
	s_andn2_saveexec_b64 s[58:59], s[28:29]
; %bb.492:                              ;   in Loop: Header=BB32_481 Depth=3
	v_or_b32_e32 v12, 0x10000, v26
	v_cmp_eq_u32_sdwa s[28:29], v26, v3 src0_sel:WORD_0 src1_sel:DWORD
	s_nop 1
	v_cndmask_b32_e64 v12, v12, v26, s[28:29]
; %bb.493:                              ;   in Loop: Header=BB32_481 Depth=3
	s_or_b64 exec, exec, s[58:59]
	v_and_b32_e32 v13, 0xffff0000, v13
	v_and_b32_e32 v9, 0xffff0000, v9
	v_max_f32_e32 v9, v9, v9
	v_max_f32_e32 v13, v13, v13
	v_min_f32_e32 v26, v13, v9
	v_max_f32_e32 v9, v13, v9
	v_cndmask_b32_e64 v13, v9, v26, s[26:27]
	v_and_b32_e32 v9, 0x7f800000, v13
	v_cmp_ne_u32_e64 s[28:29], s85, v9
                                        ; implicit-def: $vgpr9
	s_and_saveexec_b64 s[58:59], s[28:29]
	s_xor_b64 s[28:29], exec, s[58:59]
; %bb.494:                              ;   in Loop: Header=BB32_481 Depth=3
	v_bfe_u32 v9, v13, 16, 1
	v_add3_u32 v9, v13, v9, s86
                                        ; implicit-def: $vgpr13
; %bb.495:                              ;   in Loop: Header=BB32_481 Depth=3
	s_andn2_saveexec_b64 s[58:59], s[28:29]
; %bb.496:                              ;   in Loop: Header=BB32_481 Depth=3
	v_or_b32_e32 v9, 0x10000, v13
	v_cmp_eq_u32_sdwa s[28:29], v13, v3 src0_sel:WORD_0 src1_sel:DWORD
	s_nop 1
	v_cndmask_b32_e64 v9, v9, v13, s[28:29]
; %bb.497:                              ;   in Loop: Header=BB32_481 Depth=3
	s_or_b64 exec, exec, s[58:59]
	v_lshlrev_b32_e32 v13, 16, v10
	v_lshlrev_b32_e32 v26, 16, v14
	v_max_f32_e32 v13, v13, v13
	v_max_f32_e32 v26, v26, v26
	v_min_f32_e32 v27, v26, v13
	v_max_f32_e32 v13, v26, v13
	v_cndmask_b32_e64 v26, v13, v27, s[26:27]
	v_and_b32_e32 v13, 0x7f800000, v26
	v_cmp_ne_u32_e64 s[28:29], s85, v13
                                        ; implicit-def: $vgpr13
	s_and_saveexec_b64 s[58:59], s[28:29]
	s_xor_b64 s[28:29], exec, s[58:59]
; %bb.498:                              ;   in Loop: Header=BB32_481 Depth=3
	v_bfe_u32 v13, v26, 16, 1
	v_add3_u32 v13, v26, v13, s86
                                        ; implicit-def: $vgpr26
; %bb.499:                              ;   in Loop: Header=BB32_481 Depth=3
	s_andn2_saveexec_b64 s[58:59], s[28:29]
; %bb.500:                              ;   in Loop: Header=BB32_481 Depth=3
	v_or_b32_e32 v13, 0x10000, v26
	v_cmp_eq_u32_sdwa s[28:29], v26, v3 src0_sel:WORD_0 src1_sel:DWORD
	s_nop 1
	v_cndmask_b32_e64 v13, v13, v26, s[28:29]
; %bb.501:                              ;   in Loop: Header=BB32_481 Depth=3
	s_or_b64 exec, exec, s[58:59]
	v_and_b32_e32 v14, 0xffff0000, v14
	v_and_b32_e32 v10, 0xffff0000, v10
	v_max_f32_e32 v10, v10, v10
	v_max_f32_e32 v14, v14, v14
	v_min_f32_e32 v26, v14, v10
	v_max_f32_e32 v10, v14, v10
	v_cndmask_b32_e64 v14, v10, v26, s[26:27]
	v_and_b32_e32 v10, 0x7f800000, v14
	v_cmp_ne_u32_e64 s[28:29], s85, v10
                                        ; implicit-def: $vgpr10
	s_and_saveexec_b64 s[58:59], s[28:29]
	s_xor_b64 s[28:29], exec, s[58:59]
; %bb.502:                              ;   in Loop: Header=BB32_481 Depth=3
	v_bfe_u32 v10, v14, 16, 1
	v_add3_u32 v10, v14, v10, s86
                                        ; implicit-def: $vgpr14
; %bb.503:                              ;   in Loop: Header=BB32_481 Depth=3
	s_andn2_saveexec_b64 s[58:59], s[28:29]
; %bb.504:                              ;   in Loop: Header=BB32_481 Depth=3
	v_or_b32_e32 v10, 0x10000, v14
	v_cmp_eq_u32_sdwa s[28:29], v14, v3 src0_sel:WORD_0 src1_sel:DWORD
	s_nop 1
	v_cndmask_b32_e64 v10, v10, v14, s[28:29]
; %bb.505:                              ;   in Loop: Header=BB32_481 Depth=3
	s_or_b64 exec, exec, s[58:59]
	v_lshlrev_b32_e32 v14, 16, v11
	v_lshlrev_b32_e32 v26, 16, v15
	v_max_f32_e32 v14, v14, v14
	v_max_f32_e32 v26, v26, v26
	v_min_f32_e32 v27, v26, v14
	v_max_f32_e32 v14, v26, v14
	v_cndmask_b32_e64 v26, v14, v27, s[26:27]
	v_and_b32_e32 v14, 0x7f800000, v26
	v_cmp_ne_u32_e64 s[28:29], s85, v14
                                        ; implicit-def: $vgpr14
	s_and_saveexec_b64 s[58:59], s[28:29]
	s_xor_b64 s[28:29], exec, s[58:59]
; %bb.506:                              ;   in Loop: Header=BB32_481 Depth=3
	v_bfe_u32 v14, v26, 16, 1
	v_add3_u32 v14, v26, v14, s86
                                        ; implicit-def: $vgpr26
; %bb.507:                              ;   in Loop: Header=BB32_481 Depth=3
	s_andn2_saveexec_b64 s[58:59], s[28:29]
; %bb.508:                              ;   in Loop: Header=BB32_481 Depth=3
	v_or_b32_e32 v14, 0x10000, v26
	v_cmp_eq_u32_sdwa s[28:29], v26, v3 src0_sel:WORD_0 src1_sel:DWORD
	s_nop 1
	v_cndmask_b32_e64 v14, v14, v26, s[28:29]
; %bb.509:                              ;   in Loop: Header=BB32_481 Depth=3
	s_or_b64 exec, exec, s[58:59]
	v_and_b32_e32 v15, 0xffff0000, v15
	v_and_b32_e32 v11, 0xffff0000, v11
	v_max_f32_e32 v11, v11, v11
	v_max_f32_e32 v15, v15, v15
	v_min_f32_e32 v26, v15, v11
	v_max_f32_e32 v11, v15, v11
	v_cndmask_b32_e64 v15, v11, v26, s[26:27]
	v_and_b32_e32 v11, 0x7f800000, v15
	v_cmp_ne_u32_e64 s[28:29], s85, v11
                                        ; implicit-def: $vgpr11
	s_and_saveexec_b64 s[58:59], s[28:29]
	s_xor_b64 s[28:29], exec, s[58:59]
; %bb.510:                              ;   in Loop: Header=BB32_481 Depth=3
	v_bfe_u32 v11, v15, 16, 1
	v_add3_u32 v11, v15, v11, s86
                                        ; implicit-def: $vgpr15
; %bb.511:                              ;   in Loop: Header=BB32_481 Depth=3
	s_andn2_saveexec_b64 s[58:59], s[28:29]
	s_cbranch_execz .LBB32_480
; %bb.512:                              ;   in Loop: Header=BB32_481 Depth=3
	v_or_b32_e32 v11, 0x10000, v15
	v_cmp_eq_u32_sdwa s[28:29], v15, v3 src0_sel:WORD_0 src1_sel:DWORD
	s_nop 1
	v_cndmask_b32_e64 v11, v11, v15, s[28:29]
	s_branch .LBB32_480
.LBB32_513:                             ;   in Loop: Header=BB32_265 Depth=2
	s_or_b64 exec, exec, s[56:57]
.LBB32_514:                             ;   in Loop: Header=BB32_265 Depth=2
	s_or_b64 exec, exec, s[46:47]
	v_and_b32_e32 v0, 14, v0
	v_sub_u32_e32 v4, v22, v0
	v_cndmask_b32_e32 v4, 0, v4, vcc
	v_cndmask_b32_e32 v0, v22, v0, vcc
	v_cmp_lt_i32_e32 vcc, 0, v23
	v_add3_u32 v12, v21, v20, v4
	s_nop 0
	v_cndmask_b32_e32 v4, 0, v60, vcc
	v_sub_u32_e32 v4, v4, v23
	v_cmp_ne_u32_e32 vcc, 0, v0
	v_lshl_add_u32 v13, v4, 6, v2
	s_and_b64 s[26:27], vcc, exec
.LBB32_515:                             ;   in Loop: Header=BB32_265 Depth=2
	s_or_b64 exec, exec, s[44:45]
	s_and_saveexec_b64 s[28:29], s[26:27]
	s_cbranch_execz .LBB32_592
.LBB32_516:                             ;   in Loop: Header=BB32_265 Depth=2
	s_waitcnt vmcnt(0)
	v_ashrrev_i32_e32 v2, 31, v13
	v_ashrrev_i32_e32 v5, 31, v0
	v_lshrrev_b32_e32 v2, 26, v2
	v_lshrrev_b32_e32 v5, 21, v5
	v_add_u32_e32 v4, v13, v2
	v_add_u32_e32 v5, v0, v5
	v_ashrrev_i32_e32 v2, 6, v4
	v_ashrrev_i32_e32 v15, 11, v5
	v_sub_u32_e32 v14, v15, v2
	v_cmp_lt_i32_e32 vcc, 0, v14
	s_and_saveexec_b64 s[44:45], vcc
	s_cbranch_execz .LBB32_584
; %bb.517:                              ;   in Loop: Header=BB32_265 Depth=2
	v_and_b32_e32 v4, 0x7fffffc0, v4
	s_trap 2
	ds_read_b64 v[8:9], v0
	v_sub_u32_e32 v4, v13, v4
	v_lshlrev_b32_e32 v4, 1, v4
	v_lshlrev_b32_e32 v5, 11, v2
	v_add3_u32 v10, v4, v12, v5
	s_and_b32 s76, s60, 1
	v_ashrrev_i32_e32 v11, 31, v10
	s_cmp_eq_u64 s[76:77], 0
	v_lshl_add_u64 v[16:17], v[54:55], 0, s[36:37]
	v_mov_b32_e32 v81, 0xc8
	v_lshl_add_u64 v[4:5], v[10:11], 0, v[52:53]
	s_waitcnt lgkmcnt(0)
	v_lshl_add_u64 v[8:9], v[8:9], 0, v[10:11]
	s_mov_b64 s[46:47], 0
	s_cselect_b64 s[26:27], -1, 0
	v_lshl_add_u64 v[10:11], v[16:17], 0, v[10:11]
	s_branch .LBB32_519
.LBB32_518:                             ;   in Loop: Header=BB32_519 Depth=3
	s_or_b64 exec, exec, s[56:57]
	v_add_co_u32_e32 v50, vcc, 0xfffff880, v10
	v_sub_u32_e32 v14, v14, v60
	s_nop 0
	v_addc_co_u32_e32 v51, vcc, -1, v11, vcc
	flat_store_short_d16_hi v[50:51], v17 nt
	v_add_co_u32_e32 v50, vcc, 0xfffff900, v10
	v_lshl_add_u64 v[4:5], v[4:5], 0, v[78:79]
	s_nop 0
	v_addc_co_u32_e32 v51, vcc, -1, v11, vcc
	flat_store_short_d16_hi v[50:51], v20 nt
	v_add_co_u32_e32 v50, vcc, 0xfffff980, v10
	v_lshl_add_u64 v[8:9], v[8:9], 0, v[78:79]
	s_nop 0
	v_addc_co_u32_e32 v51, vcc, -1, v11, vcc
	flat_store_short_d16_hi v[50:51], v22 nt
	v_add_co_u32_e32 v22, vcc, 0xfffffa00, v10
	s_nop 1
	v_addc_co_u32_e32 v23, vcc, -1, v11, vcc
	flat_store_short_d16_hi v[22:23], v24 nt
	v_add_co_u32_e32 v22, vcc, 0xfffffa80, v10
	;; [unrolled: 4-line block ×11, first 2 shown]
	s_nop 1
	v_addc_co_u32_e32 v23, vcc, -1, v11, vcc
	v_add_co_u32_e32 v20, vcc, 0xffffff80, v10
	flat_store_short_d16_hi v[22:23], v21 nt
	s_nop 0
	v_addc_co_u32_e32 v21, vcc, -1, v11, vcc
	v_cmp_gt_i32_e32 vcc, 1, v14
	flat_store_short_d16_hi v[20:21], v18 nt
	flat_store_short_d16_hi v[10:11], v16 nt
	s_or_b64 s[46:47], vcc, s[46:47]
	v_lshl_add_u64 v[10:11], v[10:11], 0, v[78:79]
	s_andn2_b64 exec, exec, s[46:47]
	s_cbranch_execz .LBB32_583
.LBB32_519:                             ;   Parent Loop BB32_47 Depth=1
                                        ;     Parent Loop BB32_265 Depth=2
                                        ; =>    This Inner Loop Header: Depth=3
	flat_load_ushort v48, v[4:5] offset:1024 nt
	flat_load_ushort v37, v[4:5] offset:1152 nt
	;; [unrolled: 1-line block ×15, first 2 shown]
	flat_load_ushort v17, v[4:5] nt
	flat_load_ushort v70, v[8:9] offset:128 nt
	flat_load_ushort v69, v[8:9] offset:256 nt
	;; [unrolled: 1-line block ×7, first 2 shown]
	flat_load_ushort v71, v[8:9] nt
	flat_load_ushort v50, v[8:9] offset:1024 nt
	flat_load_ushort v49, v[8:9] offset:1152 nt
	;; [unrolled: 1-line block ×8, first 2 shown]
	s_waitcnt vmcnt(0) lgkmcnt(0)
	v_lshlrev_b32_e32 v17, 16, v17
	v_max_f32_e32 v17, v17, v17
	v_lshlrev_b32_e32 v71, 16, v71
	v_max_f32_e32 v71, v71, v71
	v_min_f32_e32 v80, v17, v71
	v_max_f32_e32 v17, v17, v71
	v_cndmask_b32_e64 v71, v17, v80, s[26:27]
	v_and_b32_e32 v17, 0x7f800000, v71
	v_cmp_ne_u32_e32 vcc, s85, v17
                                        ; implicit-def: $vgpr17
	s_and_saveexec_b64 s[56:57], vcc
	s_xor_b64 s[56:57], exec, s[56:57]
; %bb.520:                              ;   in Loop: Header=BB32_519 Depth=3
	v_bfe_u32 v17, v71, 16, 1
	v_add3_u32 v17, v71, v17, s86
                                        ; implicit-def: $vgpr71
; %bb.521:                              ;   in Loop: Header=BB32_519 Depth=3
	s_andn2_saveexec_b64 s[56:57], s[56:57]
; %bb.522:                              ;   in Loop: Header=BB32_519 Depth=3
	v_or_b32_e32 v17, 0x10000, v71
	v_cmp_eq_u32_sdwa vcc, v71, v3 src0_sel:WORD_0 src1_sel:DWORD
	s_nop 1
	v_cndmask_b32_e32 v17, v17, v71, vcc
; %bb.523:                              ;   in Loop: Header=BB32_519 Depth=3
	s_or_b64 exec, exec, s[56:57]
	v_lshlrev_b32_e32 v20, 16, v20
	v_lshlrev_b32_e32 v70, 16, v70
	v_max_f32_e32 v70, v70, v70
	v_max_f32_e32 v20, v20, v20
	v_min_f32_e32 v71, v20, v70
	v_max_f32_e32 v20, v20, v70
	v_cndmask_b32_e64 v70, v20, v71, s[26:27]
	v_and_b32_e32 v20, 0x7f800000, v70
	v_cmp_ne_u32_e32 vcc, s85, v20
                                        ; implicit-def: $vgpr20
	s_and_saveexec_b64 s[56:57], vcc
	s_xor_b64 s[56:57], exec, s[56:57]
; %bb.524:                              ;   in Loop: Header=BB32_519 Depth=3
	v_bfe_u32 v20, v70, 16, 1
	v_add3_u32 v20, v70, v20, s86
                                        ; implicit-def: $vgpr70
; %bb.525:                              ;   in Loop: Header=BB32_519 Depth=3
	s_andn2_saveexec_b64 s[56:57], s[56:57]
; %bb.526:                              ;   in Loop: Header=BB32_519 Depth=3
	v_or_b32_e32 v20, 0x10000, v70
	v_cmp_eq_u32_sdwa vcc, v70, v3 src0_sel:WORD_0 src1_sel:DWORD
	s_nop 1
	v_cndmask_b32_e32 v20, v20, v70, vcc
; %bb.527:                              ;   in Loop: Header=BB32_519 Depth=3
	s_or_b64 exec, exec, s[56:57]
	v_lshlrev_b32_e32 v22, 16, v22
	v_lshlrev_b32_e32 v69, 16, v69
	v_max_f32_e32 v69, v69, v69
	v_max_f32_e32 v22, v22, v22
	v_min_f32_e32 v70, v22, v69
	v_max_f32_e32 v22, v22, v69
	v_cndmask_b32_e64 v69, v22, v70, s[26:27]
	v_and_b32_e32 v22, 0x7f800000, v69
	v_cmp_ne_u32_e32 vcc, s85, v22
                                        ; implicit-def: $vgpr22
	s_and_saveexec_b64 s[56:57], vcc
	s_xor_b64 s[56:57], exec, s[56:57]
; %bb.528:                              ;   in Loop: Header=BB32_519 Depth=3
	v_bfe_u32 v22, v69, 16, 1
	v_add3_u32 v22, v69, v22, s86
                                        ; implicit-def: $vgpr69
; %bb.529:                              ;   in Loop: Header=BB32_519 Depth=3
	s_andn2_saveexec_b64 s[56:57], s[56:57]
; %bb.530:                              ;   in Loop: Header=BB32_519 Depth=3
	v_or_b32_e32 v22, 0x10000, v69
	v_cmp_eq_u32_sdwa vcc, v69, v3 src0_sel:WORD_0 src1_sel:DWORD
	s_nop 1
	v_cndmask_b32_e32 v22, v22, v69, vcc
; %bb.531:                              ;   in Loop: Header=BB32_519 Depth=3
	s_or_b64 exec, exec, s[56:57]
	v_lshlrev_b32_e32 v24, 16, v24
	v_lshlrev_b32_e32 v67, 16, v67
	v_max_f32_e32 v67, v67, v67
	v_max_f32_e32 v24, v24, v24
	v_min_f32_e32 v69, v24, v67
	v_max_f32_e32 v24, v24, v67
	v_cndmask_b32_e64 v67, v24, v69, s[26:27]
	v_and_b32_e32 v24, 0x7f800000, v67
	v_cmp_ne_u32_e32 vcc, s85, v24
                                        ; implicit-def: $vgpr24
	s_and_saveexec_b64 s[56:57], vcc
	s_xor_b64 s[56:57], exec, s[56:57]
; %bb.532:                              ;   in Loop: Header=BB32_519 Depth=3
	v_bfe_u32 v24, v67, 16, 1
	v_add3_u32 v24, v67, v24, s86
                                        ; implicit-def: $vgpr67
; %bb.533:                              ;   in Loop: Header=BB32_519 Depth=3
	s_andn2_saveexec_b64 s[56:57], s[56:57]
; %bb.534:                              ;   in Loop: Header=BB32_519 Depth=3
	v_or_b32_e32 v24, 0x10000, v67
	v_cmp_eq_u32_sdwa vcc, v67, v3 src0_sel:WORD_0 src1_sel:DWORD
	s_nop 1
	v_cndmask_b32_e32 v24, v24, v67, vcc
; %bb.535:                              ;   in Loop: Header=BB32_519 Depth=3
	s_or_b64 exec, exec, s[56:57]
	v_lshlrev_b32_e32 v27, 16, v27
	v_lshlrev_b32_e32 v66, 16, v66
	v_max_f32_e32 v66, v66, v66
	v_max_f32_e32 v27, v27, v27
	v_min_f32_e32 v67, v27, v66
	v_max_f32_e32 v27, v27, v66
	v_cndmask_b32_e64 v66, v27, v67, s[26:27]
	v_and_b32_e32 v27, 0x7f800000, v66
	v_cmp_ne_u32_e32 vcc, s85, v27
                                        ; implicit-def: $vgpr27
	s_and_saveexec_b64 s[56:57], vcc
	s_xor_b64 s[56:57], exec, s[56:57]
; %bb.536:                              ;   in Loop: Header=BB32_519 Depth=3
	v_bfe_u32 v27, v66, 16, 1
	v_add3_u32 v27, v66, v27, s86
                                        ; implicit-def: $vgpr66
; %bb.537:                              ;   in Loop: Header=BB32_519 Depth=3
	s_andn2_saveexec_b64 s[56:57], s[56:57]
; %bb.538:                              ;   in Loop: Header=BB32_519 Depth=3
	v_or_b32_e32 v27, 0x10000, v66
	v_cmp_eq_u32_sdwa vcc, v66, v3 src0_sel:WORD_0 src1_sel:DWORD
	s_nop 1
	v_cndmask_b32_e32 v27, v27, v66, vcc
; %bb.539:                              ;   in Loop: Header=BB32_519 Depth=3
	s_or_b64 exec, exec, s[56:57]
	v_lshlrev_b32_e32 v33, 16, v33
	v_lshlrev_b32_e32 v65, 16, v65
	v_max_f32_e32 v65, v65, v65
	v_max_f32_e32 v33, v33, v33
	v_min_f32_e32 v66, v33, v65
	v_max_f32_e32 v33, v33, v65
	v_cndmask_b32_e64 v65, v33, v66, s[26:27]
	v_and_b32_e32 v33, 0x7f800000, v65
	v_cmp_ne_u32_e32 vcc, s85, v33
                                        ; implicit-def: $vgpr33
	s_and_saveexec_b64 s[56:57], vcc
	s_xor_b64 s[56:57], exec, s[56:57]
; %bb.540:                              ;   in Loop: Header=BB32_519 Depth=3
	v_bfe_u32 v33, v65, 16, 1
	v_add3_u32 v33, v65, v33, s86
                                        ; implicit-def: $vgpr65
; %bb.541:                              ;   in Loop: Header=BB32_519 Depth=3
	s_andn2_saveexec_b64 s[56:57], s[56:57]
; %bb.542:                              ;   in Loop: Header=BB32_519 Depth=3
	v_or_b32_e32 v33, 0x10000, v65
	v_cmp_eq_u32_sdwa vcc, v65, v3 src0_sel:WORD_0 src1_sel:DWORD
	s_nop 1
	v_cndmask_b32_e32 v33, v33, v65, vcc
; %bb.543:                              ;   in Loop: Header=BB32_519 Depth=3
	s_or_b64 exec, exec, s[56:57]
	v_lshlrev_b32_e32 v36, 16, v36
	v_lshlrev_b32_e32 v64, 16, v64
	v_max_f32_e32 v64, v64, v64
	v_max_f32_e32 v36, v36, v36
	v_min_f32_e32 v65, v36, v64
	v_max_f32_e32 v36, v36, v64
	v_cndmask_b32_e64 v64, v36, v65, s[26:27]
	v_and_b32_e32 v36, 0x7f800000, v64
	v_cmp_ne_u32_e32 vcc, s85, v36
                                        ; implicit-def: $vgpr36
	s_and_saveexec_b64 s[56:57], vcc
	s_xor_b64 s[56:57], exec, s[56:57]
; %bb.544:                              ;   in Loop: Header=BB32_519 Depth=3
	v_bfe_u32 v36, v64, 16, 1
	v_add3_u32 v36, v64, v36, s86
                                        ; implicit-def: $vgpr64
; %bb.545:                              ;   in Loop: Header=BB32_519 Depth=3
	s_andn2_saveexec_b64 s[56:57], s[56:57]
; %bb.546:                              ;   in Loop: Header=BB32_519 Depth=3
	v_or_b32_e32 v36, 0x10000, v64
	v_cmp_eq_u32_sdwa vcc, v64, v3 src0_sel:WORD_0 src1_sel:DWORD
	s_nop 1
	v_cndmask_b32_e32 v36, v36, v64, vcc
; %bb.547:                              ;   in Loop: Header=BB32_519 Depth=3
	s_or_b64 exec, exec, s[56:57]
	v_lshlrev_b32_e32 v39, 16, v39
	v_lshlrev_b32_e32 v51, 16, v51
	v_max_f32_e32 v51, v51, v51
	v_max_f32_e32 v39, v39, v39
	v_min_f32_e32 v64, v39, v51
	v_max_f32_e32 v39, v39, v51
	v_cndmask_b32_e64 v51, v39, v64, s[26:27]
	v_and_b32_e32 v39, 0x7f800000, v51
	v_cmp_ne_u32_e32 vcc, s85, v39
                                        ; implicit-def: $vgpr39
	s_and_saveexec_b64 s[56:57], vcc
	s_xor_b64 s[56:57], exec, s[56:57]
; %bb.548:                              ;   in Loop: Header=BB32_519 Depth=3
	v_bfe_u32 v39, v51, 16, 1
	v_add3_u32 v39, v51, v39, s86
                                        ; implicit-def: $vgpr51
; %bb.549:                              ;   in Loop: Header=BB32_519 Depth=3
	s_andn2_saveexec_b64 s[56:57], s[56:57]
; %bb.550:                              ;   in Loop: Header=BB32_519 Depth=3
	v_or_b32_e32 v39, 0x10000, v51
	v_cmp_eq_u32_sdwa vcc, v51, v3 src0_sel:WORD_0 src1_sel:DWORD
	s_nop 1
	v_cndmask_b32_e32 v39, v39, v51, vcc
; %bb.551:                              ;   in Loop: Header=BB32_519 Depth=3
	s_or_b64 exec, exec, s[56:57]
	v_lshlrev_b32_e32 v48, 16, v48
	v_lshlrev_b32_e32 v50, 16, v50
	v_max_f32_e32 v50, v50, v50
	v_max_f32_e32 v48, v48, v48
	v_min_f32_e32 v51, v48, v50
	v_max_f32_e32 v48, v48, v50
	v_cndmask_b32_e64 v50, v48, v51, s[26:27]
	v_and_b32_e32 v48, 0x7f800000, v50
	v_cmp_ne_u32_e32 vcc, s85, v48
                                        ; implicit-def: $vgpr48
	s_and_saveexec_b64 s[56:57], vcc
	s_xor_b64 s[56:57], exec, s[56:57]
; %bb.552:                              ;   in Loop: Header=BB32_519 Depth=3
	v_bfe_u32 v48, v50, 16, 1
	v_add3_u32 v48, v50, v48, s86
                                        ; implicit-def: $vgpr50
; %bb.553:                              ;   in Loop: Header=BB32_519 Depth=3
	s_andn2_saveexec_b64 s[56:57], s[56:57]
; %bb.554:                              ;   in Loop: Header=BB32_519 Depth=3
	v_or_b32_e32 v48, 0x10000, v50
	v_cmp_eq_u32_sdwa vcc, v50, v3 src0_sel:WORD_0 src1_sel:DWORD
	s_nop 1
	v_cndmask_b32_e32 v48, v48, v50, vcc
; %bb.555:                              ;   in Loop: Header=BB32_519 Depth=3
	s_or_b64 exec, exec, s[56:57]
	v_lshlrev_b32_e32 v37, 16, v37
	v_lshlrev_b32_e32 v49, 16, v49
	v_max_f32_e32 v49, v49, v49
	v_max_f32_e32 v37, v37, v37
	v_min_f32_e32 v50, v37, v49
	v_max_f32_e32 v37, v37, v49
	v_cndmask_b32_e64 v49, v37, v50, s[26:27]
	v_and_b32_e32 v37, 0x7f800000, v49
	v_cmp_ne_u32_e32 vcc, s85, v37
                                        ; implicit-def: $vgpr37
	s_and_saveexec_b64 s[56:57], vcc
	s_xor_b64 s[56:57], exec, s[56:57]
; %bb.556:                              ;   in Loop: Header=BB32_519 Depth=3
	v_bfe_u32 v37, v49, 16, 1
	v_add3_u32 v37, v49, v37, s86
                                        ; implicit-def: $vgpr49
; %bb.557:                              ;   in Loop: Header=BB32_519 Depth=3
	s_andn2_saveexec_b64 s[56:57], s[56:57]
; %bb.558:                              ;   in Loop: Header=BB32_519 Depth=3
	v_or_b32_e32 v37, 0x10000, v49
	v_cmp_eq_u32_sdwa vcc, v49, v3 src0_sel:WORD_0 src1_sel:DWORD
	s_nop 1
	v_cndmask_b32_e32 v37, v37, v49, vcc
; %bb.559:                              ;   in Loop: Header=BB32_519 Depth=3
	s_or_b64 exec, exec, s[56:57]
	v_lshlrev_b32_e32 v34, 16, v34
	v_lshlrev_b32_e32 v38, 16, v38
	v_max_f32_e32 v38, v38, v38
	v_max_f32_e32 v34, v34, v34
	v_min_f32_e32 v49, v34, v38
	v_max_f32_e32 v34, v34, v38
	v_cndmask_b32_e64 v38, v34, v49, s[26:27]
	v_and_b32_e32 v34, 0x7f800000, v38
	v_cmp_ne_u32_e32 vcc, s85, v34
                                        ; implicit-def: $vgpr34
	s_and_saveexec_b64 s[56:57], vcc
	s_xor_b64 s[56:57], exec, s[56:57]
; %bb.560:                              ;   in Loop: Header=BB32_519 Depth=3
	v_bfe_u32 v34, v38, 16, 1
	v_add3_u32 v34, v38, v34, s86
                                        ; implicit-def: $vgpr38
; %bb.561:                              ;   in Loop: Header=BB32_519 Depth=3
	s_andn2_saveexec_b64 s[56:57], s[56:57]
; %bb.562:                              ;   in Loop: Header=BB32_519 Depth=3
	v_or_b32_e32 v34, 0x10000, v38
	v_cmp_eq_u32_sdwa vcc, v38, v3 src0_sel:WORD_0 src1_sel:DWORD
	s_nop 1
	v_cndmask_b32_e32 v34, v34, v38, vcc
; %bb.563:                              ;   in Loop: Header=BB32_519 Depth=3
	s_or_b64 exec, exec, s[56:57]
	v_lshlrev_b32_e32 v29, 16, v29
	v_lshlrev_b32_e32 v35, 16, v35
	v_max_f32_e32 v35, v35, v35
	v_max_f32_e32 v29, v29, v29
	v_min_f32_e32 v38, v29, v35
	v_max_f32_e32 v29, v29, v35
	v_cndmask_b32_e64 v35, v29, v38, s[26:27]
	v_and_b32_e32 v29, 0x7f800000, v35
	v_cmp_ne_u32_e32 vcc, s85, v29
                                        ; implicit-def: $vgpr29
	s_and_saveexec_b64 s[56:57], vcc
	s_xor_b64 s[56:57], exec, s[56:57]
; %bb.564:                              ;   in Loop: Header=BB32_519 Depth=3
	v_bfe_u32 v29, v35, 16, 1
	v_add3_u32 v29, v35, v29, s86
                                        ; implicit-def: $vgpr35
; %bb.565:                              ;   in Loop: Header=BB32_519 Depth=3
	s_andn2_saveexec_b64 s[56:57], s[56:57]
; %bb.566:                              ;   in Loop: Header=BB32_519 Depth=3
	v_or_b32_e32 v29, 0x10000, v35
	v_cmp_eq_u32_sdwa vcc, v35, v3 src0_sel:WORD_0 src1_sel:DWORD
	s_nop 1
	v_cndmask_b32_e32 v29, v29, v35, vcc
; %bb.567:                              ;   in Loop: Header=BB32_519 Depth=3
	s_or_b64 exec, exec, s[56:57]
	v_lshlrev_b32_e32 v25, 16, v25
	v_lshlrev_b32_e32 v32, 16, v32
	v_max_f32_e32 v32, v32, v32
	v_max_f32_e32 v25, v25, v25
	v_min_f32_e32 v35, v25, v32
	v_max_f32_e32 v25, v25, v32
	v_cndmask_b32_e64 v32, v25, v35, s[26:27]
	v_and_b32_e32 v25, 0x7f800000, v32
	v_cmp_ne_u32_e32 vcc, s85, v25
                                        ; implicit-def: $vgpr25
	s_and_saveexec_b64 s[56:57], vcc
	s_xor_b64 s[56:57], exec, s[56:57]
; %bb.568:                              ;   in Loop: Header=BB32_519 Depth=3
	v_bfe_u32 v25, v32, 16, 1
	v_add3_u32 v25, v32, v25, s86
                                        ; implicit-def: $vgpr32
; %bb.569:                              ;   in Loop: Header=BB32_519 Depth=3
	s_andn2_saveexec_b64 s[56:57], s[56:57]
; %bb.570:                              ;   in Loop: Header=BB32_519 Depth=3
	v_or_b32_e32 v25, 0x10000, v32
	v_cmp_eq_u32_sdwa vcc, v32, v3 src0_sel:WORD_0 src1_sel:DWORD
	s_nop 1
	v_cndmask_b32_e32 v25, v25, v32, vcc
; %bb.571:                              ;   in Loop: Header=BB32_519 Depth=3
	s_or_b64 exec, exec, s[56:57]
	v_lshlrev_b32_e32 v21, 16, v21
	v_lshlrev_b32_e32 v26, 16, v26
	v_max_f32_e32 v26, v26, v26
	v_max_f32_e32 v21, v21, v21
	v_min_f32_e32 v32, v21, v26
	v_max_f32_e32 v21, v21, v26
	v_cndmask_b32_e64 v26, v21, v32, s[26:27]
	v_and_b32_e32 v21, 0x7f800000, v26
	v_cmp_ne_u32_e32 vcc, s85, v21
                                        ; implicit-def: $vgpr21
	s_and_saveexec_b64 s[56:57], vcc
	s_xor_b64 s[56:57], exec, s[56:57]
; %bb.572:                              ;   in Loop: Header=BB32_519 Depth=3
	v_bfe_u32 v21, v26, 16, 1
	v_add3_u32 v21, v26, v21, s86
                                        ; implicit-def: $vgpr26
; %bb.573:                              ;   in Loop: Header=BB32_519 Depth=3
	s_andn2_saveexec_b64 s[56:57], s[56:57]
; %bb.574:                              ;   in Loop: Header=BB32_519 Depth=3
	v_or_b32_e32 v21, 0x10000, v26
	v_cmp_eq_u32_sdwa vcc, v26, v3 src0_sel:WORD_0 src1_sel:DWORD
	s_nop 1
	v_cndmask_b32_e32 v21, v21, v26, vcc
; %bb.575:                              ;   in Loop: Header=BB32_519 Depth=3
	s_or_b64 exec, exec, s[56:57]
	v_lshlrev_b32_e32 v18, 16, v18
	v_lshlrev_b32_e32 v23, 16, v23
	v_max_f32_e32 v23, v23, v23
	v_max_f32_e32 v18, v18, v18
	v_min_f32_e32 v26, v18, v23
	v_max_f32_e32 v18, v18, v23
	v_cndmask_b32_e64 v23, v18, v26, s[26:27]
	v_and_b32_e32 v18, 0x7f800000, v23
	v_cmp_ne_u32_e32 vcc, s85, v18
                                        ; implicit-def: $vgpr18
	s_and_saveexec_b64 s[56:57], vcc
	s_xor_b64 s[56:57], exec, s[56:57]
; %bb.576:                              ;   in Loop: Header=BB32_519 Depth=3
	v_bfe_u32 v18, v23, 16, 1
	v_add3_u32 v18, v23, v18, s86
                                        ; implicit-def: $vgpr23
; %bb.577:                              ;   in Loop: Header=BB32_519 Depth=3
	s_andn2_saveexec_b64 s[56:57], s[56:57]
; %bb.578:                              ;   in Loop: Header=BB32_519 Depth=3
	v_or_b32_e32 v18, 0x10000, v23
	v_cmp_eq_u32_sdwa vcc, v23, v3 src0_sel:WORD_0 src1_sel:DWORD
	s_nop 1
	v_cndmask_b32_e32 v18, v18, v23, vcc
; %bb.579:                              ;   in Loop: Header=BB32_519 Depth=3
	s_or_b64 exec, exec, s[56:57]
	v_lshlrev_b32_e32 v16, 16, v16
	v_lshlrev_b32_e32 v19, 16, v19
	v_max_f32_e32 v19, v19, v19
	v_max_f32_e32 v16, v16, v16
	v_min_f32_e32 v23, v16, v19
	v_max_f32_e32 v16, v16, v19
	v_cndmask_b32_e64 v19, v16, v23, s[26:27]
	v_and_b32_e32 v16, 0x7f800000, v19
	v_cmp_ne_u32_e32 vcc, s85, v16
                                        ; implicit-def: $vgpr16
	s_and_saveexec_b64 s[56:57], vcc
	s_xor_b64 s[56:57], exec, s[56:57]
; %bb.580:                              ;   in Loop: Header=BB32_519 Depth=3
	v_bfe_u32 v16, v19, 16, 1
	v_add3_u32 v16, v19, v16, s86
                                        ; implicit-def: $vgpr19
; %bb.581:                              ;   in Loop: Header=BB32_519 Depth=3
	s_andn2_saveexec_b64 s[56:57], s[56:57]
	s_cbranch_execz .LBB32_518
; %bb.582:                              ;   in Loop: Header=BB32_519 Depth=3
	v_or_b32_e32 v16, 0x10000, v19
	v_cmp_eq_u32_sdwa vcc, v19, v3 src0_sel:WORD_0 src1_sel:DWORD
	s_nop 1
	v_cndmask_b32_e32 v16, v16, v19, vcc
	s_branch .LBB32_518
.LBB32_583:                             ;   in Loop: Header=BB32_265 Depth=2
	s_or_b64 exec, exec, s[46:47]
	v_mov_b32_e32 v80, v81
.LBB32_584:                             ;   in Loop: Header=BB32_265 Depth=2
	s_or_b64 exec, exec, s[44:45]
	v_lshlrev_b32_e32 v4, 11, v15
	v_cmp_ne_u32_e32 vcc, v0, v4
	s_and_b64 exec, exec, vcc
	s_cbranch_execz .LBB32_592
; %bb.585:                              ;   in Loop: Header=BB32_265 Depth=2
	v_lshlrev_b32_e32 v2, 6, v2
	v_sub_u32_e32 v2, v13, v2
	v_lshlrev_b32_e32 v5, 6, v14
	v_sub_u32_e32 v2, v2, v5
	v_ashrrev_i32_e32 v5, 31, v2
	v_lshrrev_b32_e32 v5, 26, v5
	v_add_u32_e32 v5, v2, v5
	v_and_b32_e32 v8, 0x7fffffc0, v5
	v_sub_u32_e32 v2, v2, v8
	v_lshlrev_b32_e32 v5, 1, v5
	v_and_b32_e32 v5, 0xffffff80, v5
	v_lshlrev_b32_e32 v2, 1, v2
	v_add3_u32 v2, v5, v2, v4
	v_sub_u32_e32 v0, v0, v2
	v_cmp_lt_i32_e32 vcc, 1, v0
	s_and_b64 exec, exec, vcc
	s_cbranch_execz .LBB32_592
; %bb.586:                              ;   in Loop: Header=BB32_265 Depth=2
	s_trap 2
	ds_read_b64 v[8:9], v0
	v_add_u32_e32 v10, v2, v12
	s_and_b32 s76, s60, 1
	v_ashrrev_i32_e32 v11, 31, v10
	s_cmp_eq_u64 s[76:77], 0
	v_lshl_add_u64 v[4:5], v[10:11], 0, v[52:53]
	s_waitcnt lgkmcnt(0)
	v_lshl_add_u64 v[8:9], v[8:9], 0, v[10:11]
	v_lshl_add_u64 v[10:11], v[10:11], 0, v[54:55]
	s_mov_b64 s[44:45], 0
	s_cselect_b64 vcc, -1, 0
	s_branch .LBB32_588
.LBB32_587:                             ;   in Loop: Header=BB32_588 Depth=3
	s_or_b64 exec, exec, s[46:47]
	v_sub_u32_e32 v0, v0, v88
	v_cmp_gt_i32_e64 s[26:27], 2, v0
	flat_store_short_d16_hi v[10:11], v12 nt
	v_lshl_add_u64 v[4:5], v[4:5], 0, v[88:89]
	v_lshl_add_u64 v[8:9], v[8:9], 0, v[88:89]
	s_or_b64 s[44:45], s[26:27], s[44:45]
	v_lshl_add_u64 v[10:11], v[10:11], 0, v[88:89]
	s_andn2_b64 exec, exec, s[44:45]
	s_cbranch_execz .LBB32_592
.LBB32_588:                             ;   Parent Loop BB32_47 Depth=1
                                        ;     Parent Loop BB32_265 Depth=2
                                        ; =>    This Inner Loop Header: Depth=3
	flat_load_ushort v2, v[8:9] nt
	flat_load_ushort v12, v[4:5] nt
	s_waitcnt vmcnt(0) lgkmcnt(0)
	v_lshlrev_b32_e32 v2, 16, v2
	v_lshlrev_b32_e32 v12, 16, v12
	v_max_f32_e32 v2, v2, v2
	v_max_f32_e32 v12, v12, v12
	v_min_f32_e32 v13, v12, v2
	v_max_f32_e32 v2, v12, v2
	v_cndmask_b32_e32 v2, v2, v13, vcc
	v_and_b32_e32 v12, 0x7f800000, v2
	v_cmp_ne_u32_e64 s[26:27], s85, v12
                                        ; implicit-def: $vgpr12
	s_and_saveexec_b64 s[46:47], s[26:27]
	s_xor_b64 s[26:27], exec, s[46:47]
; %bb.589:                              ;   in Loop: Header=BB32_588 Depth=3
	v_bfe_u32 v12, v2, 16, 1
	v_add3_u32 v12, v2, v12, s86
                                        ; implicit-def: $vgpr2
; %bb.590:                              ;   in Loop: Header=BB32_588 Depth=3
	s_andn2_saveexec_b64 s[46:47], s[26:27]
	s_cbranch_execz .LBB32_587
; %bb.591:                              ;   in Loop: Header=BB32_588 Depth=3
	v_or_b32_e32 v12, 0x10000, v2
	v_cmp_eq_u32_sdwa s[26:27], v2, v3 src0_sel:WORD_0 src1_sel:DWORD
	s_nop 1
	v_cndmask_b32_e64 v12, v12, v2, s[26:27]
	s_branch .LBB32_587
.LBB32_592:                             ;   in Loop: Header=BB32_265 Depth=2
	s_or_b64 exec, exec, s[28:29]
	v_cmp_lt_i32_e64 s[26:27], 0, v1
	s_and_saveexec_b64 s[28:29], s[6:7]
	s_cbranch_execz .LBB32_341
.LBB32_593:                             ;   in Loop: Header=BB32_265 Depth=2
	s_and_saveexec_b64 s[44:45], s[78:79]
	s_xor_b64 s[44:45], exec, s[44:45]
	s_cbranch_execz .LBB32_608
; %bb.594:                              ;   in Loop: Header=BB32_265 Depth=2
	s_and_saveexec_b64 s[46:47], s[14:15]
	s_cbranch_execz .LBB32_607
; %bb.595:                              ;   in Loop: Header=BB32_265 Depth=2
	s_mov_b64 s[58:59], exec
	v_mbcnt_lo_u32_b32 v0, s58, 0
	v_mbcnt_hi_u32_b32 v0, s59, v0
	v_cmp_eq_u32_e32 vcc, 0, v0
	s_waitcnt lgkmcnt(0)
	s_and_saveexec_b64 s[56:57], vcc
	s_cbranch_execz .LBB32_597
; %bb.596:                              ;   in Loop: Header=BB32_265 Depth=2
	s_bcnt1_i32_b64 s58, s[58:59]
	v_mov_b32_e32 v2, s58
	ds_add_u64 v0, v[2:3]
	s_trap 2
.LBB32_597:                             ;   in Loop: Header=BB32_265 Depth=2
	s_or_b64 exec, exec, s[56:57]
	s_trap 2
	ds_read_b64 v[0:1], v0
	s_waitcnt lgkmcnt(0)
	v_lshl_add_u64 v[46:47], v[46:47], 0, v[60:61]
	v_cmp_lt_u64_e32 vcc, v[0:1], v[46:47]
	s_and_saveexec_b64 s[56:57], vcc
	s_cbranch_execz .LBB32_606
; %bb.598:                              ;   in Loop: Header=BB32_265 Depth=2
	s_mov_b32 s76, 0
	s_mov_b64 s[58:59], 0
                                        ; implicit-def: $sgpr60_sgpr61
                                        ; implicit-def: $sgpr62_sgpr63
	s_branch .LBB32_600
.LBB32_599:                             ;   in Loop: Header=BB32_600 Depth=3
	s_or_b64 exec, exec, s[48:49]
	s_and_b64 vcc, exec, vcc
	s_or_b64 s[58:59], vcc, s[58:59]
	s_andn2_b64 s[60:61], s[60:61], exec
	s_and_b64 vcc, s[62:63], exec
	s_or_b64 s[60:61], s[60:61], vcc
	s_andn2_b64 exec, exec, s[58:59]
	s_cbranch_execz .LBB32_604
.LBB32_600:                             ;   Parent Loop BB32_47 Depth=1
                                        ;     Parent Loop BB32_265 Depth=2
                                        ; =>    This Inner Loop Header: Depth=3
	s_add_i32 s76, s76, 1
	s_cmpk_lg_i32 s76, 0x2710
	s_cselect_b64 s[38:39], -1, 0
	s_and_b64 vcc, exec, s[38:39]
	s_cbranch_vccz .LBB32_602
; %bb.601:                              ;   in Loop: Header=BB32_600 Depth=3
	s_mov_b64 vcc, -1
	s_or_b64 s[62:63], s[62:63], exec
	s_and_saveexec_b64 s[48:49], s[38:39]
	s_cbranch_execz .LBB32_599
	s_branch .LBB32_603
.LBB32_602:                             ;   in Loop: Header=BB32_600 Depth=3
	s_trap 2
	ds_read_b64 v[0:1], v0
	s_andn2_b64 s[38:39], s[38:39], exec
	s_mov_b32 s76, 0
	s_waitcnt vmcnt(0) lgkmcnt(0)
	flat_load_dword v0, v[0:1] sc0 sc1
	s_waitcnt vmcnt(0) lgkmcnt(0)
	buffer_inv sc0 sc1
	v_cmp_eq_u32_e32 vcc, 0, v0
	s_and_b64 vcc, vcc, exec
	s_or_b64 s[38:39], s[38:39], vcc
	s_mov_b64 vcc, -1
	s_or_b64 s[62:63], s[62:63], exec
	s_and_saveexec_b64 s[48:49], s[38:39]
	s_cbranch_execz .LBB32_599
.LBB32_603:                             ;   in Loop: Header=BB32_600 Depth=3
	s_sleep 1
	s_trap 2
	ds_read_b64 v[0:1], v0
	s_waitcnt lgkmcnt(0)
	s_andn2_b64 s[62:63], s[62:63], exec
	v_cmp_ge_u64_e32 vcc, v[0:1], v[46:47]
	s_orn2_b64 vcc, vcc, exec
	s_branch .LBB32_599
.LBB32_604:                             ;   in Loop: Header=BB32_265 Depth=2
	s_or_b64 exec, exec, s[58:59]
	s_and_saveexec_b64 s[58:59], s[60:61]
	s_xor_b64 s[58:59], exec, s[58:59]
	s_cbranch_execz .LBB32_606
; %bb.605:                              ;   in Loop: Header=BB32_265 Depth=2
	ds_write_b32 v0, v31
	s_trap 2
.LBB32_606:                             ;   in Loop: Header=BB32_265 Depth=2
	s_or_b64 exec, exec, s[56:57]
	;;#ASMSTART
	s_wakeup
	;;#ASMEND
.LBB32_607:                             ;   in Loop: Header=BB32_265 Depth=2
	s_or_b64 exec, exec, s[46:47]
.LBB32_608:                             ;   in Loop: Header=BB32_265 Depth=2
	s_andn2_saveexec_b64 s[44:45], s[44:45]
	s_cbranch_execz .LBB32_610
; %bb.609:                              ;   in Loop: Header=BB32_265 Depth=2
	s_waitcnt lgkmcnt(0)
	s_barrier
.LBB32_610:                             ;   in Loop: Header=BB32_265 Depth=2
	s_or_b64 exec, exec, s[44:45]
	s_or_b64 exec, exec, s[28:29]
                                        ; implicit-def: $vgpr0
	s_and_saveexec_b64 s[28:29], s[22:23]
	s_xor_b64 s[28:29], exec, s[28:29]
	s_cbranch_execnz .LBB32_342
.LBB32_611:                             ;   in Loop: Header=BB32_265 Depth=2
	s_andn2_saveexec_b64 s[26:27], s[28:29]
	s_cbranch_execz .LBB32_630
.LBB32_612:                             ;   in Loop: Header=BB32_265 Depth=2
	s_and_saveexec_b64 s[28:29], s[78:79]
	s_xor_b64 s[28:29], exec, s[28:29]
	s_cbranch_execz .LBB32_627
; %bb.613:                              ;   in Loop: Header=BB32_265 Depth=2
	s_and_saveexec_b64 s[44:45], s[14:15]
	s_cbranch_execz .LBB32_626
; %bb.614:                              ;   in Loop: Header=BB32_265 Depth=2
	s_mov_b64 s[56:57], exec
	v_mbcnt_lo_u32_b32 v0, s56, 0
	v_mbcnt_hi_u32_b32 v0, s57, v0
	v_cmp_eq_u32_e32 vcc, 0, v0
	;;#ASMSTART
	s_waitcnt lgkmcnt(0) vmcnt(0)
	;;#ASMEND
	s_and_saveexec_b64 s[46:47], vcc
	s_cbranch_execz .LBB32_616
; %bb.615:                              ;   in Loop: Header=BB32_265 Depth=2
	s_bcnt1_i32_b64 s56, s[56:57]
	v_mov_b32_e32 v2, s56
	s_waitcnt lgkmcnt(0)
	ds_add_u64 v0, v[2:3]
	s_trap 2
.LBB32_616:                             ;   in Loop: Header=BB32_265 Depth=2
	s_or_b64 exec, exec, s[46:47]
	s_trap 2
	ds_read_b64 v[0:1], v0
	s_waitcnt lgkmcnt(0)
	v_lshl_add_u64 v[46:47], v[46:47], 0, v[60:61]
	v_cmp_lt_u64_e32 vcc, v[0:1], v[46:47]
	s_and_saveexec_b64 s[46:47], vcc
	s_cbranch_execz .LBB32_625
; %bb.617:                              ;   in Loop: Header=BB32_265 Depth=2
	s_mov_b32 s76, 0
	s_mov_b64 s[56:57], 0
                                        ; implicit-def: $sgpr58_sgpr59
                                        ; implicit-def: $sgpr60_sgpr61
	s_branch .LBB32_619
.LBB32_618:                             ;   in Loop: Header=BB32_619 Depth=3
	s_or_b64 exec, exec, s[38:39]
	s_and_b64 s[62:63], exec, vcc
	s_or_b64 s[56:57], s[62:63], s[56:57]
	s_andn2_b64 s[58:59], s[58:59], exec
	s_and_b64 s[62:63], s[60:61], exec
	s_or_b64 s[58:59], s[58:59], s[62:63]
	s_andn2_b64 exec, exec, s[56:57]
	s_cbranch_execz .LBB32_623
.LBB32_619:                             ;   Parent Loop BB32_47 Depth=1
                                        ;     Parent Loop BB32_265 Depth=2
                                        ; =>    This Inner Loop Header: Depth=3
	s_add_i32 s76, s76, 1
	s_cmpk_lg_i32 s76, 0x2710
	s_cselect_b64 s[62:63], -1, 0
	s_and_b64 vcc, exec, s[62:63]
	s_cbranch_vccz .LBB32_621
; %bb.620:                              ;   in Loop: Header=BB32_619 Depth=3
	s_mov_b64 vcc, -1
	s_or_b64 s[60:61], s[60:61], exec
	s_and_saveexec_b64 s[38:39], s[62:63]
	s_cbranch_execz .LBB32_618
	s_branch .LBB32_622
.LBB32_621:                             ;   in Loop: Header=BB32_619 Depth=3
	s_trap 2
	ds_read_b64 v[0:1], v0
	s_andn2_b64 s[62:63], s[62:63], exec
	s_mov_b32 s76, 0
	s_waitcnt vmcnt(0) lgkmcnt(0)
	flat_load_dword v0, v[0:1] sc0 sc1
	s_waitcnt vmcnt(0) lgkmcnt(0)
	buffer_inv sc0 sc1
	v_cmp_eq_u32_e32 vcc, 0, v0
	s_and_b64 vcc, vcc, exec
	s_or_b64 s[62:63], s[62:63], vcc
	s_mov_b64 vcc, -1
	s_or_b64 s[60:61], s[60:61], exec
	s_and_saveexec_b64 s[38:39], s[62:63]
	s_cbranch_execz .LBB32_618
.LBB32_622:                             ;   in Loop: Header=BB32_619 Depth=3
	s_sleep 1
	s_trap 2
	ds_read_b64 v[0:1], v0
	s_waitcnt lgkmcnt(0)
	s_andn2_b64 s[60:61], s[60:61], exec
	v_cmp_ge_u64_e32 vcc, v[0:1], v[46:47]
	s_orn2_b64 vcc, vcc, exec
	s_branch .LBB32_618
.LBB32_623:                             ;   in Loop: Header=BB32_265 Depth=2
	s_or_b64 exec, exec, s[56:57]
	s_and_saveexec_b64 s[56:57], s[58:59]
	s_xor_b64 s[56:57], exec, s[56:57]
	s_cbranch_execz .LBB32_625
; %bb.624:                              ;   in Loop: Header=BB32_265 Depth=2
	ds_write_b32 v0, v31
	s_trap 2
.LBB32_625:                             ;   in Loop: Header=BB32_265 Depth=2
	s_or_b64 exec, exec, s[46:47]
	;;#ASMSTART
	s_wakeup
	;;#ASMEND
.LBB32_626:                             ;   in Loop: Header=BB32_265 Depth=2
	s_or_b64 exec, exec, s[44:45]
.LBB32_627:                             ;   in Loop: Header=BB32_265 Depth=2
	s_andn2_saveexec_b64 s[28:29], s[28:29]
	s_cbranch_execz .LBB32_629
; %bb.628:                              ;   in Loop: Header=BB32_265 Depth=2
	;;#ASMSTART
	s_waitcnt lgkmcnt(0) vmcnt(0)
	;;#ASMEND
	s_barrier
.LBB32_629:                             ;   in Loop: Header=BB32_265 Depth=2
	s_or_b64 exec, exec, s[28:29]
	v_and_b32_e32 v0, 16, v126
.LBB32_630:                             ;   in Loop: Header=BB32_265 Depth=2
	s_or_b64 exec, exec, s[26:27]
	v_cmp_ne_u32_e32 vcc, 0, v0
	s_xor_b64 s[26:27], s[10:11], -1
	s_and_b64 s[28:29], vcc, s[26:27]
	s_and_saveexec_b64 s[26:27], s[28:29]
	s_cbranch_execz .LBB32_632
; %bb.631:                              ;   in Loop: Header=BB32_265 Depth=2
	flat_store_dword v[44:45], v31 sc0 sc1
.LBB32_632:                             ;   in Loop: Header=BB32_265 Depth=2
	s_or_b64 exec, exec, s[26:27]
	v_and_b32_e32 v0, 48, v126
	v_cmp_ne_u32_e32 vcc, 0, v0
	s_and_saveexec_b64 s[26:27], vcc
	s_cbranch_execz .LBB32_634
; %bb.633:                              ;   in Loop: Header=BB32_265 Depth=2
	v_lshl_add_u64 v[116:117], v[116:117], 0, 4
	flat_store_dwordx2 v[40:41], v[116:117] sc0 sc1
.LBB32_634:                             ;   in Loop: Header=BB32_265 Depth=2
	s_or_b64 exec, exec, s[26:27]
	v_mov_b32_e32 v0, v28
.LBB32_635:                             ;   in Loop: Header=BB32_265 Depth=2
	s_or_b64 exec, exec, s[42:43]
	s_and_saveexec_b64 s[28:29], s[40:41]
	s_cbranch_execz .LBB32_264
; %bb.636:                              ;   in Loop: Header=BB32_265 Depth=2
	v_sub_u32_e32 v0, v68, v0
	v_min_i32_e32 v4, v28, v0
	v_and_b32_e32 v0, 12, v126
	v_cmp_ne_u32_e32 vcc, 0, v0
	s_and_saveexec_b64 s[40:41], vcc
	s_cbranch_execz .LBB32_646
; %bb.637:                              ;   in Loop: Header=BB32_265 Depth=2
	v_and_b32_e32 v2, 8, v126
	s_waitcnt vmcnt(0) lgkmcnt(0)
	v_lshl_add_u64 v[0:1], v[56:57], 0, v[2:3]
	v_lshl_add_u64 v[8:9], v[116:117], 0, 4
	v_cmp_lt_u64_e32 vcc, v[0:1], v[8:9]
	s_and_saveexec_b64 s[42:43], vcc
	s_cbranch_execz .LBB32_662
; %bb.638:                              ;   in Loop: Header=BB32_265 Depth=2
	v_and_b32_e32 v0, 64, v126
	s_mov_b32 s76, 0
	v_cmp_eq_u32_e32 vcc, 0, v0
	s_mov_b64 s[44:45], 0
                                        ; implicit-def: $sgpr46_sgpr47
                                        ; implicit-def: $sgpr56_sgpr57
                                        ; implicit-def: $sgpr58_sgpr59
	s_branch .LBB32_642
.LBB32_639:                             ;   in Loop: Header=BB32_642 Depth=3
	s_waitcnt vmcnt(0) lgkmcnt(0)
	v_lshl_add_u64 v[10:11], v[56:57], 0, v[2:3]
	v_cmp_ge_u64_e64 s[26:27], v[10:11], v[8:9]
	s_or_b64 s[38:39], s[38:39], exec
	s_orn2_b64 s[62:63], s[26:27], exec
.LBB32_640:                             ;   in Loop: Header=BB32_642 Depth=3
	s_or_b64 exec, exec, s[50:51]
	s_andn2_b64 s[26:27], s[58:59], exec
	s_and_b64 s[58:59], s[38:39], exec
	s_or_b64 s[58:59], s[26:27], s[58:59]
	s_andn2_b64 s[26:27], s[56:57], exec
	s_and_b64 s[56:57], s[62:63], exec
	s_or_b64 s[56:57], s[26:27], s[56:57]
.LBB32_641:                             ;   in Loop: Header=BB32_642 Depth=3
	s_or_b64 exec, exec, s[60:61]
	s_and_b64 s[26:27], exec, s[56:57]
	s_or_b64 s[44:45], s[26:27], s[44:45]
	s_andn2_b64 s[26:27], s[46:47], exec
	s_and_b64 s[46:47], s[58:59], exec
	s_or_b64 s[46:47], s[26:27], s[46:47]
	s_andn2_b64 exec, exec, s[44:45]
	s_cbranch_execz .LBB32_659
.LBB32_642:                             ;   Parent Loop BB32_47 Depth=1
                                        ;     Parent Loop BB32_265 Depth=2
                                        ; =>    This Inner Loop Header: Depth=3
	s_sleep 1
	s_waitcnt vmcnt(0) lgkmcnt(0)
	flat_load_dwordx2 v[56:57], v[40:41] sc0 sc1
	s_or_b64 s[58:59], s[58:59], exec
	s_or_b64 s[56:57], s[56:57], exec
                                        ; implicit-def: $vgpr0
	s_and_saveexec_b64 s[60:61], vcc
	s_cbranch_execz .LBB32_641
; %bb.643:                              ;   in Loop: Header=BB32_642 Depth=3
	s_cmpk_lt_i32 s76, 0x270f
	s_cselect_b64 s[48:49], -1, 0
	s_cmpk_gt_i32 s76, 0x270e
	s_mov_b64 s[62:63], -1
	s_cbranch_scc0 .LBB32_645
; %bb.644:                              ;   in Loop: Header=BB32_642 Depth=3
	s_trap 2
	ds_read_b64 v[0:1], v0
	s_andn2_b64 s[48:49], s[48:49], exec
	s_mov_b32 s76, 0
	s_mov_b64 s[38:39], 0
	s_waitcnt vmcnt(0) lgkmcnt(0)
	flat_load_dword v0, v[0:1] sc0 sc1
	s_waitcnt vmcnt(0) lgkmcnt(0)
	buffer_inv sc0 sc1
	v_cmp_eq_u32_e64 s[26:27], 0, v0
	s_and_b64 s[26:27], s[26:27], exec
	s_or_b64 s[48:49], s[48:49], s[26:27]
	s_and_saveexec_b64 s[50:51], s[48:49]
	s_cbranch_execz .LBB32_640
	s_branch .LBB32_639
.LBB32_645:                             ;   in Loop: Header=BB32_642 Depth=3
	s_add_i32 s76, s76, 1
	s_mov_b64 s[38:39], -1
                                        ; implicit-def: $vgpr0
	s_and_saveexec_b64 s[50:51], s[48:49]
	s_cbranch_execz .LBB32_640
	s_branch .LBB32_639
.LBB32_646:                             ;   in Loop: Header=BB32_265 Depth=2
	s_or_b64 exec, exec, s[40:41]
	s_and_saveexec_b64 s[26:27], s[6:7]
	s_cbranch_execnz .LBB32_675
.LBB32_647:                             ;   in Loop: Header=BB32_265 Depth=2
	s_or_b64 exec, exec, s[26:27]
                                        ; implicit-def: $vgpr0
	s_and_saveexec_b64 s[26:27], s[34:35]
	s_xor_b64 s[26:27], exec, s[26:27]
	s_cbranch_execz .LBB32_700
.LBB32_648:                             ;   in Loop: Header=BB32_265 Depth=2
	s_and_saveexec_b64 s[40:41], s[78:79]
	s_xor_b64 s[40:41], exec, s[40:41]
	s_cbranch_execz .LBB32_690
; %bb.649:                              ;   in Loop: Header=BB32_265 Depth=2
	s_and_saveexec_b64 s[42:43], s[14:15]
	s_cbranch_execz .LBB32_689
; %bb.650:                              ;   in Loop: Header=BB32_265 Depth=2
	s_mov_b64 s[46:47], exec
	v_mbcnt_lo_u32_b32 v0, s46, 0
	v_mbcnt_hi_u32_b32 v0, s47, v0
	v_cmp_eq_u32_e32 vcc, 0, v0
	;;#ASMSTART
	s_waitcnt lgkmcnt(0) vmcnt(0)
	;;#ASMEND
	s_and_saveexec_b64 s[44:45], vcc
	s_cbranch_execz .LBB32_652
; %bb.651:                              ;   in Loop: Header=BB32_265 Depth=2
	s_bcnt1_i32_b64 s46, s[46:47]
	v_mov_b32_e32 v2, s46
	s_waitcnt lgkmcnt(0)
	ds_add_u64 v0, v[2:3]
	s_trap 2
.LBB32_652:                             ;   in Loop: Header=BB32_265 Depth=2
	s_or_b64 exec, exec, s[44:45]
	s_trap 2
	ds_read_b64 v[0:1], v0
	s_waitcnt lgkmcnt(0)
	v_lshl_add_u64 v[46:47], v[46:47], 0, v[60:61]
	v_cmp_lt_u64_e32 vcc, v[0:1], v[46:47]
	s_and_saveexec_b64 s[44:45], vcc
	s_cbranch_execz .LBB32_688
; %bb.653:                              ;   in Loop: Header=BB32_265 Depth=2
	s_mov_b32 s76, 0
	s_mov_b64 s[46:47], 0
                                        ; implicit-def: $sgpr56_sgpr57
                                        ; implicit-def: $sgpr58_sgpr59
	s_branch .LBB32_655
.LBB32_654:                             ;   in Loop: Header=BB32_655 Depth=3
	s_or_b64 exec, exec, s[62:63]
	s_and_b64 s[60:61], exec, vcc
	s_or_b64 s[46:47], s[60:61], s[46:47]
	s_andn2_b64 s[56:57], s[56:57], exec
	s_and_b64 s[60:61], s[58:59], exec
	s_or_b64 s[56:57], s[56:57], s[60:61]
	s_andn2_b64 exec, exec, s[46:47]
	s_cbranch_execz .LBB32_686
.LBB32_655:                             ;   Parent Loop BB32_47 Depth=1
                                        ;     Parent Loop BB32_265 Depth=2
                                        ; =>    This Inner Loop Header: Depth=3
	s_add_i32 s76, s76, 1
	s_cmpk_lg_i32 s76, 0x2710
	s_cselect_b64 s[60:61], -1, 0
	s_and_b64 vcc, exec, s[60:61]
	s_cbranch_vccz .LBB32_657
; %bb.656:                              ;   in Loop: Header=BB32_655 Depth=3
	s_mov_b64 vcc, -1
	s_or_b64 s[58:59], s[58:59], exec
	s_and_saveexec_b64 s[62:63], s[60:61]
	s_cbranch_execz .LBB32_654
	s_branch .LBB32_658
.LBB32_657:                             ;   in Loop: Header=BB32_655 Depth=3
	s_trap 2
	ds_read_b64 v[0:1], v0
	s_andn2_b64 s[60:61], s[60:61], exec
	s_mov_b32 s76, 0
	s_waitcnt vmcnt(0) lgkmcnt(0)
	flat_load_dword v0, v[0:1] sc0 sc1
	s_waitcnt vmcnt(0) lgkmcnt(0)
	buffer_inv sc0 sc1
	v_cmp_eq_u32_e32 vcc, 0, v0
	s_and_b64 s[62:63], vcc, exec
	s_or_b64 s[60:61], s[60:61], s[62:63]
	s_mov_b64 vcc, -1
	s_or_b64 s[58:59], s[58:59], exec
	s_and_saveexec_b64 s[62:63], s[60:61]
	s_cbranch_execz .LBB32_654
.LBB32_658:                             ;   in Loop: Header=BB32_655 Depth=3
	s_sleep 1
	s_trap 2
	ds_read_b64 v[0:1], v0
	s_waitcnt lgkmcnt(0)
	s_andn2_b64 s[58:59], s[58:59], exec
	v_cmp_ge_u64_e32 vcc, v[0:1], v[46:47]
	s_orn2_b64 vcc, vcc, exec
	s_branch .LBB32_654
.LBB32_659:                             ;   in Loop: Header=BB32_265 Depth=2
	s_or_b64 exec, exec, s[44:45]
	s_xor_b64 s[26:27], s[46:47], -1
	s_and_saveexec_b64 s[44:45], s[26:27]
	s_xor_b64 s[26:27], exec, s[44:45]
	s_cbranch_execz .LBB32_661
; %bb.660:                              ;   in Loop: Header=BB32_265 Depth=2
	v_or_b32_e32 v126, 64, v126
	s_waitcnt lgkmcnt(0)
	ds_write_b32 v0, v0
	s_trap 2
.LBB32_661:                             ;   in Loop: Header=BB32_265 Depth=2
	s_or_b64 exec, exec, s[26:27]
.LBB32_662:                             ;   in Loop: Header=BB32_265 Depth=2
	s_or_b64 exec, exec, s[42:43]
	v_and_b32_e32 v0, 0x108, v126
	v_cmp_ne_u32_e32 vcc, s84, v0
	;;#ASMSTART
	s_wakeup
	;;#ASMEND
                                        ; implicit-def: $vgpr10_vgpr11
	s_and_saveexec_b64 s[26:27], vcc
	s_xor_b64 s[26:27], exec, s[26:27]
; %bb.663:                              ;   in Loop: Header=BB32_265 Depth=2
	v_and_b32_e32 v10, 7, v116
	v_mov_b32_e32 v11, v3
                                        ; implicit-def: $vgpr116_vgpr117
; %bb.664:                              ;   in Loop: Header=BB32_265 Depth=2
	s_andn2_saveexec_b64 s[26:27], s[26:27]
	s_cbranch_execz .LBB32_666
; %bb.665:                              ;   in Loop: Header=BB32_265 Depth=2
	v_and_b32_e32 v10, 7, v116
	v_ashrrev_i32_e32 v5, 31, v4
	v_mov_b32_e32 v11, v3
	v_mad_u64_u32 v[0:1], s[42:43], v10, 24, v[6:7]
	v_lshlrev_b64 v[12:13], 1, v[4:5]
	flat_store_dwordx2 v[0:1], v[12:13] offset:8
.LBB32_666:                             ;   in Loop: Header=BB32_265 Depth=2
	s_or_b64 exec, exec, s[26:27]
	v_and_b32_e32 v0, 0x100, v126
	v_cmp_ne_u32_e32 vcc, 0, v0
	s_mov_b64 s[26:27], -1
                                        ; implicit-def: $vgpr12_vgpr13
	s_and_saveexec_b64 s[42:43], vcc
	s_cbranch_execz .LBB32_670
; %bb.667:                              ;   in Loop: Header=BB32_265 Depth=2
	v_mad_u64_u32 v[14:15], s[26:27], v10, 24, v[6:7]
	v_mov_b32_e32 v0, v15
	v_mad_u64_u32 v[0:1], s[26:27], v11, 24, v[0:1]
	v_mov_b32_e32 v15, v0
	flat_load_dword v0, v[14:15]
                                        ; implicit-def: $vgpr12_vgpr13
	s_waitcnt vmcnt(0) lgkmcnt(0)
	v_cmp_ne_u32_e32 vcc, 1, v0
	v_cmp_eq_u32_e64 s[26:27], 1, v0
	s_and_saveexec_b64 s[44:45], s[26:27]
	s_cbranch_execz .LBB32_669
; %bb.668:                              ;   in Loop: Header=BB32_265 Depth=2
	flat_load_dword v0, v[14:15] offset:4 sc0 sc1
	s_waitcnt vmcnt(0) lgkmcnt(0)
	v_ashrrev_i32_e32 v1, 31, v0
	v_lshrrev_b64 v[12:13], 1, v[0:1]
.LBB32_669:                             ;   in Loop: Header=BB32_265 Depth=2
	s_or_b64 exec, exec, s[44:45]
	s_orn2_b64 s[26:27], vcc, exec
.LBB32_670:                             ;   in Loop: Header=BB32_265 Depth=2
	s_or_b64 exec, exec, s[42:43]
	s_and_saveexec_b64 s[42:43], s[26:27]
; %bb.671:                              ;   in Loop: Header=BB32_265 Depth=2
	v_mul_lo_u32 v0, v11, v30
	v_mul_lo_u32 v1, v10, v119
	v_mad_u64_u32 v[12:13], s[26:27], v10, v30, 0
	v_add3_u32 v13, v13, v1, v0
; %bb.672:                              ;   in Loop: Header=BB32_265 Depth=2
	s_or_b64 exec, exec, s[42:43]
	v_cmp_eq_u32_e32 vcc, 0, v2
	v_mov_b32_e32 v0, 0x90
	s_nop 0
	v_cndmask_b32_e32 v2, v80, v0, vcc
	v_lshl_add_u64 v[0:1], v[12:13], 1, v[42:43]
	v_add_u32_e32 v2, v0, v2
	ds_write_b64 v2, v[0:1] offset:584
	v_and_b32_e32 v0, 0x2000, v126
	v_cmp_ne_u32_e32 vcc, 0, v0
	s_and_saveexec_b64 s[26:27], vcc
	s_cbranch_execz .LBB32_674
; %bb.673:                              ;   in Loop: Header=BB32_265 Depth=2
	ds_read_b64 v[0:1], v0 offset:872
	s_waitcnt lgkmcnt(0)
	v_lshl_add_u64 v[0:1], v[0:1], 0, 1
	ds_write_b64 v0, v[0:1] offset:872
.LBB32_674:                             ;   in Loop: Header=BB32_265 Depth=2
	s_or_b64 exec, exec, s[26:27]
	v_mov_b64_e32 v[116:117], v[8:9]
	s_or_b64 exec, exec, s[40:41]
	s_and_saveexec_b64 s[26:27], s[6:7]
	s_cbranch_execz .LBB32_647
.LBB32_675:                             ;   in Loop: Header=BB32_265 Depth=2
	s_and_saveexec_b64 s[40:41], s[78:79]
	s_xor_b64 s[40:41], exec, s[40:41]
	s_cbranch_execz .LBB32_697
; %bb.676:                              ;   in Loop: Header=BB32_265 Depth=2
	s_and_saveexec_b64 s[42:43], s[14:15]
	s_cbranch_execz .LBB32_696
; %bb.677:                              ;   in Loop: Header=BB32_265 Depth=2
	s_mov_b64 s[46:47], exec
	v_mbcnt_lo_u32_b32 v0, s46, 0
	v_mbcnt_hi_u32_b32 v0, s47, v0
	v_cmp_eq_u32_e32 vcc, 0, v0
	s_waitcnt lgkmcnt(0)
	s_and_saveexec_b64 s[44:45], vcc
	s_cbranch_execz .LBB32_679
; %bb.678:                              ;   in Loop: Header=BB32_265 Depth=2
	s_bcnt1_i32_b64 s46, s[46:47]
	v_mov_b32_e32 v2, s46
	ds_add_u64 v0, v[2:3]
	s_trap 2
.LBB32_679:                             ;   in Loop: Header=BB32_265 Depth=2
	s_or_b64 exec, exec, s[44:45]
	s_trap 2
	ds_read_b64 v[0:1], v0
	s_waitcnt lgkmcnt(0)
	v_lshl_add_u64 v[46:47], v[46:47], 0, v[60:61]
	v_cmp_lt_u64_e32 vcc, v[0:1], v[46:47]
	s_and_saveexec_b64 s[44:45], vcc
	s_cbranch_execz .LBB32_695
; %bb.680:                              ;   in Loop: Header=BB32_265 Depth=2
	s_mov_b32 s76, 0
	s_mov_b64 s[46:47], 0
                                        ; implicit-def: $sgpr56_sgpr57
                                        ; implicit-def: $sgpr58_sgpr59
	s_branch .LBB32_682
.LBB32_681:                             ;   in Loop: Header=BB32_682 Depth=3
	s_or_b64 exec, exec, s[62:63]
	s_and_b64 s[60:61], exec, vcc
	s_or_b64 s[46:47], s[60:61], s[46:47]
	s_andn2_b64 s[56:57], s[56:57], exec
	s_and_b64 s[60:61], s[58:59], exec
	s_or_b64 s[56:57], s[56:57], s[60:61]
	s_andn2_b64 exec, exec, s[46:47]
	s_cbranch_execz .LBB32_693
.LBB32_682:                             ;   Parent Loop BB32_47 Depth=1
                                        ;     Parent Loop BB32_265 Depth=2
                                        ; =>    This Inner Loop Header: Depth=3
	s_add_i32 s76, s76, 1
	s_cmpk_lg_i32 s76, 0x2710
	s_cselect_b64 s[60:61], -1, 0
	s_and_b64 vcc, exec, s[60:61]
	s_cbranch_vccz .LBB32_684
; %bb.683:                              ;   in Loop: Header=BB32_682 Depth=3
	s_mov_b64 vcc, -1
	s_or_b64 s[58:59], s[58:59], exec
	s_and_saveexec_b64 s[62:63], s[60:61]
	s_cbranch_execz .LBB32_681
	s_branch .LBB32_685
.LBB32_684:                             ;   in Loop: Header=BB32_682 Depth=3
	s_trap 2
	ds_read_b64 v[0:1], v0
	s_andn2_b64 s[60:61], s[60:61], exec
	s_mov_b32 s76, 0
	s_waitcnt vmcnt(0) lgkmcnt(0)
	flat_load_dword v0, v[0:1] sc0 sc1
	s_waitcnt vmcnt(0) lgkmcnt(0)
	buffer_inv sc0 sc1
	v_cmp_eq_u32_e32 vcc, 0, v0
	s_and_b64 s[62:63], vcc, exec
	s_or_b64 s[60:61], s[60:61], s[62:63]
	s_mov_b64 vcc, -1
	s_or_b64 s[58:59], s[58:59], exec
	s_and_saveexec_b64 s[62:63], s[60:61]
	s_cbranch_execz .LBB32_681
.LBB32_685:                             ;   in Loop: Header=BB32_682 Depth=3
	s_sleep 1
	s_trap 2
	ds_read_b64 v[0:1], v0
	s_waitcnt lgkmcnt(0)
	s_andn2_b64 s[58:59], s[58:59], exec
	v_cmp_ge_u64_e32 vcc, v[0:1], v[46:47]
	s_orn2_b64 vcc, vcc, exec
	s_branch .LBB32_681
.LBB32_686:                             ;   in Loop: Header=BB32_265 Depth=2
	s_or_b64 exec, exec, s[46:47]
	s_and_saveexec_b64 s[46:47], s[56:57]
	s_xor_b64 s[46:47], exec, s[46:47]
	s_cbranch_execz .LBB32_688
; %bb.687:                              ;   in Loop: Header=BB32_265 Depth=2
	ds_write_b32 v0, v31
	s_trap 2
.LBB32_688:                             ;   in Loop: Header=BB32_265 Depth=2
	s_or_b64 exec, exec, s[44:45]
	;;#ASMSTART
	s_wakeup
	;;#ASMEND
.LBB32_689:                             ;   in Loop: Header=BB32_265 Depth=2
	s_or_b64 exec, exec, s[42:43]
.LBB32_690:                             ;   in Loop: Header=BB32_265 Depth=2
	s_andn2_saveexec_b64 s[40:41], s[40:41]
	s_cbranch_execz .LBB32_692
; %bb.691:                              ;   in Loop: Header=BB32_265 Depth=2
	;;#ASMSTART
	s_waitcnt lgkmcnt(0) vmcnt(0)
	;;#ASMEND
	s_barrier
.LBB32_692:                             ;   in Loop: Header=BB32_265 Depth=2
	s_or_b64 exec, exec, s[40:41]
	v_and_b32_e32 v0, 16, v126
                                        ; implicit-def: $vgpr4
	s_andn2_saveexec_b64 s[26:27], s[26:27]
	s_cbranch_execz .LBB32_704
	s_branch .LBB32_701
.LBB32_693:                             ;   in Loop: Header=BB32_265 Depth=2
	s_or_b64 exec, exec, s[46:47]
	s_and_saveexec_b64 s[46:47], s[56:57]
	s_xor_b64 s[46:47], exec, s[46:47]
	s_cbranch_execz .LBB32_695
; %bb.694:                              ;   in Loop: Header=BB32_265 Depth=2
	ds_write_b32 v0, v31
	s_trap 2
.LBB32_695:                             ;   in Loop: Header=BB32_265 Depth=2
	s_or_b64 exec, exec, s[44:45]
	;;#ASMSTART
	s_wakeup
	;;#ASMEND
.LBB32_696:                             ;   in Loop: Header=BB32_265 Depth=2
	s_or_b64 exec, exec, s[42:43]
.LBB32_697:                             ;   in Loop: Header=BB32_265 Depth=2
	s_andn2_saveexec_b64 s[40:41], s[40:41]
	s_cbranch_execz .LBB32_699
; %bb.698:                              ;   in Loop: Header=BB32_265 Depth=2
	s_waitcnt lgkmcnt(0)
	s_barrier
.LBB32_699:                             ;   in Loop: Header=BB32_265 Depth=2
	s_or_b64 exec, exec, s[40:41]
	s_or_b64 exec, exec, s[26:27]
                                        ; implicit-def: $vgpr0
	s_and_saveexec_b64 s[26:27], s[34:35]
	s_xor_b64 s[26:27], exec, s[26:27]
	s_cbranch_execnz .LBB32_648
.LBB32_700:                             ;   in Loop: Header=BB32_265 Depth=2
	s_andn2_saveexec_b64 s[26:27], s[26:27]
	s_cbranch_execz .LBB32_704
.LBB32_701:                             ;   in Loop: Header=BB32_265 Depth=2
	s_trap 2
	ds_read_b32 v1, v0
	v_cmp_lt_i32_e32 vcc, 0, v4
	v_and_b32_e32 v2, 16, v126
	v_and_b32_e32 v0, 16, v126
	s_waitcnt lgkmcnt(0)
	v_readfirstlane_b32 s40, v1
	s_cmp_eq_u32 s40, 0
	s_cselect_b64 s[40:41], -1, 0
	s_and_b64 s[40:41], vcc, s[40:41]
	v_cmp_ne_u32_e32 vcc, 0, v2
	s_and_b64 s[42:43], vcc, s[40:41]
	s_and_saveexec_b64 s[40:41], s[42:43]
	s_cbranch_execz .LBB32_703
; %bb.702:                              ;   in Loop: Header=BB32_265 Depth=2
	v_mov_b32_e32 v0, 1
	buffer_wbl2 sc1
	s_waitcnt vmcnt(0)
	buffer_inv sc1
.LBB32_703:                             ;   in Loop: Header=BB32_265 Depth=2
	s_or_b64 exec, exec, s[40:41]
.LBB32_704:                             ;   in Loop: Header=BB32_265 Depth=2
	s_or_b64 exec, exec, s[26:27]
	v_cmp_ne_u32_e32 vcc, 0, v0
	s_xor_b64 s[26:27], s[10:11], -1
	s_and_b64 s[40:41], vcc, s[26:27]
	s_and_saveexec_b64 s[26:27], s[40:41]
	s_cbranch_execz .LBB32_706
; %bb.705:                              ;   in Loop: Header=BB32_265 Depth=2
	flat_store_dword v[44:45], v31 sc0 sc1
.LBB32_706:                             ;   in Loop: Header=BB32_265 Depth=2
	s_or_b64 exec, exec, s[26:27]
	v_and_b32_e32 v0, 48, v126
	v_cmp_ne_u32_e32 vcc, 0, v0
	s_and_saveexec_b64 s[26:27], vcc
	s_cbranch_execz .LBB32_263
; %bb.707:                              ;   in Loop: Header=BB32_265 Depth=2
	v_lshl_add_u64 v[116:117], v[116:117], 0, 4
	flat_store_dwordx2 v[40:41], v[116:117] sc0 sc1
	s_branch .LBB32_263
.LBB32_708:                             ;   in Loop: Header=BB32_47 Depth=1
	v_mul_lo_u32 v0, v125, s64
	v_mul_lo_u32 v1, v124, s65
	v_mad_u64_u32 v[4:5], s[26:27], v124, s64, 0
	v_add3_u32 v5, v5, v1, v0
	v_sub_co_u32_e32 v0, vcc, v104, v4
	s_nop 1
	v_subb_co_u32_e32 v1, vcc, v105, v5, vcc
	v_cmp_lt_i64_e32 vcc, v[124:125], v[0:1]
	s_nop 1
	v_cndmask_b32_e32 v1, v0, v124, vcc
	v_max_i32_e32 v72, 0, v1
	v_add_u32_e32 v2, 15, v72
	v_ashrrev_i32_e32 v8, 31, v2
	v_lshrrev_b32_e32 v8, 28, v8
	v_add_u32_e32 v2, v2, v8
	v_cmp_gt_i32_e32 vcc, 1, v1
	v_and_b32_e32 v2, -16, v2
	s_or_b64 s[38:39], s[2:3], vcc
	v_mov_b32_e32 v0, 0
	v_max_i32_e32 v84, s71, v2
	s_xor_b64 s[26:27], s[38:39], -1
	s_and_saveexec_b64 s[48:49], s[26:27]
	s_cbranch_execz .LBB32_714
; %bb.709:                              ;   in Loop: Header=BB32_47 Depth=1
	s_and_saveexec_b64 s[26:27], s[0:1]
	s_cbranch_execz .LBB32_711
; %bb.710:                              ;   in Loop: Header=BB32_47 Depth=1
	s_trap 2
	ds_read2_b64 v[8:11], v0 offset1:1
	v_lshl_add_u64 v[0:1], v[4:5], 0, v[74:75]
	ds_read_b64 v[4:5], v0
	v_lshlrev_b64 v[0:1], 1, v[0:1]
	s_waitcnt lgkmcnt(0)
	v_lshl_add_u64 v[8:9], v[8:9], 0, v[0:1]
	ds_write_b64 v0, v[8:9]
	v_lshl_add_u64 v[8:9], v[10:11], 0, v[0:1]
	ds_write_b64 v0, v[8:9]
	v_lshl_add_u64 v[0:1], v[4:5], 0, v[0:1]
	v_cmp_ne_u64_e32 vcc, 0, v[4:5]
	s_nop 1
	v_cndmask_b32_e32 v1, 0, v1, vcc
	v_cndmask_b32_e32 v0, 0, v0, vcc
	ds_write_b64 v0, v[0:1]
.LBB32_711:                             ;   in Loop: Header=BB32_47 Depth=1
	s_or_b64 exec, exec, s[26:27]
	v_and_b32_e32 v0, 12, v126
	v_min_i32_e32 v84, v84, v72
	v_cmp_ne_u32_e32 vcc, 0, v0
	s_and_saveexec_b64 s[28:29], vcc
	s_cbranch_execz .LBB32_753
; %bb.712:                              ;   in Loop: Header=BB32_47 Depth=1
	v_and_b32_e32 v2, 8, v126
	s_waitcnt vmcnt(0) lgkmcnt(0)
	v_lshl_add_u64 v[0:1], v[56:57], 0, v[2:3]
	v_lshl_add_u64 v[4:5], v[116:117], 0, 4
	v_cmp_lt_u64_e32 vcc, v[0:1], v[4:5]
	s_and_saveexec_b64 s[40:41], vcc
	s_cbranch_execz .LBB32_740
; %bb.713:                              ;   in Loop: Header=BB32_47 Depth=1
	v_and_b32_e32 v0, 64, v126
	s_mov_b32 s76, 0
	v_cmp_eq_u32_e32 vcc, 0, v0
	s_mov_b64 s[42:43], 0
                                        ; implicit-def: $sgpr44_sgpr45
                                        ; implicit-def: $sgpr46_sgpr47
                                        ; implicit-def: $sgpr56_sgpr57
	s_branch .LBB32_721
.LBB32_714:                             ;   in Loop: Header=BB32_47 Depth=1
	s_or_b64 exec, exec, s[48:49]
	s_and_saveexec_b64 s[28:29], s[38:39]
	s_cbranch_execz .LBB32_1798
.LBB32_715:                             ;   in Loop: Header=BB32_47 Depth=1
	v_sub_u32_e32 v0, v72, v0
	v_min_i32_e32 v4, v84, v0
	v_and_b32_e32 v0, 12, v126
	v_cmp_ne_u32_e32 vcc, 0, v0
	s_and_saveexec_b64 s[40:41], vcc
	s_cbranch_execz .LBB32_732
; %bb.716:                              ;   in Loop: Header=BB32_47 Depth=1
	s_waitcnt vmcnt(0)
	v_and_b32_e32 v2, 8, v126
	s_waitcnt lgkmcnt(0)
	v_lshl_add_u64 v[0:1], v[56:57], 0, v[2:3]
	v_lshl_add_u64 v[8:9], v[116:117], 0, 4
	v_cmp_lt_u64_e32 vcc, v[0:1], v[8:9]
	s_and_saveexec_b64 s[42:43], vcc
	s_cbranch_execz .LBB32_768
; %bb.717:                              ;   in Loop: Header=BB32_47 Depth=1
	v_and_b32_e32 v0, 64, v126
	s_mov_b32 s76, 0
	v_cmp_eq_u32_e32 vcc, 0, v0
	s_mov_b64 s[44:45], 0
                                        ; implicit-def: $sgpr46_sgpr47
                                        ; implicit-def: $sgpr56_sgpr57
                                        ; implicit-def: $sgpr58_sgpr59
	s_branch .LBB32_728
.LBB32_718:                             ;   in Loop: Header=BB32_721 Depth=2
	s_waitcnt vmcnt(0) lgkmcnt(0)
	v_lshl_add_u64 v[8:9], v[56:57], 0, v[2:3]
	v_cmp_ge_u64_e64 s[26:27], v[8:9], v[4:5]
	s_or_b64 s[62:63], s[62:63], exec
	s_orn2_b64 s[60:61], s[26:27], exec
.LBB32_719:                             ;   in Loop: Header=BB32_721 Depth=2
	s_or_b64 exec, exec, s[52:53]
	s_andn2_b64 s[26:27], s[56:57], exec
	s_and_b64 s[56:57], s[62:63], exec
	s_or_b64 s[56:57], s[26:27], s[56:57]
	s_andn2_b64 s[26:27], s[46:47], exec
	s_and_b64 s[46:47], s[60:61], exec
	s_or_b64 s[46:47], s[26:27], s[46:47]
.LBB32_720:                             ;   in Loop: Header=BB32_721 Depth=2
	s_or_b64 exec, exec, s[58:59]
	s_and_b64 s[26:27], exec, s[46:47]
	s_or_b64 s[42:43], s[26:27], s[42:43]
	s_andn2_b64 s[26:27], s[44:45], exec
	s_and_b64 s[44:45], s[56:57], exec
	s_or_b64 s[44:45], s[26:27], s[44:45]
	s_andn2_b64 exec, exec, s[42:43]
	s_cbranch_execz .LBB32_737
.LBB32_721:                             ;   Parent Loop BB32_47 Depth=1
                                        ; =>  This Inner Loop Header: Depth=2
	s_sleep 1
	s_waitcnt vmcnt(0) lgkmcnt(0)
	flat_load_dwordx2 v[56:57], v[40:41] sc0 sc1
	s_or_b64 s[56:57], s[56:57], exec
	s_or_b64 s[46:47], s[46:47], exec
                                        ; implicit-def: $vgpr0
	s_and_saveexec_b64 s[58:59], vcc
	s_cbranch_execz .LBB32_720
; %bb.722:                              ;   in Loop: Header=BB32_721 Depth=2
	s_cmpk_lt_i32 s76, 0x270f
	s_cselect_b64 s[50:51], -1, 0
	s_cmpk_gt_i32 s76, 0x270e
	s_mov_b64 s[60:61], -1
	s_cbranch_scc0 .LBB32_724
; %bb.723:                              ;   in Loop: Header=BB32_721 Depth=2
	s_trap 2
	ds_read_b64 v[0:1], v0
	s_andn2_b64 s[50:51], s[50:51], exec
	s_mov_b32 s76, 0
	s_mov_b64 s[62:63], 0
	s_waitcnt vmcnt(0) lgkmcnt(0)
	flat_load_dword v0, v[0:1] sc0 sc1
	s_waitcnt vmcnt(0) lgkmcnt(0)
	buffer_inv sc0 sc1
	v_cmp_eq_u32_e64 s[26:27], 0, v0
	s_and_b64 s[26:27], s[26:27], exec
	s_or_b64 s[50:51], s[50:51], s[26:27]
	s_and_saveexec_b64 s[52:53], s[50:51]
	s_cbranch_execz .LBB32_719
	s_branch .LBB32_718
.LBB32_724:                             ;   in Loop: Header=BB32_721 Depth=2
	s_add_i32 s76, s76, 1
	s_mov_b64 s[62:63], -1
                                        ; implicit-def: $vgpr0
	s_and_saveexec_b64 s[52:53], s[50:51]
	s_cbranch_execz .LBB32_719
	s_branch .LBB32_718
.LBB32_725:                             ;   in Loop: Header=BB32_728 Depth=2
	s_waitcnt vmcnt(0) lgkmcnt(0)
	v_lshl_add_u64 v[10:11], v[56:57], 0, v[2:3]
	v_cmp_ge_u64_e64 s[26:27], v[10:11], v[8:9]
	s_or_b64 s[38:39], s[38:39], exec
	s_orn2_b64 s[62:63], s[26:27], exec
.LBB32_726:                             ;   in Loop: Header=BB32_728 Depth=2
	s_or_b64 exec, exec, s[50:51]
	s_andn2_b64 s[26:27], s[58:59], exec
	s_and_b64 s[58:59], s[38:39], exec
	s_or_b64 s[58:59], s[26:27], s[58:59]
	s_andn2_b64 s[26:27], s[56:57], exec
	s_and_b64 s[56:57], s[62:63], exec
	s_or_b64 s[56:57], s[26:27], s[56:57]
.LBB32_727:                             ;   in Loop: Header=BB32_728 Depth=2
	s_or_b64 exec, exec, s[60:61]
	s_and_b64 s[26:27], exec, s[56:57]
	s_or_b64 s[44:45], s[26:27], s[44:45]
	s_andn2_b64 s[26:27], s[46:47], exec
	s_and_b64 s[46:47], s[58:59], exec
	s_or_b64 s[46:47], s[26:27], s[46:47]
	s_andn2_b64 exec, exec, s[44:45]
	s_cbranch_execz .LBB32_765
.LBB32_728:                             ;   Parent Loop BB32_47 Depth=1
                                        ; =>  This Inner Loop Header: Depth=2
	s_sleep 1
	s_waitcnt vmcnt(0) lgkmcnt(0)
	flat_load_dwordx2 v[56:57], v[40:41] sc0 sc1
	s_or_b64 s[58:59], s[58:59], exec
	s_or_b64 s[56:57], s[56:57], exec
                                        ; implicit-def: $vgpr0
	s_and_saveexec_b64 s[60:61], vcc
	s_cbranch_execz .LBB32_727
; %bb.729:                              ;   in Loop: Header=BB32_728 Depth=2
	s_cmpk_lt_i32 s76, 0x270f
	s_cselect_b64 s[48:49], -1, 0
	s_cmpk_gt_i32 s76, 0x270e
	s_mov_b64 s[62:63], -1
	s_cbranch_scc0 .LBB32_731
; %bb.730:                              ;   in Loop: Header=BB32_728 Depth=2
	s_trap 2
	ds_read_b64 v[0:1], v0
	s_andn2_b64 s[48:49], s[48:49], exec
	s_mov_b32 s76, 0
	s_mov_b64 s[38:39], 0
	s_waitcnt vmcnt(0) lgkmcnt(0)
	flat_load_dword v0, v[0:1] sc0 sc1
	s_waitcnt vmcnt(0) lgkmcnt(0)
	buffer_inv sc0 sc1
	v_cmp_eq_u32_e64 s[26:27], 0, v0
	s_and_b64 s[26:27], s[26:27], exec
	s_or_b64 s[48:49], s[48:49], s[26:27]
	s_and_saveexec_b64 s[50:51], s[48:49]
	s_cbranch_execz .LBB32_726
	s_branch .LBB32_725
.LBB32_731:                             ;   in Loop: Header=BB32_728 Depth=2
	s_add_i32 s76, s76, 1
	s_mov_b64 s[38:39], -1
                                        ; implicit-def: $vgpr0
	s_and_saveexec_b64 s[50:51], s[48:49]
	s_cbranch_execz .LBB32_726
	s_branch .LBB32_725
.LBB32_732:                             ;   in Loop: Header=BB32_47 Depth=1
	s_or_b64 exec, exec, s[40:41]
	s_and_saveexec_b64 s[26:27], s[6:7]
	s_cbranch_execnz .LBB32_781
.LBB32_733:                             ;   in Loop: Header=BB32_47 Depth=1
	s_or_b64 exec, exec, s[26:27]
                                        ; implicit-def: $vgpr0
	s_and_saveexec_b64 s[26:27], s[22:23]
	s_xor_b64 s[26:27], exec, s[26:27]
	s_cbranch_execz .LBB32_818
.LBB32_734:                             ;   in Loop: Header=BB32_47 Depth=1
	s_trap 2
	ds_read_b32 v1, v0
	v_cmp_lt_i32_e32 vcc, 0, v4
	s_waitcnt vmcnt(0)
	v_and_b32_e32 v2, 16, v126
	v_and_b32_e32 v0, 16, v126
	s_waitcnt lgkmcnt(0)
	v_readfirstlane_b32 s40, v1
	s_cmp_eq_u32 s40, 0
	s_cselect_b64 s[40:41], -1, 0
	s_and_b64 s[40:41], vcc, s[40:41]
	v_cmp_ne_u32_e32 vcc, 0, v2
	s_and_b64 s[42:43], vcc, s[40:41]
	s_and_saveexec_b64 s[40:41], s[42:43]
	s_cbranch_execz .LBB32_736
; %bb.735:                              ;   in Loop: Header=BB32_47 Depth=1
	v_mov_b32_e32 v0, 1
	buffer_wbl2 sc1
	buffer_inv sc1
.LBB32_736:                             ;   in Loop: Header=BB32_47 Depth=1
	s_or_b64 exec, exec, s[40:41]
	s_andn2_saveexec_b64 s[26:27], s[26:27]
	s_cbranch_execz .LBB32_1120
	s_branch .LBB32_819
.LBB32_737:                             ;   in Loop: Header=BB32_47 Depth=1
	s_or_b64 exec, exec, s[42:43]
	s_xor_b64 s[26:27], s[44:45], -1
	s_and_saveexec_b64 s[42:43], s[26:27]
	s_xor_b64 s[26:27], exec, s[42:43]
	s_cbranch_execz .LBB32_739
; %bb.738:                              ;   in Loop: Header=BB32_47 Depth=1
	v_or_b32_e32 v126, 64, v126
	s_waitcnt lgkmcnt(0)
	ds_write_b32 v0, v0
	s_trap 2
.LBB32_739:                             ;   in Loop: Header=BB32_47 Depth=1
	s_or_b64 exec, exec, s[26:27]
.LBB32_740:                             ;   in Loop: Header=BB32_47 Depth=1
	s_or_b64 exec, exec, s[40:41]
	v_and_b32_e32 v0, 0x108, v126
	v_cmp_ne_u32_e32 vcc, s84, v0
	;;#ASMSTART
	s_wakeup
	;;#ASMEND
                                        ; implicit-def: $vgpr8_vgpr9
	s_and_saveexec_b64 s[26:27], vcc
	s_xor_b64 s[26:27], exec, s[26:27]
; %bb.741:                              ;   in Loop: Header=BB32_47 Depth=1
	v_and_b32_e32 v8, 7, v116
	v_mov_b32_e32 v9, v3
                                        ; implicit-def: $vgpr116_vgpr117
; %bb.742:                              ;   in Loop: Header=BB32_47 Depth=1
	s_andn2_saveexec_b64 s[26:27], s[26:27]
	s_cbranch_execz .LBB32_744
; %bb.743:                              ;   in Loop: Header=BB32_47 Depth=1
	v_and_b32_e32 v8, 7, v116
	v_ashrrev_i32_e32 v85, 31, v84
	v_mov_b32_e32 v9, v3
	v_mad_u64_u32 v[0:1], s[40:41], v8, 24, v[6:7]
	v_lshlrev_b64 v[10:11], 1, v[84:85]
	flat_store_dwordx2 v[0:1], v[10:11] offset:8
.LBB32_744:                             ;   in Loop: Header=BB32_47 Depth=1
	s_or_b64 exec, exec, s[26:27]
	v_and_b32_e32 v0, 0x100, v126
	v_cmp_ne_u32_e32 vcc, 0, v0
	s_mov_b64 s[26:27], -1
                                        ; implicit-def: $vgpr10_vgpr11
	s_and_saveexec_b64 s[40:41], vcc
	s_cbranch_execz .LBB32_748
; %bb.745:                              ;   in Loop: Header=BB32_47 Depth=1
	v_mad_u64_u32 v[12:13], s[26:27], v8, 24, v[6:7]
	v_mov_b32_e32 v0, v13
	v_mad_u64_u32 v[0:1], s[26:27], v9, 24, v[0:1]
	v_mov_b32_e32 v13, v0
	flat_load_dword v0, v[12:13]
                                        ; implicit-def: $vgpr10_vgpr11
	s_waitcnt vmcnt(0) lgkmcnt(0)
	v_cmp_ne_u32_e32 vcc, 1, v0
	v_cmp_eq_u32_e64 s[26:27], 1, v0
	s_and_saveexec_b64 s[42:43], s[26:27]
	s_cbranch_execz .LBB32_747
; %bb.746:                              ;   in Loop: Header=BB32_47 Depth=1
	flat_load_dword v0, v[12:13] offset:4 sc0 sc1
	s_waitcnt vmcnt(0) lgkmcnt(0)
	v_ashrrev_i32_e32 v1, 31, v0
	v_lshrrev_b64 v[10:11], 1, v[0:1]
.LBB32_747:                             ;   in Loop: Header=BB32_47 Depth=1
	s_or_b64 exec, exec, s[42:43]
	s_orn2_b64 s[26:27], vcc, exec
.LBB32_748:                             ;   in Loop: Header=BB32_47 Depth=1
	s_or_b64 exec, exec, s[40:41]
	s_and_saveexec_b64 s[40:41], s[26:27]
; %bb.749:                              ;   in Loop: Header=BB32_47 Depth=1
	v_mul_lo_u32 v0, v9, v30
	v_mul_lo_u32 v1, v8, v119
	v_mad_u64_u32 v[10:11], s[26:27], v8, v30, 0
	v_add3_u32 v11, v11, v1, v0
; %bb.750:                              ;   in Loop: Header=BB32_47 Depth=1
	s_or_b64 exec, exec, s[40:41]
	v_cmp_eq_u32_e32 vcc, 0, v2
	v_mov_b32_e32 v0, 0x90
	v_mov_b32_e32 v1, 0xd0
	v_cndmask_b32_e32 v2, v1, v0, vcc
	v_lshl_add_u64 v[0:1], v[10:11], 1, v[42:43]
	v_add_u32_e32 v2, v0, v2
	ds_write_b64 v2, v[0:1] offset:584
	v_and_b32_e32 v0, 0x2000, v126
	v_cmp_ne_u32_e32 vcc, 0, v0
	s_and_saveexec_b64 s[26:27], vcc
	s_cbranch_execz .LBB32_752
; %bb.751:                              ;   in Loop: Header=BB32_47 Depth=1
	ds_read_b64 v[0:1], v0 offset:872
	s_waitcnt lgkmcnt(0)
	v_lshl_add_u64 v[0:1], v[0:1], 0, 1
	ds_write_b64 v0, v[0:1] offset:872
.LBB32_752:                             ;   in Loop: Header=BB32_47 Depth=1
	s_or_b64 exec, exec, s[26:27]
	v_mov_b64_e32 v[116:117], v[4:5]
.LBB32_753:                             ;   in Loop: Header=BB32_47 Depth=1
	s_or_b64 exec, exec, s[28:29]
	s_and_saveexec_b64 s[26:27], s[6:7]
	s_cbranch_execz .LBB32_799
; %bb.754:                              ;   in Loop: Header=BB32_47 Depth=1
	s_and_saveexec_b64 s[28:29], s[78:79]
	s_xor_b64 s[28:29], exec, s[28:29]
	s_cbranch_execz .LBB32_796
; %bb.755:                              ;   in Loop: Header=BB32_47 Depth=1
	s_and_saveexec_b64 s[40:41], s[14:15]
	s_cbranch_execz .LBB32_795
; %bb.756:                              ;   in Loop: Header=BB32_47 Depth=1
	s_mov_b64 s[44:45], exec
	v_mbcnt_lo_u32_b32 v0, s44, 0
	v_mbcnt_hi_u32_b32 v0, s45, v0
	v_cmp_eq_u32_e32 vcc, 0, v0
	s_waitcnt lgkmcnt(0)
	s_and_saveexec_b64 s[42:43], vcc
	s_cbranch_execz .LBB32_758
; %bb.757:                              ;   in Loop: Header=BB32_47 Depth=1
	s_bcnt1_i32_b64 s44, s[44:45]
	v_mov_b32_e32 v2, s44
	ds_add_u64 v0, v[2:3]
	s_trap 2
.LBB32_758:                             ;   in Loop: Header=BB32_47 Depth=1
	s_or_b64 exec, exec, s[42:43]
	s_trap 2
	ds_read_b64 v[0:1], v0
	s_waitcnt lgkmcnt(0)
	v_lshl_add_u64 v[46:47], v[46:47], 0, v[60:61]
	v_cmp_lt_u64_e32 vcc, v[0:1], v[46:47]
	s_and_saveexec_b64 s[42:43], vcc
	s_cbranch_execz .LBB32_794
; %bb.759:                              ;   in Loop: Header=BB32_47 Depth=1
	s_mov_b32 s76, 0
	s_mov_b64 s[44:45], 0
                                        ; implicit-def: $sgpr46_sgpr47
                                        ; implicit-def: $sgpr56_sgpr57
	s_branch .LBB32_761
.LBB32_760:                             ;   in Loop: Header=BB32_761 Depth=2
	s_or_b64 exec, exec, s[60:61]
	s_and_b64 s[58:59], exec, s[62:63]
	s_or_b64 s[44:45], s[58:59], s[44:45]
	s_andn2_b64 s[46:47], s[46:47], exec
	s_and_b64 s[58:59], s[56:57], exec
	s_or_b64 s[46:47], s[46:47], s[58:59]
	s_andn2_b64 exec, exec, s[44:45]
	s_cbranch_execz .LBB32_792
.LBB32_761:                             ;   Parent Loop BB32_47 Depth=1
                                        ; =>  This Inner Loop Header: Depth=2
	s_add_i32 s76, s76, 1
	s_cmpk_lg_i32 s76, 0x2710
	s_cselect_b64 s[58:59], -1, 0
	s_and_b64 vcc, exec, s[58:59]
	s_cbranch_vccz .LBB32_763
; %bb.762:                              ;   in Loop: Header=BB32_761 Depth=2
	s_mov_b64 s[62:63], -1
	s_or_b64 s[56:57], s[56:57], exec
	s_and_saveexec_b64 s[60:61], s[58:59]
	s_cbranch_execz .LBB32_760
	s_branch .LBB32_764
.LBB32_763:                             ;   in Loop: Header=BB32_761 Depth=2
	s_trap 2
	ds_read_b64 v[0:1], v0
	s_andn2_b64 s[58:59], s[58:59], exec
	s_mov_b32 s76, 0
	s_waitcnt vmcnt(0) lgkmcnt(0)
	flat_load_dword v0, v[0:1] sc0 sc1
	s_waitcnt vmcnt(0) lgkmcnt(0)
	buffer_inv sc0 sc1
	v_cmp_eq_u32_e32 vcc, 0, v0
	s_and_b64 s[60:61], vcc, exec
	s_or_b64 s[58:59], s[58:59], s[60:61]
	s_mov_b64 s[62:63], -1
	s_or_b64 s[56:57], s[56:57], exec
	s_and_saveexec_b64 s[60:61], s[58:59]
	s_cbranch_execz .LBB32_760
.LBB32_764:                             ;   in Loop: Header=BB32_761 Depth=2
	s_sleep 1
	s_trap 2
	ds_read_b64 v[0:1], v0
	s_waitcnt lgkmcnt(0)
	s_andn2_b64 s[56:57], s[56:57], exec
	v_cmp_ge_u64_e32 vcc, v[0:1], v[46:47]
	s_orn2_b64 s[62:63], vcc, exec
	s_branch .LBB32_760
.LBB32_765:                             ;   in Loop: Header=BB32_47 Depth=1
	s_or_b64 exec, exec, s[44:45]
	s_xor_b64 s[26:27], s[46:47], -1
	s_and_saveexec_b64 s[44:45], s[26:27]
	s_xor_b64 s[26:27], exec, s[44:45]
	s_cbranch_execz .LBB32_767
; %bb.766:                              ;   in Loop: Header=BB32_47 Depth=1
	v_or_b32_e32 v126, 64, v126
	s_waitcnt lgkmcnt(0)
	ds_write_b32 v0, v0
	s_trap 2
.LBB32_767:                             ;   in Loop: Header=BB32_47 Depth=1
	s_or_b64 exec, exec, s[26:27]
.LBB32_768:                             ;   in Loop: Header=BB32_47 Depth=1
	s_or_b64 exec, exec, s[42:43]
	v_and_b32_e32 v0, 0x108, v126
	v_cmp_ne_u32_e32 vcc, s84, v0
	;;#ASMSTART
	s_wakeup
	;;#ASMEND
                                        ; implicit-def: $vgpr10_vgpr11
	s_and_saveexec_b64 s[26:27], vcc
	s_xor_b64 s[26:27], exec, s[26:27]
; %bb.769:                              ;   in Loop: Header=BB32_47 Depth=1
	v_and_b32_e32 v10, 7, v116
	v_mov_b32_e32 v11, v3
                                        ; implicit-def: $vgpr116_vgpr117
; %bb.770:                              ;   in Loop: Header=BB32_47 Depth=1
	s_andn2_saveexec_b64 s[26:27], s[26:27]
	s_cbranch_execz .LBB32_772
; %bb.771:                              ;   in Loop: Header=BB32_47 Depth=1
	v_and_b32_e32 v10, 7, v116
	v_ashrrev_i32_e32 v5, 31, v4
	v_mov_b32_e32 v11, v3
	v_mad_u64_u32 v[0:1], s[42:43], v10, 24, v[6:7]
	v_lshlrev_b64 v[12:13], 1, v[4:5]
	flat_store_dwordx2 v[0:1], v[12:13] offset:8
.LBB32_772:                             ;   in Loop: Header=BB32_47 Depth=1
	s_or_b64 exec, exec, s[26:27]
	v_and_b32_e32 v0, 0x100, v126
	v_cmp_ne_u32_e32 vcc, 0, v0
	s_mov_b64 s[26:27], -1
                                        ; implicit-def: $vgpr12_vgpr13
	s_and_saveexec_b64 s[42:43], vcc
	s_cbranch_execz .LBB32_776
; %bb.773:                              ;   in Loop: Header=BB32_47 Depth=1
	v_mad_u64_u32 v[14:15], s[26:27], v10, 24, v[6:7]
	v_mov_b32_e32 v0, v15
	v_mad_u64_u32 v[0:1], s[26:27], v11, 24, v[0:1]
	v_mov_b32_e32 v15, v0
	flat_load_dword v0, v[14:15]
                                        ; implicit-def: $vgpr12_vgpr13
	s_waitcnt vmcnt(0) lgkmcnt(0)
	v_cmp_ne_u32_e32 vcc, 1, v0
	v_cmp_eq_u32_e64 s[26:27], 1, v0
	s_and_saveexec_b64 s[44:45], s[26:27]
	s_cbranch_execz .LBB32_775
; %bb.774:                              ;   in Loop: Header=BB32_47 Depth=1
	flat_load_dword v0, v[14:15] offset:4 sc0 sc1
	s_waitcnt vmcnt(0) lgkmcnt(0)
	v_ashrrev_i32_e32 v1, 31, v0
	v_lshrrev_b64 v[12:13], 1, v[0:1]
.LBB32_775:                             ;   in Loop: Header=BB32_47 Depth=1
	s_or_b64 exec, exec, s[44:45]
	s_orn2_b64 s[26:27], vcc, exec
.LBB32_776:                             ;   in Loop: Header=BB32_47 Depth=1
	s_or_b64 exec, exec, s[42:43]
	s_and_saveexec_b64 s[42:43], s[26:27]
; %bb.777:                              ;   in Loop: Header=BB32_47 Depth=1
	v_mul_lo_u32 v0, v11, v30
	v_mul_lo_u32 v1, v10, v119
	v_mad_u64_u32 v[12:13], s[26:27], v10, v30, 0
	v_add3_u32 v13, v13, v1, v0
; %bb.778:                              ;   in Loop: Header=BB32_47 Depth=1
	s_or_b64 exec, exec, s[42:43]
	v_cmp_eq_u32_e32 vcc, 0, v2
	v_mov_b32_e32 v0, 0x90
	v_mov_b32_e32 v1, 0xd0
	v_cndmask_b32_e32 v2, v1, v0, vcc
	v_lshl_add_u64 v[0:1], v[12:13], 1, v[42:43]
	v_add_u32_e32 v2, v0, v2
	ds_write_b64 v2, v[0:1] offset:584
	v_and_b32_e32 v0, 0x2000, v126
	v_cmp_ne_u32_e32 vcc, 0, v0
	s_and_saveexec_b64 s[26:27], vcc
	s_cbranch_execz .LBB32_780
; %bb.779:                              ;   in Loop: Header=BB32_47 Depth=1
	ds_read_b64 v[0:1], v0 offset:872
	s_waitcnt lgkmcnt(0)
	v_lshl_add_u64 v[0:1], v[0:1], 0, 1
	ds_write_b64 v0, v[0:1] offset:872
.LBB32_780:                             ;   in Loop: Header=BB32_47 Depth=1
	s_or_b64 exec, exec, s[26:27]
	v_mov_b64_e32 v[116:117], v[8:9]
	s_or_b64 exec, exec, s[40:41]
	s_and_saveexec_b64 s[26:27], s[6:7]
	s_cbranch_execz .LBB32_733
.LBB32_781:                             ;   in Loop: Header=BB32_47 Depth=1
	s_and_saveexec_b64 s[40:41], s[78:79]
	s_xor_b64 s[40:41], exec, s[40:41]
	s_cbranch_execz .LBB32_815
; %bb.782:                              ;   in Loop: Header=BB32_47 Depth=1
	s_and_saveexec_b64 s[42:43], s[14:15]
	s_cbranch_execz .LBB32_814
; %bb.783:                              ;   in Loop: Header=BB32_47 Depth=1
	s_mov_b64 s[46:47], exec
	v_mbcnt_lo_u32_b32 v0, s46, 0
	v_mbcnt_hi_u32_b32 v0, s47, v0
	v_cmp_eq_u32_e32 vcc, 0, v0
	s_waitcnt lgkmcnt(0)
	s_and_saveexec_b64 s[44:45], vcc
	s_cbranch_execz .LBB32_785
; %bb.784:                              ;   in Loop: Header=BB32_47 Depth=1
	s_bcnt1_i32_b64 s46, s[46:47]
	s_waitcnt vmcnt(0)
	v_mov_b32_e32 v2, s46
	ds_add_u64 v0, v[2:3]
	s_trap 2
.LBB32_785:                             ;   in Loop: Header=BB32_47 Depth=1
	s_or_b64 exec, exec, s[44:45]
	s_trap 2
	ds_read_b64 v[0:1], v0
	s_waitcnt lgkmcnt(0)
	v_lshl_add_u64 v[46:47], v[46:47], 0, v[60:61]
	v_cmp_lt_u64_e32 vcc, v[0:1], v[46:47]
	s_and_saveexec_b64 s[44:45], vcc
	s_cbranch_execz .LBB32_813
; %bb.786:                              ;   in Loop: Header=BB32_47 Depth=1
	s_mov_b32 s76, 0
	s_mov_b64 s[46:47], 0
                                        ; implicit-def: $sgpr56_sgpr57
                                        ; implicit-def: $sgpr58_sgpr59
	s_branch .LBB32_788
.LBB32_787:                             ;   in Loop: Header=BB32_788 Depth=2
	s_or_b64 exec, exec, s[62:63]
	s_and_b64 s[60:61], exec, vcc
	s_or_b64 s[46:47], s[60:61], s[46:47]
	s_andn2_b64 s[56:57], s[56:57], exec
	s_and_b64 s[60:61], s[58:59], exec
	s_or_b64 s[56:57], s[56:57], s[60:61]
	s_andn2_b64 exec, exec, s[46:47]
	s_cbranch_execz .LBB32_811
.LBB32_788:                             ;   Parent Loop BB32_47 Depth=1
                                        ; =>  This Inner Loop Header: Depth=2
	s_add_i32 s76, s76, 1
	s_cmpk_lg_i32 s76, 0x2710
	s_cselect_b64 s[60:61], -1, 0
	s_and_b64 vcc, exec, s[60:61]
	s_cbranch_vccz .LBB32_790
; %bb.789:                              ;   in Loop: Header=BB32_788 Depth=2
	s_mov_b64 vcc, -1
	s_or_b64 s[58:59], s[58:59], exec
	s_and_saveexec_b64 s[62:63], s[60:61]
	s_cbranch_execz .LBB32_787
	s_branch .LBB32_791
.LBB32_790:                             ;   in Loop: Header=BB32_788 Depth=2
	s_trap 2
	ds_read_b64 v[0:1], v0
	s_andn2_b64 s[60:61], s[60:61], exec
	s_mov_b32 s76, 0
	s_waitcnt vmcnt(0) lgkmcnt(0)
	flat_load_dword v0, v[0:1] sc0 sc1
	s_waitcnt vmcnt(0) lgkmcnt(0)
	buffer_inv sc0 sc1
	v_cmp_eq_u32_e32 vcc, 0, v0
	s_and_b64 s[62:63], vcc, exec
	s_or_b64 s[60:61], s[60:61], s[62:63]
	s_mov_b64 vcc, -1
	s_or_b64 s[58:59], s[58:59], exec
	s_and_saveexec_b64 s[62:63], s[60:61]
	s_cbranch_execz .LBB32_787
.LBB32_791:                             ;   in Loop: Header=BB32_788 Depth=2
	s_sleep 1
	s_trap 2
	ds_read_b64 v[0:1], v0
	s_waitcnt lgkmcnt(0)
	s_andn2_b64 s[58:59], s[58:59], exec
	v_cmp_ge_u64_e32 vcc, v[0:1], v[46:47]
	s_orn2_b64 vcc, vcc, exec
	s_branch .LBB32_787
.LBB32_792:                             ;   in Loop: Header=BB32_47 Depth=1
	s_or_b64 exec, exec, s[44:45]
	s_and_saveexec_b64 s[44:45], s[46:47]
	s_xor_b64 s[44:45], exec, s[44:45]
	s_cbranch_execz .LBB32_794
; %bb.793:                              ;   in Loop: Header=BB32_47 Depth=1
	ds_write_b32 v0, v31
	s_trap 2
.LBB32_794:                             ;   in Loop: Header=BB32_47 Depth=1
	s_or_b64 exec, exec, s[42:43]
	;;#ASMSTART
	s_wakeup
	;;#ASMEND
.LBB32_795:                             ;   in Loop: Header=BB32_47 Depth=1
	s_or_b64 exec, exec, s[40:41]
.LBB32_796:                             ;   in Loop: Header=BB32_47 Depth=1
	s_andn2_saveexec_b64 s[28:29], s[28:29]
	s_cbranch_execz .LBB32_798
; %bb.797:                              ;   in Loop: Header=BB32_47 Depth=1
	s_waitcnt lgkmcnt(0)
	s_barrier
.LBB32_798:                             ;   in Loop: Header=BB32_47 Depth=1
	s_or_b64 exec, exec, s[28:29]
.LBB32_799:                             ;   in Loop: Header=BB32_47 Depth=1
	s_or_b64 exec, exec, s[26:27]
	s_trap 2
	ds_read_b32 v0, v0
	v_and_b32_e32 v1, 0x4000, v126
	v_cmp_ne_u32_e32 vcc, 0, v1
	s_xor_b64 s[26:27], s[4:5], -1
	s_and_b64 s[28:29], s[26:27], vcc
	s_and_saveexec_b64 s[26:27], s[28:29]
	s_cbranch_execz .LBB32_837
; %bb.800:                              ;   in Loop: Header=BB32_47 Depth=1
	s_and_saveexec_b64 s[28:29], s[78:79]
	s_xor_b64 s[28:29], exec, s[28:29]
	s_cbranch_execz .LBB32_834
; %bb.801:                              ;   in Loop: Header=BB32_47 Depth=1
	s_and_saveexec_b64 s[40:41], s[14:15]
	s_cbranch_execz .LBB32_833
; %bb.802:                              ;   in Loop: Header=BB32_47 Depth=1
	s_mov_b64 s[44:45], exec
	v_mbcnt_lo_u32_b32 v1, s44, 0
	v_mbcnt_hi_u32_b32 v1, s45, v1
	v_cmp_eq_u32_e32 vcc, 0, v1
	s_waitcnt lgkmcnt(0)
	s_and_saveexec_b64 s[42:43], vcc
	s_cbranch_execz .LBB32_804
; %bb.803:                              ;   in Loop: Header=BB32_47 Depth=1
	s_bcnt1_i32_b64 s44, s[44:45]
	v_mov_b32_e32 v2, s44
	ds_add_u64 v0, v[2:3]
	s_trap 2
.LBB32_804:                             ;   in Loop: Header=BB32_47 Depth=1
	s_or_b64 exec, exec, s[42:43]
	s_trap 2
	ds_read_b64 v[4:5], v0
	s_waitcnt lgkmcnt(0)
	v_lshl_add_u64 v[46:47], v[46:47], 0, v[60:61]
	v_cmp_lt_u64_e32 vcc, v[4:5], v[46:47]
	s_and_saveexec_b64 s[42:43], vcc
	s_cbranch_execz .LBB32_832
; %bb.805:                              ;   in Loop: Header=BB32_47 Depth=1
	s_mov_b32 s76, 0
	s_mov_b64 s[44:45], 0
                                        ; implicit-def: $sgpr46_sgpr47
                                        ; implicit-def: $sgpr56_sgpr57
	s_branch .LBB32_807
.LBB32_806:                             ;   in Loop: Header=BB32_807 Depth=2
	s_or_b64 exec, exec, s[60:61]
	s_and_b64 s[58:59], exec, s[62:63]
	s_or_b64 s[44:45], s[58:59], s[44:45]
	s_andn2_b64 s[46:47], s[46:47], exec
	s_and_b64 s[58:59], s[56:57], exec
	s_or_b64 s[46:47], s[46:47], s[58:59]
	s_andn2_b64 exec, exec, s[44:45]
	s_cbranch_execz .LBB32_830
.LBB32_807:                             ;   Parent Loop BB32_47 Depth=1
                                        ; =>  This Inner Loop Header: Depth=2
	s_add_i32 s76, s76, 1
	s_cmpk_lg_i32 s76, 0x2710
	s_cselect_b64 s[58:59], -1, 0
	s_and_b64 vcc, exec, s[58:59]
	s_cbranch_vccz .LBB32_809
; %bb.808:                              ;   in Loop: Header=BB32_807 Depth=2
	s_mov_b64 s[62:63], -1
	s_or_b64 s[56:57], s[56:57], exec
	s_and_saveexec_b64 s[60:61], s[58:59]
	s_cbranch_execz .LBB32_806
	s_branch .LBB32_810
.LBB32_809:                             ;   in Loop: Header=BB32_807 Depth=2
	s_trap 2
	ds_read_b64 v[4:5], v0
	s_andn2_b64 s[58:59], s[58:59], exec
	s_mov_b32 s76, 0
	s_waitcnt vmcnt(0) lgkmcnt(0)
	flat_load_dword v1, v[4:5] sc0 sc1
	s_waitcnt vmcnt(0) lgkmcnt(0)
	buffer_inv sc0 sc1
	v_cmp_eq_u32_e32 vcc, 0, v1
	s_and_b64 s[60:61], vcc, exec
	s_or_b64 s[58:59], s[58:59], s[60:61]
	s_mov_b64 s[62:63], -1
	s_or_b64 s[56:57], s[56:57], exec
	s_and_saveexec_b64 s[60:61], s[58:59]
	s_cbranch_execz .LBB32_806
.LBB32_810:                             ;   in Loop: Header=BB32_807 Depth=2
	s_sleep 1
	s_trap 2
	ds_read_b64 v[4:5], v0
	s_waitcnt lgkmcnt(0)
	s_andn2_b64 s[56:57], s[56:57], exec
	v_cmp_ge_u64_e32 vcc, v[4:5], v[46:47]
	s_orn2_b64 s[62:63], vcc, exec
	s_branch .LBB32_806
.LBB32_811:                             ;   in Loop: Header=BB32_47 Depth=1
	s_or_b64 exec, exec, s[46:47]
	s_and_saveexec_b64 s[46:47], s[56:57]
	s_xor_b64 s[46:47], exec, s[46:47]
	s_cbranch_execz .LBB32_813
; %bb.812:                              ;   in Loop: Header=BB32_47 Depth=1
	ds_write_b32 v0, v31
	s_trap 2
.LBB32_813:                             ;   in Loop: Header=BB32_47 Depth=1
	s_or_b64 exec, exec, s[44:45]
	;;#ASMSTART
	s_wakeup
	;;#ASMEND
.LBB32_814:                             ;   in Loop: Header=BB32_47 Depth=1
	s_or_b64 exec, exec, s[42:43]
.LBB32_815:                             ;   in Loop: Header=BB32_47 Depth=1
	s_andn2_saveexec_b64 s[40:41], s[40:41]
	s_cbranch_execz .LBB32_817
; %bb.816:                              ;   in Loop: Header=BB32_47 Depth=1
	s_waitcnt lgkmcnt(0)
	s_barrier
.LBB32_817:                             ;   in Loop: Header=BB32_47 Depth=1
	s_or_b64 exec, exec, s[40:41]
	s_or_b64 exec, exec, s[26:27]
                                        ; implicit-def: $vgpr0
	s_and_saveexec_b64 s[26:27], s[22:23]
	s_xor_b64 s[26:27], exec, s[26:27]
	s_cbranch_execnz .LBB32_734
.LBB32_818:                             ;   in Loop: Header=BB32_47 Depth=1
	s_andn2_saveexec_b64 s[26:27], s[26:27]
	s_cbranch_execz .LBB32_1120
.LBB32_819:                             ;   in Loop: Header=BB32_47 Depth=1
	s_and_saveexec_b64 s[40:41], s[78:79]
	s_xor_b64 s[40:41], exec, s[40:41]
	s_cbranch_execz .LBB32_1117
; %bb.820:                              ;   in Loop: Header=BB32_47 Depth=1
	s_and_saveexec_b64 s[42:43], s[14:15]
	s_cbranch_execz .LBB32_1116
; %bb.821:                              ;   in Loop: Header=BB32_47 Depth=1
	s_mov_b64 s[46:47], exec
	v_mbcnt_lo_u32_b32 v0, s46, 0
	v_mbcnt_hi_u32_b32 v0, s47, v0
	v_cmp_eq_u32_e32 vcc, 0, v0
	;;#ASMSTART
	s_waitcnt lgkmcnt(0) vmcnt(0)
	;;#ASMEND
	s_and_saveexec_b64 s[44:45], vcc
	s_cbranch_execz .LBB32_823
; %bb.822:                              ;   in Loop: Header=BB32_47 Depth=1
	s_bcnt1_i32_b64 s46, s[46:47]
	s_waitcnt vmcnt(0)
	v_mov_b32_e32 v2, s46
	s_waitcnt lgkmcnt(0)
	ds_add_u64 v0, v[2:3]
	s_trap 2
.LBB32_823:                             ;   in Loop: Header=BB32_47 Depth=1
	s_or_b64 exec, exec, s[44:45]
	s_trap 2
	ds_read_b64 v[0:1], v0
	s_waitcnt lgkmcnt(0)
	v_lshl_add_u64 v[46:47], v[46:47], 0, v[60:61]
	v_cmp_lt_u64_e32 vcc, v[0:1], v[46:47]
	s_and_saveexec_b64 s[44:45], vcc
	s_cbranch_execz .LBB32_1115
; %bb.824:                              ;   in Loop: Header=BB32_47 Depth=1
	s_mov_b32 s76, 0
	s_mov_b64 s[46:47], 0
                                        ; implicit-def: $sgpr56_sgpr57
                                        ; implicit-def: $sgpr58_sgpr59
	s_branch .LBB32_826
.LBB32_825:                             ;   in Loop: Header=BB32_826 Depth=2
	s_or_b64 exec, exec, s[62:63]
	s_and_b64 s[60:61], exec, vcc
	s_or_b64 s[46:47], s[60:61], s[46:47]
	s_andn2_b64 s[56:57], s[56:57], exec
	s_and_b64 s[60:61], s[58:59], exec
	s_or_b64 s[56:57], s[56:57], s[60:61]
	s_andn2_b64 exec, exec, s[46:47]
	s_cbranch_execz .LBB32_1113
.LBB32_826:                             ;   Parent Loop BB32_47 Depth=1
                                        ; =>  This Inner Loop Header: Depth=2
	s_add_i32 s76, s76, 1
	s_cmpk_lg_i32 s76, 0x2710
	s_cselect_b64 s[60:61], -1, 0
	s_and_b64 vcc, exec, s[60:61]
	s_cbranch_vccz .LBB32_828
; %bb.827:                              ;   in Loop: Header=BB32_826 Depth=2
	s_mov_b64 vcc, -1
	s_or_b64 s[58:59], s[58:59], exec
	s_and_saveexec_b64 s[62:63], s[60:61]
	s_cbranch_execz .LBB32_825
	s_branch .LBB32_829
.LBB32_828:                             ;   in Loop: Header=BB32_826 Depth=2
	s_trap 2
	ds_read_b64 v[0:1], v0
	s_andn2_b64 s[60:61], s[60:61], exec
	s_mov_b32 s76, 0
	s_waitcnt vmcnt(0) lgkmcnt(0)
	flat_load_dword v0, v[0:1] sc0 sc1
	s_waitcnt vmcnt(0) lgkmcnt(0)
	buffer_inv sc0 sc1
	v_cmp_eq_u32_e32 vcc, 0, v0
	s_and_b64 s[62:63], vcc, exec
	s_or_b64 s[60:61], s[60:61], s[62:63]
	s_mov_b64 vcc, -1
	s_or_b64 s[58:59], s[58:59], exec
	s_and_saveexec_b64 s[62:63], s[60:61]
	s_cbranch_execz .LBB32_825
.LBB32_829:                             ;   in Loop: Header=BB32_826 Depth=2
	s_sleep 1
	s_trap 2
	ds_read_b64 v[0:1], v0
	s_waitcnt lgkmcnt(0)
	s_andn2_b64 s[58:59], s[58:59], exec
	v_cmp_ge_u64_e32 vcc, v[0:1], v[46:47]
	s_orn2_b64 vcc, vcc, exec
	s_branch .LBB32_825
.LBB32_830:                             ;   in Loop: Header=BB32_47 Depth=1
	s_or_b64 exec, exec, s[44:45]
	s_and_saveexec_b64 s[44:45], s[46:47]
	s_xor_b64 s[44:45], exec, s[44:45]
	s_cbranch_execz .LBB32_832
; %bb.831:                              ;   in Loop: Header=BB32_47 Depth=1
	ds_write_b32 v0, v31
	s_trap 2
.LBB32_832:                             ;   in Loop: Header=BB32_47 Depth=1
	s_or_b64 exec, exec, s[42:43]
	;;#ASMSTART
	s_wakeup
	;;#ASMEND
.LBB32_833:                             ;   in Loop: Header=BB32_47 Depth=1
	s_or_b64 exec, exec, s[40:41]
.LBB32_834:                             ;   in Loop: Header=BB32_47 Depth=1
	s_andn2_saveexec_b64 s[28:29], s[28:29]
	s_cbranch_execz .LBB32_836
; %bb.835:                              ;   in Loop: Header=BB32_47 Depth=1
	s_waitcnt lgkmcnt(0)
	s_barrier
.LBB32_836:                             ;   in Loop: Header=BB32_47 Depth=1
	s_or_b64 exec, exec, s[28:29]
.LBB32_837:                             ;   in Loop: Header=BB32_47 Depth=1
	s_or_b64 exec, exec, s[26:27]
	s_trap 2
	s_waitcnt lgkmcnt(0)
	ds_read_b64 v[96:97], v0
	s_waitcnt lgkmcnt(0)
	v_cmp_eq_u64_e32 vcc, 0, v[96:97]
	s_cbranch_vccnz .LBB32_846
; %bb.838:                              ;   in Loop: Header=BB32_47 Depth=1
	s_trap 2
	ds_read_b64 v[86:87], v0
	s_waitcnt lgkmcnt(0)
	v_cmp_eq_u64_e32 vcc, 0, v[86:87]
	s_cbranch_vccnz .LBB32_851
; %bb.839:                              ;   in Loop: Header=BB32_47 Depth=1
	s_trap 2
	ds_read_b64 v[28:29], v0
	v_cmp_eq_u32_e32 vcc, 0, v0
	s_waitcnt lgkmcnt(0)
	v_readfirstlane_b32 s97, v28
	v_cndmask_b32_e32 v85, 0, v84, vcc
	v_cmp_ne_u64_e32 vcc, 0, v[28:29]
	s_cbranch_vccz .LBB32_852
; %bb.840:                              ;   in Loop: Header=BB32_47 Depth=1
	s_trap 2
	ds_read_b64 v[98:99], v0
	s_mov_b64 s[28:29], -1
	s_and_saveexec_b64 s[26:27], s[20:21]
	s_cbranch_execz .LBB32_842
; %bb.841:                              ;   in Loop: Header=BB32_47 Depth=1
	ds_read_b32 v0, v0 offset:720
	s_waitcnt lgkmcnt(0)
	v_and_b32_e32 v0, 15, v0
	v_cmp_eq_u32_e32 vcc, 0, v0
	s_orn2_b64 s[28:29], vcc, exec
.LBB32_842:                             ;   in Loop: Header=BB32_47 Depth=1
	s_or_b64 exec, exec, s[26:27]
	s_and_saveexec_b64 s[26:27], s[20:21]
	s_cbranch_execz .LBB32_844
; %bb.843:                              ;   in Loop: Header=BB32_47 Depth=1
	ds_read_b32 v0, v0 offset:784
	s_waitcnt lgkmcnt(0)
	v_and_b32_e32 v0, 15, v0
	v_cmp_eq_u32_e32 vcc, 0, v0
	s_and_b64 s[40:41], s[28:29], vcc
	s_andn2_b64 s[28:29], s[28:29], exec
	s_and_b64 s[40:41], s[40:41], exec
	s_or_b64 s[28:29], s[28:29], s[40:41]
.LBB32_844:                             ;   in Loop: Header=BB32_47 Depth=1
	s_or_b64 exec, exec, s[26:27]
	s_xor_b64 s[28:29], s[28:29], -1
	v_cndmask_b32_e64 v0, 0, 1, s[28:29]
	v_lshlrev_b32_e32 v58, 1, v85
	s_mov_b64 s[26:27], -1
	v_mov_b32_e32 v1, 0
	v_cmp_ne_u32_e32 vcc, 0, v0
	s_cbranch_vccz .LBB32_854
; %bb.845:                              ;   in Loop: Header=BB32_47 Depth=1
	scratch_load_dword v2, off, s33 offset:188 ; 4-byte Folded Reload
	s_and_saveexec_b64 s[42:43], s[26:27]
	s_cbranch_execnz .LBB32_1167
	s_branch .LBB32_1309
.LBB32_846:                             ;   in Loop: Header=BB32_47 Depth=1
	s_mov_b64 s[26:27], 0
	s_and_saveexec_b64 s[28:29], s[6:7]
	s_cbranch_execnz .LBB32_1756
.LBB32_847:                             ;   in Loop: Header=BB32_47 Depth=1
	s_or_b64 exec, exec, s[28:29]
                                        ; implicit-def: $vgpr0
	s_and_saveexec_b64 s[28:29], s[22:23]
	s_xor_b64 s[28:29], exec, s[28:29]
	s_cbranch_execz .LBB32_1774
.LBB32_848:                             ;   in Loop: Header=BB32_47 Depth=1
	v_and_b32_e32 v1, 16, v126
	v_cmp_ne_u32_e32 vcc, 0, v1
	v_and_b32_e32 v0, 16, v126
	s_and_b64 s[40:41], vcc, s[26:27]
	s_and_saveexec_b64 s[26:27], s[40:41]
	s_cbranch_execz .LBB32_850
; %bb.849:                              ;   in Loop: Header=BB32_47 Depth=1
	v_mov_b32_e32 v0, 1
	buffer_wbl2 sc1
	s_waitcnt vmcnt(0) lgkmcnt(0)
	buffer_inv sc1
.LBB32_850:                             ;   in Loop: Header=BB32_47 Depth=1
	s_or_b64 exec, exec, s[26:27]
	s_andn2_saveexec_b64 s[26:27], s[28:29]
	s_cbranch_execz .LBB32_1793
	s_branch .LBB32_1775
.LBB32_851:                             ;   in Loop: Header=BB32_47 Depth=1
	s_mov_b64 s[26:27], 0
	scratch_load_dwordx2 v[86:87], off, s33 offset:212 ; 8-byte Folded Reload
	s_and_saveexec_b64 s[28:29], s[6:7]
	s_cbranch_execnz .LBB32_1756
	s_branch .LBB32_847
.LBB32_852:                             ;   in Loop: Header=BB32_47 Depth=1
	s_cbranch_execnz .LBB32_1310
.LBB32_853:                             ;   in Loop: Header=BB32_47 Depth=1
	v_cmp_lt_i32_e64 s[26:27], 0, v85
	scratch_load_dwordx2 v[86:87], off, s33 offset:212 ; 8-byte Folded Reload
	s_and_saveexec_b64 s[28:29], s[6:7]
	s_cbranch_execnz .LBB32_1756
	s_branch .LBB32_847
.LBB32_854:                             ;   in Loop: Header=BB32_47 Depth=1
	v_ashrrev_i32_e32 v0, 31, v58
	v_lshrrev_b32_e32 v0, 20, v0
	v_add_u32_e32 v0, v58, v0
	v_ashrrev_i32_e32 v1, 12, v0
	v_sub_u32_e32 v0, v1, v100
	v_cmp_lt_i32_e32 vcc, 0, v0
	s_and_saveexec_b64 s[28:29], vcc
	s_cbranch_execz .LBB32_1126
; %bb.855:                              ;   in Loop: Header=BB32_47 Depth=1
	s_trap 2
	ds_read_b64 v[8:9], v0
	s_and_b32 s76, s97, 1
	s_cmp_eq_u64 s[76:77], 0
	v_mov_b32_e32 v108, 0xc8
	v_mov_b64_e32 v[106:107], v[102:103]
	s_waitcnt lgkmcnt(0)
	v_lshl_add_u64 v[4:5], v[98:99], 0, v[90:91]
	v_lshl_add_u64 v[100:101], v[86:87], 0, v[90:91]
	;; [unrolled: 1-line block ×5, first 2 shown]
	s_mov_b64 s[40:41], 0
	s_cselect_b64 vcc, -1, 0
	s_branch .LBB32_857
.LBB32_856:                             ;   in Loop: Header=BB32_857 Depth=2
	s_or_b64 exec, exec, s[42:43]
	v_or_b32_sdwa v20, v20, v2 dst_sel:DWORD dst_unused:UNUSED_PAD src0_sel:DWORD src1_sel:WORD_1
	v_lshrrev_b32_e32 v2, 16, v48
	v_and_or_b32 v9, v9, s87, v2
	v_lshrrev_b32_e32 v2, 16, v35
	v_and_or_b32 v8, v8, s87, v2
	;; [unrolled: 2-line block ×3, first 2 shown]
	v_lshrrev_b32_e32 v2, 16, v50
	v_sub_u32_e32 v0, v0, v60
	v_and_or_b32 v11, v11, s87, v2
	v_cmp_gt_i32_e64 s[26:27], 1, v0
	v_or_b32_sdwa v65, v33, v24 dst_sel:DWORD dst_unused:UNUSED_PAD src0_sel:DWORD src1_sel:WORD_1
	v_or_b32_sdwa v64, v32, v39 dst_sel:DWORD dst_unused:UNUSED_PAD src0_sel:DWORD src1_sel:WORD_1
	;; [unrolled: 1-line block ×15, first 2 shown]
	global_store_dwordx4 v[100:101], v[8:11], off offset:3072
	global_store_dwordx4 v[102:103], v[20:23], off
	global_store_dwordx4 v[102:103], v[16:19], off offset:1024
	global_store_dwordx4 v[102:103], v[12:15], off offset:2048
	;; [unrolled: 1-line block ×3, first 2 shown]
	v_lshl_add_u64 v[112:113], v[112:113], 0, v[92:93]
	v_lshl_add_u64 v[114:115], v[114:115], 0, v[92:93]
	;; [unrolled: 1-line block ×4, first 2 shown]
	s_or_b64 s[40:41], s[26:27], s[40:41]
	v_lshl_add_u64 v[4:5], v[4:5], 0, v[92:93]
	s_andn2_b64 exec, exec, s[40:41]
	s_cbranch_execz .LBB32_1125
.LBB32_857:                             ;   Parent Loop BB32_47 Depth=1
                                        ; =>  This Inner Loop Header: Depth=2
	global_load_dwordx4 v[68:71], v[112:113], off nt
	global_load_dwordx4 v[52:55], v[112:113], off offset:1024 nt
	global_load_dwordx4 v[80:83], v[114:115], off nt
	global_load_dwordx4 v[20:23], v[4:5], off nt
	global_load_dwordx4 v[16:19], v[4:5], off offset:1024 nt
	global_load_dwordx4 v[36:39], v[112:113], off offset:2048 nt
	;; [unrolled: 1-line block ×8, first 2 shown]
	s_waitcnt vmcnt(0)
	v_lshlrev_b32_e32 v2, 16, v68
	v_max_f32_e32 v2, v2, v2
	v_lshlrev_b32_e32 v118, 16, v80
	v_max_f32_e32 v118, v118, v118
	v_min_f32_e32 v119, v2, v118
	v_max_f32_e32 v2, v2, v118
	v_cndmask_b32_e32 v59, v2, v119, vcc
	v_and_b32_e32 v2, 0x7f800000, v59
	v_cmp_ne_u32_e64 s[26:27], s85, v2
                                        ; implicit-def: $vgpr2
	s_and_saveexec_b64 s[42:43], s[26:27]
	s_xor_b64 s[26:27], exec, s[42:43]
; %bb.858:                              ;   in Loop: Header=BB32_857 Depth=2
	v_bfe_u32 v2, v59, 16, 1
	v_add3_u32 v2, v59, v2, s86
                                        ; implicit-def: $vgpr59
; %bb.859:                              ;   in Loop: Header=BB32_857 Depth=2
	s_andn2_saveexec_b64 s[42:43], s[26:27]
; %bb.860:                              ;   in Loop: Header=BB32_857 Depth=2
	v_or_b32_e32 v2, 0x10000, v59
	v_cmp_eq_u32_sdwa s[26:27], v59, v3 src0_sel:WORD_0 src1_sel:DWORD
	s_nop 1
	v_cndmask_b32_e64 v2, v2, v59, s[26:27]
; %bb.861:                              ;   in Loop: Header=BB32_857 Depth=2
	s_or_b64 exec, exec, s[42:43]
	v_and_b32_e32 v68, 0xffff0000, v68
	v_and_b32_e32 v80, 0xffff0000, v80
	v_max_f32_e32 v80, v80, v80
	v_max_f32_e32 v68, v68, v68
	v_min_f32_e32 v118, v68, v80
	v_max_f32_e32 v68, v68, v80
	v_cndmask_b32_e32 v68, v68, v118, vcc
	v_and_b32_e32 v80, 0x7f800000, v68
	v_cmp_ne_u32_e64 s[26:27], s85, v80
                                        ; implicit-def: $vgpr80
	s_and_saveexec_b64 s[42:43], s[26:27]
	s_xor_b64 s[26:27], exec, s[42:43]
; %bb.862:                              ;   in Loop: Header=BB32_857 Depth=2
	v_bfe_u32 v80, v68, 16, 1
	v_add3_u32 v80, v68, v80, s86
                                        ; implicit-def: $vgpr68
; %bb.863:                              ;   in Loop: Header=BB32_857 Depth=2
	s_andn2_saveexec_b64 s[42:43], s[26:27]
; %bb.864:                              ;   in Loop: Header=BB32_857 Depth=2
	v_or_b32_e32 v80, 0x10000, v68
	v_cmp_eq_u32_sdwa s[26:27], v68, v3 src0_sel:WORD_0 src1_sel:DWORD
	s_nop 1
	v_cndmask_b32_e64 v80, v80, v68, s[26:27]
; %bb.865:                              ;   in Loop: Header=BB32_857 Depth=2
	s_or_b64 exec, exec, s[42:43]
	v_lshlrev_b32_e32 v68, 16, v69
	v_lshlrev_b32_e32 v118, 16, v81
	v_max_f32_e32 v118, v118, v118
	v_max_f32_e32 v68, v68, v68
	v_min_f32_e32 v119, v68, v118
	v_max_f32_e32 v68, v68, v118
	v_cndmask_b32_e32 v59, v68, v119, vcc
	v_and_b32_e32 v68, 0x7f800000, v59
	v_cmp_ne_u32_e64 s[26:27], s85, v68
                                        ; implicit-def: $vgpr68
	s_and_saveexec_b64 s[42:43], s[26:27]
	s_xor_b64 s[26:27], exec, s[42:43]
; %bb.866:                              ;   in Loop: Header=BB32_857 Depth=2
	v_bfe_u32 v68, v59, 16, 1
	v_add3_u32 v68, v59, v68, s86
                                        ; implicit-def: $vgpr59
; %bb.867:                              ;   in Loop: Header=BB32_857 Depth=2
	s_andn2_saveexec_b64 s[42:43], s[26:27]
; %bb.868:                              ;   in Loop: Header=BB32_857 Depth=2
	v_or_b32_e32 v68, 0x10000, v59
	v_cmp_eq_u32_sdwa s[26:27], v59, v3 src0_sel:WORD_0 src1_sel:DWORD
	s_nop 1
	v_cndmask_b32_e64 v68, v68, v59, s[26:27]
; %bb.869:                              ;   in Loop: Header=BB32_857 Depth=2
	s_or_b64 exec, exec, s[42:43]
	v_and_b32_e32 v69, 0xffff0000, v69
	v_and_b32_e32 v81, 0xffff0000, v81
	v_max_f32_e32 v81, v81, v81
	v_max_f32_e32 v69, v69, v69
	v_min_f32_e32 v118, v69, v81
	v_max_f32_e32 v69, v69, v81
	v_cndmask_b32_e32 v69, v69, v118, vcc
	v_and_b32_e32 v81, 0x7f800000, v69
	v_cmp_ne_u32_e64 s[26:27], s85, v81
                                        ; implicit-def: $vgpr81
	s_and_saveexec_b64 s[42:43], s[26:27]
	s_xor_b64 s[26:27], exec, s[42:43]
; %bb.870:                              ;   in Loop: Header=BB32_857 Depth=2
	v_bfe_u32 v81, v69, 16, 1
	v_add3_u32 v81, v69, v81, s86
                                        ; implicit-def: $vgpr69
; %bb.871:                              ;   in Loop: Header=BB32_857 Depth=2
	s_andn2_saveexec_b64 s[42:43], s[26:27]
; %bb.872:                              ;   in Loop: Header=BB32_857 Depth=2
	v_or_b32_e32 v81, 0x10000, v69
	v_cmp_eq_u32_sdwa s[26:27], v69, v3 src0_sel:WORD_0 src1_sel:DWORD
	s_nop 1
	v_cndmask_b32_e64 v81, v81, v69, s[26:27]
; %bb.873:                              ;   in Loop: Header=BB32_857 Depth=2
	s_or_b64 exec, exec, s[42:43]
	v_lshlrev_b32_e32 v69, 16, v70
	v_lshlrev_b32_e32 v118, 16, v82
	v_max_f32_e32 v118, v118, v118
	v_max_f32_e32 v69, v69, v69
	v_min_f32_e32 v119, v69, v118
	v_max_f32_e32 v69, v69, v118
	v_cndmask_b32_e32 v59, v69, v119, vcc
	v_and_b32_e32 v69, 0x7f800000, v59
	v_cmp_ne_u32_e64 s[26:27], s85, v69
                                        ; implicit-def: $vgpr69
	s_and_saveexec_b64 s[42:43], s[26:27]
	s_xor_b64 s[26:27], exec, s[42:43]
; %bb.874:                              ;   in Loop: Header=BB32_857 Depth=2
	v_bfe_u32 v69, v59, 16, 1
	v_add3_u32 v69, v59, v69, s86
                                        ; implicit-def: $vgpr59
; %bb.875:                              ;   in Loop: Header=BB32_857 Depth=2
	s_andn2_saveexec_b64 s[42:43], s[26:27]
; %bb.876:                              ;   in Loop: Header=BB32_857 Depth=2
	v_or_b32_e32 v69, 0x10000, v59
	v_cmp_eq_u32_sdwa s[26:27], v59, v3 src0_sel:WORD_0 src1_sel:DWORD
	s_nop 1
	v_cndmask_b32_e64 v69, v69, v59, s[26:27]
; %bb.877:                              ;   in Loop: Header=BB32_857 Depth=2
	s_or_b64 exec, exec, s[42:43]
	v_and_b32_e32 v70, 0xffff0000, v70
	v_and_b32_e32 v82, 0xffff0000, v82
	v_max_f32_e32 v82, v82, v82
	v_max_f32_e32 v70, v70, v70
	v_min_f32_e32 v118, v70, v82
	v_max_f32_e32 v70, v70, v82
	v_cndmask_b32_e32 v70, v70, v118, vcc
	v_and_b32_e32 v82, 0x7f800000, v70
	v_cmp_ne_u32_e64 s[26:27], s85, v82
                                        ; implicit-def: $vgpr82
	s_and_saveexec_b64 s[42:43], s[26:27]
	s_xor_b64 s[26:27], exec, s[42:43]
; %bb.878:                              ;   in Loop: Header=BB32_857 Depth=2
	v_bfe_u32 v82, v70, 16, 1
	v_add3_u32 v82, v70, v82, s86
                                        ; implicit-def: $vgpr70
; %bb.879:                              ;   in Loop: Header=BB32_857 Depth=2
	s_andn2_saveexec_b64 s[42:43], s[26:27]
; %bb.880:                              ;   in Loop: Header=BB32_857 Depth=2
	v_or_b32_e32 v82, 0x10000, v70
	v_cmp_eq_u32_sdwa s[26:27], v70, v3 src0_sel:WORD_0 src1_sel:DWORD
	s_nop 1
	v_cndmask_b32_e64 v82, v82, v70, s[26:27]
; %bb.881:                              ;   in Loop: Header=BB32_857 Depth=2
	s_or_b64 exec, exec, s[42:43]
	v_lshlrev_b32_e32 v70, 16, v71
	v_lshlrev_b32_e32 v118, 16, v83
	v_max_f32_e32 v118, v118, v118
	v_max_f32_e32 v70, v70, v70
	v_min_f32_e32 v119, v70, v118
	v_max_f32_e32 v70, v70, v118
	v_cndmask_b32_e32 v59, v70, v119, vcc
	v_and_b32_e32 v70, 0x7f800000, v59
	v_cmp_ne_u32_e64 s[26:27], s85, v70
                                        ; implicit-def: $vgpr70
	s_and_saveexec_b64 s[42:43], s[26:27]
	s_xor_b64 s[26:27], exec, s[42:43]
; %bb.882:                              ;   in Loop: Header=BB32_857 Depth=2
	v_bfe_u32 v70, v59, 16, 1
	v_add3_u32 v70, v59, v70, s86
                                        ; implicit-def: $vgpr59
; %bb.883:                              ;   in Loop: Header=BB32_857 Depth=2
	s_andn2_saveexec_b64 s[42:43], s[26:27]
; %bb.884:                              ;   in Loop: Header=BB32_857 Depth=2
	v_or_b32_e32 v70, 0x10000, v59
	v_cmp_eq_u32_sdwa s[26:27], v59, v3 src0_sel:WORD_0 src1_sel:DWORD
	s_nop 1
	v_cndmask_b32_e64 v70, v70, v59, s[26:27]
; %bb.885:                              ;   in Loop: Header=BB32_857 Depth=2
	s_or_b64 exec, exec, s[42:43]
	v_and_b32_e32 v71, 0xffff0000, v71
	v_and_b32_e32 v83, 0xffff0000, v83
	v_max_f32_e32 v83, v83, v83
	v_max_f32_e32 v71, v71, v71
	v_min_f32_e32 v118, v71, v83
	v_max_f32_e32 v71, v71, v83
	v_cndmask_b32_e32 v71, v71, v118, vcc
	v_and_b32_e32 v83, 0x7f800000, v71
	v_cmp_ne_u32_e64 s[26:27], s85, v83
                                        ; implicit-def: $vgpr83
	s_and_saveexec_b64 s[42:43], s[26:27]
	s_xor_b64 s[26:27], exec, s[42:43]
; %bb.886:                              ;   in Loop: Header=BB32_857 Depth=2
	v_bfe_u32 v83, v71, 16, 1
	v_add3_u32 v83, v71, v83, s86
                                        ; implicit-def: $vgpr71
; %bb.887:                              ;   in Loop: Header=BB32_857 Depth=2
	s_andn2_saveexec_b64 s[42:43], s[26:27]
; %bb.888:                              ;   in Loop: Header=BB32_857 Depth=2
	v_or_b32_e32 v83, 0x10000, v71
	v_cmp_eq_u32_sdwa s[26:27], v71, v3 src0_sel:WORD_0 src1_sel:DWORD
	s_nop 1
	v_cndmask_b32_e64 v83, v83, v71, s[26:27]
; %bb.889:                              ;   in Loop: Header=BB32_857 Depth=2
	s_or_b64 exec, exec, s[42:43]
	v_lshlrev_b32_e32 v71, 16, v52
	v_lshlrev_b32_e32 v118, 16, v64
	v_max_f32_e32 v118, v118, v118
	v_max_f32_e32 v71, v71, v71
	v_min_f32_e32 v119, v71, v118
	v_max_f32_e32 v71, v71, v118
	v_cndmask_b32_e32 v59, v71, v119, vcc
	v_and_b32_e32 v71, 0x7f800000, v59
	v_cmp_ne_u32_e64 s[26:27], s85, v71
                                        ; implicit-def: $vgpr71
	s_and_saveexec_b64 s[42:43], s[26:27]
	s_xor_b64 s[26:27], exec, s[42:43]
; %bb.890:                              ;   in Loop: Header=BB32_857 Depth=2
	v_bfe_u32 v71, v59, 16, 1
	v_add3_u32 v71, v59, v71, s86
                                        ; implicit-def: $vgpr59
; %bb.891:                              ;   in Loop: Header=BB32_857 Depth=2
	s_andn2_saveexec_b64 s[42:43], s[26:27]
; %bb.892:                              ;   in Loop: Header=BB32_857 Depth=2
	v_or_b32_e32 v71, 0x10000, v59
	v_cmp_eq_u32_sdwa s[26:27], v59, v3 src0_sel:WORD_0 src1_sel:DWORD
	s_nop 1
	v_cndmask_b32_e64 v71, v71, v59, s[26:27]
; %bb.893:                              ;   in Loop: Header=BB32_857 Depth=2
	s_or_b64 exec, exec, s[42:43]
	v_and_b32_e32 v52, 0xffff0000, v52
	v_and_b32_e32 v64, 0xffff0000, v64
	v_max_f32_e32 v64, v64, v64
	v_max_f32_e32 v52, v52, v52
	v_min_f32_e32 v118, v52, v64
	v_max_f32_e32 v52, v52, v64
	v_cndmask_b32_e32 v52, v52, v118, vcc
	v_and_b32_e32 v64, 0x7f800000, v52
	v_cmp_ne_u32_e64 s[26:27], s85, v64
                                        ; implicit-def: $vgpr64
	s_and_saveexec_b64 s[42:43], s[26:27]
	s_xor_b64 s[26:27], exec, s[42:43]
; %bb.894:                              ;   in Loop: Header=BB32_857 Depth=2
	v_bfe_u32 v64, v52, 16, 1
	v_add3_u32 v64, v52, v64, s86
                                        ; implicit-def: $vgpr52
; %bb.895:                              ;   in Loop: Header=BB32_857 Depth=2
	s_andn2_saveexec_b64 s[42:43], s[26:27]
; %bb.896:                              ;   in Loop: Header=BB32_857 Depth=2
	v_or_b32_e32 v64, 0x10000, v52
	v_cmp_eq_u32_sdwa s[26:27], v52, v3 src0_sel:WORD_0 src1_sel:DWORD
	s_nop 1
	v_cndmask_b32_e64 v64, v64, v52, s[26:27]
; %bb.897:                              ;   in Loop: Header=BB32_857 Depth=2
	s_or_b64 exec, exec, s[42:43]
	v_lshlrev_b32_e32 v52, 16, v53
	v_lshlrev_b32_e32 v118, 16, v65
	v_max_f32_e32 v118, v118, v118
	v_max_f32_e32 v52, v52, v52
	v_min_f32_e32 v119, v52, v118
	v_max_f32_e32 v52, v52, v118
	v_cndmask_b32_e32 v59, v52, v119, vcc
	v_and_b32_e32 v52, 0x7f800000, v59
	v_cmp_ne_u32_e64 s[26:27], s85, v52
                                        ; implicit-def: $vgpr52
	s_and_saveexec_b64 s[42:43], s[26:27]
	s_xor_b64 s[26:27], exec, s[42:43]
; %bb.898:                              ;   in Loop: Header=BB32_857 Depth=2
	v_bfe_u32 v52, v59, 16, 1
	v_add3_u32 v52, v59, v52, s86
                                        ; implicit-def: $vgpr59
; %bb.899:                              ;   in Loop: Header=BB32_857 Depth=2
	s_andn2_saveexec_b64 s[42:43], s[26:27]
; %bb.900:                              ;   in Loop: Header=BB32_857 Depth=2
	v_or_b32_e32 v52, 0x10000, v59
	v_cmp_eq_u32_sdwa s[26:27], v59, v3 src0_sel:WORD_0 src1_sel:DWORD
	s_nop 1
	v_cndmask_b32_e64 v52, v52, v59, s[26:27]
; %bb.901:                              ;   in Loop: Header=BB32_857 Depth=2
	s_or_b64 exec, exec, s[42:43]
	v_and_b32_e32 v53, 0xffff0000, v53
	v_and_b32_e32 v65, 0xffff0000, v65
	v_max_f32_e32 v65, v65, v65
	v_max_f32_e32 v53, v53, v53
	v_min_f32_e32 v118, v53, v65
	v_max_f32_e32 v53, v53, v65
	v_cndmask_b32_e32 v53, v53, v118, vcc
	v_and_b32_e32 v65, 0x7f800000, v53
	v_cmp_ne_u32_e64 s[26:27], s85, v65
                                        ; implicit-def: $vgpr65
	s_and_saveexec_b64 s[42:43], s[26:27]
	s_xor_b64 s[26:27], exec, s[42:43]
; %bb.902:                              ;   in Loop: Header=BB32_857 Depth=2
	v_bfe_u32 v65, v53, 16, 1
	v_add3_u32 v65, v53, v65, s86
                                        ; implicit-def: $vgpr53
; %bb.903:                              ;   in Loop: Header=BB32_857 Depth=2
	s_andn2_saveexec_b64 s[42:43], s[26:27]
; %bb.904:                              ;   in Loop: Header=BB32_857 Depth=2
	v_or_b32_e32 v65, 0x10000, v53
	v_cmp_eq_u32_sdwa s[26:27], v53, v3 src0_sel:WORD_0 src1_sel:DWORD
	s_nop 1
	v_cndmask_b32_e64 v65, v65, v53, s[26:27]
; %bb.905:                              ;   in Loop: Header=BB32_857 Depth=2
	s_or_b64 exec, exec, s[42:43]
	v_lshlrev_b32_e32 v53, 16, v54
	v_lshlrev_b32_e32 v118, 16, v66
	v_max_f32_e32 v118, v118, v118
	v_max_f32_e32 v53, v53, v53
	v_min_f32_e32 v119, v53, v118
	v_max_f32_e32 v53, v53, v118
	v_cndmask_b32_e32 v59, v53, v119, vcc
	v_and_b32_e32 v53, 0x7f800000, v59
	v_cmp_ne_u32_e64 s[26:27], s85, v53
                                        ; implicit-def: $vgpr53
	s_and_saveexec_b64 s[42:43], s[26:27]
	s_xor_b64 s[26:27], exec, s[42:43]
; %bb.906:                              ;   in Loop: Header=BB32_857 Depth=2
	v_bfe_u32 v53, v59, 16, 1
	v_add3_u32 v53, v59, v53, s86
                                        ; implicit-def: $vgpr59
; %bb.907:                              ;   in Loop: Header=BB32_857 Depth=2
	s_andn2_saveexec_b64 s[42:43], s[26:27]
; %bb.908:                              ;   in Loop: Header=BB32_857 Depth=2
	v_or_b32_e32 v53, 0x10000, v59
	v_cmp_eq_u32_sdwa s[26:27], v59, v3 src0_sel:WORD_0 src1_sel:DWORD
	s_nop 1
	v_cndmask_b32_e64 v53, v53, v59, s[26:27]
; %bb.909:                              ;   in Loop: Header=BB32_857 Depth=2
	s_or_b64 exec, exec, s[42:43]
	v_and_b32_e32 v54, 0xffff0000, v54
	v_and_b32_e32 v66, 0xffff0000, v66
	v_max_f32_e32 v66, v66, v66
	v_max_f32_e32 v54, v54, v54
	v_min_f32_e32 v118, v54, v66
	v_max_f32_e32 v54, v54, v66
	v_cndmask_b32_e32 v54, v54, v118, vcc
	v_and_b32_e32 v66, 0x7f800000, v54
	v_cmp_ne_u32_e64 s[26:27], s85, v66
                                        ; implicit-def: $vgpr66
	s_and_saveexec_b64 s[42:43], s[26:27]
	s_xor_b64 s[26:27], exec, s[42:43]
; %bb.910:                              ;   in Loop: Header=BB32_857 Depth=2
	v_bfe_u32 v66, v54, 16, 1
	v_add3_u32 v66, v54, v66, s86
                                        ; implicit-def: $vgpr54
; %bb.911:                              ;   in Loop: Header=BB32_857 Depth=2
	s_andn2_saveexec_b64 s[42:43], s[26:27]
; %bb.912:                              ;   in Loop: Header=BB32_857 Depth=2
	v_or_b32_e32 v66, 0x10000, v54
	v_cmp_eq_u32_sdwa s[26:27], v54, v3 src0_sel:WORD_0 src1_sel:DWORD
	s_nop 1
	v_cndmask_b32_e64 v66, v66, v54, s[26:27]
; %bb.913:                              ;   in Loop: Header=BB32_857 Depth=2
	s_or_b64 exec, exec, s[42:43]
	v_lshlrev_b32_e32 v54, 16, v55
	v_lshlrev_b32_e32 v118, 16, v67
	v_max_f32_e32 v118, v118, v118
	v_max_f32_e32 v54, v54, v54
	v_min_f32_e32 v119, v54, v118
	v_max_f32_e32 v54, v54, v118
	v_cndmask_b32_e32 v59, v54, v119, vcc
	v_and_b32_e32 v54, 0x7f800000, v59
	v_cmp_ne_u32_e64 s[26:27], s85, v54
                                        ; implicit-def: $vgpr54
	s_and_saveexec_b64 s[42:43], s[26:27]
	s_xor_b64 s[26:27], exec, s[42:43]
; %bb.914:                              ;   in Loop: Header=BB32_857 Depth=2
	v_bfe_u32 v54, v59, 16, 1
	v_add3_u32 v54, v59, v54, s86
                                        ; implicit-def: $vgpr59
; %bb.915:                              ;   in Loop: Header=BB32_857 Depth=2
	s_andn2_saveexec_b64 s[42:43], s[26:27]
; %bb.916:                              ;   in Loop: Header=BB32_857 Depth=2
	v_or_b32_e32 v54, 0x10000, v59
	v_cmp_eq_u32_sdwa s[26:27], v59, v3 src0_sel:WORD_0 src1_sel:DWORD
	s_nop 1
	v_cndmask_b32_e64 v54, v54, v59, s[26:27]
; %bb.917:                              ;   in Loop: Header=BB32_857 Depth=2
	s_or_b64 exec, exec, s[42:43]
	v_and_b32_e32 v55, 0xffff0000, v55
	v_and_b32_e32 v67, 0xffff0000, v67
	v_max_f32_e32 v67, v67, v67
	v_max_f32_e32 v55, v55, v55
	v_min_f32_e32 v118, v55, v67
	v_max_f32_e32 v55, v55, v67
	v_cndmask_b32_e32 v55, v55, v118, vcc
	v_and_b32_e32 v67, 0x7f800000, v55
	v_cmp_ne_u32_e64 s[26:27], s85, v67
                                        ; implicit-def: $vgpr67
	s_and_saveexec_b64 s[42:43], s[26:27]
	s_xor_b64 s[26:27], exec, s[42:43]
; %bb.918:                              ;   in Loop: Header=BB32_857 Depth=2
	v_bfe_u32 v67, v55, 16, 1
	v_add3_u32 v67, v55, v67, s86
                                        ; implicit-def: $vgpr55
; %bb.919:                              ;   in Loop: Header=BB32_857 Depth=2
	s_andn2_saveexec_b64 s[42:43], s[26:27]
; %bb.920:                              ;   in Loop: Header=BB32_857 Depth=2
	v_or_b32_e32 v67, 0x10000, v55
	v_cmp_eq_u32_sdwa s[26:27], v55, v3 src0_sel:WORD_0 src1_sel:DWORD
	s_nop 1
	v_cndmask_b32_e64 v67, v67, v55, s[26:27]
; %bb.921:                              ;   in Loop: Header=BB32_857 Depth=2
	s_or_b64 exec, exec, s[42:43]
	v_lshlrev_b32_e32 v55, 16, v36
	v_lshlrev_b32_e32 v118, 16, v48
	v_max_f32_e32 v118, v118, v118
	v_max_f32_e32 v55, v55, v55
	v_min_f32_e32 v119, v55, v118
	v_max_f32_e32 v55, v55, v118
	v_cndmask_b32_e32 v59, v55, v119, vcc
	v_and_b32_e32 v55, 0x7f800000, v59
	v_cmp_ne_u32_e64 s[26:27], s85, v55
                                        ; implicit-def: $vgpr55
	s_and_saveexec_b64 s[42:43], s[26:27]
	s_xor_b64 s[26:27], exec, s[42:43]
; %bb.922:                              ;   in Loop: Header=BB32_857 Depth=2
	v_bfe_u32 v55, v59, 16, 1
	v_add3_u32 v55, v59, v55, s86
                                        ; implicit-def: $vgpr59
; %bb.923:                              ;   in Loop: Header=BB32_857 Depth=2
	s_andn2_saveexec_b64 s[42:43], s[26:27]
; %bb.924:                              ;   in Loop: Header=BB32_857 Depth=2
	v_or_b32_e32 v55, 0x10000, v59
	v_cmp_eq_u32_sdwa s[26:27], v59, v3 src0_sel:WORD_0 src1_sel:DWORD
	s_nop 1
	v_cndmask_b32_e64 v55, v55, v59, s[26:27]
; %bb.925:                              ;   in Loop: Header=BB32_857 Depth=2
	s_or_b64 exec, exec, s[42:43]
	v_and_b32_e32 v36, 0xffff0000, v36
	v_and_b32_e32 v48, 0xffff0000, v48
	v_max_f32_e32 v48, v48, v48
	v_max_f32_e32 v36, v36, v36
	v_min_f32_e32 v118, v36, v48
	v_max_f32_e32 v36, v36, v48
	v_cndmask_b32_e32 v36, v36, v118, vcc
	v_and_b32_e32 v48, 0x7f800000, v36
	v_cmp_ne_u32_e64 s[26:27], s85, v48
                                        ; implicit-def: $vgpr48
	s_and_saveexec_b64 s[42:43], s[26:27]
	s_xor_b64 s[26:27], exec, s[42:43]
; %bb.926:                              ;   in Loop: Header=BB32_857 Depth=2
	v_bfe_u32 v48, v36, 16, 1
	v_add3_u32 v48, v36, v48, s86
                                        ; implicit-def: $vgpr36
; %bb.927:                              ;   in Loop: Header=BB32_857 Depth=2
	s_andn2_saveexec_b64 s[42:43], s[26:27]
; %bb.928:                              ;   in Loop: Header=BB32_857 Depth=2
	v_or_b32_e32 v48, 0x10000, v36
	v_cmp_eq_u32_sdwa s[26:27], v36, v3 src0_sel:WORD_0 src1_sel:DWORD
	s_nop 1
	v_cndmask_b32_e64 v48, v48, v36, s[26:27]
; %bb.929:                              ;   in Loop: Header=BB32_857 Depth=2
	s_or_b64 exec, exec, s[42:43]
	v_lshlrev_b32_e32 v36, 16, v37
	v_lshlrev_b32_e32 v118, 16, v49
	v_max_f32_e32 v118, v118, v118
	v_max_f32_e32 v36, v36, v36
	v_min_f32_e32 v119, v36, v118
	v_max_f32_e32 v36, v36, v118
	v_cndmask_b32_e32 v59, v36, v119, vcc
	v_and_b32_e32 v36, 0x7f800000, v59
	v_cmp_ne_u32_e64 s[26:27], s85, v36
                                        ; implicit-def: $vgpr36
	s_and_saveexec_b64 s[42:43], s[26:27]
	s_xor_b64 s[26:27], exec, s[42:43]
; %bb.930:                              ;   in Loop: Header=BB32_857 Depth=2
	v_bfe_u32 v36, v59, 16, 1
	v_add3_u32 v36, v59, v36, s86
                                        ; implicit-def: $vgpr59
; %bb.931:                              ;   in Loop: Header=BB32_857 Depth=2
	s_andn2_saveexec_b64 s[42:43], s[26:27]
; %bb.932:                              ;   in Loop: Header=BB32_857 Depth=2
	v_or_b32_e32 v36, 0x10000, v59
	v_cmp_eq_u32_sdwa s[26:27], v59, v3 src0_sel:WORD_0 src1_sel:DWORD
	s_nop 1
	v_cndmask_b32_e64 v36, v36, v59, s[26:27]
; %bb.933:                              ;   in Loop: Header=BB32_857 Depth=2
	s_or_b64 exec, exec, s[42:43]
	v_and_b32_e32 v37, 0xffff0000, v37
	v_and_b32_e32 v49, 0xffff0000, v49
	v_max_f32_e32 v49, v49, v49
	v_max_f32_e32 v37, v37, v37
	v_min_f32_e32 v118, v37, v49
	v_max_f32_e32 v37, v37, v49
	v_cndmask_b32_e32 v37, v37, v118, vcc
	v_and_b32_e32 v49, 0x7f800000, v37
	v_cmp_ne_u32_e64 s[26:27], s85, v49
                                        ; implicit-def: $vgpr49
	s_and_saveexec_b64 s[42:43], s[26:27]
	s_xor_b64 s[26:27], exec, s[42:43]
; %bb.934:                              ;   in Loop: Header=BB32_857 Depth=2
	v_bfe_u32 v49, v37, 16, 1
	v_add3_u32 v49, v37, v49, s86
                                        ; implicit-def: $vgpr37
; %bb.935:                              ;   in Loop: Header=BB32_857 Depth=2
	s_andn2_saveexec_b64 s[42:43], s[26:27]
; %bb.936:                              ;   in Loop: Header=BB32_857 Depth=2
	v_or_b32_e32 v49, 0x10000, v37
	v_cmp_eq_u32_sdwa s[26:27], v37, v3 src0_sel:WORD_0 src1_sel:DWORD
	s_nop 1
	v_cndmask_b32_e64 v49, v49, v37, s[26:27]
; %bb.937:                              ;   in Loop: Header=BB32_857 Depth=2
	s_or_b64 exec, exec, s[42:43]
	v_lshlrev_b32_e32 v37, 16, v38
	v_lshlrev_b32_e32 v118, 16, v50
	v_max_f32_e32 v118, v118, v118
	v_max_f32_e32 v37, v37, v37
	v_min_f32_e32 v119, v37, v118
	v_max_f32_e32 v37, v37, v118
	v_cndmask_b32_e32 v59, v37, v119, vcc
	v_and_b32_e32 v37, 0x7f800000, v59
	v_cmp_ne_u32_e64 s[26:27], s85, v37
                                        ; implicit-def: $vgpr37
	s_and_saveexec_b64 s[42:43], s[26:27]
	s_xor_b64 s[26:27], exec, s[42:43]
; %bb.938:                              ;   in Loop: Header=BB32_857 Depth=2
	v_bfe_u32 v37, v59, 16, 1
	v_add3_u32 v37, v59, v37, s86
                                        ; implicit-def: $vgpr59
; %bb.939:                              ;   in Loop: Header=BB32_857 Depth=2
	s_andn2_saveexec_b64 s[42:43], s[26:27]
; %bb.940:                              ;   in Loop: Header=BB32_857 Depth=2
	v_or_b32_e32 v37, 0x10000, v59
	v_cmp_eq_u32_sdwa s[26:27], v59, v3 src0_sel:WORD_0 src1_sel:DWORD
	s_nop 1
	v_cndmask_b32_e64 v37, v37, v59, s[26:27]
; %bb.941:                              ;   in Loop: Header=BB32_857 Depth=2
	s_or_b64 exec, exec, s[42:43]
	v_and_b32_e32 v38, 0xffff0000, v38
	v_and_b32_e32 v50, 0xffff0000, v50
	v_max_f32_e32 v50, v50, v50
	v_max_f32_e32 v38, v38, v38
	v_min_f32_e32 v118, v38, v50
	v_max_f32_e32 v38, v38, v50
	v_cndmask_b32_e32 v38, v38, v118, vcc
	v_and_b32_e32 v50, 0x7f800000, v38
	v_cmp_ne_u32_e64 s[26:27], s85, v50
                                        ; implicit-def: $vgpr50
	s_and_saveexec_b64 s[42:43], s[26:27]
	s_xor_b64 s[26:27], exec, s[42:43]
; %bb.942:                              ;   in Loop: Header=BB32_857 Depth=2
	v_bfe_u32 v50, v38, 16, 1
	v_add3_u32 v50, v38, v50, s86
                                        ; implicit-def: $vgpr38
; %bb.943:                              ;   in Loop: Header=BB32_857 Depth=2
	s_andn2_saveexec_b64 s[42:43], s[26:27]
; %bb.944:                              ;   in Loop: Header=BB32_857 Depth=2
	v_or_b32_e32 v50, 0x10000, v38
	v_cmp_eq_u32_sdwa s[26:27], v38, v3 src0_sel:WORD_0 src1_sel:DWORD
	s_nop 1
	v_cndmask_b32_e64 v50, v50, v38, s[26:27]
; %bb.945:                              ;   in Loop: Header=BB32_857 Depth=2
	s_or_b64 exec, exec, s[42:43]
	v_lshlrev_b32_e32 v38, 16, v39
	v_lshlrev_b32_e32 v118, 16, v51
	v_max_f32_e32 v118, v118, v118
	v_max_f32_e32 v38, v38, v38
	v_min_f32_e32 v119, v38, v118
	v_max_f32_e32 v38, v38, v118
	v_cndmask_b32_e32 v59, v38, v119, vcc
	v_and_b32_e32 v38, 0x7f800000, v59
	v_cmp_ne_u32_e64 s[26:27], s85, v38
                                        ; implicit-def: $vgpr38
	s_and_saveexec_b64 s[42:43], s[26:27]
	s_xor_b64 s[26:27], exec, s[42:43]
; %bb.946:                              ;   in Loop: Header=BB32_857 Depth=2
	v_bfe_u32 v38, v59, 16, 1
	v_add3_u32 v38, v59, v38, s86
                                        ; implicit-def: $vgpr59
; %bb.947:                              ;   in Loop: Header=BB32_857 Depth=2
	s_andn2_saveexec_b64 s[42:43], s[26:27]
; %bb.948:                              ;   in Loop: Header=BB32_857 Depth=2
	v_or_b32_e32 v38, 0x10000, v59
	v_cmp_eq_u32_sdwa s[26:27], v59, v3 src0_sel:WORD_0 src1_sel:DWORD
	s_nop 1
	v_cndmask_b32_e64 v38, v38, v59, s[26:27]
; %bb.949:                              ;   in Loop: Header=BB32_857 Depth=2
	s_or_b64 exec, exec, s[42:43]
	v_and_b32_e32 v39, 0xffff0000, v39
	v_and_b32_e32 v51, 0xffff0000, v51
	v_max_f32_e32 v51, v51, v51
	v_max_f32_e32 v39, v39, v39
	v_min_f32_e32 v118, v39, v51
	v_max_f32_e32 v39, v39, v51
	v_cndmask_b32_e32 v39, v39, v118, vcc
	v_and_b32_e32 v51, 0x7f800000, v39
	v_cmp_ne_u32_e64 s[26:27], s85, v51
                                        ; implicit-def: $vgpr51
	s_and_saveexec_b64 s[42:43], s[26:27]
	s_xor_b64 s[26:27], exec, s[42:43]
; %bb.950:                              ;   in Loop: Header=BB32_857 Depth=2
	v_bfe_u32 v51, v39, 16, 1
	v_add3_u32 v51, v39, v51, s86
                                        ; implicit-def: $vgpr39
; %bb.951:                              ;   in Loop: Header=BB32_857 Depth=2
	s_andn2_saveexec_b64 s[42:43], s[26:27]
; %bb.952:                              ;   in Loop: Header=BB32_857 Depth=2
	v_or_b32_e32 v51, 0x10000, v39
	v_cmp_eq_u32_sdwa s[26:27], v39, v3 src0_sel:WORD_0 src1_sel:DWORD
	s_nop 1
	v_cndmask_b32_e64 v51, v51, v39, s[26:27]
; %bb.953:                              ;   in Loop: Header=BB32_857 Depth=2
	s_or_b64 exec, exec, s[42:43]
	v_lshlrev_b32_e32 v39, 16, v24
	v_lshlrev_b32_e32 v118, 16, v32
	v_max_f32_e32 v118, v118, v118
	v_max_f32_e32 v39, v39, v39
	v_min_f32_e32 v119, v39, v118
	v_max_f32_e32 v39, v39, v118
	v_cndmask_b32_e32 v59, v39, v119, vcc
	v_and_b32_e32 v39, 0x7f800000, v59
	v_cmp_ne_u32_e64 s[26:27], s85, v39
                                        ; implicit-def: $vgpr39
	s_and_saveexec_b64 s[42:43], s[26:27]
	s_xor_b64 s[26:27], exec, s[42:43]
; %bb.954:                              ;   in Loop: Header=BB32_857 Depth=2
	v_bfe_u32 v39, v59, 16, 1
	v_add3_u32 v39, v59, v39, s86
                                        ; implicit-def: $vgpr59
; %bb.955:                              ;   in Loop: Header=BB32_857 Depth=2
	s_andn2_saveexec_b64 s[42:43], s[26:27]
; %bb.956:                              ;   in Loop: Header=BB32_857 Depth=2
	v_or_b32_e32 v39, 0x10000, v59
	v_cmp_eq_u32_sdwa s[26:27], v59, v3 src0_sel:WORD_0 src1_sel:DWORD
	s_nop 1
	v_cndmask_b32_e64 v39, v39, v59, s[26:27]
; %bb.957:                              ;   in Loop: Header=BB32_857 Depth=2
	s_or_b64 exec, exec, s[42:43]
	v_and_b32_e32 v24, 0xffff0000, v24
	v_and_b32_e32 v32, 0xffff0000, v32
	v_max_f32_e32 v32, v32, v32
	v_max_f32_e32 v24, v24, v24
	v_min_f32_e32 v118, v24, v32
	v_max_f32_e32 v24, v24, v32
	v_cndmask_b32_e32 v24, v24, v118, vcc
	v_and_b32_e32 v32, 0x7f800000, v24
	v_cmp_ne_u32_e64 s[26:27], s85, v32
                                        ; implicit-def: $vgpr32
	s_and_saveexec_b64 s[42:43], s[26:27]
	s_xor_b64 s[26:27], exec, s[42:43]
; %bb.958:                              ;   in Loop: Header=BB32_857 Depth=2
	v_bfe_u32 v32, v24, 16, 1
	v_add3_u32 v32, v24, v32, s86
                                        ; implicit-def: $vgpr24
; %bb.959:                              ;   in Loop: Header=BB32_857 Depth=2
	s_andn2_saveexec_b64 s[42:43], s[26:27]
; %bb.960:                              ;   in Loop: Header=BB32_857 Depth=2
	v_or_b32_e32 v32, 0x10000, v24
	v_cmp_eq_u32_sdwa s[26:27], v24, v3 src0_sel:WORD_0 src1_sel:DWORD
	s_nop 1
	v_cndmask_b32_e64 v32, v32, v24, s[26:27]
; %bb.961:                              ;   in Loop: Header=BB32_857 Depth=2
	s_or_b64 exec, exec, s[42:43]
	v_lshlrev_b32_e32 v24, 16, v25
	v_lshlrev_b32_e32 v118, 16, v33
	v_max_f32_e32 v118, v118, v118
	v_max_f32_e32 v24, v24, v24
	v_min_f32_e32 v119, v24, v118
	v_max_f32_e32 v24, v24, v118
	v_cndmask_b32_e32 v59, v24, v119, vcc
	v_and_b32_e32 v24, 0x7f800000, v59
	v_cmp_ne_u32_e64 s[26:27], s85, v24
                                        ; implicit-def: $vgpr24
	s_and_saveexec_b64 s[42:43], s[26:27]
	s_xor_b64 s[26:27], exec, s[42:43]
; %bb.962:                              ;   in Loop: Header=BB32_857 Depth=2
	v_bfe_u32 v24, v59, 16, 1
	v_add3_u32 v24, v59, v24, s86
                                        ; implicit-def: $vgpr59
; %bb.963:                              ;   in Loop: Header=BB32_857 Depth=2
	s_andn2_saveexec_b64 s[42:43], s[26:27]
; %bb.964:                              ;   in Loop: Header=BB32_857 Depth=2
	v_or_b32_e32 v24, 0x10000, v59
	v_cmp_eq_u32_sdwa s[26:27], v59, v3 src0_sel:WORD_0 src1_sel:DWORD
	s_nop 1
	v_cndmask_b32_e64 v24, v24, v59, s[26:27]
; %bb.965:                              ;   in Loop: Header=BB32_857 Depth=2
	s_or_b64 exec, exec, s[42:43]
	v_and_b32_e32 v25, 0xffff0000, v25
	v_and_b32_e32 v33, 0xffff0000, v33
	v_max_f32_e32 v33, v33, v33
	v_max_f32_e32 v25, v25, v25
	v_min_f32_e32 v118, v25, v33
	v_max_f32_e32 v25, v25, v33
	v_cndmask_b32_e32 v25, v25, v118, vcc
	v_and_b32_e32 v33, 0x7f800000, v25
	v_cmp_ne_u32_e64 s[26:27], s85, v33
                                        ; implicit-def: $vgpr33
	s_and_saveexec_b64 s[42:43], s[26:27]
	s_xor_b64 s[26:27], exec, s[42:43]
; %bb.966:                              ;   in Loop: Header=BB32_857 Depth=2
	v_bfe_u32 v33, v25, 16, 1
	v_add3_u32 v33, v25, v33, s86
                                        ; implicit-def: $vgpr25
; %bb.967:                              ;   in Loop: Header=BB32_857 Depth=2
	s_andn2_saveexec_b64 s[42:43], s[26:27]
; %bb.968:                              ;   in Loop: Header=BB32_857 Depth=2
	v_or_b32_e32 v33, 0x10000, v25
	v_cmp_eq_u32_sdwa s[26:27], v25, v3 src0_sel:WORD_0 src1_sel:DWORD
	s_nop 1
	v_cndmask_b32_e64 v33, v33, v25, s[26:27]
; %bb.969:                              ;   in Loop: Header=BB32_857 Depth=2
	s_or_b64 exec, exec, s[42:43]
	v_lshlrev_b32_e32 v25, 16, v26
	v_lshlrev_b32_e32 v118, 16, v34
	v_max_f32_e32 v118, v118, v118
	v_max_f32_e32 v25, v25, v25
	v_min_f32_e32 v119, v25, v118
	v_max_f32_e32 v25, v25, v118
	v_cndmask_b32_e32 v59, v25, v119, vcc
	v_and_b32_e32 v25, 0x7f800000, v59
	v_cmp_ne_u32_e64 s[26:27], s85, v25
                                        ; implicit-def: $vgpr25
	s_and_saveexec_b64 s[42:43], s[26:27]
	s_xor_b64 s[26:27], exec, s[42:43]
; %bb.970:                              ;   in Loop: Header=BB32_857 Depth=2
	v_bfe_u32 v25, v59, 16, 1
	v_add3_u32 v25, v59, v25, s86
                                        ; implicit-def: $vgpr59
; %bb.971:                              ;   in Loop: Header=BB32_857 Depth=2
	s_andn2_saveexec_b64 s[42:43], s[26:27]
; %bb.972:                              ;   in Loop: Header=BB32_857 Depth=2
	v_or_b32_e32 v25, 0x10000, v59
	v_cmp_eq_u32_sdwa s[26:27], v59, v3 src0_sel:WORD_0 src1_sel:DWORD
	s_nop 1
	v_cndmask_b32_e64 v25, v25, v59, s[26:27]
; %bb.973:                              ;   in Loop: Header=BB32_857 Depth=2
	s_or_b64 exec, exec, s[42:43]
	v_and_b32_e32 v26, 0xffff0000, v26
	v_and_b32_e32 v34, 0xffff0000, v34
	v_max_f32_e32 v34, v34, v34
	v_max_f32_e32 v26, v26, v26
	v_min_f32_e32 v118, v26, v34
	v_max_f32_e32 v26, v26, v34
	v_cndmask_b32_e32 v26, v26, v118, vcc
	v_and_b32_e32 v34, 0x7f800000, v26
	v_cmp_ne_u32_e64 s[26:27], s85, v34
                                        ; implicit-def: $vgpr34
	s_and_saveexec_b64 s[42:43], s[26:27]
	s_xor_b64 s[26:27], exec, s[42:43]
; %bb.974:                              ;   in Loop: Header=BB32_857 Depth=2
	v_bfe_u32 v34, v26, 16, 1
	v_add3_u32 v34, v26, v34, s86
                                        ; implicit-def: $vgpr26
; %bb.975:                              ;   in Loop: Header=BB32_857 Depth=2
	s_andn2_saveexec_b64 s[42:43], s[26:27]
; %bb.976:                              ;   in Loop: Header=BB32_857 Depth=2
	v_or_b32_e32 v34, 0x10000, v26
	v_cmp_eq_u32_sdwa s[26:27], v26, v3 src0_sel:WORD_0 src1_sel:DWORD
	s_nop 1
	v_cndmask_b32_e64 v34, v34, v26, s[26:27]
; %bb.977:                              ;   in Loop: Header=BB32_857 Depth=2
	s_or_b64 exec, exec, s[42:43]
	v_lshlrev_b32_e32 v26, 16, v27
	v_lshlrev_b32_e32 v118, 16, v35
	v_max_f32_e32 v118, v118, v118
	v_max_f32_e32 v26, v26, v26
	v_min_f32_e32 v119, v26, v118
	v_max_f32_e32 v26, v26, v118
	v_cndmask_b32_e32 v59, v26, v119, vcc
	v_and_b32_e32 v26, 0x7f800000, v59
	v_cmp_ne_u32_e64 s[26:27], s85, v26
                                        ; implicit-def: $vgpr26
	s_and_saveexec_b64 s[42:43], s[26:27]
	s_xor_b64 s[26:27], exec, s[42:43]
; %bb.978:                              ;   in Loop: Header=BB32_857 Depth=2
	v_bfe_u32 v26, v59, 16, 1
	v_add3_u32 v26, v59, v26, s86
                                        ; implicit-def: $vgpr59
; %bb.979:                              ;   in Loop: Header=BB32_857 Depth=2
	s_andn2_saveexec_b64 s[42:43], s[26:27]
; %bb.980:                              ;   in Loop: Header=BB32_857 Depth=2
	v_or_b32_e32 v26, 0x10000, v59
	v_cmp_eq_u32_sdwa s[26:27], v59, v3 src0_sel:WORD_0 src1_sel:DWORD
	s_nop 1
	v_cndmask_b32_e64 v26, v26, v59, s[26:27]
; %bb.981:                              ;   in Loop: Header=BB32_857 Depth=2
	s_or_b64 exec, exec, s[42:43]
	v_and_b32_e32 v27, 0xffff0000, v27
	v_and_b32_e32 v35, 0xffff0000, v35
	v_max_f32_e32 v35, v35, v35
	v_max_f32_e32 v27, v27, v27
	v_min_f32_e32 v118, v27, v35
	v_max_f32_e32 v27, v27, v35
	v_cndmask_b32_e32 v35, v27, v118, vcc
	v_and_b32_e32 v27, 0x7f800000, v35
	v_cmp_ne_u32_e64 s[26:27], s85, v27
                                        ; implicit-def: $vgpr27
	s_and_saveexec_b64 s[42:43], s[26:27]
	s_xor_b64 s[26:27], exec, s[42:43]
; %bb.982:                              ;   in Loop: Header=BB32_857 Depth=2
	v_bfe_u32 v27, v35, 16, 1
	v_add3_u32 v27, v35, v27, s86
                                        ; implicit-def: $vgpr35
; %bb.983:                              ;   in Loop: Header=BB32_857 Depth=2
	s_andn2_saveexec_b64 s[42:43], s[26:27]
; %bb.984:                              ;   in Loop: Header=BB32_857 Depth=2
	v_or_b32_e32 v27, 0x10000, v35
	v_cmp_eq_u32_sdwa s[26:27], v35, v3 src0_sel:WORD_0 src1_sel:DWORD
	s_nop 1
	v_cndmask_b32_e64 v27, v27, v35, s[26:27]
; %bb.985:                              ;   in Loop: Header=BB32_857 Depth=2
	s_or_b64 exec, exec, s[42:43]
	v_and_b32_e32 v35, 0xffff0000, v2
	v_lshlrev_b32_e32 v118, 16, v20
	v_max_f32_e32 v35, v35, v35
	v_max_f32_e32 v118, v118, v118
	v_min_f32_e32 v119, v35, v118
	v_max_f32_e32 v35, v35, v118
	v_cndmask_b32_e32 v59, v35, v119, vcc
	v_and_b32_e32 v35, 0x7f800000, v59
	v_cmp_ne_u32_e64 s[26:27], s85, v35
                                        ; implicit-def: $vgpr35
	s_and_saveexec_b64 s[42:43], s[26:27]
	s_xor_b64 s[26:27], exec, s[42:43]
; %bb.986:                              ;   in Loop: Header=BB32_857 Depth=2
	v_bfe_u32 v35, v59, 16, 1
	v_add3_u32 v35, v59, v35, s86
                                        ; implicit-def: $vgpr59
; %bb.987:                              ;   in Loop: Header=BB32_857 Depth=2
	s_andn2_saveexec_b64 s[42:43], s[26:27]
; %bb.988:                              ;   in Loop: Header=BB32_857 Depth=2
	v_or_b32_e32 v35, 0x10000, v59
	v_cmp_eq_u32_sdwa s[26:27], v59, v3 src0_sel:WORD_0 src1_sel:DWORD
	s_nop 1
	v_cndmask_b32_e64 v35, v35, v59, s[26:27]
; %bb.989:                              ;   in Loop: Header=BB32_857 Depth=2
	s_or_b64 exec, exec, s[42:43]
	v_and_b32_e32 v118, 0xffff0000, v20
	v_and_b32_e32 v20, 0xffff0000, v80
	v_max_f32_e32 v80, v118, v118
	v_max_f32_e32 v118, v20, v20
	v_min_f32_e32 v119, v118, v80
	v_max_f32_e32 v80, v118, v80
	v_cndmask_b32_e32 v59, v80, v119, vcc
	v_and_b32_e32 v80, 0x7f800000, v59
	v_cmp_ne_u32_e64 s[26:27], s85, v80
                                        ; implicit-def: $vgpr80
	s_and_saveexec_b64 s[42:43], s[26:27]
	s_xor_b64 s[26:27], exec, s[42:43]
; %bb.990:                              ;   in Loop: Header=BB32_857 Depth=2
	v_bfe_u32 v80, v59, 16, 1
	v_add3_u32 v80, v59, v80, s86
                                        ; implicit-def: $vgpr59
; %bb.991:                              ;   in Loop: Header=BB32_857 Depth=2
	s_andn2_saveexec_b64 s[42:43], s[26:27]
; %bb.992:                              ;   in Loop: Header=BB32_857 Depth=2
	v_or_b32_e32 v80, 0x10000, v59
	v_cmp_eq_u32_sdwa s[26:27], v59, v3 src0_sel:WORD_0 src1_sel:DWORD
	s_nop 1
	v_cndmask_b32_e64 v80, v80, v59, s[26:27]
; %bb.993:                              ;   in Loop: Header=BB32_857 Depth=2
	s_or_b64 exec, exec, s[42:43]
	v_and_b32_e32 v118, 0xffff0000, v68
	v_lshlrev_b32_e32 v119, 16, v21
	v_max_f32_e32 v118, v118, v118
	v_max_f32_e32 v119, v119, v119
	v_min_f32_e32 v59, v118, v119
	v_max_f32_e32 v118, v118, v119
	v_cndmask_b32_e32 v73, v118, v59, vcc
	v_and_b32_e32 v118, 0x7f800000, v73
	v_cmp_ne_u32_e64 s[26:27], s85, v118
                                        ; implicit-def: $vgpr59
	s_and_saveexec_b64 s[42:43], s[26:27]
	s_xor_b64 s[26:27], exec, s[42:43]
; %bb.994:                              ;   in Loop: Header=BB32_857 Depth=2
	v_bfe_u32 v118, v73, 16, 1
	v_add3_u32 v59, v73, v118, s86
                                        ; implicit-def: $vgpr73
; %bb.995:                              ;   in Loop: Header=BB32_857 Depth=2
	s_andn2_saveexec_b64 s[42:43], s[26:27]
; %bb.996:                              ;   in Loop: Header=BB32_857 Depth=2
	v_or_b32_e32 v118, 0x10000, v73
	v_cmp_eq_u32_sdwa s[26:27], v73, v3 src0_sel:WORD_0 src1_sel:DWORD
	s_nop 1
	v_cndmask_b32_e64 v59, v118, v73, s[26:27]
; %bb.997:                              ;   in Loop: Header=BB32_857 Depth=2
	s_or_b64 exec, exec, s[42:43]
	v_and_b32_e32 v118, 0xffff0000, v21
	v_and_b32_e32 v21, 0xffff0000, v81
	v_max_f32_e32 v81, v118, v118
	v_max_f32_e32 v118, v21, v21
	v_min_f32_e32 v119, v118, v81
	v_max_f32_e32 v81, v118, v81
	v_cndmask_b32_e32 v73, v81, v119, vcc
	v_and_b32_e32 v81, 0x7f800000, v73
	v_cmp_ne_u32_e64 s[26:27], s85, v81
                                        ; implicit-def: $vgpr81
	s_and_saveexec_b64 s[42:43], s[26:27]
	s_xor_b64 s[26:27], exec, s[42:43]
; %bb.998:                              ;   in Loop: Header=BB32_857 Depth=2
	v_bfe_u32 v81, v73, 16, 1
	v_add3_u32 v81, v73, v81, s86
                                        ; implicit-def: $vgpr73
; %bb.999:                              ;   in Loop: Header=BB32_857 Depth=2
	s_andn2_saveexec_b64 s[42:43], s[26:27]
; %bb.1000:                             ;   in Loop: Header=BB32_857 Depth=2
	v_or_b32_e32 v81, 0x10000, v73
	v_cmp_eq_u32_sdwa s[26:27], v73, v3 src0_sel:WORD_0 src1_sel:DWORD
	s_nop 1
	v_cndmask_b32_e64 v81, v81, v73, s[26:27]
; %bb.1001:                             ;   in Loop: Header=BB32_857 Depth=2
	s_or_b64 exec, exec, s[42:43]
	v_and_b32_e32 v118, 0xffff0000, v69
	v_lshlrev_b32_e32 v119, 16, v22
	v_max_f32_e32 v118, v118, v118
	v_max_f32_e32 v119, v119, v119
	v_min_f32_e32 v73, v118, v119
	v_max_f32_e32 v118, v118, v119
	v_cndmask_b32_e32 v94, v118, v73, vcc
	v_and_b32_e32 v118, 0x7f800000, v94
	v_cmp_ne_u32_e64 s[26:27], s85, v118
                                        ; implicit-def: $vgpr73
	s_and_saveexec_b64 s[42:43], s[26:27]
	s_xor_b64 s[26:27], exec, s[42:43]
; %bb.1002:                             ;   in Loop: Header=BB32_857 Depth=2
	v_bfe_u32 v118, v94, 16, 1
	v_add3_u32 v73, v94, v118, s86
                                        ; implicit-def: $vgpr94
; %bb.1003:                             ;   in Loop: Header=BB32_857 Depth=2
	s_andn2_saveexec_b64 s[42:43], s[26:27]
; %bb.1004:                             ;   in Loop: Header=BB32_857 Depth=2
	v_or_b32_e32 v118, 0x10000, v94
	v_cmp_eq_u32_sdwa s[26:27], v94, v3 src0_sel:WORD_0 src1_sel:DWORD
	s_nop 1
	v_cndmask_b32_e64 v73, v118, v94, s[26:27]
; %bb.1005:                             ;   in Loop: Header=BB32_857 Depth=2
	s_or_b64 exec, exec, s[42:43]
	v_and_b32_e32 v118, 0xffff0000, v22
	v_and_b32_e32 v22, 0xffff0000, v82
	v_max_f32_e32 v82, v118, v118
	v_max_f32_e32 v118, v22, v22
	v_min_f32_e32 v119, v118, v82
	v_max_f32_e32 v82, v118, v82
	v_cndmask_b32_e32 v94, v82, v119, vcc
	v_and_b32_e32 v82, 0x7f800000, v94
	v_cmp_ne_u32_e64 s[26:27], s85, v82
                                        ; implicit-def: $vgpr82
	s_and_saveexec_b64 s[42:43], s[26:27]
	s_xor_b64 s[26:27], exec, s[42:43]
; %bb.1006:                             ;   in Loop: Header=BB32_857 Depth=2
	v_bfe_u32 v82, v94, 16, 1
	v_add3_u32 v82, v94, v82, s86
                                        ; implicit-def: $vgpr94
; %bb.1007:                             ;   in Loop: Header=BB32_857 Depth=2
	s_andn2_saveexec_b64 s[42:43], s[26:27]
; %bb.1008:                             ;   in Loop: Header=BB32_857 Depth=2
	v_or_b32_e32 v82, 0x10000, v94
	v_cmp_eq_u32_sdwa s[26:27], v94, v3 src0_sel:WORD_0 src1_sel:DWORD
	s_nop 1
	v_cndmask_b32_e64 v82, v82, v94, s[26:27]
; %bb.1009:                             ;   in Loop: Header=BB32_857 Depth=2
	s_or_b64 exec, exec, s[42:43]
	v_and_b32_e32 v118, 0xffff0000, v70
	v_lshlrev_b32_e32 v119, 16, v23
	v_max_f32_e32 v118, v118, v118
	v_max_f32_e32 v119, v119, v119
	v_min_f32_e32 v94, v118, v119
	v_max_f32_e32 v118, v118, v119
	v_cndmask_b32_e32 v95, v118, v94, vcc
	v_and_b32_e32 v118, 0x7f800000, v95
	v_cmp_ne_u32_e64 s[26:27], s85, v118
                                        ; implicit-def: $vgpr94
	s_and_saveexec_b64 s[42:43], s[26:27]
	s_xor_b64 s[26:27], exec, s[42:43]
; %bb.1010:                             ;   in Loop: Header=BB32_857 Depth=2
	v_bfe_u32 v118, v95, 16, 1
	v_add3_u32 v94, v95, v118, s86
                                        ; implicit-def: $vgpr95
; %bb.1011:                             ;   in Loop: Header=BB32_857 Depth=2
	s_andn2_saveexec_b64 s[42:43], s[26:27]
; %bb.1012:                             ;   in Loop: Header=BB32_857 Depth=2
	v_or_b32_e32 v118, 0x10000, v95
	v_cmp_eq_u32_sdwa s[26:27], v95, v3 src0_sel:WORD_0 src1_sel:DWORD
	s_nop 1
	v_cndmask_b32_e64 v94, v118, v95, s[26:27]
; %bb.1013:                             ;   in Loop: Header=BB32_857 Depth=2
	s_or_b64 exec, exec, s[42:43]
	v_and_b32_e32 v118, 0xffff0000, v23
	v_and_b32_e32 v23, 0xffff0000, v83
	v_max_f32_e32 v83, v118, v118
	v_max_f32_e32 v118, v23, v23
	v_min_f32_e32 v119, v118, v83
	v_max_f32_e32 v83, v118, v83
	v_cndmask_b32_e32 v95, v83, v119, vcc
	v_and_b32_e32 v83, 0x7f800000, v95
	v_cmp_ne_u32_e64 s[26:27], s85, v83
                                        ; implicit-def: $vgpr83
	s_and_saveexec_b64 s[42:43], s[26:27]
	s_xor_b64 s[26:27], exec, s[42:43]
; %bb.1014:                             ;   in Loop: Header=BB32_857 Depth=2
	v_bfe_u32 v83, v95, 16, 1
	v_add3_u32 v83, v95, v83, s86
                                        ; implicit-def: $vgpr95
; %bb.1015:                             ;   in Loop: Header=BB32_857 Depth=2
	s_andn2_saveexec_b64 s[42:43], s[26:27]
; %bb.1016:                             ;   in Loop: Header=BB32_857 Depth=2
	v_or_b32_e32 v83, 0x10000, v95
	v_cmp_eq_u32_sdwa s[26:27], v95, v3 src0_sel:WORD_0 src1_sel:DWORD
	s_nop 1
	v_cndmask_b32_e64 v83, v83, v95, s[26:27]
; %bb.1017:                             ;   in Loop: Header=BB32_857 Depth=2
	s_or_b64 exec, exec, s[42:43]
	v_lshrrev_b32_e32 v35, 16, v35
	v_and_or_b32 v80, v80, s87, v35
	v_lshrrev_b32_e32 v35, 16, v73
	v_lshrrev_b32_e32 v118, 16, v59
	v_and_or_b32 v82, v82, s87, v35
	v_lshrrev_b32_e32 v35, 16, v94
	v_and_or_b32 v81, v81, s87, v118
	v_and_or_b32 v83, v83, s87, v35
	global_store_dwordx4 v[100:101], v[80:83], off
	v_and_b32_e32 v35, 0xffff0000, v71
	v_max_f32_e32 v35, v35, v35
	v_lshlrev_b32_e32 v80, 16, v16
	v_max_f32_e32 v80, v80, v80
	v_min_f32_e32 v81, v35, v80
	v_max_f32_e32 v35, v35, v80
	v_cndmask_b32_e32 v80, v35, v81, vcc
	v_and_b32_e32 v35, 0x7f800000, v80
	v_cmp_ne_u32_e64 s[26:27], s85, v35
                                        ; implicit-def: $vgpr35
	s_and_saveexec_b64 s[42:43], s[26:27]
	s_xor_b64 s[26:27], exec, s[42:43]
; %bb.1018:                             ;   in Loop: Header=BB32_857 Depth=2
	v_bfe_u32 v35, v80, 16, 1
	v_add3_u32 v35, v80, v35, s86
                                        ; implicit-def: $vgpr80
; %bb.1019:                             ;   in Loop: Header=BB32_857 Depth=2
	s_andn2_saveexec_b64 s[42:43], s[26:27]
; %bb.1020:                             ;   in Loop: Header=BB32_857 Depth=2
	v_or_b32_e32 v35, 0x10000, v80
	v_cmp_eq_u32_sdwa s[26:27], v80, v3 src0_sel:WORD_0 src1_sel:DWORD
	s_nop 1
	v_cndmask_b32_e64 v35, v35, v80, s[26:27]
; %bb.1021:                             ;   in Loop: Header=BB32_857 Depth=2
	s_or_b64 exec, exec, s[42:43]
	v_and_b32_e32 v80, 0xffff0000, v16
	v_and_b32_e32 v16, 0xffff0000, v64
	v_max_f32_e32 v64, v80, v80
	v_max_f32_e32 v80, v16, v16
	v_min_f32_e32 v81, v80, v64
	v_max_f32_e32 v64, v80, v64
	v_cndmask_b32_e32 v80, v64, v81, vcc
	v_and_b32_e32 v64, 0x7f800000, v80
	v_cmp_ne_u32_e64 s[26:27], s85, v64
                                        ; implicit-def: $vgpr64
	s_and_saveexec_b64 s[42:43], s[26:27]
	s_xor_b64 s[26:27], exec, s[42:43]
; %bb.1022:                             ;   in Loop: Header=BB32_857 Depth=2
	v_bfe_u32 v64, v80, 16, 1
	v_add3_u32 v64, v80, v64, s86
                                        ; implicit-def: $vgpr80
; %bb.1023:                             ;   in Loop: Header=BB32_857 Depth=2
	s_andn2_saveexec_b64 s[42:43], s[26:27]
; %bb.1024:                             ;   in Loop: Header=BB32_857 Depth=2
	v_or_b32_e32 v64, 0x10000, v80
	v_cmp_eq_u32_sdwa s[26:27], v80, v3 src0_sel:WORD_0 src1_sel:DWORD
	s_nop 1
	v_cndmask_b32_e64 v64, v64, v80, s[26:27]
; %bb.1025:                             ;   in Loop: Header=BB32_857 Depth=2
	s_or_b64 exec, exec, s[42:43]
	v_and_b32_e32 v80, 0xffff0000, v52
	v_lshlrev_b32_e32 v81, 16, v17
	v_max_f32_e32 v80, v80, v80
	v_max_f32_e32 v81, v81, v81
	v_min_f32_e32 v82, v80, v81
	v_max_f32_e32 v80, v80, v81
	v_cndmask_b32_e32 v81, v80, v82, vcc
	v_and_b32_e32 v80, 0x7f800000, v81
	v_cmp_ne_u32_e64 s[26:27], s85, v80
                                        ; implicit-def: $vgpr80
	s_and_saveexec_b64 s[42:43], s[26:27]
	s_xor_b64 s[26:27], exec, s[42:43]
; %bb.1026:                             ;   in Loop: Header=BB32_857 Depth=2
	v_bfe_u32 v80, v81, 16, 1
	v_add3_u32 v80, v81, v80, s86
                                        ; implicit-def: $vgpr81
; %bb.1027:                             ;   in Loop: Header=BB32_857 Depth=2
	s_andn2_saveexec_b64 s[42:43], s[26:27]
; %bb.1028:                             ;   in Loop: Header=BB32_857 Depth=2
	v_or_b32_e32 v80, 0x10000, v81
	v_cmp_eq_u32_sdwa s[26:27], v81, v3 src0_sel:WORD_0 src1_sel:DWORD
	s_nop 1
	v_cndmask_b32_e64 v80, v80, v81, s[26:27]
; %bb.1029:                             ;   in Loop: Header=BB32_857 Depth=2
	s_or_b64 exec, exec, s[42:43]
	v_and_b32_e32 v81, 0xffff0000, v17
	v_and_b32_e32 v17, 0xffff0000, v65
	v_max_f32_e32 v65, v81, v81
	v_max_f32_e32 v81, v17, v17
	v_min_f32_e32 v82, v81, v65
	v_max_f32_e32 v65, v81, v65
	v_cndmask_b32_e32 v81, v65, v82, vcc
	v_and_b32_e32 v65, 0x7f800000, v81
	v_cmp_ne_u32_e64 s[26:27], s85, v65
                                        ; implicit-def: $vgpr65
	s_and_saveexec_b64 s[42:43], s[26:27]
	s_xor_b64 s[26:27], exec, s[42:43]
; %bb.1030:                             ;   in Loop: Header=BB32_857 Depth=2
	v_bfe_u32 v65, v81, 16, 1
	v_add3_u32 v65, v81, v65, s86
                                        ; implicit-def: $vgpr81
; %bb.1031:                             ;   in Loop: Header=BB32_857 Depth=2
	s_andn2_saveexec_b64 s[42:43], s[26:27]
; %bb.1032:                             ;   in Loop: Header=BB32_857 Depth=2
	v_or_b32_e32 v65, 0x10000, v81
	v_cmp_eq_u32_sdwa s[26:27], v81, v3 src0_sel:WORD_0 src1_sel:DWORD
	s_nop 1
	v_cndmask_b32_e64 v65, v65, v81, s[26:27]
; %bb.1033:                             ;   in Loop: Header=BB32_857 Depth=2
	s_or_b64 exec, exec, s[42:43]
	v_and_b32_e32 v81, 0xffff0000, v53
	v_lshlrev_b32_e32 v82, 16, v18
	v_max_f32_e32 v81, v81, v81
	v_max_f32_e32 v82, v82, v82
	v_min_f32_e32 v83, v81, v82
	v_max_f32_e32 v81, v81, v82
	v_cndmask_b32_e32 v82, v81, v83, vcc
	v_and_b32_e32 v81, 0x7f800000, v82
	v_cmp_ne_u32_e64 s[26:27], s85, v81
                                        ; implicit-def: $vgpr81
	s_and_saveexec_b64 s[42:43], s[26:27]
	s_xor_b64 s[26:27], exec, s[42:43]
; %bb.1034:                             ;   in Loop: Header=BB32_857 Depth=2
	v_bfe_u32 v81, v82, 16, 1
	v_add3_u32 v81, v82, v81, s86
                                        ; implicit-def: $vgpr82
; %bb.1035:                             ;   in Loop: Header=BB32_857 Depth=2
	s_andn2_saveexec_b64 s[42:43], s[26:27]
; %bb.1036:                             ;   in Loop: Header=BB32_857 Depth=2
	v_or_b32_e32 v81, 0x10000, v82
	v_cmp_eq_u32_sdwa s[26:27], v82, v3 src0_sel:WORD_0 src1_sel:DWORD
	s_nop 1
	v_cndmask_b32_e64 v81, v81, v82, s[26:27]
; %bb.1037:                             ;   in Loop: Header=BB32_857 Depth=2
	s_or_b64 exec, exec, s[42:43]
	v_and_b32_e32 v82, 0xffff0000, v18
	v_and_b32_e32 v18, 0xffff0000, v66
	v_max_f32_e32 v66, v82, v82
	v_max_f32_e32 v82, v18, v18
	v_min_f32_e32 v83, v82, v66
	v_max_f32_e32 v66, v82, v66
	v_cndmask_b32_e32 v82, v66, v83, vcc
	v_and_b32_e32 v66, 0x7f800000, v82
	v_cmp_ne_u32_e64 s[26:27], s85, v66
                                        ; implicit-def: $vgpr66
	s_and_saveexec_b64 s[42:43], s[26:27]
	s_xor_b64 s[26:27], exec, s[42:43]
; %bb.1038:                             ;   in Loop: Header=BB32_857 Depth=2
	v_bfe_u32 v66, v82, 16, 1
	v_add3_u32 v66, v82, v66, s86
                                        ; implicit-def: $vgpr82
; %bb.1039:                             ;   in Loop: Header=BB32_857 Depth=2
	s_andn2_saveexec_b64 s[42:43], s[26:27]
; %bb.1040:                             ;   in Loop: Header=BB32_857 Depth=2
	v_or_b32_e32 v66, 0x10000, v82
	v_cmp_eq_u32_sdwa s[26:27], v82, v3 src0_sel:WORD_0 src1_sel:DWORD
	s_nop 1
	v_cndmask_b32_e64 v66, v66, v82, s[26:27]
; %bb.1041:                             ;   in Loop: Header=BB32_857 Depth=2
	s_or_b64 exec, exec, s[42:43]
	v_and_b32_e32 v82, 0xffff0000, v54
	v_lshlrev_b32_e32 v83, 16, v19
	v_max_f32_e32 v82, v82, v82
	v_max_f32_e32 v83, v83, v83
	v_min_f32_e32 v118, v82, v83
	v_max_f32_e32 v82, v82, v83
	v_cndmask_b32_e32 v83, v82, v118, vcc
	v_and_b32_e32 v82, 0x7f800000, v83
	v_cmp_ne_u32_e64 s[26:27], s85, v82
                                        ; implicit-def: $vgpr82
	s_and_saveexec_b64 s[42:43], s[26:27]
	s_xor_b64 s[26:27], exec, s[42:43]
; %bb.1042:                             ;   in Loop: Header=BB32_857 Depth=2
	v_bfe_u32 v82, v83, 16, 1
	v_add3_u32 v82, v83, v82, s86
                                        ; implicit-def: $vgpr83
; %bb.1043:                             ;   in Loop: Header=BB32_857 Depth=2
	s_andn2_saveexec_b64 s[42:43], s[26:27]
; %bb.1044:                             ;   in Loop: Header=BB32_857 Depth=2
	v_or_b32_e32 v82, 0x10000, v83
	v_cmp_eq_u32_sdwa s[26:27], v83, v3 src0_sel:WORD_0 src1_sel:DWORD
	s_nop 1
	v_cndmask_b32_e64 v82, v82, v83, s[26:27]
; %bb.1045:                             ;   in Loop: Header=BB32_857 Depth=2
	s_or_b64 exec, exec, s[42:43]
	v_and_b32_e32 v83, 0xffff0000, v19
	v_and_b32_e32 v19, 0xffff0000, v67
	v_max_f32_e32 v67, v83, v83
	v_max_f32_e32 v83, v19, v19
	v_min_f32_e32 v118, v83, v67
	v_max_f32_e32 v67, v83, v67
	v_cndmask_b32_e32 v83, v67, v118, vcc
	v_and_b32_e32 v67, 0x7f800000, v83
	v_cmp_ne_u32_e64 s[26:27], s85, v67
                                        ; implicit-def: $vgpr67
	s_and_saveexec_b64 s[42:43], s[26:27]
	s_xor_b64 s[26:27], exec, s[42:43]
; %bb.1046:                             ;   in Loop: Header=BB32_857 Depth=2
	v_bfe_u32 v67, v83, 16, 1
	v_add3_u32 v67, v83, v67, s86
                                        ; implicit-def: $vgpr83
; %bb.1047:                             ;   in Loop: Header=BB32_857 Depth=2
	s_andn2_saveexec_b64 s[42:43], s[26:27]
; %bb.1048:                             ;   in Loop: Header=BB32_857 Depth=2
	v_or_b32_e32 v67, 0x10000, v83
	v_cmp_eq_u32_sdwa s[26:27], v83, v3 src0_sel:WORD_0 src1_sel:DWORD
	s_nop 1
	v_cndmask_b32_e64 v67, v67, v83, s[26:27]
; %bb.1049:                             ;   in Loop: Header=BB32_857 Depth=2
	s_or_b64 exec, exec, s[42:43]
	v_lshrrev_b32_e32 v35, 16, v35
	v_and_or_b32 v64, v64, s87, v35
	v_lshrrev_b32_e32 v35, 16, v81
	v_lshrrev_b32_e32 v80, 16, v80
	v_and_or_b32 v66, v66, s87, v35
	v_lshrrev_b32_e32 v35, 16, v82
	v_and_or_b32 v65, v65, s87, v80
	v_and_or_b32 v67, v67, s87, v35
	global_store_dwordx4 v[100:101], v[64:67], off offset:1024
	v_and_b32_e32 v35, 0xffff0000, v55
	v_max_f32_e32 v35, v35, v35
	v_lshlrev_b32_e32 v64, 16, v12
	v_max_f32_e32 v64, v64, v64
	v_min_f32_e32 v65, v35, v64
	v_max_f32_e32 v35, v35, v64
	v_cndmask_b32_e32 v64, v35, v65, vcc
	v_and_b32_e32 v35, 0x7f800000, v64
	v_cmp_ne_u32_e64 s[26:27], s85, v35
                                        ; implicit-def: $vgpr35
	s_and_saveexec_b64 s[42:43], s[26:27]
	s_xor_b64 s[26:27], exec, s[42:43]
; %bb.1050:                             ;   in Loop: Header=BB32_857 Depth=2
	v_bfe_u32 v35, v64, 16, 1
	v_add3_u32 v35, v64, v35, s86
                                        ; implicit-def: $vgpr64
; %bb.1051:                             ;   in Loop: Header=BB32_857 Depth=2
	s_andn2_saveexec_b64 s[42:43], s[26:27]
; %bb.1052:                             ;   in Loop: Header=BB32_857 Depth=2
	v_or_b32_e32 v35, 0x10000, v64
	v_cmp_eq_u32_sdwa s[26:27], v64, v3 src0_sel:WORD_0 src1_sel:DWORD
	s_nop 1
	v_cndmask_b32_e64 v35, v35, v64, s[26:27]
; %bb.1053:                             ;   in Loop: Header=BB32_857 Depth=2
	s_or_b64 exec, exec, s[42:43]
	v_and_b32_e32 v64, 0xffff0000, v12
	v_and_b32_e32 v12, 0xffff0000, v48
	v_max_f32_e32 v48, v64, v64
	v_max_f32_e32 v64, v12, v12
	v_min_f32_e32 v65, v64, v48
	v_max_f32_e32 v48, v64, v48
	v_cndmask_b32_e32 v64, v48, v65, vcc
	v_and_b32_e32 v48, 0x7f800000, v64
	v_cmp_ne_u32_e64 s[26:27], s85, v48
                                        ; implicit-def: $vgpr48
	s_and_saveexec_b64 s[42:43], s[26:27]
	s_xor_b64 s[26:27], exec, s[42:43]
; %bb.1054:                             ;   in Loop: Header=BB32_857 Depth=2
	v_bfe_u32 v48, v64, 16, 1
	v_add3_u32 v48, v64, v48, s86
                                        ; implicit-def: $vgpr64
; %bb.1055:                             ;   in Loop: Header=BB32_857 Depth=2
	s_andn2_saveexec_b64 s[42:43], s[26:27]
; %bb.1056:                             ;   in Loop: Header=BB32_857 Depth=2
	v_or_b32_e32 v48, 0x10000, v64
	v_cmp_eq_u32_sdwa s[26:27], v64, v3 src0_sel:WORD_0 src1_sel:DWORD
	s_nop 1
	v_cndmask_b32_e64 v48, v48, v64, s[26:27]
; %bb.1057:                             ;   in Loop: Header=BB32_857 Depth=2
	s_or_b64 exec, exec, s[42:43]
	v_and_b32_e32 v64, 0xffff0000, v36
	v_lshlrev_b32_e32 v65, 16, v13
	v_max_f32_e32 v64, v64, v64
	v_max_f32_e32 v65, v65, v65
	v_min_f32_e32 v66, v64, v65
	v_max_f32_e32 v64, v64, v65
	v_cndmask_b32_e32 v65, v64, v66, vcc
	v_and_b32_e32 v64, 0x7f800000, v65
	v_cmp_ne_u32_e64 s[26:27], s85, v64
                                        ; implicit-def: $vgpr64
	s_and_saveexec_b64 s[42:43], s[26:27]
	s_xor_b64 s[26:27], exec, s[42:43]
; %bb.1058:                             ;   in Loop: Header=BB32_857 Depth=2
	v_bfe_u32 v64, v65, 16, 1
	v_add3_u32 v64, v65, v64, s86
                                        ; implicit-def: $vgpr65
; %bb.1059:                             ;   in Loop: Header=BB32_857 Depth=2
	s_andn2_saveexec_b64 s[42:43], s[26:27]
; %bb.1060:                             ;   in Loop: Header=BB32_857 Depth=2
	v_or_b32_e32 v64, 0x10000, v65
	v_cmp_eq_u32_sdwa s[26:27], v65, v3 src0_sel:WORD_0 src1_sel:DWORD
	s_nop 1
	v_cndmask_b32_e64 v64, v64, v65, s[26:27]
; %bb.1061:                             ;   in Loop: Header=BB32_857 Depth=2
	s_or_b64 exec, exec, s[42:43]
	v_and_b32_e32 v65, 0xffff0000, v13
	v_and_b32_e32 v13, 0xffff0000, v49
	v_max_f32_e32 v49, v65, v65
	v_max_f32_e32 v65, v13, v13
	v_min_f32_e32 v66, v65, v49
	v_max_f32_e32 v49, v65, v49
	v_cndmask_b32_e32 v65, v49, v66, vcc
	v_and_b32_e32 v49, 0x7f800000, v65
	v_cmp_ne_u32_e64 s[26:27], s85, v49
                                        ; implicit-def: $vgpr49
	s_and_saveexec_b64 s[42:43], s[26:27]
	s_xor_b64 s[26:27], exec, s[42:43]
; %bb.1062:                             ;   in Loop: Header=BB32_857 Depth=2
	v_bfe_u32 v49, v65, 16, 1
	v_add3_u32 v49, v65, v49, s86
                                        ; implicit-def: $vgpr65
; %bb.1063:                             ;   in Loop: Header=BB32_857 Depth=2
	s_andn2_saveexec_b64 s[42:43], s[26:27]
; %bb.1064:                             ;   in Loop: Header=BB32_857 Depth=2
	v_or_b32_e32 v49, 0x10000, v65
	v_cmp_eq_u32_sdwa s[26:27], v65, v3 src0_sel:WORD_0 src1_sel:DWORD
	s_nop 1
	v_cndmask_b32_e64 v49, v49, v65, s[26:27]
; %bb.1065:                             ;   in Loop: Header=BB32_857 Depth=2
	s_or_b64 exec, exec, s[42:43]
	v_and_b32_e32 v65, 0xffff0000, v37
	v_lshlrev_b32_e32 v66, 16, v14
	v_max_f32_e32 v65, v65, v65
	v_max_f32_e32 v66, v66, v66
	v_min_f32_e32 v67, v65, v66
	v_max_f32_e32 v65, v65, v66
	v_cndmask_b32_e32 v66, v65, v67, vcc
	v_and_b32_e32 v65, 0x7f800000, v66
	v_cmp_ne_u32_e64 s[26:27], s85, v65
                                        ; implicit-def: $vgpr65
	s_and_saveexec_b64 s[42:43], s[26:27]
	s_xor_b64 s[26:27], exec, s[42:43]
; %bb.1066:                             ;   in Loop: Header=BB32_857 Depth=2
	v_bfe_u32 v65, v66, 16, 1
	v_add3_u32 v65, v66, v65, s86
                                        ; implicit-def: $vgpr66
; %bb.1067:                             ;   in Loop: Header=BB32_857 Depth=2
	s_andn2_saveexec_b64 s[42:43], s[26:27]
; %bb.1068:                             ;   in Loop: Header=BB32_857 Depth=2
	v_or_b32_e32 v65, 0x10000, v66
	v_cmp_eq_u32_sdwa s[26:27], v66, v3 src0_sel:WORD_0 src1_sel:DWORD
	s_nop 1
	v_cndmask_b32_e64 v65, v65, v66, s[26:27]
; %bb.1069:                             ;   in Loop: Header=BB32_857 Depth=2
	s_or_b64 exec, exec, s[42:43]
	v_and_b32_e32 v66, 0xffff0000, v14
	v_and_b32_e32 v14, 0xffff0000, v50
	v_max_f32_e32 v50, v66, v66
	v_max_f32_e32 v66, v14, v14
	v_min_f32_e32 v67, v66, v50
	v_max_f32_e32 v50, v66, v50
	v_cndmask_b32_e32 v66, v50, v67, vcc
	v_and_b32_e32 v50, 0x7f800000, v66
	v_cmp_ne_u32_e64 s[26:27], s85, v50
                                        ; implicit-def: $vgpr50
	s_and_saveexec_b64 s[42:43], s[26:27]
	s_xor_b64 s[26:27], exec, s[42:43]
; %bb.1070:                             ;   in Loop: Header=BB32_857 Depth=2
	v_bfe_u32 v50, v66, 16, 1
	v_add3_u32 v50, v66, v50, s86
                                        ; implicit-def: $vgpr66
; %bb.1071:                             ;   in Loop: Header=BB32_857 Depth=2
	s_andn2_saveexec_b64 s[42:43], s[26:27]
; %bb.1072:                             ;   in Loop: Header=BB32_857 Depth=2
	v_or_b32_e32 v50, 0x10000, v66
	v_cmp_eq_u32_sdwa s[26:27], v66, v3 src0_sel:WORD_0 src1_sel:DWORD
	s_nop 1
	v_cndmask_b32_e64 v50, v50, v66, s[26:27]
; %bb.1073:                             ;   in Loop: Header=BB32_857 Depth=2
	s_or_b64 exec, exec, s[42:43]
	v_and_b32_e32 v66, 0xffff0000, v38
	v_lshlrev_b32_e32 v67, 16, v15
	v_max_f32_e32 v66, v66, v66
	v_max_f32_e32 v67, v67, v67
	v_min_f32_e32 v80, v66, v67
	v_max_f32_e32 v66, v66, v67
	v_cndmask_b32_e32 v67, v66, v80, vcc
	v_and_b32_e32 v66, 0x7f800000, v67
	v_cmp_ne_u32_e64 s[26:27], s85, v66
                                        ; implicit-def: $vgpr66
	s_and_saveexec_b64 s[42:43], s[26:27]
	s_xor_b64 s[26:27], exec, s[42:43]
; %bb.1074:                             ;   in Loop: Header=BB32_857 Depth=2
	v_bfe_u32 v66, v67, 16, 1
	v_add3_u32 v66, v67, v66, s86
                                        ; implicit-def: $vgpr67
; %bb.1075:                             ;   in Loop: Header=BB32_857 Depth=2
	s_andn2_saveexec_b64 s[42:43], s[26:27]
; %bb.1076:                             ;   in Loop: Header=BB32_857 Depth=2
	v_or_b32_e32 v66, 0x10000, v67
	v_cmp_eq_u32_sdwa s[26:27], v67, v3 src0_sel:WORD_0 src1_sel:DWORD
	s_nop 1
	v_cndmask_b32_e64 v66, v66, v67, s[26:27]
; %bb.1077:                             ;   in Loop: Header=BB32_857 Depth=2
	s_or_b64 exec, exec, s[42:43]
	v_and_b32_e32 v67, 0xffff0000, v15
	v_and_b32_e32 v15, 0xffff0000, v51
	v_max_f32_e32 v51, v67, v67
	v_max_f32_e32 v67, v15, v15
	v_min_f32_e32 v80, v67, v51
	v_max_f32_e32 v51, v67, v51
	v_cndmask_b32_e32 v67, v51, v80, vcc
	v_and_b32_e32 v51, 0x7f800000, v67
	v_cmp_ne_u32_e64 s[26:27], s85, v51
                                        ; implicit-def: $vgpr51
	s_and_saveexec_b64 s[42:43], s[26:27]
	s_xor_b64 s[26:27], exec, s[42:43]
; %bb.1078:                             ;   in Loop: Header=BB32_857 Depth=2
	v_bfe_u32 v51, v67, 16, 1
	v_add3_u32 v51, v67, v51, s86
                                        ; implicit-def: $vgpr67
; %bb.1079:                             ;   in Loop: Header=BB32_857 Depth=2
	s_andn2_saveexec_b64 s[42:43], s[26:27]
; %bb.1080:                             ;   in Loop: Header=BB32_857 Depth=2
	v_or_b32_e32 v51, 0x10000, v67
	v_cmp_eq_u32_sdwa s[26:27], v67, v3 src0_sel:WORD_0 src1_sel:DWORD
	s_nop 1
	v_cndmask_b32_e64 v51, v51, v67, s[26:27]
; %bb.1081:                             ;   in Loop: Header=BB32_857 Depth=2
	s_or_b64 exec, exec, s[42:43]
	v_lshrrev_b32_e32 v35, 16, v35
	v_and_or_b32 v48, v48, s87, v35
	v_lshrrev_b32_e32 v35, 16, v65
	v_lshrrev_b32_e32 v64, 16, v64
	v_and_or_b32 v50, v50, s87, v35
	v_lshrrev_b32_e32 v35, 16, v66
	v_and_or_b32 v49, v49, s87, v64
	v_and_or_b32 v51, v51, s87, v35
	global_store_dwordx4 v[100:101], v[48:51], off offset:2048
	v_and_b32_e32 v35, 0xffff0000, v39
	v_max_f32_e32 v35, v35, v35
	v_lshlrev_b32_e32 v48, 16, v8
	v_max_f32_e32 v48, v48, v48
	v_min_f32_e32 v49, v35, v48
	v_max_f32_e32 v35, v35, v48
	v_cndmask_b32_e32 v48, v35, v49, vcc
	v_and_b32_e32 v35, 0x7f800000, v48
	v_cmp_ne_u32_e64 s[26:27], s85, v35
                                        ; implicit-def: $vgpr35
	s_and_saveexec_b64 s[42:43], s[26:27]
	s_xor_b64 s[26:27], exec, s[42:43]
; %bb.1082:                             ;   in Loop: Header=BB32_857 Depth=2
	v_bfe_u32 v35, v48, 16, 1
	v_add3_u32 v35, v48, v35, s86
                                        ; implicit-def: $vgpr48
; %bb.1083:                             ;   in Loop: Header=BB32_857 Depth=2
	s_andn2_saveexec_b64 s[42:43], s[26:27]
; %bb.1084:                             ;   in Loop: Header=BB32_857 Depth=2
	v_or_b32_e32 v35, 0x10000, v48
	v_cmp_eq_u32_sdwa s[26:27], v48, v3 src0_sel:WORD_0 src1_sel:DWORD
	s_nop 1
	v_cndmask_b32_e64 v35, v35, v48, s[26:27]
; %bb.1085:                             ;   in Loop: Header=BB32_857 Depth=2
	s_or_b64 exec, exec, s[42:43]
	v_and_b32_e32 v8, 0xffff0000, v8
	v_and_b32_e32 v32, 0xffff0000, v32
	v_max_f32_e32 v8, v8, v8
	v_max_f32_e32 v48, v32, v32
	v_min_f32_e32 v49, v48, v8
	v_max_f32_e32 v8, v48, v8
	v_cndmask_b32_e32 v48, v8, v49, vcc
	v_and_b32_e32 v8, 0x7f800000, v48
	v_cmp_ne_u32_e64 s[26:27], s85, v8
                                        ; implicit-def: $vgpr8
	s_and_saveexec_b64 s[42:43], s[26:27]
	s_xor_b64 s[26:27], exec, s[42:43]
; %bb.1086:                             ;   in Loop: Header=BB32_857 Depth=2
	v_bfe_u32 v8, v48, 16, 1
	v_add3_u32 v8, v48, v8, s86
                                        ; implicit-def: $vgpr48
; %bb.1087:                             ;   in Loop: Header=BB32_857 Depth=2
	s_andn2_saveexec_b64 s[42:43], s[26:27]
; %bb.1088:                             ;   in Loop: Header=BB32_857 Depth=2
	v_or_b32_e32 v8, 0x10000, v48
	v_cmp_eq_u32_sdwa s[26:27], v48, v3 src0_sel:WORD_0 src1_sel:DWORD
	s_nop 1
	v_cndmask_b32_e64 v8, v8, v48, s[26:27]
; %bb.1089:                             ;   in Loop: Header=BB32_857 Depth=2
	s_or_b64 exec, exec, s[42:43]
	v_and_b32_e32 v48, 0xffff0000, v24
	v_lshlrev_b32_e32 v49, 16, v9
	v_max_f32_e32 v48, v48, v48
	v_max_f32_e32 v49, v49, v49
	v_min_f32_e32 v50, v48, v49
	v_max_f32_e32 v48, v48, v49
	v_cndmask_b32_e32 v49, v48, v50, vcc
	v_and_b32_e32 v48, 0x7f800000, v49
	v_cmp_ne_u32_e64 s[26:27], s85, v48
                                        ; implicit-def: $vgpr48
	s_and_saveexec_b64 s[42:43], s[26:27]
	s_xor_b64 s[26:27], exec, s[42:43]
; %bb.1090:                             ;   in Loop: Header=BB32_857 Depth=2
	v_bfe_u32 v48, v49, 16, 1
	v_add3_u32 v48, v49, v48, s86
                                        ; implicit-def: $vgpr49
; %bb.1091:                             ;   in Loop: Header=BB32_857 Depth=2
	s_andn2_saveexec_b64 s[42:43], s[26:27]
; %bb.1092:                             ;   in Loop: Header=BB32_857 Depth=2
	v_or_b32_e32 v48, 0x10000, v49
	v_cmp_eq_u32_sdwa s[26:27], v49, v3 src0_sel:WORD_0 src1_sel:DWORD
	s_nop 1
	v_cndmask_b32_e64 v48, v48, v49, s[26:27]
; %bb.1093:                             ;   in Loop: Header=BB32_857 Depth=2
	s_or_b64 exec, exec, s[42:43]
	v_and_b32_e32 v9, 0xffff0000, v9
	v_and_b32_e32 v33, 0xffff0000, v33
	v_max_f32_e32 v9, v9, v9
	v_max_f32_e32 v49, v33, v33
	v_min_f32_e32 v50, v49, v9
	v_max_f32_e32 v9, v49, v9
	v_cndmask_b32_e32 v49, v9, v50, vcc
	v_and_b32_e32 v9, 0x7f800000, v49
	v_cmp_ne_u32_e64 s[26:27], s85, v9
                                        ; implicit-def: $vgpr9
	s_and_saveexec_b64 s[42:43], s[26:27]
	s_xor_b64 s[26:27], exec, s[42:43]
; %bb.1094:                             ;   in Loop: Header=BB32_857 Depth=2
	v_bfe_u32 v9, v49, 16, 1
	v_add3_u32 v9, v49, v9, s86
                                        ; implicit-def: $vgpr49
; %bb.1095:                             ;   in Loop: Header=BB32_857 Depth=2
	s_andn2_saveexec_b64 s[42:43], s[26:27]
; %bb.1096:                             ;   in Loop: Header=BB32_857 Depth=2
	v_or_b32_e32 v9, 0x10000, v49
	v_cmp_eq_u32_sdwa s[26:27], v49, v3 src0_sel:WORD_0 src1_sel:DWORD
	s_nop 1
	v_cndmask_b32_e64 v9, v9, v49, s[26:27]
; %bb.1097:                             ;   in Loop: Header=BB32_857 Depth=2
	s_or_b64 exec, exec, s[42:43]
	v_and_b32_e32 v49, 0xffff0000, v25
	v_lshlrev_b32_e32 v50, 16, v10
	v_max_f32_e32 v49, v49, v49
	v_max_f32_e32 v50, v50, v50
	v_min_f32_e32 v51, v49, v50
	v_max_f32_e32 v49, v49, v50
	v_cndmask_b32_e32 v50, v49, v51, vcc
	v_and_b32_e32 v49, 0x7f800000, v50
	v_cmp_ne_u32_e64 s[26:27], s85, v49
                                        ; implicit-def: $vgpr49
	s_and_saveexec_b64 s[42:43], s[26:27]
	s_xor_b64 s[26:27], exec, s[42:43]
; %bb.1098:                             ;   in Loop: Header=BB32_857 Depth=2
	v_bfe_u32 v49, v50, 16, 1
	v_add3_u32 v49, v50, v49, s86
                                        ; implicit-def: $vgpr50
; %bb.1099:                             ;   in Loop: Header=BB32_857 Depth=2
	s_andn2_saveexec_b64 s[42:43], s[26:27]
; %bb.1100:                             ;   in Loop: Header=BB32_857 Depth=2
	v_or_b32_e32 v49, 0x10000, v50
	v_cmp_eq_u32_sdwa s[26:27], v50, v3 src0_sel:WORD_0 src1_sel:DWORD
	s_nop 1
	v_cndmask_b32_e64 v49, v49, v50, s[26:27]
; %bb.1101:                             ;   in Loop: Header=BB32_857 Depth=2
	s_or_b64 exec, exec, s[42:43]
	v_and_b32_e32 v10, 0xffff0000, v10
	v_and_b32_e32 v34, 0xffff0000, v34
	v_max_f32_e32 v10, v10, v10
	v_max_f32_e32 v50, v34, v34
	v_min_f32_e32 v51, v50, v10
	v_max_f32_e32 v10, v50, v10
	v_cndmask_b32_e32 v50, v10, v51, vcc
	v_and_b32_e32 v10, 0x7f800000, v50
	v_cmp_ne_u32_e64 s[26:27], s85, v10
                                        ; implicit-def: $vgpr10
	s_and_saveexec_b64 s[42:43], s[26:27]
	s_xor_b64 s[26:27], exec, s[42:43]
; %bb.1102:                             ;   in Loop: Header=BB32_857 Depth=2
	v_bfe_u32 v10, v50, 16, 1
	v_add3_u32 v10, v50, v10, s86
                                        ; implicit-def: $vgpr50
; %bb.1103:                             ;   in Loop: Header=BB32_857 Depth=2
	s_andn2_saveexec_b64 s[42:43], s[26:27]
; %bb.1104:                             ;   in Loop: Header=BB32_857 Depth=2
	v_or_b32_e32 v10, 0x10000, v50
	v_cmp_eq_u32_sdwa s[26:27], v50, v3 src0_sel:WORD_0 src1_sel:DWORD
	s_nop 1
	v_cndmask_b32_e64 v10, v10, v50, s[26:27]
; %bb.1105:                             ;   in Loop: Header=BB32_857 Depth=2
	s_or_b64 exec, exec, s[42:43]
	v_and_b32_e32 v50, 0xffff0000, v26
	v_lshlrev_b32_e32 v51, 16, v11
	v_max_f32_e32 v50, v50, v50
	v_max_f32_e32 v51, v51, v51
	v_min_f32_e32 v64, v50, v51
	v_max_f32_e32 v50, v50, v51
	v_cndmask_b32_e32 v51, v50, v64, vcc
	v_and_b32_e32 v50, 0x7f800000, v51
	v_cmp_ne_u32_e64 s[26:27], s85, v50
                                        ; implicit-def: $vgpr50
	s_and_saveexec_b64 s[42:43], s[26:27]
	s_xor_b64 s[26:27], exec, s[42:43]
; %bb.1106:                             ;   in Loop: Header=BB32_857 Depth=2
	v_bfe_u32 v50, v51, 16, 1
	v_add3_u32 v50, v51, v50, s86
                                        ; implicit-def: $vgpr51
; %bb.1107:                             ;   in Loop: Header=BB32_857 Depth=2
	s_andn2_saveexec_b64 s[42:43], s[26:27]
; %bb.1108:                             ;   in Loop: Header=BB32_857 Depth=2
	v_or_b32_e32 v50, 0x10000, v51
	v_cmp_eq_u32_sdwa s[26:27], v51, v3 src0_sel:WORD_0 src1_sel:DWORD
	s_nop 1
	v_cndmask_b32_e64 v50, v50, v51, s[26:27]
; %bb.1109:                             ;   in Loop: Header=BB32_857 Depth=2
	s_or_b64 exec, exec, s[42:43]
	v_and_b32_e32 v11, 0xffff0000, v11
	v_and_b32_e32 v27, 0xffff0000, v27
	v_max_f32_e32 v11, v11, v11
	v_max_f32_e32 v51, v27, v27
	v_min_f32_e32 v64, v51, v11
	v_max_f32_e32 v11, v51, v11
	v_cndmask_b32_e32 v51, v11, v64, vcc
	v_and_b32_e32 v11, 0x7f800000, v51
	v_cmp_ne_u32_e64 s[26:27], s85, v11
                                        ; implicit-def: $vgpr11
	s_and_saveexec_b64 s[42:43], s[26:27]
	s_xor_b64 s[26:27], exec, s[42:43]
; %bb.1110:                             ;   in Loop: Header=BB32_857 Depth=2
	v_bfe_u32 v11, v51, 16, 1
	v_add3_u32 v11, v51, v11, s86
                                        ; implicit-def: $vgpr51
; %bb.1111:                             ;   in Loop: Header=BB32_857 Depth=2
	s_andn2_saveexec_b64 s[42:43], s[26:27]
	s_cbranch_execz .LBB32_856
; %bb.1112:                             ;   in Loop: Header=BB32_857 Depth=2
	v_or_b32_e32 v11, 0x10000, v51
	v_cmp_eq_u32_sdwa s[26:27], v51, v3 src0_sel:WORD_0 src1_sel:DWORD
	s_nop 1
	v_cndmask_b32_e64 v11, v11, v51, s[26:27]
	s_branch .LBB32_856
.LBB32_1113:                            ;   in Loop: Header=BB32_47 Depth=1
	s_or_b64 exec, exec, s[46:47]
	s_and_saveexec_b64 s[46:47], s[56:57]
	s_xor_b64 s[46:47], exec, s[46:47]
	s_cbranch_execz .LBB32_1115
; %bb.1114:                             ;   in Loop: Header=BB32_47 Depth=1
	ds_write_b32 v0, v31
	s_trap 2
.LBB32_1115:                            ;   in Loop: Header=BB32_47 Depth=1
	s_or_b64 exec, exec, s[44:45]
	;;#ASMSTART
	s_wakeup
	;;#ASMEND
.LBB32_1116:                            ;   in Loop: Header=BB32_47 Depth=1
	s_or_b64 exec, exec, s[42:43]
.LBB32_1117:                            ;   in Loop: Header=BB32_47 Depth=1
	s_andn2_saveexec_b64 s[40:41], s[40:41]
	s_cbranch_execz .LBB32_1119
; %bb.1118:                             ;   in Loop: Header=BB32_47 Depth=1
	;;#ASMSTART
	s_waitcnt lgkmcnt(0) vmcnt(0)
	;;#ASMEND
	s_barrier
.LBB32_1119:                            ;   in Loop: Header=BB32_47 Depth=1
	s_or_b64 exec, exec, s[40:41]
	v_and_b32_e32 v0, 16, v126
.LBB32_1120:                            ;   in Loop: Header=BB32_47 Depth=1
	s_or_b64 exec, exec, s[26:27]
	v_cmp_ne_u32_e32 vcc, 0, v0
	s_xor_b64 s[26:27], s[10:11], -1
	s_and_b64 s[40:41], vcc, s[26:27]
	s_and_saveexec_b64 s[26:27], s[40:41]
	s_cbranch_execz .LBB32_1122
; %bb.1121:                             ;   in Loop: Header=BB32_47 Depth=1
	flat_store_dword v[44:45], v31 sc0 sc1
.LBB32_1122:                            ;   in Loop: Header=BB32_47 Depth=1
	s_or_b64 exec, exec, s[26:27]
	v_and_b32_e32 v0, 48, v126
	v_cmp_ne_u32_e32 vcc, 0, v0
	s_and_saveexec_b64 s[26:27], vcc
	s_cbranch_execz .LBB32_1124
; %bb.1123:                             ;   in Loop: Header=BB32_47 Depth=1
	v_lshl_add_u64 v[116:117], v[116:117], 0, 4
	flat_store_dwordx2 v[40:41], v[116:117] sc0 sc1
.LBB32_1124:                            ;   in Loop: Header=BB32_47 Depth=1
	s_or_b64 exec, exec, s[26:27]
	s_or_b64 exec, exec, s[28:29]
	scratch_load_dwordx2 v[84:85], off, s33 offset:200 ; 8-byte Folded Reload
	s_and_b64 vcc, exec, s[24:25]
	s_cbranch_vccnz .LBB32_2563
	s_branch .LBB32_1799
.LBB32_1125:                            ;   in Loop: Header=BB32_47 Depth=1
	s_or_b64 exec, exec, s[40:41]
	scratch_load_dwordx2 v[112:113], off, s33 offset:256 ; 8-byte Folded Reload
	scratch_load_dwordx4 v[8:11], off, s33 offset:236 ; 16-byte Folded Reload
	scratch_load_dword v100, off, s33 offset:252 ; 4-byte Folded Reload
	v_ashrrev_i32_e32 v119, 31, v30
	v_mov_b64_e32 v[102:103], v[106:107]
	v_mov_b32_e32 v80, v108
	s_waitcnt vmcnt(1)
	v_mov_b64_e32 v[114:115], v[8:9]
.LBB32_1126:                            ;   in Loop: Header=BB32_47 Depth=1
	s_or_b64 exec, exec, s[28:29]
	v_lshlrev_b32_e32 v32, 12, v1
	v_cmp_ne_u32_e32 vcc, v58, v32
	s_mov_b64 s[26:27], 0
	v_mov_b32_e32 v1, 0
                                        ; implicit-def: $vgpr2
	s_and_saveexec_b64 s[50:51], vcc
	s_cbranch_execz .LBB32_1166
; %bb.1127:                             ;   in Loop: Header=BB32_47 Depth=1
	scratch_load_dword v1, off, s33 offset:208 ; 4-byte Folded Reload
	v_lshlrev_b32_e32 v0, 6, v0
	v_sub_u32_e32 v4, v58, v32
	s_waitcnt vmcnt(0)
	v_sub_u32_e32 v0, v1, v0
	v_ashrrev_i32_e32 v1, 31, v0
	v_lshrrev_b32_e32 v1, 26, v1
	v_add_u32_e32 v1, v0, v1
	v_ashrrev_i32_e32 v5, 6, v1
	v_and_b32_e32 v1, 0xffffffc0, v1
	v_sub_u32_e32 v0, v0, v1
	v_lshlrev_b32_e32 v1, 4, v0
	v_lshl_add_u32 v2, v5, 10, v1
	v_ashrrev_i32_e32 v1, 31, v4
	v_lshrrev_b32_e32 v1, 22, v1
	v_add_u32_e32 v1, v4, v1
	v_ashrrev_i32_e32 v8, 10, v1
	v_and_b32_e32 v1, 0xfffffc00, v1
	v_sub_u32_e32 v33, v4, v1
	v_cmp_lt_i32_e64 s[26:27], 15, v33
	v_sub_u32_e32 v35, v4, v2
	s_nop 0
	v_addc_co_u32_e64 v4, vcc, 0, v8, s[26:27]
	v_sub_u32_e32 v34, v4, v5
	v_cmp_lt_i32_e32 vcc, 15, v35
	s_and_saveexec_b64 s[52:53], vcc
	s_cbranch_execz .LBB32_1165
; %bb.1128:                             ;   in Loop: Header=BB32_47 Depth=1
	s_trap 2
	ds_read_b64 v[10:11], v0
	v_add_u32_e32 v8, v2, v32
	s_and_b32 s76, s97, 1
	v_ashrrev_i32_e32 v9, 31, v8
	s_cmp_eq_u64 s[76:77], 0
	s_waitcnt lgkmcnt(1)
	v_lshl_add_u64 v[4:5], v[8:9], 0, v[98:99]
	v_lshl_add_u64 v[20:21], v[8:9], 0, v[86:87]
	;; [unrolled: 1-line block ×4, first 2 shown]
	s_waitcnt lgkmcnt(0)
	v_lshl_add_u64 v[26:27], v[10:11], 0, v[8:9]
	s_mov_b64 s[54:55], 0
	s_cselect_b64 s[28:29], -1, 0
.LBB32_1129:                            ;   Parent Loop BB32_47 Depth=1
                                        ; =>  This Loop Header: Depth=2
                                        ;       Child Loop BB32_1162 Depth 3
	global_load_dwordx4 v[12:15], v[26:27], off nt
	global_load_dwordx4 v[16:19], v[24:25], off nt
	;; [unrolled: 1-line block ×3, first 2 shown]
	s_waitcnt vmcnt(2)
	v_lshlrev_b32_e32 v2, 16, v12
	s_waitcnt vmcnt(1)
	v_lshlrev_b32_e32 v36, 16, v16
	v_max_f32_e32 v2, v2, v2
	v_max_f32_e32 v36, v36, v36
	v_min_f32_e32 v37, v36, v2
	v_max_f32_e32 v2, v36, v2
	v_cndmask_b32_e64 v2, v2, v37, s[28:29]
	v_and_b32_e32 v36, 0x7f800000, v2
	v_cmp_ne_u32_e32 vcc, s85, v36
                                        ; implicit-def: $vgpr36
	s_and_saveexec_b64 s[40:41], vcc
	s_xor_b64 s[40:41], exec, s[40:41]
; %bb.1130:                             ;   in Loop: Header=BB32_1129 Depth=2
	v_bfe_u32 v36, v2, 16, 1
	v_add3_u32 v36, v2, v36, s86
                                        ; implicit-def: $vgpr2
; %bb.1131:                             ;   in Loop: Header=BB32_1129 Depth=2
	s_andn2_saveexec_b64 s[40:41], s[40:41]
; %bb.1132:                             ;   in Loop: Header=BB32_1129 Depth=2
	v_or_b32_e32 v36, 0x10000, v2
	v_cmp_eq_u32_sdwa vcc, v2, v3 src0_sel:WORD_0 src1_sel:DWORD
	s_nop 1
	v_cndmask_b32_e32 v36, v36, v2, vcc
; %bb.1133:                             ;   in Loop: Header=BB32_1129 Depth=2
	s_or_b64 exec, exec, s[40:41]
	v_and_b32_e32 v2, 0xffff0000, v12
	v_and_b32_e32 v12, 0xffff0000, v16
	v_max_f32_e32 v2, v2, v2
	v_max_f32_e32 v12, v12, v12
	v_min_f32_e32 v16, v12, v2
	v_max_f32_e32 v2, v12, v2
	v_cndmask_b32_e64 v12, v2, v16, s[28:29]
	v_and_b32_e32 v2, 0x7f800000, v12
	v_cmp_ne_u32_e32 vcc, s85, v2
                                        ; implicit-def: $vgpr2
	s_and_saveexec_b64 s[40:41], vcc
	s_xor_b64 s[40:41], exec, s[40:41]
; %bb.1134:                             ;   in Loop: Header=BB32_1129 Depth=2
	v_bfe_u32 v2, v12, 16, 1
	v_add3_u32 v2, v12, v2, s86
                                        ; implicit-def: $vgpr12
; %bb.1135:                             ;   in Loop: Header=BB32_1129 Depth=2
	s_andn2_saveexec_b64 s[40:41], s[40:41]
; %bb.1136:                             ;   in Loop: Header=BB32_1129 Depth=2
	v_or_b32_e32 v2, 0x10000, v12
	v_cmp_eq_u32_sdwa vcc, v12, v3 src0_sel:WORD_0 src1_sel:DWORD
	s_nop 1
	v_cndmask_b32_e32 v2, v2, v12, vcc
; %bb.1137:                             ;   in Loop: Header=BB32_1129 Depth=2
	s_or_b64 exec, exec, s[40:41]
	v_lshlrev_b32_e32 v12, 16, v13
	v_lshlrev_b32_e32 v16, 16, v17
	v_max_f32_e32 v12, v12, v12
	v_max_f32_e32 v16, v16, v16
	v_min_f32_e32 v37, v16, v12
	v_max_f32_e32 v12, v16, v12
	v_cndmask_b32_e64 v12, v12, v37, s[28:29]
	v_and_b32_e32 v16, 0x7f800000, v12
	v_cmp_ne_u32_e32 vcc, s85, v16
                                        ; implicit-def: $vgpr16
	s_and_saveexec_b64 s[40:41], vcc
	s_xor_b64 s[40:41], exec, s[40:41]
; %bb.1138:                             ;   in Loop: Header=BB32_1129 Depth=2
	v_bfe_u32 v16, v12, 16, 1
	v_add3_u32 v16, v12, v16, s86
                                        ; implicit-def: $vgpr12
; %bb.1139:                             ;   in Loop: Header=BB32_1129 Depth=2
	s_andn2_saveexec_b64 s[40:41], s[40:41]
; %bb.1140:                             ;   in Loop: Header=BB32_1129 Depth=2
	v_or_b32_e32 v16, 0x10000, v12
	v_cmp_eq_u32_sdwa vcc, v12, v3 src0_sel:WORD_0 src1_sel:DWORD
	s_nop 1
	v_cndmask_b32_e32 v16, v16, v12, vcc
; %bb.1141:                             ;   in Loop: Header=BB32_1129 Depth=2
	s_or_b64 exec, exec, s[40:41]
	v_and_b32_e32 v12, 0xffff0000, v17
	v_and_b32_e32 v13, 0xffff0000, v13
	v_max_f32_e32 v13, v13, v13
	v_max_f32_e32 v12, v12, v12
	v_min_f32_e32 v17, v12, v13
	v_max_f32_e32 v12, v12, v13
	v_cndmask_b32_e64 v13, v12, v17, s[28:29]
	v_and_b32_e32 v12, 0x7f800000, v13
	v_cmp_ne_u32_e32 vcc, s85, v12
                                        ; implicit-def: $vgpr12
	s_and_saveexec_b64 s[40:41], vcc
	s_xor_b64 s[40:41], exec, s[40:41]
; %bb.1142:                             ;   in Loop: Header=BB32_1129 Depth=2
	v_bfe_u32 v12, v13, 16, 1
	v_add3_u32 v12, v13, v12, s86
                                        ; implicit-def: $vgpr13
; %bb.1143:                             ;   in Loop: Header=BB32_1129 Depth=2
	s_andn2_saveexec_b64 s[40:41], s[40:41]
; %bb.1144:                             ;   in Loop: Header=BB32_1129 Depth=2
	v_or_b32_e32 v12, 0x10000, v13
	v_cmp_eq_u32_sdwa vcc, v13, v3 src0_sel:WORD_0 src1_sel:DWORD
	s_nop 1
	v_cndmask_b32_e32 v12, v12, v13, vcc
; %bb.1145:                             ;   in Loop: Header=BB32_1129 Depth=2
	s_or_b64 exec, exec, s[40:41]
	v_lshlrev_b32_e32 v13, 16, v14
	v_lshlrev_b32_e32 v17, 16, v18
	v_max_f32_e32 v13, v13, v13
	v_max_f32_e32 v17, v17, v17
	v_min_f32_e32 v37, v17, v13
	v_max_f32_e32 v13, v17, v13
	v_cndmask_b32_e64 v13, v13, v37, s[28:29]
	v_and_b32_e32 v17, 0x7f800000, v13
	v_cmp_ne_u32_e32 vcc, s85, v17
                                        ; implicit-def: $vgpr17
	s_and_saveexec_b64 s[40:41], vcc
	s_xor_b64 s[40:41], exec, s[40:41]
; %bb.1146:                             ;   in Loop: Header=BB32_1129 Depth=2
	v_bfe_u32 v17, v13, 16, 1
	v_add3_u32 v17, v13, v17, s86
                                        ; implicit-def: $vgpr13
; %bb.1147:                             ;   in Loop: Header=BB32_1129 Depth=2
	s_andn2_saveexec_b64 s[40:41], s[40:41]
; %bb.1148:                             ;   in Loop: Header=BB32_1129 Depth=2
	v_or_b32_e32 v17, 0x10000, v13
	v_cmp_eq_u32_sdwa vcc, v13, v3 src0_sel:WORD_0 src1_sel:DWORD
	s_nop 1
	v_cndmask_b32_e32 v17, v17, v13, vcc
; %bb.1149:                             ;   in Loop: Header=BB32_1129 Depth=2
	s_or_b64 exec, exec, s[40:41]
	v_and_b32_e32 v13, 0xffff0000, v18
	v_and_b32_e32 v14, 0xffff0000, v14
	v_max_f32_e32 v14, v14, v14
	v_max_f32_e32 v13, v13, v13
	v_min_f32_e32 v18, v13, v14
	v_max_f32_e32 v13, v13, v14
	v_cndmask_b32_e64 v13, v13, v18, s[28:29]
	v_and_b32_e32 v14, 0x7f800000, v13
	v_cmp_ne_u32_e32 vcc, s85, v14
                                        ; implicit-def: $vgpr18
	s_and_saveexec_b64 s[40:41], vcc
	s_xor_b64 s[40:41], exec, s[40:41]
; %bb.1150:                             ;   in Loop: Header=BB32_1129 Depth=2
	v_bfe_u32 v14, v13, 16, 1
	v_add3_u32 v18, v13, v14, s86
                                        ; implicit-def: $vgpr13
; %bb.1151:                             ;   in Loop: Header=BB32_1129 Depth=2
	s_andn2_saveexec_b64 s[40:41], s[40:41]
; %bb.1152:                             ;   in Loop: Header=BB32_1129 Depth=2
	v_or_b32_e32 v14, 0x10000, v13
	v_cmp_eq_u32_sdwa vcc, v13, v3 src0_sel:WORD_0 src1_sel:DWORD
	s_nop 1
	v_cndmask_b32_e32 v18, v14, v13, vcc
; %bb.1153:                             ;   in Loop: Header=BB32_1129 Depth=2
	s_or_b64 exec, exec, s[40:41]
	v_lshlrev_b32_e32 v13, 16, v15
	v_lshlrev_b32_e32 v14, 16, v19
	v_max_f32_e32 v13, v13, v13
	v_max_f32_e32 v14, v14, v14
	v_min_f32_e32 v37, v14, v13
	v_max_f32_e32 v13, v14, v13
	v_cndmask_b32_e64 v13, v13, v37, s[28:29]
	v_and_b32_e32 v14, 0x7f800000, v13
	v_cmp_ne_u32_e32 vcc, s85, v14
                                        ; implicit-def: $vgpr14
	s_and_saveexec_b64 s[40:41], vcc
	s_xor_b64 s[40:41], exec, s[40:41]
; %bb.1154:                             ;   in Loop: Header=BB32_1129 Depth=2
	v_bfe_u32 v14, v13, 16, 1
	v_add3_u32 v14, v13, v14, s86
                                        ; implicit-def: $vgpr13
; %bb.1155:                             ;   in Loop: Header=BB32_1129 Depth=2
	s_andn2_saveexec_b64 s[40:41], s[40:41]
; %bb.1156:                             ;   in Loop: Header=BB32_1129 Depth=2
	v_or_b32_e32 v14, 0x10000, v13
	v_cmp_eq_u32_sdwa vcc, v13, v3 src0_sel:WORD_0 src1_sel:DWORD
	s_nop 1
	v_cndmask_b32_e32 v14, v14, v13, vcc
; %bb.1157:                             ;   in Loop: Header=BB32_1129 Depth=2
	s_or_b64 exec, exec, s[40:41]
	v_and_b32_e32 v13, 0xffff0000, v19
	v_and_b32_e32 v15, 0xffff0000, v15
	v_max_f32_e32 v15, v15, v15
	v_max_f32_e32 v13, v13, v13
	v_min_f32_e32 v19, v13, v15
	v_max_f32_e32 v13, v13, v15
	v_cndmask_b32_e64 v13, v13, v19, s[28:29]
	v_and_b32_e32 v15, 0x7f800000, v13
	v_cmp_ne_u32_e32 vcc, s85, v15
                                        ; implicit-def: $vgpr15
	s_and_saveexec_b64 s[40:41], vcc
	s_xor_b64 s[40:41], exec, s[40:41]
; %bb.1158:                             ;   in Loop: Header=BB32_1129 Depth=2
	v_bfe_u32 v15, v13, 16, 1
	v_add3_u32 v15, v13, v15, s86
                                        ; implicit-def: $vgpr13
; %bb.1159:                             ;   in Loop: Header=BB32_1129 Depth=2
	s_andn2_saveexec_b64 s[40:41], s[40:41]
; %bb.1160:                             ;   in Loop: Header=BB32_1129 Depth=2
	v_or_b32_e32 v15, 0x10000, v13
	v_cmp_eq_u32_sdwa vcc, v13, v3 src0_sel:WORD_0 src1_sel:DWORD
	s_nop 1
	v_cndmask_b32_e32 v15, v15, v13, vcc
; %bb.1161:                             ;   in Loop: Header=BB32_1129 Depth=2
	s_or_b64 exec, exec, s[40:41]
	v_and_b32_e32 v37, 0xffff0000, v2
	v_or_b32_sdwa v2, v37, v36 dst_sel:DWORD dst_unused:UNUSED_PAD src0_sel:DWORD src1_sel:WORD_1
	s_waitcnt vmcnt(0)
	v_and_b32_e32 v39, 0xffff0000, v8
	v_and_b32_e32 v36, 0xffff0000, v36
	v_lshlrev_b32_e32 v8, 16, v8
	v_max_f32_e32 v36, v36, v36
	v_max_f32_e32 v8, v8, v8
	v_min_f32_e32 v48, v36, v8
	v_max_f32_e32 v8, v36, v8
	v_cndmask_b32_e64 v8, v8, v48, s[28:29]
	v_and_b32_e32 v36, 0x7f800000, v8
	v_cmp_eq_u32_e32 vcc, s85, v36
	v_bfe_u32 v36, v8, 16, 1
	v_cmp_eq_u32_sdwa s[40:41], v8, v3 src0_sel:WORD_0 src1_sel:DWORD
	v_or_b32_e32 v48, 0x10000, v8
	v_max_f32_e32 v37, v37, v37
	v_max_f32_e32 v39, v39, v39
	v_add3_u32 v36, v8, v36, s86
	v_cndmask_b32_e64 v8, v48, v8, s[40:41]
	v_min_f32_e32 v48, v37, v39
	v_max_f32_e32 v37, v37, v39
	v_cndmask_b32_e64 v37, v37, v48, s[28:29]
	v_and_b32_e32 v39, 0x7f800000, v37
	v_and_b32_e32 v19, 0xffff0000, v12
	v_cmp_eq_u32_e64 s[40:41], s85, v39
	v_bfe_u32 v39, v37, 16, 1
	v_cmp_eq_u32_sdwa s[42:43], v37, v3 src0_sel:WORD_0 src1_sel:DWORD
	v_or_b32_e32 v48, 0x10000, v37
	v_or_b32_sdwa v13, v19, v16 dst_sel:DWORD dst_unused:UNUSED_PAD src0_sel:DWORD src1_sel:WORD_1
	v_add3_u32 v39, v37, v39, s86
	v_cndmask_b32_e64 v37, v48, v37, s[42:43]
	v_and_b32_e32 v48, 0xffff0000, v9
	v_and_b32_e32 v16, 0xffff0000, v16
	v_lshlrev_b32_e32 v9, 16, v9
	v_max_f32_e32 v16, v16, v16
	v_max_f32_e32 v9, v9, v9
	v_min_f32_e32 v49, v16, v9
	v_max_f32_e32 v9, v16, v9
	v_cndmask_b32_e64 v9, v9, v49, s[28:29]
	v_and_b32_e32 v16, 0x7f800000, v9
	v_cmp_eq_u32_e64 s[42:43], s85, v16
	v_bfe_u32 v16, v9, 16, 1
	v_cmp_eq_u32_sdwa s[44:45], v9, v3 src0_sel:WORD_0 src1_sel:DWORD
	v_or_b32_e32 v49, 0x10000, v9
	v_max_f32_e32 v19, v19, v19
	v_max_f32_e32 v48, v48, v48
	v_add3_u32 v16, v9, v16, s86
	v_cndmask_b32_e64 v9, v49, v9, s[44:45]
	v_min_f32_e32 v49, v19, v48
	v_max_f32_e32 v19, v19, v48
	v_cndmask_b32_e64 v19, v19, v49, s[28:29]
	v_and_b32_e32 v48, 0x7f800000, v19
	v_and_b32_e32 v18, 0xffff0000, v18
	v_cmp_eq_u32_e64 s[44:45], s85, v48
	v_bfe_u32 v48, v19, 16, 1
	v_cmp_eq_u32_sdwa s[46:47], v19, v3 src0_sel:WORD_0 src1_sel:DWORD
	v_or_b32_e32 v49, 0x10000, v19
	v_or_b32_sdwa v12, v18, v17 dst_sel:DWORD dst_unused:UNUSED_PAD src0_sel:DWORD src1_sel:WORD_1
	v_add3_u32 v48, v19, v48, s86
	v_cndmask_b32_e64 v19, v49, v19, s[46:47]
	v_and_b32_e32 v49, 0xffff0000, v10
	v_and_b32_e32 v17, 0xffff0000, v17
	v_lshlrev_b32_e32 v10, 16, v10
	v_max_f32_e32 v17, v17, v17
	v_max_f32_e32 v10, v10, v10
	v_min_f32_e32 v50, v17, v10
	v_max_f32_e32 v10, v17, v10
	v_cndmask_b32_e64 v10, v10, v50, s[28:29]
	v_and_b32_e32 v17, 0x7f800000, v10
	v_cmp_eq_u32_e64 s[46:47], s85, v17
	;; [unrolled: 29-line block ×3, first 2 shown]
	v_bfe_u32 v14, v11, 16, 1
	v_cmp_eq_u32_sdwa s[60:61], v11, v3 src0_sel:WORD_0 src1_sel:DWORD
	v_or_b32_e32 v51, 0x10000, v11
	v_max_f32_e32 v38, v38, v38
	v_max_f32_e32 v50, v50, v50
	v_add3_u32 v14, v11, v14, s86
	v_cndmask_b32_e64 v11, v51, v11, s[60:61]
	v_min_f32_e32 v51, v38, v50
	v_max_f32_e32 v38, v38, v50
	v_cndmask_b32_e64 v38, v38, v51, s[28:29]
	v_and_b32_e32 v50, 0x7f800000, v38
	v_cmp_eq_u32_e64 s[60:61], s85, v50
	v_bfe_u32 v50, v38, 16, 1
	v_cmp_eq_u32_sdwa s[62:63], v38, v3 src0_sel:WORD_0 src1_sel:DWORD
	v_or_b32_e32 v51, 0x10000, v38
	v_add3_u32 v50, v38, v50, s86
	v_cndmask_b32_e64 v38, v51, v38, s[62:63]
	v_cndmask_b32_e32 v8, v36, v8, vcc
	v_cndmask_b32_e64 v9, v16, v9, s[42:43]
	v_cndmask_b32_e64 v10, v17, v10, s[46:47]
	;; [unrolled: 1-line block ×7, first 2 shown]
	v_lshrrev_b32_e32 v9, 16, v9
	v_lshrrev_b32_e32 v8, 16, v8
	;; [unrolled: 1-line block ×4, first 2 shown]
	v_and_or_b32 v9, v16, s87, v9
	v_and_or_b32 v8, v36, s87, v8
	v_and_or_b32 v10, v17, s87, v10
	v_and_or_b32 v11, v14, s87, v11
	s_mov_b64 s[46:47], 0
	s_mov_b64 s[44:45], -1
.LBB32_1162:                            ;   Parent Loop BB32_47 Depth=1
                                        ;     Parent Loop BB32_1129 Depth=2
                                        ; =>    This Inner Loop Header: Depth=3
	v_cndmask_b32_e64 v14, 0, 1, s[44:45]
	s_cmp_eq_u32 s46, 1
	v_cmp_ne_u32_e32 vcc, 1, v14
	s_cselect_b64 s[40:41], -1, 0
	v_cndmask_b32_e64 v17, v13, v9, s[44:45]
	v_cndmask_b32_e64 v16, v2, v8, s[44:45]
	;; [unrolled: 1-line block ×4, first 2 shown]
	v_cndmask_b32_e32 v37, v21, v23, vcc
	v_cndmask_b32_e64 v39, v21, v23, s[40:41]
	s_cmp_eq_u32 s46, 0
	v_cndmask_b32_e32 v36, v20, v22, vcc
	v_cndmask_b32_e64 v38, v20, v22, s[40:41]
	global_store_dwordx4 v[36:37], v[16:19], off
	s_cselect_b64 vcc, -1, 0
	s_and_b64 s[42:43], exec, s[44:45]
	v_lshl_add_u64 v[16:17], v[38:39], 0, s[90:91]
	s_mov_b64 s[46:47], 1
	s_mov_b64 s[44:45], 0
	v_cndmask_b32_e64 v23, v23, v17, s[40:41]
	v_cndmask_b32_e64 v22, v22, v16, s[40:41]
	v_cndmask_b32_e32 v21, v21, v17, vcc
	v_cndmask_b32_e32 v20, v20, v16, vcc
	s_mov_b64 vcc, s[42:43]
	s_cbranch_vccnz .LBB32_1162
; %bb.1163:                             ;   in Loop: Header=BB32_1129 Depth=2
	scratch_load_dwordx2 v[10:11], off, s33 offset:212 ; 8-byte Folded Reload
	scratch_load_dwordx2 v[8:9], off, s33 offset:228 ; 8-byte Folded Reload
	v_sub_u32_e32 v35, v35, v76
	v_cmp_gt_i32_e32 vcc, 16, v35
	s_or_b64 s[54:55], vcc, s[54:55]
	v_sub_u32_e32 v34, v34, v60
	s_waitcnt vmcnt(1)
	v_lshl_add_u64 v[24:25], v[24:25], 0, v[10:11]
	v_lshl_add_u64 v[26:27], v[26:27], 0, v[10:11]
	s_waitcnt vmcnt(0)
	v_lshl_add_u64 v[20:21], v[20:21], 0, v[8:9]
	v_lshl_add_u64 v[22:23], v[22:23], 0, v[8:9]
	;; [unrolled: 1-line block ×3, first 2 shown]
	s_andn2_b64 exec, exec, s[54:55]
	s_cbranch_execnz .LBB32_1129
; %bb.1164:                             ;   in Loop: Header=BB32_47 Depth=1
	s_or_b64 exec, exec, s[54:55]
.LBB32_1165:                            ;   in Loop: Header=BB32_47 Depth=1
	s_or_b64 exec, exec, s[52:53]
	v_and_b32_e32 v2, 14, v58
	v_cmp_lt_i32_e32 vcc, 0, v34
	v_sub_u32_e32 v4, v33, v2
	v_cndmask_b32_e64 v58, v33, v2, s[26:27]
	v_cndmask_b32_e32 v2, 0, v60, vcc
	v_cndmask_b32_e64 v4, 0, v4, s[26:27]
	v_sub_u32_e32 v2, v2, v34
	v_cmp_ne_u32_e32 vcc, 0, v58
	v_add3_u32 v1, v1, v32, v4
	v_lshl_add_u32 v2, v2, 6, v0
	s_and_b64 s[26:27], vcc, exec
.LBB32_1166:                            ;   in Loop: Header=BB32_47 Depth=1
	s_or_b64 exec, exec, s[50:51]
	s_and_saveexec_b64 s[42:43], s[26:27]
	s_cbranch_execz .LBB32_1309
.LBB32_1167:                            ;   in Loop: Header=BB32_47 Depth=1
	s_waitcnt vmcnt(0)
	v_ashrrev_i32_e32 v0, 31, v2
	v_ashrrev_i32_e32 v5, 31, v58
	v_lshrrev_b32_e32 v0, 26, v0
	v_lshrrev_b32_e32 v5, 21, v5
	v_add_u32_e32 v4, v2, v0
	v_add_u32_e32 v5, v58, v5
	v_ashrrev_i32_e32 v0, 6, v4
	v_ashrrev_i32_e32 v17, 11, v5
	v_sub_u32_e32 v16, v17, v0
	v_cmp_lt_i32_e32 vcc, 0, v16
	s_and_saveexec_b64 s[28:29], vcc
	s_cbranch_execz .LBB32_1299
; %bb.1168:                             ;   in Loop: Header=BB32_47 Depth=1
	v_and_b32_e32 v4, 0x7fffffc0, v4
	s_trap 2
	ds_read_b64 v[12:13], v0
	v_sub_u32_e32 v4, v2, v4
	v_lshlrev_b32_e32 v4, 1, v4
	v_lshlrev_b32_e32 v5, 11, v0
	v_add3_u32 v14, v4, v1, v5
	s_and_b32 s76, s97, 1
	v_ashrrev_i32_e32 v15, 31, v14
	s_cmp_eq_u64 s[76:77], 0
	s_waitcnt lgkmcnt(1)
	v_lshl_add_u64 v[18:19], v[98:99], 0, s[36:37]
	v_mov_b32_e32 v106, 0xc8
	v_mov_b64_e32 v[94:95], v[102:103]
	v_lshl_add_u64 v[4:5], v[14:15], 0, v[86:87]
	v_lshl_add_u64 v[8:9], v[14:15], 0, v[28:29]
	;; [unrolled: 1-line block ×3, first 2 shown]
	s_waitcnt lgkmcnt(0)
	v_lshl_add_u64 v[12:13], v[12:13], 0, v[14:15]
	s_mov_b64 s[40:41], 0
	s_cselect_b64 s[26:27], -1, 0
	v_lshl_add_u64 v[14:15], v[18:19], 0, v[14:15]
	s_branch .LBB32_1170
.LBB32_1169:                            ;   in Loop: Header=BB32_1170 Depth=2
	s_or_b64 exec, exec, s[44:45]
	v_sub_u32_e32 v16, v16, v60
	v_cmp_gt_i32_e32 vcc, 1, v16
	flat_store_short_d16_hi v[4:5], v20 offset:1920 nt
	flat_store_short_d16_hi v[8:9], v19 nt
	flat_store_short_d16_hi v[8:9], v21 offset:128 nt
	flat_store_short_d16_hi v[8:9], v23 offset:256 nt
	;; [unrolled: 1-line block ×15, first 2 shown]
	v_lshl_add_u64 v[10:11], v[10:11], 0, v[78:79]
	v_lshl_add_u64 v[12:13], v[12:13], 0, v[78:79]
	;; [unrolled: 1-line block ×4, first 2 shown]
	s_or_b64 s[40:41], vcc, s[40:41]
	v_lshl_add_u64 v[14:15], v[14:15], 0, v[78:79]
	s_andn2_b64 exec, exec, s[40:41]
	s_cbranch_execz .LBB32_1298
.LBB32_1170:                            ;   Parent Loop BB32_47 Depth=1
                                        ; =>  This Inner Loop Header: Depth=2
	v_add_co_u32_e32 v18, vcc, 0xfffff880, v14
	s_nop 1
	v_addc_co_u32_e32 v19, vcc, -1, v15, vcc
	flat_load_ushort v65, v[18:19] nt
	v_add_co_u32_e32 v18, vcc, 0xfffff900, v14
	s_nop 1
	v_addc_co_u32_e32 v19, vcc, -1, v15, vcc
	flat_load_ushort v55, v[18:19] nt
	;; [unrolled: 4-line block ×15, first 2 shown]
	flat_load_ushort v49, v[10:11] offset:1024 nt
	flat_load_ushort v51, v[10:11] offset:1152 nt
	;; [unrolled: 1-line block ×8, first 2 shown]
	flat_load_ushort v18, v[14:15] nt
	flat_load_ushort v21, v[10:11] offset:128 nt
	flat_load_ushort v23, v[10:11] offset:256 nt
	flat_load_ushort v26, v[10:11] offset:384 nt
	flat_load_ushort v32, v[10:11] offset:512 nt
	flat_load_ushort v34, v[10:11] offset:640 nt
	flat_load_ushort v36, v[10:11] offset:768 nt
	flat_load_ushort v39, v[10:11] offset:896 nt
	flat_load_ushort v19, v[10:11] nt
	flat_load_ushort v59, v[12:13] offset:128 nt
	flat_load_ushort v115, v[12:13] offset:256 nt
	flat_load_ushort v114, v[12:13] offset:384 nt
	flat_load_ushort v113, v[12:13] offset:512 nt
	flat_load_ushort v112, v[12:13] offset:640 nt
	flat_load_ushort v103, v[12:13] offset:768 nt
	flat_load_ushort v102, v[12:13] offset:896 nt
	;; [unrolled: 8-line block ×3, first 2 shown]
	flat_load_ushort v70, v[12:13] offset:1920 nt
	s_waitcnt vmcnt(0) lgkmcnt(0)
	v_lshlrev_b32_e32 v19, 16, v19
	v_max_f32_e32 v19, v19, v19
	v_lshlrev_b32_e32 v118, 16, v118
	v_max_f32_e32 v118, v118, v118
	v_min_f32_e32 v119, v19, v118
	v_max_f32_e32 v19, v19, v118
	v_cndmask_b32_e64 v73, v19, v119, s[26:27]
	v_and_b32_e32 v19, 0x7f800000, v73
	v_cmp_ne_u32_e32 vcc, s85, v19
                                        ; implicit-def: $vgpr19
	s_and_saveexec_b64 s[44:45], vcc
	s_xor_b64 s[44:45], exec, s[44:45]
; %bb.1171:                             ;   in Loop: Header=BB32_1170 Depth=2
	v_bfe_u32 v19, v73, 16, 1
	v_add3_u32 v19, v73, v19, s86
                                        ; implicit-def: $vgpr73
; %bb.1172:                             ;   in Loop: Header=BB32_1170 Depth=2
	s_andn2_saveexec_b64 s[44:45], s[44:45]
; %bb.1173:                             ;   in Loop: Header=BB32_1170 Depth=2
	v_or_b32_e32 v19, 0x10000, v73
	v_cmp_eq_u32_sdwa vcc, v73, v3 src0_sel:WORD_0 src1_sel:DWORD
	s_nop 1
	v_cndmask_b32_e32 v19, v19, v73, vcc
; %bb.1174:                             ;   in Loop: Header=BB32_1170 Depth=2
	s_or_b64 exec, exec, s[44:45]
	v_lshlrev_b32_e32 v21, 16, v21
	v_lshlrev_b32_e32 v118, 16, v59
	v_max_f32_e32 v118, v118, v118
	v_max_f32_e32 v21, v21, v21
	v_min_f32_e32 v119, v21, v118
	v_max_f32_e32 v21, v21, v118
	v_cndmask_b32_e64 v59, v21, v119, s[26:27]
	v_and_b32_e32 v21, 0x7f800000, v59
	v_cmp_ne_u32_e32 vcc, s85, v21
                                        ; implicit-def: $vgpr21
	s_and_saveexec_b64 s[44:45], vcc
	s_xor_b64 s[44:45], exec, s[44:45]
; %bb.1175:                             ;   in Loop: Header=BB32_1170 Depth=2
	v_bfe_u32 v21, v59, 16, 1
	v_add3_u32 v21, v59, v21, s86
                                        ; implicit-def: $vgpr59
; %bb.1176:                             ;   in Loop: Header=BB32_1170 Depth=2
	s_andn2_saveexec_b64 s[44:45], s[44:45]
; %bb.1177:                             ;   in Loop: Header=BB32_1170 Depth=2
	v_or_b32_e32 v21, 0x10000, v59
	v_cmp_eq_u32_sdwa vcc, v59, v3 src0_sel:WORD_0 src1_sel:DWORD
	s_nop 1
	v_cndmask_b32_e32 v21, v21, v59, vcc
; %bb.1178:                             ;   in Loop: Header=BB32_1170 Depth=2
	s_or_b64 exec, exec, s[44:45]
	v_lshlrev_b32_e32 v23, 16, v23
	v_lshlrev_b32_e32 v115, 16, v115
	v_max_f32_e32 v115, v115, v115
	v_max_f32_e32 v23, v23, v23
	v_min_f32_e32 v118, v23, v115
	v_max_f32_e32 v23, v23, v115
	v_cndmask_b32_e64 v115, v23, v118, s[26:27]
	v_and_b32_e32 v23, 0x7f800000, v115
	v_cmp_ne_u32_e32 vcc, s85, v23
                                        ; implicit-def: $vgpr23
	s_and_saveexec_b64 s[44:45], vcc
	s_xor_b64 s[44:45], exec, s[44:45]
; %bb.1179:                             ;   in Loop: Header=BB32_1170 Depth=2
	v_bfe_u32 v23, v115, 16, 1
	v_add3_u32 v23, v115, v23, s86
                                        ; implicit-def: $vgpr115
; %bb.1180:                             ;   in Loop: Header=BB32_1170 Depth=2
	s_andn2_saveexec_b64 s[44:45], s[44:45]
; %bb.1181:                             ;   in Loop: Header=BB32_1170 Depth=2
	v_or_b32_e32 v23, 0x10000, v115
	v_cmp_eq_u32_sdwa vcc, v115, v3 src0_sel:WORD_0 src1_sel:DWORD
	s_nop 1
	v_cndmask_b32_e32 v23, v23, v115, vcc
; %bb.1182:                             ;   in Loop: Header=BB32_1170 Depth=2
	s_or_b64 exec, exec, s[44:45]
	v_lshlrev_b32_e32 v26, 16, v26
	v_lshlrev_b32_e32 v114, 16, v114
	v_max_f32_e32 v114, v114, v114
	v_max_f32_e32 v26, v26, v26
	v_min_f32_e32 v115, v26, v114
	v_max_f32_e32 v26, v26, v114
	v_cndmask_b32_e64 v114, v26, v115, s[26:27]
	v_and_b32_e32 v26, 0x7f800000, v114
	v_cmp_ne_u32_e32 vcc, s85, v26
                                        ; implicit-def: $vgpr26
	s_and_saveexec_b64 s[44:45], vcc
	s_xor_b64 s[44:45], exec, s[44:45]
; %bb.1183:                             ;   in Loop: Header=BB32_1170 Depth=2
	v_bfe_u32 v26, v114, 16, 1
	v_add3_u32 v26, v114, v26, s86
                                        ; implicit-def: $vgpr114
; %bb.1184:                             ;   in Loop: Header=BB32_1170 Depth=2
	s_andn2_saveexec_b64 s[44:45], s[44:45]
; %bb.1185:                             ;   in Loop: Header=BB32_1170 Depth=2
	v_or_b32_e32 v26, 0x10000, v114
	v_cmp_eq_u32_sdwa vcc, v114, v3 src0_sel:WORD_0 src1_sel:DWORD
	s_nop 1
	v_cndmask_b32_e32 v26, v26, v114, vcc
; %bb.1186:                             ;   in Loop: Header=BB32_1170 Depth=2
	s_or_b64 exec, exec, s[44:45]
	v_lshlrev_b32_e32 v32, 16, v32
	v_lshlrev_b32_e32 v113, 16, v113
	v_max_f32_e32 v113, v113, v113
	v_max_f32_e32 v32, v32, v32
	v_min_f32_e32 v114, v32, v113
	v_max_f32_e32 v32, v32, v113
	v_cndmask_b32_e64 v113, v32, v114, s[26:27]
	v_and_b32_e32 v32, 0x7f800000, v113
	v_cmp_ne_u32_e32 vcc, s85, v32
                                        ; implicit-def: $vgpr32
	s_and_saveexec_b64 s[44:45], vcc
	s_xor_b64 s[44:45], exec, s[44:45]
; %bb.1187:                             ;   in Loop: Header=BB32_1170 Depth=2
	v_bfe_u32 v32, v113, 16, 1
	v_add3_u32 v32, v113, v32, s86
                                        ; implicit-def: $vgpr113
; %bb.1188:                             ;   in Loop: Header=BB32_1170 Depth=2
	s_andn2_saveexec_b64 s[44:45], s[44:45]
; %bb.1189:                             ;   in Loop: Header=BB32_1170 Depth=2
	v_or_b32_e32 v32, 0x10000, v113
	v_cmp_eq_u32_sdwa vcc, v113, v3 src0_sel:WORD_0 src1_sel:DWORD
	s_nop 1
	v_cndmask_b32_e32 v32, v32, v113, vcc
; %bb.1190:                             ;   in Loop: Header=BB32_1170 Depth=2
	s_or_b64 exec, exec, s[44:45]
	v_lshlrev_b32_e32 v34, 16, v34
	v_lshlrev_b32_e32 v112, 16, v112
	v_max_f32_e32 v112, v112, v112
	v_max_f32_e32 v34, v34, v34
	v_min_f32_e32 v113, v34, v112
	v_max_f32_e32 v34, v34, v112
	v_cndmask_b32_e64 v112, v34, v113, s[26:27]
	v_and_b32_e32 v34, 0x7f800000, v112
	v_cmp_ne_u32_e32 vcc, s85, v34
                                        ; implicit-def: $vgpr34
	s_and_saveexec_b64 s[44:45], vcc
	s_xor_b64 s[44:45], exec, s[44:45]
; %bb.1191:                             ;   in Loop: Header=BB32_1170 Depth=2
	v_bfe_u32 v34, v112, 16, 1
	v_add3_u32 v34, v112, v34, s86
                                        ; implicit-def: $vgpr112
; %bb.1192:                             ;   in Loop: Header=BB32_1170 Depth=2
	s_andn2_saveexec_b64 s[44:45], s[44:45]
; %bb.1193:                             ;   in Loop: Header=BB32_1170 Depth=2
	v_or_b32_e32 v34, 0x10000, v112
	v_cmp_eq_u32_sdwa vcc, v112, v3 src0_sel:WORD_0 src1_sel:DWORD
	s_nop 1
	v_cndmask_b32_e32 v34, v34, v112, vcc
; %bb.1194:                             ;   in Loop: Header=BB32_1170 Depth=2
	s_or_b64 exec, exec, s[44:45]
	v_lshlrev_b32_e32 v36, 16, v36
	v_lshlrev_b32_e32 v103, 16, v103
	v_max_f32_e32 v103, v103, v103
	v_max_f32_e32 v36, v36, v36
	v_min_f32_e32 v112, v36, v103
	v_max_f32_e32 v36, v36, v103
	v_cndmask_b32_e64 v103, v36, v112, s[26:27]
	v_and_b32_e32 v36, 0x7f800000, v103
	v_cmp_ne_u32_e32 vcc, s85, v36
                                        ; implicit-def: $vgpr36
	s_and_saveexec_b64 s[44:45], vcc
	s_xor_b64 s[44:45], exec, s[44:45]
; %bb.1195:                             ;   in Loop: Header=BB32_1170 Depth=2
	v_bfe_u32 v36, v103, 16, 1
	v_add3_u32 v36, v103, v36, s86
                                        ; implicit-def: $vgpr103
; %bb.1196:                             ;   in Loop: Header=BB32_1170 Depth=2
	s_andn2_saveexec_b64 s[44:45], s[44:45]
; %bb.1197:                             ;   in Loop: Header=BB32_1170 Depth=2
	v_or_b32_e32 v36, 0x10000, v103
	v_cmp_eq_u32_sdwa vcc, v103, v3 src0_sel:WORD_0 src1_sel:DWORD
	s_nop 1
	v_cndmask_b32_e32 v36, v36, v103, vcc
; %bb.1198:                             ;   in Loop: Header=BB32_1170 Depth=2
	s_or_b64 exec, exec, s[44:45]
	v_lshlrev_b32_e32 v39, 16, v39
	v_lshlrev_b32_e32 v102, 16, v102
	v_max_f32_e32 v102, v102, v102
	v_max_f32_e32 v39, v39, v39
	v_min_f32_e32 v103, v39, v102
	v_max_f32_e32 v39, v39, v102
	v_cndmask_b32_e64 v102, v39, v103, s[26:27]
	v_and_b32_e32 v39, 0x7f800000, v102
	v_cmp_ne_u32_e32 vcc, s85, v39
                                        ; implicit-def: $vgpr39
	s_and_saveexec_b64 s[44:45], vcc
	s_xor_b64 s[44:45], exec, s[44:45]
; %bb.1199:                             ;   in Loop: Header=BB32_1170 Depth=2
	v_bfe_u32 v39, v102, 16, 1
	v_add3_u32 v39, v102, v39, s86
                                        ; implicit-def: $vgpr102
; %bb.1200:                             ;   in Loop: Header=BB32_1170 Depth=2
	s_andn2_saveexec_b64 s[44:45], s[44:45]
; %bb.1201:                             ;   in Loop: Header=BB32_1170 Depth=2
	v_or_b32_e32 v39, 0x10000, v102
	v_cmp_eq_u32_sdwa vcc, v102, v3 src0_sel:WORD_0 src1_sel:DWORD
	s_nop 1
	v_cndmask_b32_e32 v39, v39, v102, vcc
; %bb.1202:                             ;   in Loop: Header=BB32_1170 Depth=2
	s_or_b64 exec, exec, s[44:45]
	v_lshlrev_b32_e32 v49, 16, v49
	v_lshlrev_b32_e32 v101, 16, v101
	v_max_f32_e32 v101, v101, v101
	v_max_f32_e32 v49, v49, v49
	v_min_f32_e32 v102, v49, v101
	v_max_f32_e32 v49, v49, v101
	v_cndmask_b32_e64 v101, v49, v102, s[26:27]
	v_and_b32_e32 v49, 0x7f800000, v101
	v_cmp_ne_u32_e32 vcc, s85, v49
                                        ; implicit-def: $vgpr49
	s_and_saveexec_b64 s[44:45], vcc
	s_xor_b64 s[44:45], exec, s[44:45]
; %bb.1203:                             ;   in Loop: Header=BB32_1170 Depth=2
	v_bfe_u32 v49, v101, 16, 1
	v_add3_u32 v49, v101, v49, s86
                                        ; implicit-def: $vgpr101
; %bb.1204:                             ;   in Loop: Header=BB32_1170 Depth=2
	s_andn2_saveexec_b64 s[44:45], s[44:45]
; %bb.1205:                             ;   in Loop: Header=BB32_1170 Depth=2
	v_or_b32_e32 v49, 0x10000, v101
	v_cmp_eq_u32_sdwa vcc, v101, v3 src0_sel:WORD_0 src1_sel:DWORD
	s_nop 1
	v_cndmask_b32_e32 v49, v49, v101, vcc
; %bb.1206:                             ;   in Loop: Header=BB32_1170 Depth=2
	s_or_b64 exec, exec, s[44:45]
	v_lshlrev_b32_e32 v51, 16, v51
	v_lshlrev_b32_e32 v100, 16, v100
	v_max_f32_e32 v100, v100, v100
	v_max_f32_e32 v51, v51, v51
	v_min_f32_e32 v101, v51, v100
	v_max_f32_e32 v51, v51, v100
	v_cndmask_b32_e64 v100, v51, v101, s[26:27]
	v_and_b32_e32 v51, 0x7f800000, v100
	v_cmp_ne_u32_e32 vcc, s85, v51
                                        ; implicit-def: $vgpr51
	s_and_saveexec_b64 s[44:45], vcc
	s_xor_b64 s[44:45], exec, s[44:45]
; %bb.1207:                             ;   in Loop: Header=BB32_1170 Depth=2
	v_bfe_u32 v51, v100, 16, 1
	v_add3_u32 v51, v100, v51, s86
                                        ; implicit-def: $vgpr100
; %bb.1208:                             ;   in Loop: Header=BB32_1170 Depth=2
	s_andn2_saveexec_b64 s[44:45], s[44:45]
; %bb.1209:                             ;   in Loop: Header=BB32_1170 Depth=2
	v_or_b32_e32 v51, 0x10000, v100
	v_cmp_eq_u32_sdwa vcc, v100, v3 src0_sel:WORD_0 src1_sel:DWORD
	s_nop 1
	v_cndmask_b32_e32 v51, v51, v100, vcc
; %bb.1210:                             ;   in Loop: Header=BB32_1170 Depth=2
	s_or_b64 exec, exec, s[44:45]
	v_lshlrev_b32_e32 v53, 16, v53
	v_lshlrev_b32_e32 v83, 16, v83
	v_max_f32_e32 v83, v83, v83
	v_max_f32_e32 v53, v53, v53
	v_min_f32_e32 v100, v53, v83
	v_max_f32_e32 v53, v53, v83
	v_cndmask_b32_e64 v83, v53, v100, s[26:27]
	v_and_b32_e32 v53, 0x7f800000, v83
	v_cmp_ne_u32_e32 vcc, s85, v53
                                        ; implicit-def: $vgpr53
	s_and_saveexec_b64 s[44:45], vcc
	s_xor_b64 s[44:45], exec, s[44:45]
; %bb.1211:                             ;   in Loop: Header=BB32_1170 Depth=2
	v_bfe_u32 v53, v83, 16, 1
	v_add3_u32 v53, v83, v53, s86
                                        ; implicit-def: $vgpr83
; %bb.1212:                             ;   in Loop: Header=BB32_1170 Depth=2
	s_andn2_saveexec_b64 s[44:45], s[44:45]
; %bb.1213:                             ;   in Loop: Header=BB32_1170 Depth=2
	v_or_b32_e32 v53, 0x10000, v83
	v_cmp_eq_u32_sdwa vcc, v83, v3 src0_sel:WORD_0 src1_sel:DWORD
	s_nop 1
	v_cndmask_b32_e32 v53, v53, v83, vcc
; %bb.1214:                             ;   in Loop: Header=BB32_1170 Depth=2
	s_or_b64 exec, exec, s[44:45]
	v_lshlrev_b32_e32 v64, 16, v64
	v_lshlrev_b32_e32 v82, 16, v82
	v_max_f32_e32 v82, v82, v82
	v_max_f32_e32 v64, v64, v64
	v_min_f32_e32 v83, v64, v82
	v_max_f32_e32 v64, v64, v82
	v_cndmask_b32_e64 v82, v64, v83, s[26:27]
	v_and_b32_e32 v64, 0x7f800000, v82
	v_cmp_ne_u32_e32 vcc, s85, v64
                                        ; implicit-def: $vgpr64
	s_and_saveexec_b64 s[44:45], vcc
	s_xor_b64 s[44:45], exec, s[44:45]
; %bb.1215:                             ;   in Loop: Header=BB32_1170 Depth=2
	v_bfe_u32 v64, v82, 16, 1
	v_add3_u32 v64, v82, v64, s86
                                        ; implicit-def: $vgpr82
; %bb.1216:                             ;   in Loop: Header=BB32_1170 Depth=2
	s_andn2_saveexec_b64 s[44:45], s[44:45]
; %bb.1217:                             ;   in Loop: Header=BB32_1170 Depth=2
	v_or_b32_e32 v64, 0x10000, v82
	v_cmp_eq_u32_sdwa vcc, v82, v3 src0_sel:WORD_0 src1_sel:DWORD
	s_nop 1
	v_cndmask_b32_e32 v64, v64, v82, vcc
; %bb.1218:                             ;   in Loop: Header=BB32_1170 Depth=2
	s_or_b64 exec, exec, s[44:45]
	v_lshlrev_b32_e32 v66, 16, v66
	v_lshlrev_b32_e32 v81, 16, v81
	v_max_f32_e32 v81, v81, v81
	v_max_f32_e32 v66, v66, v66
	v_min_f32_e32 v82, v66, v81
	v_max_f32_e32 v66, v66, v81
	v_cndmask_b32_e64 v81, v66, v82, s[26:27]
	v_and_b32_e32 v66, 0x7f800000, v81
	v_cmp_ne_u32_e32 vcc, s85, v66
                                        ; implicit-def: $vgpr66
	s_and_saveexec_b64 s[44:45], vcc
	s_xor_b64 s[44:45], exec, s[44:45]
; %bb.1219:                             ;   in Loop: Header=BB32_1170 Depth=2
	v_bfe_u32 v66, v81, 16, 1
	v_add3_u32 v66, v81, v66, s86
                                        ; implicit-def: $vgpr81
; %bb.1220:                             ;   in Loop: Header=BB32_1170 Depth=2
	s_andn2_saveexec_b64 s[44:45], s[44:45]
; %bb.1221:                             ;   in Loop: Header=BB32_1170 Depth=2
	v_or_b32_e32 v66, 0x10000, v81
	v_cmp_eq_u32_sdwa vcc, v81, v3 src0_sel:WORD_0 src1_sel:DWORD
	s_nop 1
	v_cndmask_b32_e32 v66, v66, v81, vcc
; %bb.1222:                             ;   in Loop: Header=BB32_1170 Depth=2
	s_or_b64 exec, exec, s[44:45]
	v_lshlrev_b32_e32 v67, 16, v67
	v_lshlrev_b32_e32 v80, 16, v80
	v_max_f32_e32 v80, v80, v80
	v_max_f32_e32 v67, v67, v67
	v_min_f32_e32 v81, v67, v80
	v_max_f32_e32 v67, v67, v80
	v_cndmask_b32_e64 v80, v67, v81, s[26:27]
	v_and_b32_e32 v67, 0x7f800000, v80
	v_cmp_ne_u32_e32 vcc, s85, v67
                                        ; implicit-def: $vgpr67
	s_and_saveexec_b64 s[44:45], vcc
	s_xor_b64 s[44:45], exec, s[44:45]
; %bb.1223:                             ;   in Loop: Header=BB32_1170 Depth=2
	v_bfe_u32 v67, v80, 16, 1
	v_add3_u32 v67, v80, v67, s86
                                        ; implicit-def: $vgpr80
; %bb.1224:                             ;   in Loop: Header=BB32_1170 Depth=2
	s_andn2_saveexec_b64 s[44:45], s[44:45]
; %bb.1225:                             ;   in Loop: Header=BB32_1170 Depth=2
	v_or_b32_e32 v67, 0x10000, v80
	v_cmp_eq_u32_sdwa vcc, v80, v3 src0_sel:WORD_0 src1_sel:DWORD
	s_nop 1
	v_cndmask_b32_e32 v67, v67, v80, vcc
; %bb.1226:                             ;   in Loop: Header=BB32_1170 Depth=2
	s_or_b64 exec, exec, s[44:45]
	v_lshlrev_b32_e32 v68, 16, v68
	v_lshlrev_b32_e32 v71, 16, v71
	v_max_f32_e32 v71, v71, v71
	v_max_f32_e32 v68, v68, v68
	v_min_f32_e32 v80, v68, v71
	v_max_f32_e32 v68, v68, v71
	v_cndmask_b32_e64 v71, v68, v80, s[26:27]
	v_and_b32_e32 v68, 0x7f800000, v71
	v_cmp_ne_u32_e32 vcc, s85, v68
                                        ; implicit-def: $vgpr68
	s_and_saveexec_b64 s[44:45], vcc
	s_xor_b64 s[44:45], exec, s[44:45]
; %bb.1227:                             ;   in Loop: Header=BB32_1170 Depth=2
	v_bfe_u32 v68, v71, 16, 1
	v_add3_u32 v68, v71, v68, s86
                                        ; implicit-def: $vgpr71
; %bb.1228:                             ;   in Loop: Header=BB32_1170 Depth=2
	s_andn2_saveexec_b64 s[44:45], s[44:45]
; %bb.1229:                             ;   in Loop: Header=BB32_1170 Depth=2
	v_or_b32_e32 v68, 0x10000, v71
	v_cmp_eq_u32_sdwa vcc, v71, v3 src0_sel:WORD_0 src1_sel:DWORD
	s_nop 1
	v_cndmask_b32_e32 v68, v68, v71, vcc
; %bb.1230:                             ;   in Loop: Header=BB32_1170 Depth=2
	s_or_b64 exec, exec, s[44:45]
	v_lshlrev_b32_e32 v69, 16, v69
	v_lshlrev_b32_e32 v70, 16, v70
	v_max_f32_e32 v70, v70, v70
	v_max_f32_e32 v69, v69, v69
	v_min_f32_e32 v71, v69, v70
	v_max_f32_e32 v69, v69, v70
	v_cndmask_b32_e64 v70, v69, v71, s[26:27]
	v_and_b32_e32 v69, 0x7f800000, v70
	v_cmp_ne_u32_e32 vcc, s85, v69
                                        ; implicit-def: $vgpr69
	s_and_saveexec_b64 s[44:45], vcc
	s_xor_b64 s[44:45], exec, s[44:45]
; %bb.1231:                             ;   in Loop: Header=BB32_1170 Depth=2
	v_bfe_u32 v69, v70, 16, 1
	v_add3_u32 v69, v70, v69, s86
                                        ; implicit-def: $vgpr70
; %bb.1232:                             ;   in Loop: Header=BB32_1170 Depth=2
	s_andn2_saveexec_b64 s[44:45], s[44:45]
; %bb.1233:                             ;   in Loop: Header=BB32_1170 Depth=2
	v_or_b32_e32 v69, 0x10000, v70
	v_cmp_eq_u32_sdwa vcc, v70, v3 src0_sel:WORD_0 src1_sel:DWORD
	s_nop 1
	v_cndmask_b32_e32 v69, v69, v70, vcc
; %bb.1234:                             ;   in Loop: Header=BB32_1170 Depth=2
	s_or_b64 exec, exec, s[44:45]
	v_and_b32_e32 v70, 0xffff0000, v19
	v_lshlrev_b32_e32 v65, 16, v65
	v_max_f32_e32 v70, v70, v70
	v_max_f32_e32 v65, v65, v65
	v_min_f32_e32 v71, v70, v65
	v_max_f32_e32 v65, v70, v65
	v_cndmask_b32_e64 v65, v65, v71, s[26:27]
	v_and_b32_e32 v70, 0x7f800000, v65
	v_cmp_ne_u32_e32 vcc, s85, v70
                                        ; implicit-def: $vgpr70
	s_and_saveexec_b64 s[44:45], vcc
	s_xor_b64 s[44:45], exec, s[44:45]
; %bb.1235:                             ;   in Loop: Header=BB32_1170 Depth=2
	v_bfe_u32 v70, v65, 16, 1
	v_add3_u32 v70, v65, v70, s86
                                        ; implicit-def: $vgpr65
; %bb.1236:                             ;   in Loop: Header=BB32_1170 Depth=2
	s_andn2_saveexec_b64 s[44:45], s[44:45]
; %bb.1237:                             ;   in Loop: Header=BB32_1170 Depth=2
	v_or_b32_e32 v70, 0x10000, v65
	v_cmp_eq_u32_sdwa vcc, v65, v3 src0_sel:WORD_0 src1_sel:DWORD
	s_nop 1
	v_cndmask_b32_e32 v70, v70, v65, vcc
; %bb.1238:                             ;   in Loop: Header=BB32_1170 Depth=2
	s_or_b64 exec, exec, s[44:45]
	v_and_b32_e32 v65, 0xffff0000, v21
	v_lshlrev_b32_e32 v55, 16, v55
	v_max_f32_e32 v65, v65, v65
	v_max_f32_e32 v55, v55, v55
	flat_store_short_d16_hi v[4:5], v70 nt
	v_min_f32_e32 v70, v65, v55
	v_max_f32_e32 v55, v65, v55
	v_cndmask_b32_e64 v55, v55, v70, s[26:27]
	v_and_b32_e32 v65, 0x7f800000, v55
	v_cmp_ne_u32_e32 vcc, s85, v65
                                        ; implicit-def: $vgpr65
	s_and_saveexec_b64 s[44:45], vcc
	s_xor_b64 s[44:45], exec, s[44:45]
; %bb.1239:                             ;   in Loop: Header=BB32_1170 Depth=2
	v_bfe_u32 v65, v55, 16, 1
	v_add3_u32 v65, v55, v65, s86
                                        ; implicit-def: $vgpr55
; %bb.1240:                             ;   in Loop: Header=BB32_1170 Depth=2
	s_andn2_saveexec_b64 s[44:45], s[44:45]
; %bb.1241:                             ;   in Loop: Header=BB32_1170 Depth=2
	v_or_b32_e32 v65, 0x10000, v55
	v_cmp_eq_u32_sdwa vcc, v55, v3 src0_sel:WORD_0 src1_sel:DWORD
	s_nop 1
	v_cndmask_b32_e32 v65, v65, v55, vcc
; %bb.1242:                             ;   in Loop: Header=BB32_1170 Depth=2
	s_or_b64 exec, exec, s[44:45]
	v_and_b32_e32 v55, 0xffff0000, v23
	v_lshlrev_b32_e32 v54, 16, v54
	v_max_f32_e32 v55, v55, v55
	v_max_f32_e32 v54, v54, v54
	flat_store_short_d16_hi v[4:5], v65 offset:128 nt
	v_min_f32_e32 v65, v55, v54
	v_max_f32_e32 v54, v55, v54
	v_cndmask_b32_e64 v54, v54, v65, s[26:27]
	v_and_b32_e32 v55, 0x7f800000, v54
	v_cmp_ne_u32_e32 vcc, s85, v55
                                        ; implicit-def: $vgpr55
	s_and_saveexec_b64 s[44:45], vcc
	s_xor_b64 s[44:45], exec, s[44:45]
; %bb.1243:                             ;   in Loop: Header=BB32_1170 Depth=2
	v_bfe_u32 v55, v54, 16, 1
	v_add3_u32 v55, v54, v55, s86
                                        ; implicit-def: $vgpr54
; %bb.1244:                             ;   in Loop: Header=BB32_1170 Depth=2
	s_andn2_saveexec_b64 s[44:45], s[44:45]
; %bb.1245:                             ;   in Loop: Header=BB32_1170 Depth=2
	v_or_b32_e32 v55, 0x10000, v54
	v_cmp_eq_u32_sdwa vcc, v54, v3 src0_sel:WORD_0 src1_sel:DWORD
	s_nop 1
	v_cndmask_b32_e32 v55, v55, v54, vcc
; %bb.1246:                             ;   in Loop: Header=BB32_1170 Depth=2
	s_or_b64 exec, exec, s[44:45]
	v_and_b32_e32 v54, 0xffff0000, v26
	v_lshlrev_b32_e32 v52, 16, v52
	v_max_f32_e32 v54, v54, v54
	v_max_f32_e32 v52, v52, v52
	flat_store_short_d16_hi v[4:5], v55 offset:256 nt
	v_min_f32_e32 v55, v54, v52
	v_max_f32_e32 v52, v54, v52
	v_cndmask_b32_e64 v52, v52, v55, s[26:27]
	v_and_b32_e32 v54, 0x7f800000, v52
	v_cmp_ne_u32_e32 vcc, s85, v54
                                        ; implicit-def: $vgpr54
	s_and_saveexec_b64 s[44:45], vcc
	s_xor_b64 s[44:45], exec, s[44:45]
; %bb.1247:                             ;   in Loop: Header=BB32_1170 Depth=2
	v_bfe_u32 v54, v52, 16, 1
	v_add3_u32 v54, v52, v54, s86
                                        ; implicit-def: $vgpr52
; %bb.1248:                             ;   in Loop: Header=BB32_1170 Depth=2
	s_andn2_saveexec_b64 s[44:45], s[44:45]
; %bb.1249:                             ;   in Loop: Header=BB32_1170 Depth=2
	v_or_b32_e32 v54, 0x10000, v52
	v_cmp_eq_u32_sdwa vcc, v52, v3 src0_sel:WORD_0 src1_sel:DWORD
	s_nop 1
	v_cndmask_b32_e32 v54, v54, v52, vcc
; %bb.1250:                             ;   in Loop: Header=BB32_1170 Depth=2
	s_or_b64 exec, exec, s[44:45]
	v_and_b32_e32 v52, 0xffff0000, v32
	v_lshlrev_b32_e32 v50, 16, v50
	v_max_f32_e32 v52, v52, v52
	v_max_f32_e32 v50, v50, v50
	flat_store_short_d16_hi v[4:5], v54 offset:384 nt
	v_min_f32_e32 v54, v52, v50
	v_max_f32_e32 v50, v52, v50
	v_cndmask_b32_e64 v50, v50, v54, s[26:27]
	v_and_b32_e32 v52, 0x7f800000, v50
	v_cmp_ne_u32_e32 vcc, s85, v52
                                        ; implicit-def: $vgpr52
	s_and_saveexec_b64 s[44:45], vcc
	s_xor_b64 s[44:45], exec, s[44:45]
; %bb.1251:                             ;   in Loop: Header=BB32_1170 Depth=2
	v_bfe_u32 v52, v50, 16, 1
	v_add3_u32 v52, v50, v52, s86
                                        ; implicit-def: $vgpr50
; %bb.1252:                             ;   in Loop: Header=BB32_1170 Depth=2
	s_andn2_saveexec_b64 s[44:45], s[44:45]
; %bb.1253:                             ;   in Loop: Header=BB32_1170 Depth=2
	v_or_b32_e32 v52, 0x10000, v50
	v_cmp_eq_u32_sdwa vcc, v50, v3 src0_sel:WORD_0 src1_sel:DWORD
	s_nop 1
	v_cndmask_b32_e32 v52, v52, v50, vcc
; %bb.1254:                             ;   in Loop: Header=BB32_1170 Depth=2
	s_or_b64 exec, exec, s[44:45]
	v_and_b32_e32 v50, 0xffff0000, v34
	v_lshlrev_b32_e32 v48, 16, v48
	v_max_f32_e32 v50, v50, v50
	v_max_f32_e32 v48, v48, v48
	flat_store_short_d16_hi v[4:5], v52 offset:512 nt
	v_min_f32_e32 v52, v50, v48
	v_max_f32_e32 v48, v50, v48
	v_cndmask_b32_e64 v48, v48, v52, s[26:27]
	v_and_b32_e32 v50, 0x7f800000, v48
	v_cmp_ne_u32_e32 vcc, s85, v50
                                        ; implicit-def: $vgpr50
	s_and_saveexec_b64 s[44:45], vcc
	s_xor_b64 s[44:45], exec, s[44:45]
; %bb.1255:                             ;   in Loop: Header=BB32_1170 Depth=2
	v_bfe_u32 v50, v48, 16, 1
	v_add3_u32 v50, v48, v50, s86
                                        ; implicit-def: $vgpr48
; %bb.1256:                             ;   in Loop: Header=BB32_1170 Depth=2
	s_andn2_saveexec_b64 s[44:45], s[44:45]
; %bb.1257:                             ;   in Loop: Header=BB32_1170 Depth=2
	v_or_b32_e32 v50, 0x10000, v48
	v_cmp_eq_u32_sdwa vcc, v48, v3 src0_sel:WORD_0 src1_sel:DWORD
	s_nop 1
	v_cndmask_b32_e32 v50, v50, v48, vcc
; %bb.1258:                             ;   in Loop: Header=BB32_1170 Depth=2
	s_or_b64 exec, exec, s[44:45]
	v_and_b32_e32 v48, 0xffff0000, v36
	v_lshlrev_b32_e32 v38, 16, v38
	v_max_f32_e32 v48, v48, v48
	v_max_f32_e32 v38, v38, v38
	flat_store_short_d16_hi v[4:5], v50 offset:640 nt
	v_min_f32_e32 v50, v48, v38
	v_max_f32_e32 v38, v48, v38
	v_cndmask_b32_e64 v38, v38, v50, s[26:27]
	v_and_b32_e32 v48, 0x7f800000, v38
	v_cmp_ne_u32_e32 vcc, s85, v48
                                        ; implicit-def: $vgpr48
	s_and_saveexec_b64 s[44:45], vcc
	s_xor_b64 s[44:45], exec, s[44:45]
; %bb.1259:                             ;   in Loop: Header=BB32_1170 Depth=2
	v_bfe_u32 v48, v38, 16, 1
	v_add3_u32 v48, v38, v48, s86
                                        ; implicit-def: $vgpr38
; %bb.1260:                             ;   in Loop: Header=BB32_1170 Depth=2
	s_andn2_saveexec_b64 s[44:45], s[44:45]
; %bb.1261:                             ;   in Loop: Header=BB32_1170 Depth=2
	v_or_b32_e32 v48, 0x10000, v38
	v_cmp_eq_u32_sdwa vcc, v38, v3 src0_sel:WORD_0 src1_sel:DWORD
	s_nop 1
	v_cndmask_b32_e32 v48, v48, v38, vcc
; %bb.1262:                             ;   in Loop: Header=BB32_1170 Depth=2
	s_or_b64 exec, exec, s[44:45]
	v_and_b32_e32 v38, 0xffff0000, v39
	v_lshlrev_b32_e32 v37, 16, v37
	v_max_f32_e32 v38, v38, v38
	v_max_f32_e32 v37, v37, v37
	flat_store_short_d16_hi v[4:5], v48 offset:768 nt
	v_min_f32_e32 v48, v38, v37
	v_max_f32_e32 v37, v38, v37
	v_cndmask_b32_e64 v37, v37, v48, s[26:27]
	v_and_b32_e32 v38, 0x7f800000, v37
	v_cmp_ne_u32_e32 vcc, s85, v38
                                        ; implicit-def: $vgpr38
	s_and_saveexec_b64 s[44:45], vcc
	s_xor_b64 s[44:45], exec, s[44:45]
; %bb.1263:                             ;   in Loop: Header=BB32_1170 Depth=2
	v_bfe_u32 v38, v37, 16, 1
	v_add3_u32 v38, v37, v38, s86
                                        ; implicit-def: $vgpr37
; %bb.1264:                             ;   in Loop: Header=BB32_1170 Depth=2
	s_andn2_saveexec_b64 s[44:45], s[44:45]
; %bb.1265:                             ;   in Loop: Header=BB32_1170 Depth=2
	v_or_b32_e32 v38, 0x10000, v37
	v_cmp_eq_u32_sdwa vcc, v37, v3 src0_sel:WORD_0 src1_sel:DWORD
	s_nop 1
	v_cndmask_b32_e32 v38, v38, v37, vcc
; %bb.1266:                             ;   in Loop: Header=BB32_1170 Depth=2
	s_or_b64 exec, exec, s[44:45]
	v_and_b32_e32 v37, 0xffff0000, v49
	v_lshlrev_b32_e32 v35, 16, v35
	v_max_f32_e32 v37, v37, v37
	v_max_f32_e32 v35, v35, v35
	flat_store_short_d16_hi v[4:5], v38 offset:896 nt
	v_min_f32_e32 v38, v37, v35
	v_max_f32_e32 v35, v37, v35
	v_cndmask_b32_e64 v35, v35, v38, s[26:27]
	v_and_b32_e32 v37, 0x7f800000, v35
	v_cmp_ne_u32_e32 vcc, s85, v37
                                        ; implicit-def: $vgpr37
	s_and_saveexec_b64 s[44:45], vcc
	s_xor_b64 s[44:45], exec, s[44:45]
; %bb.1267:                             ;   in Loop: Header=BB32_1170 Depth=2
	v_bfe_u32 v37, v35, 16, 1
	v_add3_u32 v37, v35, v37, s86
                                        ; implicit-def: $vgpr35
; %bb.1268:                             ;   in Loop: Header=BB32_1170 Depth=2
	s_andn2_saveexec_b64 s[44:45], s[44:45]
; %bb.1269:                             ;   in Loop: Header=BB32_1170 Depth=2
	v_or_b32_e32 v37, 0x10000, v35
	v_cmp_eq_u32_sdwa vcc, v35, v3 src0_sel:WORD_0 src1_sel:DWORD
	s_nop 1
	v_cndmask_b32_e32 v37, v37, v35, vcc
; %bb.1270:                             ;   in Loop: Header=BB32_1170 Depth=2
	s_or_b64 exec, exec, s[44:45]
	v_and_b32_e32 v35, 0xffff0000, v51
	v_lshlrev_b32_e32 v33, 16, v33
	v_max_f32_e32 v35, v35, v35
	v_max_f32_e32 v33, v33, v33
	flat_store_short_d16_hi v[4:5], v37 offset:1024 nt
	v_min_f32_e32 v37, v35, v33
	v_max_f32_e32 v33, v35, v33
	v_cndmask_b32_e64 v33, v33, v37, s[26:27]
	v_and_b32_e32 v35, 0x7f800000, v33
	v_cmp_ne_u32_e32 vcc, s85, v35
                                        ; implicit-def: $vgpr35
	s_and_saveexec_b64 s[44:45], vcc
	s_xor_b64 s[44:45], exec, s[44:45]
; %bb.1271:                             ;   in Loop: Header=BB32_1170 Depth=2
	v_bfe_u32 v35, v33, 16, 1
	v_add3_u32 v35, v33, v35, s86
                                        ; implicit-def: $vgpr33
; %bb.1272:                             ;   in Loop: Header=BB32_1170 Depth=2
	s_andn2_saveexec_b64 s[44:45], s[44:45]
; %bb.1273:                             ;   in Loop: Header=BB32_1170 Depth=2
	v_or_b32_e32 v35, 0x10000, v33
	v_cmp_eq_u32_sdwa vcc, v33, v3 src0_sel:WORD_0 src1_sel:DWORD
	s_nop 1
	v_cndmask_b32_e32 v35, v35, v33, vcc
; %bb.1274:                             ;   in Loop: Header=BB32_1170 Depth=2
	s_or_b64 exec, exec, s[44:45]
	v_and_b32_e32 v33, 0xffff0000, v53
	v_lshlrev_b32_e32 v27, 16, v27
	v_max_f32_e32 v33, v33, v33
	v_max_f32_e32 v27, v27, v27
	flat_store_short_d16_hi v[4:5], v35 offset:1152 nt
	v_min_f32_e32 v35, v33, v27
	v_max_f32_e32 v27, v33, v27
	v_cndmask_b32_e64 v27, v27, v35, s[26:27]
	v_and_b32_e32 v33, 0x7f800000, v27
	v_cmp_ne_u32_e32 vcc, s85, v33
                                        ; implicit-def: $vgpr33
	s_and_saveexec_b64 s[44:45], vcc
	s_xor_b64 s[44:45], exec, s[44:45]
; %bb.1275:                             ;   in Loop: Header=BB32_1170 Depth=2
	v_bfe_u32 v33, v27, 16, 1
	v_add3_u32 v33, v27, v33, s86
                                        ; implicit-def: $vgpr27
; %bb.1276:                             ;   in Loop: Header=BB32_1170 Depth=2
	s_andn2_saveexec_b64 s[44:45], s[44:45]
; %bb.1277:                             ;   in Loop: Header=BB32_1170 Depth=2
	v_or_b32_e32 v33, 0x10000, v27
	v_cmp_eq_u32_sdwa vcc, v27, v3 src0_sel:WORD_0 src1_sel:DWORD
	s_nop 1
	v_cndmask_b32_e32 v33, v33, v27, vcc
; %bb.1278:                             ;   in Loop: Header=BB32_1170 Depth=2
	s_or_b64 exec, exec, s[44:45]
	v_and_b32_e32 v27, 0xffff0000, v64
	v_lshlrev_b32_e32 v25, 16, v25
	v_max_f32_e32 v27, v27, v27
	v_max_f32_e32 v25, v25, v25
	flat_store_short_d16_hi v[4:5], v33 offset:1280 nt
	v_min_f32_e32 v33, v27, v25
	v_max_f32_e32 v25, v27, v25
	v_cndmask_b32_e64 v25, v25, v33, s[26:27]
	v_and_b32_e32 v27, 0x7f800000, v25
	v_cmp_ne_u32_e32 vcc, s85, v27
                                        ; implicit-def: $vgpr27
	s_and_saveexec_b64 s[44:45], vcc
	s_xor_b64 s[44:45], exec, s[44:45]
; %bb.1279:                             ;   in Loop: Header=BB32_1170 Depth=2
	v_bfe_u32 v27, v25, 16, 1
	v_add3_u32 v27, v25, v27, s86
                                        ; implicit-def: $vgpr25
; %bb.1280:                             ;   in Loop: Header=BB32_1170 Depth=2
	s_andn2_saveexec_b64 s[44:45], s[44:45]
; %bb.1281:                             ;   in Loop: Header=BB32_1170 Depth=2
	v_or_b32_e32 v27, 0x10000, v25
	v_cmp_eq_u32_sdwa vcc, v25, v3 src0_sel:WORD_0 src1_sel:DWORD
	s_nop 1
	v_cndmask_b32_e32 v27, v27, v25, vcc
; %bb.1282:                             ;   in Loop: Header=BB32_1170 Depth=2
	s_or_b64 exec, exec, s[44:45]
	v_and_b32_e32 v25, 0xffff0000, v66
	v_lshlrev_b32_e32 v24, 16, v24
	v_max_f32_e32 v25, v25, v25
	v_max_f32_e32 v24, v24, v24
	flat_store_short_d16_hi v[4:5], v27 offset:1408 nt
	v_min_f32_e32 v27, v25, v24
	v_max_f32_e32 v24, v25, v24
	v_cndmask_b32_e64 v24, v24, v27, s[26:27]
	v_and_b32_e32 v25, 0x7f800000, v24
	v_cmp_ne_u32_e32 vcc, s85, v25
                                        ; implicit-def: $vgpr25
	s_and_saveexec_b64 s[44:45], vcc
	s_xor_b64 s[44:45], exec, s[44:45]
; %bb.1283:                             ;   in Loop: Header=BB32_1170 Depth=2
	v_bfe_u32 v25, v24, 16, 1
	v_add3_u32 v25, v24, v25, s86
                                        ; implicit-def: $vgpr24
; %bb.1284:                             ;   in Loop: Header=BB32_1170 Depth=2
	s_andn2_saveexec_b64 s[44:45], s[44:45]
; %bb.1285:                             ;   in Loop: Header=BB32_1170 Depth=2
	v_or_b32_e32 v25, 0x10000, v24
	v_cmp_eq_u32_sdwa vcc, v24, v3 src0_sel:WORD_0 src1_sel:DWORD
	s_nop 1
	v_cndmask_b32_e32 v25, v25, v24, vcc
; %bb.1286:                             ;   in Loop: Header=BB32_1170 Depth=2
	s_or_b64 exec, exec, s[44:45]
	v_and_b32_e32 v24, 0xffff0000, v67
	v_lshlrev_b32_e32 v22, 16, v22
	v_max_f32_e32 v24, v24, v24
	v_max_f32_e32 v22, v22, v22
	flat_store_short_d16_hi v[4:5], v25 offset:1536 nt
	v_min_f32_e32 v25, v24, v22
	v_max_f32_e32 v22, v24, v22
	v_cndmask_b32_e64 v22, v22, v25, s[26:27]
	v_and_b32_e32 v24, 0x7f800000, v22
	v_cmp_ne_u32_e32 vcc, s85, v24
                                        ; implicit-def: $vgpr24
	s_and_saveexec_b64 s[44:45], vcc
	s_xor_b64 s[44:45], exec, s[44:45]
; %bb.1287:                             ;   in Loop: Header=BB32_1170 Depth=2
	v_bfe_u32 v24, v22, 16, 1
	v_add3_u32 v24, v22, v24, s86
                                        ; implicit-def: $vgpr22
; %bb.1288:                             ;   in Loop: Header=BB32_1170 Depth=2
	s_andn2_saveexec_b64 s[44:45], s[44:45]
; %bb.1289:                             ;   in Loop: Header=BB32_1170 Depth=2
	v_or_b32_e32 v24, 0x10000, v22
	v_cmp_eq_u32_sdwa vcc, v22, v3 src0_sel:WORD_0 src1_sel:DWORD
	s_nop 1
	v_cndmask_b32_e32 v24, v24, v22, vcc
; %bb.1290:                             ;   in Loop: Header=BB32_1170 Depth=2
	s_or_b64 exec, exec, s[44:45]
	v_and_b32_e32 v22, 0xffff0000, v68
	v_lshlrev_b32_e32 v20, 16, v20
	v_max_f32_e32 v22, v22, v22
	v_max_f32_e32 v20, v20, v20
	flat_store_short_d16_hi v[4:5], v24 offset:1664 nt
	v_min_f32_e32 v24, v22, v20
	v_max_f32_e32 v20, v22, v20
	v_cndmask_b32_e64 v20, v20, v24, s[26:27]
	v_and_b32_e32 v22, 0x7f800000, v20
	v_cmp_ne_u32_e32 vcc, s85, v22
                                        ; implicit-def: $vgpr22
	s_and_saveexec_b64 s[44:45], vcc
	s_xor_b64 s[44:45], exec, s[44:45]
; %bb.1291:                             ;   in Loop: Header=BB32_1170 Depth=2
	v_bfe_u32 v22, v20, 16, 1
	v_add3_u32 v22, v20, v22, s86
                                        ; implicit-def: $vgpr20
; %bb.1292:                             ;   in Loop: Header=BB32_1170 Depth=2
	s_andn2_saveexec_b64 s[44:45], s[44:45]
; %bb.1293:                             ;   in Loop: Header=BB32_1170 Depth=2
	v_or_b32_e32 v22, 0x10000, v20
	v_cmp_eq_u32_sdwa vcc, v20, v3 src0_sel:WORD_0 src1_sel:DWORD
	s_nop 1
	v_cndmask_b32_e32 v22, v22, v20, vcc
; %bb.1294:                             ;   in Loop: Header=BB32_1170 Depth=2
	s_or_b64 exec, exec, s[44:45]
	v_and_b32_e32 v20, 0xffff0000, v69
	v_lshlrev_b32_e32 v18, 16, v18
	v_max_f32_e32 v20, v20, v20
	v_max_f32_e32 v18, v18, v18
	flat_store_short_d16_hi v[4:5], v22 offset:1792 nt
	v_min_f32_e32 v22, v20, v18
	v_max_f32_e32 v18, v20, v18
	v_cndmask_b32_e64 v18, v18, v22, s[26:27]
	v_and_b32_e32 v20, 0x7f800000, v18
	v_cmp_ne_u32_e32 vcc, s85, v20
                                        ; implicit-def: $vgpr20
	s_and_saveexec_b64 s[44:45], vcc
	s_xor_b64 s[44:45], exec, s[44:45]
; %bb.1295:                             ;   in Loop: Header=BB32_1170 Depth=2
	v_bfe_u32 v20, v18, 16, 1
	v_add3_u32 v20, v18, v20, s86
                                        ; implicit-def: $vgpr18
; %bb.1296:                             ;   in Loop: Header=BB32_1170 Depth=2
	s_andn2_saveexec_b64 s[44:45], s[44:45]
	s_cbranch_execz .LBB32_1169
; %bb.1297:                             ;   in Loop: Header=BB32_1170 Depth=2
	v_or_b32_e32 v20, 0x10000, v18
	v_cmp_eq_u32_sdwa vcc, v18, v3 src0_sel:WORD_0 src1_sel:DWORD
	s_nop 1
	v_cndmask_b32_e32 v20, v20, v18, vcc
	s_branch .LBB32_1169
.LBB32_1298:                            ;   in Loop: Header=BB32_47 Depth=1
	s_or_b64 exec, exec, s[40:41]
	scratch_load_dwordx2 v[112:113], off, s33 offset:256 ; 8-byte Folded Reload
	scratch_load_dwordx4 v[8:11], off, s33 offset:236 ; 16-byte Folded Reload
	scratch_load_dword v100, off, s33 offset:252 ; 4-byte Folded Reload
	v_ashrrev_i32_e32 v119, 31, v30
	v_mov_b64_e32 v[102:103], v[94:95]
	v_mov_b32_e32 v80, v106
	s_waitcnt vmcnt(0)
	v_mov_b64_e32 v[114:115], v[8:9]
.LBB32_1299:                            ;   in Loop: Header=BB32_47 Depth=1
	s_or_b64 exec, exec, s[28:29]
	v_lshlrev_b32_e32 v4, 11, v17
	v_cmp_ne_u32_e32 vcc, v58, v4
	s_and_b64 exec, exec, vcc
	s_cbranch_execz .LBB32_1309
; %bb.1300:                             ;   in Loop: Header=BB32_47 Depth=1
	v_lshlrev_b32_e32 v0, 6, v0
	v_sub_u32_e32 v0, v2, v0
	v_lshlrev_b32_e32 v2, 6, v16
	v_sub_u32_e32 v0, v0, v2
	v_ashrrev_i32_e32 v2, 31, v0
	v_lshrrev_b32_e32 v2, 26, v2
	v_add_u32_e32 v2, v0, v2
	v_and_b32_e32 v5, 0x7fffffc0, v2
	v_sub_u32_e32 v0, v0, v5
	v_lshlrev_b32_e32 v2, 1, v2
	v_and_b32_e32 v2, 0xffffff80, v2
	v_lshlrev_b32_e32 v0, 1, v0
	v_add3_u32 v2, v2, v0, v4
	v_sub_u32_e32 v0, v58, v2
	v_cmp_lt_i32_e32 vcc, 1, v0
	s_and_b64 exec, exec, vcc
	s_cbranch_execz .LBB32_1309
; %bb.1301:                             ;   in Loop: Header=BB32_47 Depth=1
	s_trap 2
	ds_read_b64 v[16:17], v0
	v_add_u32_e32 v14, v2, v1
	s_and_b32 s76, s97, 1
	v_ashrrev_i32_e32 v15, 31, v14
	s_cmp_eq_u64 s[76:77], 0
	s_waitcnt lgkmcnt(0)
	v_lshl_add_u64 v[4:5], v[14:15], 0, v[98:99]
	v_lshl_add_u64 v[8:9], v[14:15], 0, v[86:87]
	;; [unrolled: 1-line block ×5, first 2 shown]
	s_mov_b64 s[44:45], 0
	s_cselect_b64 s[26:27], -1, 0
.LBB32_1302:                            ;   Parent Loop BB32_47 Depth=1
                                        ; =>  This Loop Header: Depth=2
                                        ;       Child Loop BB32_1307 Depth 3
	flat_load_ushort v1, v[14:15] nt
	flat_load_ushort v16, v[12:13] nt
	flat_load_ushort v2, v[4:5] nt
	s_waitcnt vmcnt(0) lgkmcnt(0)
	v_lshlrev_b32_e32 v1, 16, v1
	v_lshlrev_b32_e32 v16, 16, v16
	v_max_f32_e32 v1, v1, v1
	v_max_f32_e32 v16, v16, v16
	v_min_f32_e32 v17, v16, v1
	v_max_f32_e32 v1, v16, v1
	v_cndmask_b32_e64 v16, v1, v17, s[26:27]
	v_and_b32_e32 v1, 0x7f800000, v16
	v_cmp_ne_u32_e32 vcc, s85, v1
                                        ; implicit-def: $vgpr1
	s_and_saveexec_b64 s[28:29], vcc
	s_xor_b64 s[28:29], exec, s[28:29]
; %bb.1303:                             ;   in Loop: Header=BB32_1302 Depth=2
	v_bfe_u32 v1, v16, 16, 1
	v_add3_u32 v1, v16, v1, s86
                                        ; implicit-def: $vgpr16
; %bb.1304:                             ;   in Loop: Header=BB32_1302 Depth=2
	s_andn2_saveexec_b64 s[28:29], s[28:29]
; %bb.1305:                             ;   in Loop: Header=BB32_1302 Depth=2
	v_or_b32_e32 v1, 0x10000, v16
	v_cmp_eq_u32_sdwa vcc, v16, v3 src0_sel:WORD_0 src1_sel:DWORD
	s_nop 1
	v_cndmask_b32_e32 v1, v1, v16, vcc
; %bb.1306:                             ;   in Loop: Header=BB32_1302 Depth=2
	s_or_b64 exec, exec, s[28:29]
	v_and_b32_e32 v16, 0xffff0000, v1
	v_lshlrev_b32_e32 v2, 16, v2
	v_max_f32_e32 v16, v16, v16
	v_max_f32_e32 v2, v2, v2
	v_min_f32_e32 v17, v16, v2
	v_max_f32_e32 v2, v16, v2
	v_cndmask_b32_e64 v2, v2, v17, s[26:27]
	v_and_b32_e32 v16, 0x7f800000, v2
	v_bfe_u32 v17, v2, 16, 1
	v_or_b32_e32 v18, 0x10000, v2
	v_cmp_eq_u32_sdwa vcc, v2, v3 src0_sel:WORD_0 src1_sel:DWORD
	v_add3_u32 v17, v2, v17, s86
	s_mov_b64 s[56:57], 0
	v_cndmask_b32_e32 v2, v18, v2, vcc
	v_cmp_eq_u32_e32 vcc, s85, v16
	s_mov_b64 s[46:47], -1
	s_nop 0
	v_cndmask_b32_e32 v2, v17, v2, vcc
.LBB32_1307:                            ;   Parent Loop BB32_47 Depth=1
                                        ;     Parent Loop BB32_1302 Depth=2
                                        ; =>    This Inner Loop Header: Depth=3
	v_cndmask_b32_e64 v16, 0, 1, s[46:47]
	s_cmp_eq_u32 s56, 1
	v_cmp_ne_u32_e32 vcc, 1, v16
	s_cselect_b64 s[28:29], -1, 0
	v_cndmask_b32_e64 v20, v1, v2, s[46:47]
	v_cndmask_b32_e32 v17, v9, v11, vcc
	v_cndmask_b32_e64 v19, v9, v11, s[28:29]
	s_cmp_eq_u32 s56, 0
	v_cndmask_b32_e32 v16, v8, v10, vcc
	v_cndmask_b32_e64 v18, v8, v10, s[28:29]
	flat_store_short_d16_hi v[16:17], v20 nt
	v_lshl_add_u64 v[16:17], v[18:19], 0, s[92:93]
	s_cselect_b64 vcc, -1, 0
	s_and_b64 s[40:41], exec, s[46:47]
	s_mov_b64 s[56:57], 1
	s_mov_b64 s[46:47], 0
	v_cndmask_b32_e64 v11, v11, v17, s[28:29]
	v_cndmask_b32_e64 v10, v10, v16, s[28:29]
	v_cndmask_b32_e32 v9, v9, v17, vcc
	v_cndmask_b32_e32 v8, v8, v16, vcc
	s_mov_b64 vcc, s[40:41]
	s_cbranch_vccnz .LBB32_1307
; %bb.1308:                             ;   in Loop: Header=BB32_1302 Depth=2
	v_sub_u32_e32 v0, v0, v88
	v_cmp_gt_i32_e32 vcc, 2, v0
	v_lshl_add_u64 v[12:13], v[12:13], 0, v[122:123]
	v_lshl_add_u64 v[14:15], v[14:15], 0, v[122:123]
	;; [unrolled: 1-line block ×4, first 2 shown]
	s_or_b64 s[44:45], vcc, s[44:45]
	v_lshl_add_u64 v[4:5], v[4:5], 0, v[122:123]
	s_andn2_b64 exec, exec, s[44:45]
	s_cbranch_execnz .LBB32_1302
.LBB32_1309:                            ;   in Loop: Header=BB32_47 Depth=1
	s_or_b64 exec, exec, s[42:43]
	s_waitcnt lgkmcnt(0)
	scratch_load_dwordx2 v[98:99], off, s33 offset:228 ; 8-byte Folded Reload
	s_branch .LBB32_853
.LBB32_1310:                            ;   in Loop: Header=BB32_47 Depth=1
	s_mov_b64 s[28:29], -1
	s_and_saveexec_b64 s[26:27], s[20:21]
	s_cbranch_execz .LBB32_1312
; %bb.1311:                             ;   in Loop: Header=BB32_47 Depth=1
	ds_read_b32 v0, v0 offset:720
	s_waitcnt lgkmcnt(0)
	v_and_b32_e32 v0, 15, v0
	v_cmp_eq_u32_e32 vcc, 0, v0
	s_orn2_b64 s[28:29], vcc, exec
.LBB32_1312:                            ;   in Loop: Header=BB32_47 Depth=1
	s_or_b64 exec, exec, s[26:27]
	s_and_saveexec_b64 s[26:27], s[16:17]
	s_cbranch_execz .LBB32_1314
; %bb.1313:                             ;   in Loop: Header=BB32_47 Depth=1
	ds_read_b32 v0, v0 offset:784
	s_waitcnt lgkmcnt(0)
	v_and_b32_e32 v0, 15, v0
	v_cmp_eq_u32_e32 vcc, 0, v0
	s_and_b64 s[40:41], s[28:29], vcc
	s_andn2_b64 s[28:29], s[28:29], exec
	s_and_b64 s[40:41], s[40:41], exec
	s_or_b64 s[28:29], s[28:29], s[40:41]
.LBB32_1314:                            ;   in Loop: Header=BB32_47 Depth=1
	s_or_b64 exec, exec, s[26:27]
	s_xor_b64 s[28:29], s[28:29], -1
	v_cndmask_b32_e64 v0, 0, 1, s[28:29]
	s_waitcnt vmcnt(0)
	v_lshlrev_b32_e32 v2, 1, v85
	s_mov_b64 s[26:27], -1
	v_mov_b32_e32 v1, 0
	v_cmp_ne_u32_e32 vcc, 0, v0
	s_cbranch_vccz .LBB32_1316
; %bb.1315:                             ;   in Loop: Header=BB32_47 Depth=1
	scratch_load_dword v14, off, s33 offset:188 ; 4-byte Folded Reload
	s_and_saveexec_b64 s[28:29], s[26:27]
	s_cbranch_execnz .LBB32_1615
	s_branch .LBB32_1755
.LBB32_1316:                            ;   in Loop: Header=BB32_47 Depth=1
	v_ashrrev_i32_e32 v0, 31, v2
	v_lshrrev_b32_e32 v0, 20, v0
	v_add_u32_e32 v0, v2, v0
	v_ashrrev_i32_e32 v1, 12, v0
	v_sub_u32_e32 v0, v1, v100
	v_cmp_lt_i32_e32 vcc, 0, v0
	s_and_saveexec_b64 s[28:29], vcc
	s_cbranch_execz .LBB32_1576
; %bb.1317:                             ;   in Loop: Header=BB32_47 Depth=1
	s_trap 2
	scratch_load_dwordx2 v[98:99], off, s33 offset:304 ; 8-byte Folded Reload
	ds_read_b64 v[8:9], v0
	s_and_b32 s76, s97, 1
	s_cmp_eq_u64 s[76:77], 0
	v_mov_b32_e32 v118, 0xc8
	v_mov_b64_e32 v[58:59], v[102:103]
	v_lshl_add_u64 v[4:5], v[96:97], 0, v[90:91]
	s_mov_b64 s[40:41], 0
	s_waitcnt lgkmcnt(0)
	v_lshl_add_u64 v[28:29], v[8:9], 0, v[90:91]
	s_cselect_b64 vcc, -1, 0
	s_branch .LBB32_1319
.LBB32_1318:                            ;   in Loop: Header=BB32_1319 Depth=2
	s_or_b64 exec, exec, s[42:43]
	v_lshrrev_b32_e32 v12, 16, v12
	v_and_or_b32 v8, v8, s87, v12
	v_lshrrev_b32_e32 v12, 16, v14
	v_sub_u32_e32 v0, v0, v60
	v_lshrrev_b32_e32 v13, 16, v13
	v_and_or_b32 v10, v10, s87, v12
	v_lshrrev_b32_e32 v12, 16, v15
	v_cmp_gt_i32_e64 s[26:27], 1, v0
	v_and_or_b32 v9, v9, s87, v13
	v_and_or_b32 v11, v11, s87, v12
	v_lshl_add_u64 v[4:5], v[4:5], 0, v[92:93]
	v_lshl_add_u64 v[28:29], v[28:29], 0, v[92:93]
	s_or_b64 s[40:41], s[26:27], s[40:41]
	v_lshl_add_u64 v[98:99], v[98:99], 0, v[92:93]
	global_store_dwordx4 v[20:21], v[8:11], off
	s_andn2_b64 exec, exec, s[40:41]
	s_cbranch_execz .LBB32_1575
.LBB32_1319:                            ;   Parent Loop BB32_47 Depth=1
                                        ; =>  This Inner Loop Header: Depth=2
	global_load_dwordx4 v[68:71], v[4:5], off nt
	global_load_dwordx4 v[52:55], v[4:5], off offset:1024 nt
	global_load_dwordx4 v[80:83], v[28:29], off nt
	s_waitcnt vmcnt(3)
	global_load_dwordx4 v[20:23], v[98:99], off offset:-3072 nt
	global_load_dwordx4 v[16:19], v[98:99], off offset:-2048 nt
	global_load_dwordx4 v[36:39], v[4:5], off offset:2048 nt
	global_load_dwordx4 v[24:27], v[4:5], off offset:3072 nt
	global_load_dwordx4 v[12:15], v[98:99], off offset:-1024 nt
	global_load_dwordx4 v[8:11], v[98:99], off nt
	global_load_dwordx4 v[64:67], v[28:29], off offset:1024 nt
	global_load_dwordx4 v[48:51], v[28:29], off offset:2048 nt
	;; [unrolled: 1-line block ×3, first 2 shown]
	s_waitcnt vmcnt(11)
	v_lshlrev_b32_e32 v100, 16, v68
	v_max_f32_e32 v100, v100, v100
	s_waitcnt vmcnt(9)
	v_lshlrev_b32_e32 v101, 16, v80
	v_max_f32_e32 v101, v101, v101
	v_min_f32_e32 v102, v100, v101
	v_max_f32_e32 v100, v100, v101
	v_cndmask_b32_e32 v101, v100, v102, vcc
	v_and_b32_e32 v100, 0x7f800000, v101
	v_cmp_ne_u32_e64 s[26:27], s85, v100
                                        ; implicit-def: $vgpr100
	s_and_saveexec_b64 s[42:43], s[26:27]
	s_xor_b64 s[26:27], exec, s[42:43]
; %bb.1320:                             ;   in Loop: Header=BB32_1319 Depth=2
	v_bfe_u32 v100, v101, 16, 1
	v_add3_u32 v100, v101, v100, s86
                                        ; implicit-def: $vgpr101
; %bb.1321:                             ;   in Loop: Header=BB32_1319 Depth=2
	s_andn2_saveexec_b64 s[42:43], s[26:27]
; %bb.1322:                             ;   in Loop: Header=BB32_1319 Depth=2
	v_or_b32_e32 v100, 0x10000, v101
	v_cmp_eq_u32_sdwa s[26:27], v101, v3 src0_sel:WORD_0 src1_sel:DWORD
	s_nop 1
	v_cndmask_b32_e64 v100, v100, v101, s[26:27]
; %bb.1323:                             ;   in Loop: Header=BB32_1319 Depth=2
	s_or_b64 exec, exec, s[42:43]
	v_and_b32_e32 v68, 0xffff0000, v68
	v_and_b32_e32 v80, 0xffff0000, v80
	v_max_f32_e32 v80, v80, v80
	v_max_f32_e32 v68, v68, v68
	v_min_f32_e32 v101, v68, v80
	v_max_f32_e32 v68, v68, v80
	v_cndmask_b32_e32 v80, v68, v101, vcc
	v_and_b32_e32 v68, 0x7f800000, v80
	v_cmp_ne_u32_e64 s[26:27], s85, v68
                                        ; implicit-def: $vgpr68
	s_and_saveexec_b64 s[42:43], s[26:27]
	s_xor_b64 s[26:27], exec, s[42:43]
; %bb.1324:                             ;   in Loop: Header=BB32_1319 Depth=2
	v_bfe_u32 v68, v80, 16, 1
	v_add3_u32 v68, v80, v68, s86
                                        ; implicit-def: $vgpr80
; %bb.1325:                             ;   in Loop: Header=BB32_1319 Depth=2
	s_andn2_saveexec_b64 s[42:43], s[26:27]
; %bb.1326:                             ;   in Loop: Header=BB32_1319 Depth=2
	v_or_b32_e32 v68, 0x10000, v80
	v_cmp_eq_u32_sdwa s[26:27], v80, v3 src0_sel:WORD_0 src1_sel:DWORD
	s_nop 1
	v_cndmask_b32_e64 v68, v68, v80, s[26:27]
; %bb.1327:                             ;   in Loop: Header=BB32_1319 Depth=2
	s_or_b64 exec, exec, s[42:43]
	v_lshlrev_b32_e32 v80, 16, v69
	v_lshlrev_b32_e32 v101, 16, v81
	v_max_f32_e32 v101, v101, v101
	v_max_f32_e32 v80, v80, v80
	v_min_f32_e32 v102, v80, v101
	v_max_f32_e32 v80, v80, v101
	v_cndmask_b32_e32 v101, v80, v102, vcc
	v_and_b32_e32 v80, 0x7f800000, v101
	v_cmp_ne_u32_e64 s[26:27], s85, v80
                                        ; implicit-def: $vgpr80
	s_and_saveexec_b64 s[42:43], s[26:27]
	s_xor_b64 s[26:27], exec, s[42:43]
; %bb.1328:                             ;   in Loop: Header=BB32_1319 Depth=2
	v_bfe_u32 v80, v101, 16, 1
	v_add3_u32 v80, v101, v80, s86
                                        ; implicit-def: $vgpr101
; %bb.1329:                             ;   in Loop: Header=BB32_1319 Depth=2
	s_andn2_saveexec_b64 s[42:43], s[26:27]
; %bb.1330:                             ;   in Loop: Header=BB32_1319 Depth=2
	v_or_b32_e32 v80, 0x10000, v101
	v_cmp_eq_u32_sdwa s[26:27], v101, v3 src0_sel:WORD_0 src1_sel:DWORD
	s_nop 1
	v_cndmask_b32_e64 v80, v80, v101, s[26:27]
; %bb.1331:                             ;   in Loop: Header=BB32_1319 Depth=2
	s_or_b64 exec, exec, s[42:43]
	v_and_b32_e32 v69, 0xffff0000, v69
	v_and_b32_e32 v81, 0xffff0000, v81
	v_max_f32_e32 v81, v81, v81
	v_max_f32_e32 v69, v69, v69
	v_min_f32_e32 v101, v69, v81
	v_max_f32_e32 v69, v69, v81
	v_cndmask_b32_e32 v81, v69, v101, vcc
	v_and_b32_e32 v69, 0x7f800000, v81
	v_cmp_ne_u32_e64 s[26:27], s85, v69
                                        ; implicit-def: $vgpr69
	s_and_saveexec_b64 s[42:43], s[26:27]
	s_xor_b64 s[26:27], exec, s[42:43]
; %bb.1332:                             ;   in Loop: Header=BB32_1319 Depth=2
	v_bfe_u32 v69, v81, 16, 1
	v_add3_u32 v69, v81, v69, s86
                                        ; implicit-def: $vgpr81
; %bb.1333:                             ;   in Loop: Header=BB32_1319 Depth=2
	s_andn2_saveexec_b64 s[42:43], s[26:27]
; %bb.1334:                             ;   in Loop: Header=BB32_1319 Depth=2
	v_or_b32_e32 v69, 0x10000, v81
	v_cmp_eq_u32_sdwa s[26:27], v81, v3 src0_sel:WORD_0 src1_sel:DWORD
	s_nop 1
	v_cndmask_b32_e64 v69, v69, v81, s[26:27]
; %bb.1335:                             ;   in Loop: Header=BB32_1319 Depth=2
	s_or_b64 exec, exec, s[42:43]
	v_lshlrev_b32_e32 v81, 16, v70
	v_lshlrev_b32_e32 v101, 16, v82
	v_max_f32_e32 v101, v101, v101
	v_max_f32_e32 v81, v81, v81
	v_min_f32_e32 v102, v81, v101
	v_max_f32_e32 v81, v81, v101
	v_cndmask_b32_e32 v101, v81, v102, vcc
	v_and_b32_e32 v81, 0x7f800000, v101
	v_cmp_ne_u32_e64 s[26:27], s85, v81
                                        ; implicit-def: $vgpr81
	s_and_saveexec_b64 s[42:43], s[26:27]
	s_xor_b64 s[26:27], exec, s[42:43]
; %bb.1336:                             ;   in Loop: Header=BB32_1319 Depth=2
	v_bfe_u32 v81, v101, 16, 1
	v_add3_u32 v81, v101, v81, s86
                                        ; implicit-def: $vgpr101
; %bb.1337:                             ;   in Loop: Header=BB32_1319 Depth=2
	s_andn2_saveexec_b64 s[42:43], s[26:27]
; %bb.1338:                             ;   in Loop: Header=BB32_1319 Depth=2
	v_or_b32_e32 v81, 0x10000, v101
	v_cmp_eq_u32_sdwa s[26:27], v101, v3 src0_sel:WORD_0 src1_sel:DWORD
	s_nop 1
	v_cndmask_b32_e64 v81, v81, v101, s[26:27]
; %bb.1339:                             ;   in Loop: Header=BB32_1319 Depth=2
	s_or_b64 exec, exec, s[42:43]
	v_and_b32_e32 v70, 0xffff0000, v70
	v_and_b32_e32 v82, 0xffff0000, v82
	v_max_f32_e32 v82, v82, v82
	v_max_f32_e32 v70, v70, v70
	v_min_f32_e32 v101, v70, v82
	v_max_f32_e32 v70, v70, v82
	v_cndmask_b32_e32 v82, v70, v101, vcc
	v_and_b32_e32 v70, 0x7f800000, v82
	v_cmp_ne_u32_e64 s[26:27], s85, v70
                                        ; implicit-def: $vgpr70
	s_and_saveexec_b64 s[42:43], s[26:27]
	s_xor_b64 s[26:27], exec, s[42:43]
; %bb.1340:                             ;   in Loop: Header=BB32_1319 Depth=2
	v_bfe_u32 v70, v82, 16, 1
	v_add3_u32 v70, v82, v70, s86
                                        ; implicit-def: $vgpr82
; %bb.1341:                             ;   in Loop: Header=BB32_1319 Depth=2
	s_andn2_saveexec_b64 s[42:43], s[26:27]
; %bb.1342:                             ;   in Loop: Header=BB32_1319 Depth=2
	v_or_b32_e32 v70, 0x10000, v82
	v_cmp_eq_u32_sdwa s[26:27], v82, v3 src0_sel:WORD_0 src1_sel:DWORD
	s_nop 1
	v_cndmask_b32_e64 v70, v70, v82, s[26:27]
; %bb.1343:                             ;   in Loop: Header=BB32_1319 Depth=2
	s_or_b64 exec, exec, s[42:43]
	v_lshlrev_b32_e32 v82, 16, v71
	v_lshlrev_b32_e32 v101, 16, v83
	v_max_f32_e32 v101, v101, v101
	v_max_f32_e32 v82, v82, v82
	v_min_f32_e32 v102, v82, v101
	v_max_f32_e32 v82, v82, v101
	v_cndmask_b32_e32 v101, v82, v102, vcc
	v_and_b32_e32 v82, 0x7f800000, v101
	v_cmp_ne_u32_e64 s[26:27], s85, v82
                                        ; implicit-def: $vgpr82
	s_and_saveexec_b64 s[42:43], s[26:27]
	s_xor_b64 s[26:27], exec, s[42:43]
; %bb.1344:                             ;   in Loop: Header=BB32_1319 Depth=2
	v_bfe_u32 v82, v101, 16, 1
	v_add3_u32 v82, v101, v82, s86
                                        ; implicit-def: $vgpr101
; %bb.1345:                             ;   in Loop: Header=BB32_1319 Depth=2
	s_andn2_saveexec_b64 s[42:43], s[26:27]
; %bb.1346:                             ;   in Loop: Header=BB32_1319 Depth=2
	v_or_b32_e32 v82, 0x10000, v101
	v_cmp_eq_u32_sdwa s[26:27], v101, v3 src0_sel:WORD_0 src1_sel:DWORD
	s_nop 1
	v_cndmask_b32_e64 v82, v82, v101, s[26:27]
; %bb.1347:                             ;   in Loop: Header=BB32_1319 Depth=2
	s_or_b64 exec, exec, s[42:43]
	v_and_b32_e32 v71, 0xffff0000, v71
	v_and_b32_e32 v83, 0xffff0000, v83
	v_max_f32_e32 v83, v83, v83
	v_max_f32_e32 v71, v71, v71
	v_min_f32_e32 v101, v71, v83
	v_max_f32_e32 v71, v71, v83
	v_cndmask_b32_e32 v83, v71, v101, vcc
	v_and_b32_e32 v71, 0x7f800000, v83
	v_cmp_ne_u32_e64 s[26:27], s85, v71
                                        ; implicit-def: $vgpr71
	s_and_saveexec_b64 s[42:43], s[26:27]
	s_xor_b64 s[26:27], exec, s[42:43]
; %bb.1348:                             ;   in Loop: Header=BB32_1319 Depth=2
	v_bfe_u32 v71, v83, 16, 1
	v_add3_u32 v71, v83, v71, s86
                                        ; implicit-def: $vgpr83
; %bb.1349:                             ;   in Loop: Header=BB32_1319 Depth=2
	s_andn2_saveexec_b64 s[42:43], s[26:27]
; %bb.1350:                             ;   in Loop: Header=BB32_1319 Depth=2
	v_or_b32_e32 v71, 0x10000, v83
	v_cmp_eq_u32_sdwa s[26:27], v83, v3 src0_sel:WORD_0 src1_sel:DWORD
	s_nop 1
	v_cndmask_b32_e64 v71, v71, v83, s[26:27]
; %bb.1351:                             ;   in Loop: Header=BB32_1319 Depth=2
	s_or_b64 exec, exec, s[42:43]
	v_lshlrev_b32_e32 v83, 16, v52
	s_waitcnt vmcnt(2)
	v_lshlrev_b32_e32 v101, 16, v64
	v_max_f32_e32 v101, v101, v101
	v_max_f32_e32 v83, v83, v83
	v_min_f32_e32 v102, v83, v101
	v_max_f32_e32 v83, v83, v101
	v_cndmask_b32_e32 v101, v83, v102, vcc
	v_and_b32_e32 v83, 0x7f800000, v101
	v_cmp_ne_u32_e64 s[26:27], s85, v83
                                        ; implicit-def: $vgpr83
	s_and_saveexec_b64 s[42:43], s[26:27]
	s_xor_b64 s[26:27], exec, s[42:43]
; %bb.1352:                             ;   in Loop: Header=BB32_1319 Depth=2
	v_bfe_u32 v83, v101, 16, 1
	v_add3_u32 v83, v101, v83, s86
                                        ; implicit-def: $vgpr101
; %bb.1353:                             ;   in Loop: Header=BB32_1319 Depth=2
	s_andn2_saveexec_b64 s[42:43], s[26:27]
; %bb.1354:                             ;   in Loop: Header=BB32_1319 Depth=2
	v_or_b32_e32 v83, 0x10000, v101
	v_cmp_eq_u32_sdwa s[26:27], v101, v3 src0_sel:WORD_0 src1_sel:DWORD
	s_nop 1
	v_cndmask_b32_e64 v83, v83, v101, s[26:27]
; %bb.1355:                             ;   in Loop: Header=BB32_1319 Depth=2
	s_or_b64 exec, exec, s[42:43]
	v_and_b32_e32 v52, 0xffff0000, v52
	v_and_b32_e32 v64, 0xffff0000, v64
	v_max_f32_e32 v64, v64, v64
	v_max_f32_e32 v52, v52, v52
	v_min_f32_e32 v101, v52, v64
	v_max_f32_e32 v52, v52, v64
	v_cndmask_b32_e32 v64, v52, v101, vcc
	v_and_b32_e32 v52, 0x7f800000, v64
	v_cmp_ne_u32_e64 s[26:27], s85, v52
                                        ; implicit-def: $vgpr52
	s_and_saveexec_b64 s[42:43], s[26:27]
	s_xor_b64 s[26:27], exec, s[42:43]
; %bb.1356:                             ;   in Loop: Header=BB32_1319 Depth=2
	v_bfe_u32 v52, v64, 16, 1
	v_add3_u32 v52, v64, v52, s86
                                        ; implicit-def: $vgpr64
; %bb.1357:                             ;   in Loop: Header=BB32_1319 Depth=2
	s_andn2_saveexec_b64 s[42:43], s[26:27]
; %bb.1358:                             ;   in Loop: Header=BB32_1319 Depth=2
	v_or_b32_e32 v52, 0x10000, v64
	v_cmp_eq_u32_sdwa s[26:27], v64, v3 src0_sel:WORD_0 src1_sel:DWORD
	s_nop 1
	v_cndmask_b32_e64 v52, v52, v64, s[26:27]
; %bb.1359:                             ;   in Loop: Header=BB32_1319 Depth=2
	s_or_b64 exec, exec, s[42:43]
	v_lshlrev_b32_e32 v64, 16, v53
	v_lshlrev_b32_e32 v101, 16, v65
	v_max_f32_e32 v101, v101, v101
	v_max_f32_e32 v64, v64, v64
	v_min_f32_e32 v102, v64, v101
	v_max_f32_e32 v64, v64, v101
	v_cndmask_b32_e32 v101, v64, v102, vcc
	v_and_b32_e32 v64, 0x7f800000, v101
	v_cmp_ne_u32_e64 s[26:27], s85, v64
                                        ; implicit-def: $vgpr64
	s_and_saveexec_b64 s[42:43], s[26:27]
	s_xor_b64 s[26:27], exec, s[42:43]
; %bb.1360:                             ;   in Loop: Header=BB32_1319 Depth=2
	v_bfe_u32 v64, v101, 16, 1
	v_add3_u32 v64, v101, v64, s86
                                        ; implicit-def: $vgpr101
; %bb.1361:                             ;   in Loop: Header=BB32_1319 Depth=2
	s_andn2_saveexec_b64 s[42:43], s[26:27]
; %bb.1362:                             ;   in Loop: Header=BB32_1319 Depth=2
	v_or_b32_e32 v64, 0x10000, v101
	v_cmp_eq_u32_sdwa s[26:27], v101, v3 src0_sel:WORD_0 src1_sel:DWORD
	s_nop 1
	v_cndmask_b32_e64 v64, v64, v101, s[26:27]
; %bb.1363:                             ;   in Loop: Header=BB32_1319 Depth=2
	s_or_b64 exec, exec, s[42:43]
	v_and_b32_e32 v53, 0xffff0000, v53
	v_and_b32_e32 v65, 0xffff0000, v65
	v_max_f32_e32 v65, v65, v65
	v_max_f32_e32 v53, v53, v53
	v_min_f32_e32 v101, v53, v65
	v_max_f32_e32 v53, v53, v65
	v_cndmask_b32_e32 v65, v53, v101, vcc
	v_and_b32_e32 v53, 0x7f800000, v65
	v_cmp_ne_u32_e64 s[26:27], s85, v53
                                        ; implicit-def: $vgpr53
	s_and_saveexec_b64 s[42:43], s[26:27]
	s_xor_b64 s[26:27], exec, s[42:43]
; %bb.1364:                             ;   in Loop: Header=BB32_1319 Depth=2
	v_bfe_u32 v53, v65, 16, 1
	v_add3_u32 v53, v65, v53, s86
                                        ; implicit-def: $vgpr65
; %bb.1365:                             ;   in Loop: Header=BB32_1319 Depth=2
	s_andn2_saveexec_b64 s[42:43], s[26:27]
; %bb.1366:                             ;   in Loop: Header=BB32_1319 Depth=2
	v_or_b32_e32 v53, 0x10000, v65
	v_cmp_eq_u32_sdwa s[26:27], v65, v3 src0_sel:WORD_0 src1_sel:DWORD
	s_nop 1
	v_cndmask_b32_e64 v53, v53, v65, s[26:27]
; %bb.1367:                             ;   in Loop: Header=BB32_1319 Depth=2
	s_or_b64 exec, exec, s[42:43]
	v_lshlrev_b32_e32 v65, 16, v54
	v_lshlrev_b32_e32 v101, 16, v66
	v_max_f32_e32 v101, v101, v101
	v_max_f32_e32 v65, v65, v65
	v_min_f32_e32 v102, v65, v101
	v_max_f32_e32 v65, v65, v101
	v_cndmask_b32_e32 v101, v65, v102, vcc
	v_and_b32_e32 v65, 0x7f800000, v101
	v_cmp_ne_u32_e64 s[26:27], s85, v65
                                        ; implicit-def: $vgpr65
	s_and_saveexec_b64 s[42:43], s[26:27]
	s_xor_b64 s[26:27], exec, s[42:43]
; %bb.1368:                             ;   in Loop: Header=BB32_1319 Depth=2
	v_bfe_u32 v65, v101, 16, 1
	v_add3_u32 v65, v101, v65, s86
                                        ; implicit-def: $vgpr101
; %bb.1369:                             ;   in Loop: Header=BB32_1319 Depth=2
	s_andn2_saveexec_b64 s[42:43], s[26:27]
; %bb.1370:                             ;   in Loop: Header=BB32_1319 Depth=2
	v_or_b32_e32 v65, 0x10000, v101
	v_cmp_eq_u32_sdwa s[26:27], v101, v3 src0_sel:WORD_0 src1_sel:DWORD
	s_nop 1
	v_cndmask_b32_e64 v65, v65, v101, s[26:27]
; %bb.1371:                             ;   in Loop: Header=BB32_1319 Depth=2
	s_or_b64 exec, exec, s[42:43]
	v_and_b32_e32 v54, 0xffff0000, v54
	v_and_b32_e32 v66, 0xffff0000, v66
	v_max_f32_e32 v66, v66, v66
	v_max_f32_e32 v54, v54, v54
	v_min_f32_e32 v101, v54, v66
	v_max_f32_e32 v54, v54, v66
	v_cndmask_b32_e32 v66, v54, v101, vcc
	v_and_b32_e32 v54, 0x7f800000, v66
	v_cmp_ne_u32_e64 s[26:27], s85, v54
                                        ; implicit-def: $vgpr54
	s_and_saveexec_b64 s[42:43], s[26:27]
	s_xor_b64 s[26:27], exec, s[42:43]
; %bb.1372:                             ;   in Loop: Header=BB32_1319 Depth=2
	v_bfe_u32 v54, v66, 16, 1
	v_add3_u32 v54, v66, v54, s86
                                        ; implicit-def: $vgpr66
; %bb.1373:                             ;   in Loop: Header=BB32_1319 Depth=2
	s_andn2_saveexec_b64 s[42:43], s[26:27]
; %bb.1374:                             ;   in Loop: Header=BB32_1319 Depth=2
	v_or_b32_e32 v54, 0x10000, v66
	v_cmp_eq_u32_sdwa s[26:27], v66, v3 src0_sel:WORD_0 src1_sel:DWORD
	s_nop 1
	v_cndmask_b32_e64 v54, v54, v66, s[26:27]
; %bb.1375:                             ;   in Loop: Header=BB32_1319 Depth=2
	s_or_b64 exec, exec, s[42:43]
	v_lshlrev_b32_e32 v66, 16, v55
	v_lshlrev_b32_e32 v101, 16, v67
	v_max_f32_e32 v101, v101, v101
	v_max_f32_e32 v66, v66, v66
	v_min_f32_e32 v102, v66, v101
	v_max_f32_e32 v66, v66, v101
	v_cndmask_b32_e32 v101, v66, v102, vcc
	v_and_b32_e32 v66, 0x7f800000, v101
	v_cmp_ne_u32_e64 s[26:27], s85, v66
                                        ; implicit-def: $vgpr66
	s_and_saveexec_b64 s[42:43], s[26:27]
	s_xor_b64 s[26:27], exec, s[42:43]
; %bb.1376:                             ;   in Loop: Header=BB32_1319 Depth=2
	v_bfe_u32 v66, v101, 16, 1
	v_add3_u32 v66, v101, v66, s86
                                        ; implicit-def: $vgpr101
; %bb.1377:                             ;   in Loop: Header=BB32_1319 Depth=2
	s_andn2_saveexec_b64 s[42:43], s[26:27]
; %bb.1378:                             ;   in Loop: Header=BB32_1319 Depth=2
	v_or_b32_e32 v66, 0x10000, v101
	v_cmp_eq_u32_sdwa s[26:27], v101, v3 src0_sel:WORD_0 src1_sel:DWORD
	s_nop 1
	v_cndmask_b32_e64 v66, v66, v101, s[26:27]
; %bb.1379:                             ;   in Loop: Header=BB32_1319 Depth=2
	s_or_b64 exec, exec, s[42:43]
	v_and_b32_e32 v55, 0xffff0000, v55
	v_and_b32_e32 v67, 0xffff0000, v67
	v_max_f32_e32 v67, v67, v67
	v_max_f32_e32 v55, v55, v55
	v_min_f32_e32 v101, v55, v67
	v_max_f32_e32 v55, v55, v67
	v_cndmask_b32_e32 v67, v55, v101, vcc
	v_and_b32_e32 v55, 0x7f800000, v67
	v_cmp_ne_u32_e64 s[26:27], s85, v55
                                        ; implicit-def: $vgpr55
	s_and_saveexec_b64 s[42:43], s[26:27]
	s_xor_b64 s[26:27], exec, s[42:43]
; %bb.1380:                             ;   in Loop: Header=BB32_1319 Depth=2
	v_bfe_u32 v55, v67, 16, 1
	v_add3_u32 v55, v67, v55, s86
                                        ; implicit-def: $vgpr67
; %bb.1381:                             ;   in Loop: Header=BB32_1319 Depth=2
	s_andn2_saveexec_b64 s[42:43], s[26:27]
; %bb.1382:                             ;   in Loop: Header=BB32_1319 Depth=2
	v_or_b32_e32 v55, 0x10000, v67
	v_cmp_eq_u32_sdwa s[26:27], v67, v3 src0_sel:WORD_0 src1_sel:DWORD
	s_nop 1
	v_cndmask_b32_e64 v55, v55, v67, s[26:27]
; %bb.1383:                             ;   in Loop: Header=BB32_1319 Depth=2
	s_or_b64 exec, exec, s[42:43]
	v_lshlrev_b32_e32 v67, 16, v36
	s_waitcnt vmcnt(1)
	v_lshlrev_b32_e32 v101, 16, v48
	v_max_f32_e32 v101, v101, v101
	v_max_f32_e32 v67, v67, v67
	v_min_f32_e32 v102, v67, v101
	v_max_f32_e32 v67, v67, v101
	v_cndmask_b32_e32 v101, v67, v102, vcc
	v_and_b32_e32 v67, 0x7f800000, v101
	v_cmp_ne_u32_e64 s[26:27], s85, v67
                                        ; implicit-def: $vgpr67
	s_and_saveexec_b64 s[42:43], s[26:27]
	s_xor_b64 s[26:27], exec, s[42:43]
; %bb.1384:                             ;   in Loop: Header=BB32_1319 Depth=2
	v_bfe_u32 v67, v101, 16, 1
	v_add3_u32 v67, v101, v67, s86
                                        ; implicit-def: $vgpr101
; %bb.1385:                             ;   in Loop: Header=BB32_1319 Depth=2
	s_andn2_saveexec_b64 s[42:43], s[26:27]
; %bb.1386:                             ;   in Loop: Header=BB32_1319 Depth=2
	v_or_b32_e32 v67, 0x10000, v101
	v_cmp_eq_u32_sdwa s[26:27], v101, v3 src0_sel:WORD_0 src1_sel:DWORD
	s_nop 1
	v_cndmask_b32_e64 v67, v67, v101, s[26:27]
; %bb.1387:                             ;   in Loop: Header=BB32_1319 Depth=2
	s_or_b64 exec, exec, s[42:43]
	v_and_b32_e32 v36, 0xffff0000, v36
	v_and_b32_e32 v48, 0xffff0000, v48
	v_max_f32_e32 v48, v48, v48
	v_max_f32_e32 v36, v36, v36
	v_min_f32_e32 v101, v36, v48
	v_max_f32_e32 v36, v36, v48
	v_cndmask_b32_e32 v48, v36, v101, vcc
	v_and_b32_e32 v36, 0x7f800000, v48
	v_cmp_ne_u32_e64 s[26:27], s85, v36
                                        ; implicit-def: $vgpr36
	s_and_saveexec_b64 s[42:43], s[26:27]
	s_xor_b64 s[26:27], exec, s[42:43]
; %bb.1388:                             ;   in Loop: Header=BB32_1319 Depth=2
	v_bfe_u32 v36, v48, 16, 1
	v_add3_u32 v36, v48, v36, s86
                                        ; implicit-def: $vgpr48
; %bb.1389:                             ;   in Loop: Header=BB32_1319 Depth=2
	s_andn2_saveexec_b64 s[42:43], s[26:27]
; %bb.1390:                             ;   in Loop: Header=BB32_1319 Depth=2
	v_or_b32_e32 v36, 0x10000, v48
	v_cmp_eq_u32_sdwa s[26:27], v48, v3 src0_sel:WORD_0 src1_sel:DWORD
	s_nop 1
	v_cndmask_b32_e64 v36, v36, v48, s[26:27]
; %bb.1391:                             ;   in Loop: Header=BB32_1319 Depth=2
	s_or_b64 exec, exec, s[42:43]
	v_lshlrev_b32_e32 v48, 16, v37
	v_lshlrev_b32_e32 v101, 16, v49
	v_max_f32_e32 v101, v101, v101
	v_max_f32_e32 v48, v48, v48
	v_min_f32_e32 v102, v48, v101
	v_max_f32_e32 v48, v48, v101
	v_cndmask_b32_e32 v101, v48, v102, vcc
	v_and_b32_e32 v48, 0x7f800000, v101
	v_cmp_ne_u32_e64 s[26:27], s85, v48
                                        ; implicit-def: $vgpr48
	s_and_saveexec_b64 s[42:43], s[26:27]
	s_xor_b64 s[26:27], exec, s[42:43]
; %bb.1392:                             ;   in Loop: Header=BB32_1319 Depth=2
	v_bfe_u32 v48, v101, 16, 1
	v_add3_u32 v48, v101, v48, s86
                                        ; implicit-def: $vgpr101
; %bb.1393:                             ;   in Loop: Header=BB32_1319 Depth=2
	s_andn2_saveexec_b64 s[42:43], s[26:27]
; %bb.1394:                             ;   in Loop: Header=BB32_1319 Depth=2
	v_or_b32_e32 v48, 0x10000, v101
	v_cmp_eq_u32_sdwa s[26:27], v101, v3 src0_sel:WORD_0 src1_sel:DWORD
	s_nop 1
	v_cndmask_b32_e64 v48, v48, v101, s[26:27]
; %bb.1395:                             ;   in Loop: Header=BB32_1319 Depth=2
	s_or_b64 exec, exec, s[42:43]
	v_and_b32_e32 v37, 0xffff0000, v37
	v_and_b32_e32 v49, 0xffff0000, v49
	v_max_f32_e32 v49, v49, v49
	v_max_f32_e32 v37, v37, v37
	v_min_f32_e32 v101, v37, v49
	v_max_f32_e32 v37, v37, v49
	v_cndmask_b32_e32 v49, v37, v101, vcc
	v_and_b32_e32 v37, 0x7f800000, v49
	v_cmp_ne_u32_e64 s[26:27], s85, v37
                                        ; implicit-def: $vgpr37
	s_and_saveexec_b64 s[42:43], s[26:27]
	s_xor_b64 s[26:27], exec, s[42:43]
; %bb.1396:                             ;   in Loop: Header=BB32_1319 Depth=2
	v_bfe_u32 v37, v49, 16, 1
	v_add3_u32 v37, v49, v37, s86
                                        ; implicit-def: $vgpr49
; %bb.1397:                             ;   in Loop: Header=BB32_1319 Depth=2
	s_andn2_saveexec_b64 s[42:43], s[26:27]
; %bb.1398:                             ;   in Loop: Header=BB32_1319 Depth=2
	v_or_b32_e32 v37, 0x10000, v49
	v_cmp_eq_u32_sdwa s[26:27], v49, v3 src0_sel:WORD_0 src1_sel:DWORD
	s_nop 1
	v_cndmask_b32_e64 v37, v37, v49, s[26:27]
; %bb.1399:                             ;   in Loop: Header=BB32_1319 Depth=2
	s_or_b64 exec, exec, s[42:43]
	v_lshlrev_b32_e32 v49, 16, v38
	v_lshlrev_b32_e32 v101, 16, v50
	v_max_f32_e32 v101, v101, v101
	v_max_f32_e32 v49, v49, v49
	v_min_f32_e32 v102, v49, v101
	v_max_f32_e32 v49, v49, v101
	v_cndmask_b32_e32 v101, v49, v102, vcc
	v_and_b32_e32 v49, 0x7f800000, v101
	v_cmp_ne_u32_e64 s[26:27], s85, v49
                                        ; implicit-def: $vgpr49
	s_and_saveexec_b64 s[42:43], s[26:27]
	s_xor_b64 s[26:27], exec, s[42:43]
; %bb.1400:                             ;   in Loop: Header=BB32_1319 Depth=2
	v_bfe_u32 v49, v101, 16, 1
	v_add3_u32 v49, v101, v49, s86
                                        ; implicit-def: $vgpr101
; %bb.1401:                             ;   in Loop: Header=BB32_1319 Depth=2
	s_andn2_saveexec_b64 s[42:43], s[26:27]
; %bb.1402:                             ;   in Loop: Header=BB32_1319 Depth=2
	v_or_b32_e32 v49, 0x10000, v101
	v_cmp_eq_u32_sdwa s[26:27], v101, v3 src0_sel:WORD_0 src1_sel:DWORD
	s_nop 1
	v_cndmask_b32_e64 v49, v49, v101, s[26:27]
; %bb.1403:                             ;   in Loop: Header=BB32_1319 Depth=2
	s_or_b64 exec, exec, s[42:43]
	v_and_b32_e32 v38, 0xffff0000, v38
	v_and_b32_e32 v50, 0xffff0000, v50
	v_max_f32_e32 v50, v50, v50
	v_max_f32_e32 v38, v38, v38
	v_min_f32_e32 v101, v38, v50
	v_max_f32_e32 v38, v38, v50
	v_cndmask_b32_e32 v50, v38, v101, vcc
	v_and_b32_e32 v38, 0x7f800000, v50
	v_cmp_ne_u32_e64 s[26:27], s85, v38
                                        ; implicit-def: $vgpr38
	s_and_saveexec_b64 s[42:43], s[26:27]
	s_xor_b64 s[26:27], exec, s[42:43]
; %bb.1404:                             ;   in Loop: Header=BB32_1319 Depth=2
	v_bfe_u32 v38, v50, 16, 1
	v_add3_u32 v38, v50, v38, s86
                                        ; implicit-def: $vgpr50
; %bb.1405:                             ;   in Loop: Header=BB32_1319 Depth=2
	s_andn2_saveexec_b64 s[42:43], s[26:27]
; %bb.1406:                             ;   in Loop: Header=BB32_1319 Depth=2
	v_or_b32_e32 v38, 0x10000, v50
	v_cmp_eq_u32_sdwa s[26:27], v50, v3 src0_sel:WORD_0 src1_sel:DWORD
	s_nop 1
	v_cndmask_b32_e64 v38, v38, v50, s[26:27]
; %bb.1407:                             ;   in Loop: Header=BB32_1319 Depth=2
	s_or_b64 exec, exec, s[42:43]
	v_lshlrev_b32_e32 v50, 16, v39
	v_lshlrev_b32_e32 v101, 16, v51
	v_max_f32_e32 v101, v101, v101
	v_max_f32_e32 v50, v50, v50
	v_min_f32_e32 v102, v50, v101
	v_max_f32_e32 v50, v50, v101
	v_cndmask_b32_e32 v101, v50, v102, vcc
	v_and_b32_e32 v50, 0x7f800000, v101
	v_cmp_ne_u32_e64 s[26:27], s85, v50
                                        ; implicit-def: $vgpr50
	s_and_saveexec_b64 s[42:43], s[26:27]
	s_xor_b64 s[26:27], exec, s[42:43]
; %bb.1408:                             ;   in Loop: Header=BB32_1319 Depth=2
	v_bfe_u32 v50, v101, 16, 1
	v_add3_u32 v50, v101, v50, s86
                                        ; implicit-def: $vgpr101
; %bb.1409:                             ;   in Loop: Header=BB32_1319 Depth=2
	s_andn2_saveexec_b64 s[42:43], s[26:27]
; %bb.1410:                             ;   in Loop: Header=BB32_1319 Depth=2
	v_or_b32_e32 v50, 0x10000, v101
	v_cmp_eq_u32_sdwa s[26:27], v101, v3 src0_sel:WORD_0 src1_sel:DWORD
	s_nop 1
	v_cndmask_b32_e64 v50, v50, v101, s[26:27]
; %bb.1411:                             ;   in Loop: Header=BB32_1319 Depth=2
	s_or_b64 exec, exec, s[42:43]
	v_and_b32_e32 v39, 0xffff0000, v39
	v_and_b32_e32 v51, 0xffff0000, v51
	v_max_f32_e32 v51, v51, v51
	v_max_f32_e32 v39, v39, v39
	v_min_f32_e32 v101, v39, v51
	v_max_f32_e32 v39, v39, v51
	v_cndmask_b32_e32 v51, v39, v101, vcc
	v_and_b32_e32 v39, 0x7f800000, v51
	v_cmp_ne_u32_e64 s[26:27], s85, v39
                                        ; implicit-def: $vgpr39
	s_and_saveexec_b64 s[42:43], s[26:27]
	s_xor_b64 s[26:27], exec, s[42:43]
; %bb.1412:                             ;   in Loop: Header=BB32_1319 Depth=2
	v_bfe_u32 v39, v51, 16, 1
	v_add3_u32 v39, v51, v39, s86
                                        ; implicit-def: $vgpr51
; %bb.1413:                             ;   in Loop: Header=BB32_1319 Depth=2
	s_andn2_saveexec_b64 s[42:43], s[26:27]
; %bb.1414:                             ;   in Loop: Header=BB32_1319 Depth=2
	v_or_b32_e32 v39, 0x10000, v51
	v_cmp_eq_u32_sdwa s[26:27], v51, v3 src0_sel:WORD_0 src1_sel:DWORD
	s_nop 1
	v_cndmask_b32_e64 v39, v39, v51, s[26:27]
; %bb.1415:                             ;   in Loop: Header=BB32_1319 Depth=2
	s_or_b64 exec, exec, s[42:43]
	v_lshlrev_b32_e32 v51, 16, v24
	s_waitcnt vmcnt(0)
	v_lshlrev_b32_e32 v101, 16, v32
	v_max_f32_e32 v101, v101, v101
	v_max_f32_e32 v51, v51, v51
	v_min_f32_e32 v102, v51, v101
	v_max_f32_e32 v51, v51, v101
	v_cndmask_b32_e32 v101, v51, v102, vcc
	v_and_b32_e32 v51, 0x7f800000, v101
	v_cmp_ne_u32_e64 s[26:27], s85, v51
                                        ; implicit-def: $vgpr51
	s_and_saveexec_b64 s[42:43], s[26:27]
	s_xor_b64 s[26:27], exec, s[42:43]
; %bb.1416:                             ;   in Loop: Header=BB32_1319 Depth=2
	v_bfe_u32 v51, v101, 16, 1
	v_add3_u32 v51, v101, v51, s86
                                        ; implicit-def: $vgpr101
; %bb.1417:                             ;   in Loop: Header=BB32_1319 Depth=2
	s_andn2_saveexec_b64 s[42:43], s[26:27]
; %bb.1418:                             ;   in Loop: Header=BB32_1319 Depth=2
	v_or_b32_e32 v51, 0x10000, v101
	v_cmp_eq_u32_sdwa s[26:27], v101, v3 src0_sel:WORD_0 src1_sel:DWORD
	s_nop 1
	v_cndmask_b32_e64 v51, v51, v101, s[26:27]
; %bb.1419:                             ;   in Loop: Header=BB32_1319 Depth=2
	s_or_b64 exec, exec, s[42:43]
	v_and_b32_e32 v24, 0xffff0000, v24
	v_and_b32_e32 v32, 0xffff0000, v32
	v_max_f32_e32 v32, v32, v32
	v_max_f32_e32 v24, v24, v24
	v_min_f32_e32 v101, v24, v32
	v_max_f32_e32 v24, v24, v32
	v_cndmask_b32_e32 v32, v24, v101, vcc
	v_and_b32_e32 v24, 0x7f800000, v32
	v_cmp_ne_u32_e64 s[26:27], s85, v24
                                        ; implicit-def: $vgpr24
	s_and_saveexec_b64 s[42:43], s[26:27]
	s_xor_b64 s[26:27], exec, s[42:43]
; %bb.1420:                             ;   in Loop: Header=BB32_1319 Depth=2
	v_bfe_u32 v24, v32, 16, 1
	v_add3_u32 v24, v32, v24, s86
                                        ; implicit-def: $vgpr32
; %bb.1421:                             ;   in Loop: Header=BB32_1319 Depth=2
	s_andn2_saveexec_b64 s[42:43], s[26:27]
; %bb.1422:                             ;   in Loop: Header=BB32_1319 Depth=2
	v_or_b32_e32 v24, 0x10000, v32
	v_cmp_eq_u32_sdwa s[26:27], v32, v3 src0_sel:WORD_0 src1_sel:DWORD
	s_nop 1
	v_cndmask_b32_e64 v24, v24, v32, s[26:27]
; %bb.1423:                             ;   in Loop: Header=BB32_1319 Depth=2
	s_or_b64 exec, exec, s[42:43]
	v_lshlrev_b32_e32 v32, 16, v25
	v_lshlrev_b32_e32 v101, 16, v33
	v_max_f32_e32 v101, v101, v101
	v_max_f32_e32 v32, v32, v32
	v_min_f32_e32 v102, v32, v101
	v_max_f32_e32 v32, v32, v101
	v_cndmask_b32_e32 v101, v32, v102, vcc
	v_and_b32_e32 v32, 0x7f800000, v101
	v_cmp_ne_u32_e64 s[26:27], s85, v32
                                        ; implicit-def: $vgpr32
	s_and_saveexec_b64 s[42:43], s[26:27]
	s_xor_b64 s[26:27], exec, s[42:43]
; %bb.1424:                             ;   in Loop: Header=BB32_1319 Depth=2
	v_bfe_u32 v32, v101, 16, 1
	v_add3_u32 v32, v101, v32, s86
                                        ; implicit-def: $vgpr101
; %bb.1425:                             ;   in Loop: Header=BB32_1319 Depth=2
	s_andn2_saveexec_b64 s[42:43], s[26:27]
; %bb.1426:                             ;   in Loop: Header=BB32_1319 Depth=2
	v_or_b32_e32 v32, 0x10000, v101
	v_cmp_eq_u32_sdwa s[26:27], v101, v3 src0_sel:WORD_0 src1_sel:DWORD
	s_nop 1
	v_cndmask_b32_e64 v32, v32, v101, s[26:27]
; %bb.1427:                             ;   in Loop: Header=BB32_1319 Depth=2
	s_or_b64 exec, exec, s[42:43]
	v_and_b32_e32 v25, 0xffff0000, v25
	v_and_b32_e32 v33, 0xffff0000, v33
	v_max_f32_e32 v33, v33, v33
	v_max_f32_e32 v25, v25, v25
	v_min_f32_e32 v101, v25, v33
	v_max_f32_e32 v25, v25, v33
	v_cndmask_b32_e32 v33, v25, v101, vcc
	v_and_b32_e32 v25, 0x7f800000, v33
	v_cmp_ne_u32_e64 s[26:27], s85, v25
                                        ; implicit-def: $vgpr25
	s_and_saveexec_b64 s[42:43], s[26:27]
	s_xor_b64 s[26:27], exec, s[42:43]
; %bb.1428:                             ;   in Loop: Header=BB32_1319 Depth=2
	v_bfe_u32 v25, v33, 16, 1
	v_add3_u32 v25, v33, v25, s86
                                        ; implicit-def: $vgpr33
; %bb.1429:                             ;   in Loop: Header=BB32_1319 Depth=2
	s_andn2_saveexec_b64 s[42:43], s[26:27]
; %bb.1430:                             ;   in Loop: Header=BB32_1319 Depth=2
	v_or_b32_e32 v25, 0x10000, v33
	v_cmp_eq_u32_sdwa s[26:27], v33, v3 src0_sel:WORD_0 src1_sel:DWORD
	s_nop 1
	v_cndmask_b32_e64 v25, v25, v33, s[26:27]
; %bb.1431:                             ;   in Loop: Header=BB32_1319 Depth=2
	s_or_b64 exec, exec, s[42:43]
	v_lshlrev_b32_e32 v33, 16, v26
	v_lshlrev_b32_e32 v101, 16, v34
	v_max_f32_e32 v101, v101, v101
	v_max_f32_e32 v33, v33, v33
	v_min_f32_e32 v102, v33, v101
	v_max_f32_e32 v33, v33, v101
	v_cndmask_b32_e32 v101, v33, v102, vcc
	v_and_b32_e32 v33, 0x7f800000, v101
	v_cmp_ne_u32_e64 s[26:27], s85, v33
                                        ; implicit-def: $vgpr33
	s_and_saveexec_b64 s[42:43], s[26:27]
	s_xor_b64 s[26:27], exec, s[42:43]
; %bb.1432:                             ;   in Loop: Header=BB32_1319 Depth=2
	v_bfe_u32 v33, v101, 16, 1
	v_add3_u32 v33, v101, v33, s86
                                        ; implicit-def: $vgpr101
; %bb.1433:                             ;   in Loop: Header=BB32_1319 Depth=2
	s_andn2_saveexec_b64 s[42:43], s[26:27]
; %bb.1434:                             ;   in Loop: Header=BB32_1319 Depth=2
	v_or_b32_e32 v33, 0x10000, v101
	v_cmp_eq_u32_sdwa s[26:27], v101, v3 src0_sel:WORD_0 src1_sel:DWORD
	s_nop 1
	v_cndmask_b32_e64 v33, v33, v101, s[26:27]
; %bb.1435:                             ;   in Loop: Header=BB32_1319 Depth=2
	s_or_b64 exec, exec, s[42:43]
	v_and_b32_e32 v26, 0xffff0000, v26
	v_and_b32_e32 v34, 0xffff0000, v34
	v_max_f32_e32 v34, v34, v34
	v_max_f32_e32 v26, v26, v26
	v_min_f32_e32 v101, v26, v34
	v_max_f32_e32 v26, v26, v34
	v_cndmask_b32_e32 v34, v26, v101, vcc
	v_and_b32_e32 v26, 0x7f800000, v34
	v_cmp_ne_u32_e64 s[26:27], s85, v26
                                        ; implicit-def: $vgpr26
	s_and_saveexec_b64 s[42:43], s[26:27]
	s_xor_b64 s[26:27], exec, s[42:43]
; %bb.1436:                             ;   in Loop: Header=BB32_1319 Depth=2
	v_bfe_u32 v26, v34, 16, 1
	v_add3_u32 v26, v34, v26, s86
                                        ; implicit-def: $vgpr34
; %bb.1437:                             ;   in Loop: Header=BB32_1319 Depth=2
	s_andn2_saveexec_b64 s[42:43], s[26:27]
; %bb.1438:                             ;   in Loop: Header=BB32_1319 Depth=2
	v_or_b32_e32 v26, 0x10000, v34
	v_cmp_eq_u32_sdwa s[26:27], v34, v3 src0_sel:WORD_0 src1_sel:DWORD
	s_nop 1
	v_cndmask_b32_e64 v26, v26, v34, s[26:27]
; %bb.1439:                             ;   in Loop: Header=BB32_1319 Depth=2
	s_or_b64 exec, exec, s[42:43]
	v_lshlrev_b32_e32 v34, 16, v27
	v_lshlrev_b32_e32 v101, 16, v35
	v_max_f32_e32 v101, v101, v101
	v_max_f32_e32 v34, v34, v34
	v_min_f32_e32 v102, v34, v101
	v_max_f32_e32 v34, v34, v101
	v_cndmask_b32_e32 v101, v34, v102, vcc
	v_and_b32_e32 v34, 0x7f800000, v101
	v_cmp_ne_u32_e64 s[26:27], s85, v34
                                        ; implicit-def: $vgpr34
	s_and_saveexec_b64 s[42:43], s[26:27]
	s_xor_b64 s[26:27], exec, s[42:43]
; %bb.1440:                             ;   in Loop: Header=BB32_1319 Depth=2
	v_bfe_u32 v34, v101, 16, 1
	v_add3_u32 v34, v101, v34, s86
                                        ; implicit-def: $vgpr101
; %bb.1441:                             ;   in Loop: Header=BB32_1319 Depth=2
	s_andn2_saveexec_b64 s[42:43], s[26:27]
; %bb.1442:                             ;   in Loop: Header=BB32_1319 Depth=2
	v_or_b32_e32 v34, 0x10000, v101
	v_cmp_eq_u32_sdwa s[26:27], v101, v3 src0_sel:WORD_0 src1_sel:DWORD
	s_nop 1
	v_cndmask_b32_e64 v34, v34, v101, s[26:27]
; %bb.1443:                             ;   in Loop: Header=BB32_1319 Depth=2
	s_or_b64 exec, exec, s[42:43]
	v_and_b32_e32 v27, 0xffff0000, v27
	v_and_b32_e32 v35, 0xffff0000, v35
	v_max_f32_e32 v35, v35, v35
	v_max_f32_e32 v27, v27, v27
	v_min_f32_e32 v101, v27, v35
	v_max_f32_e32 v27, v27, v35
	v_cndmask_b32_e32 v35, v27, v101, vcc
	v_and_b32_e32 v27, 0x7f800000, v35
	v_cmp_ne_u32_e64 s[26:27], s85, v27
                                        ; implicit-def: $vgpr27
	s_and_saveexec_b64 s[42:43], s[26:27]
	s_xor_b64 s[26:27], exec, s[42:43]
; %bb.1444:                             ;   in Loop: Header=BB32_1319 Depth=2
	v_bfe_u32 v27, v35, 16, 1
	v_add3_u32 v27, v35, v27, s86
                                        ; implicit-def: $vgpr35
; %bb.1445:                             ;   in Loop: Header=BB32_1319 Depth=2
	s_andn2_saveexec_b64 s[42:43], s[26:27]
; %bb.1446:                             ;   in Loop: Header=BB32_1319 Depth=2
	v_or_b32_e32 v27, 0x10000, v35
	v_cmp_eq_u32_sdwa s[26:27], v35, v3 src0_sel:WORD_0 src1_sel:DWORD
	s_nop 1
	v_cndmask_b32_e64 v27, v27, v35, s[26:27]
; %bb.1447:                             ;   in Loop: Header=BB32_1319 Depth=2
	s_or_b64 exec, exec, s[42:43]
	v_and_b32_e32 v35, 0xffff0000, v100
	v_lshlrev_b32_e32 v100, 16, v20
	v_max_f32_e32 v35, v35, v35
	v_max_f32_e32 v100, v100, v100
	v_min_f32_e32 v101, v35, v100
	v_max_f32_e32 v35, v35, v100
	v_cndmask_b32_e32 v100, v35, v101, vcc
	v_and_b32_e32 v35, 0x7f800000, v100
	v_cmp_ne_u32_e64 s[26:27], s85, v35
                                        ; implicit-def: $vgpr35
	s_and_saveexec_b64 s[42:43], s[26:27]
	s_xor_b64 s[26:27], exec, s[42:43]
; %bb.1448:                             ;   in Loop: Header=BB32_1319 Depth=2
	v_bfe_u32 v35, v100, 16, 1
	v_add3_u32 v35, v100, v35, s86
                                        ; implicit-def: $vgpr100
; %bb.1449:                             ;   in Loop: Header=BB32_1319 Depth=2
	s_andn2_saveexec_b64 s[42:43], s[26:27]
; %bb.1450:                             ;   in Loop: Header=BB32_1319 Depth=2
	v_or_b32_e32 v35, 0x10000, v100
	v_cmp_eq_u32_sdwa s[26:27], v100, v3 src0_sel:WORD_0 src1_sel:DWORD
	s_nop 1
	v_cndmask_b32_e64 v35, v35, v100, s[26:27]
; %bb.1451:                             ;   in Loop: Header=BB32_1319 Depth=2
	s_or_b64 exec, exec, s[42:43]
	v_and_b32_e32 v20, 0xffff0000, v20
	v_and_b32_e32 v68, 0xffff0000, v68
	v_max_f32_e32 v20, v20, v20
	v_max_f32_e32 v68, v68, v68
	v_min_f32_e32 v100, v68, v20
	v_max_f32_e32 v20, v68, v20
	v_cndmask_b32_e32 v20, v20, v100, vcc
	v_and_b32_e32 v68, 0x7f800000, v20
	v_cmp_ne_u32_e64 s[26:27], s85, v68
                                        ; implicit-def: $vgpr68
	s_and_saveexec_b64 s[42:43], s[26:27]
	s_xor_b64 s[26:27], exec, s[42:43]
; %bb.1452:                             ;   in Loop: Header=BB32_1319 Depth=2
	v_bfe_u32 v68, v20, 16, 1
	v_add3_u32 v68, v20, v68, s86
                                        ; implicit-def: $vgpr20
; %bb.1453:                             ;   in Loop: Header=BB32_1319 Depth=2
	s_andn2_saveexec_b64 s[42:43], s[26:27]
; %bb.1454:                             ;   in Loop: Header=BB32_1319 Depth=2
	v_or_b32_e32 v68, 0x10000, v20
	v_cmp_eq_u32_sdwa s[26:27], v20, v3 src0_sel:WORD_0 src1_sel:DWORD
	s_nop 1
	v_cndmask_b32_e64 v68, v68, v20, s[26:27]
; %bb.1455:                             ;   in Loop: Header=BB32_1319 Depth=2
	s_or_b64 exec, exec, s[42:43]
	v_and_b32_e32 v20, 0xffff0000, v80
	v_lshlrev_b32_e32 v80, 16, v21
	v_max_f32_e32 v20, v20, v20
	v_max_f32_e32 v80, v80, v80
	v_min_f32_e32 v100, v20, v80
	v_max_f32_e32 v20, v20, v80
	v_cndmask_b32_e32 v20, v20, v100, vcc
	v_and_b32_e32 v80, 0x7f800000, v20
	v_cmp_ne_u32_e64 s[26:27], s85, v80
                                        ; implicit-def: $vgpr80
	s_and_saveexec_b64 s[42:43], s[26:27]
	s_xor_b64 s[26:27], exec, s[42:43]
; %bb.1456:                             ;   in Loop: Header=BB32_1319 Depth=2
	v_bfe_u32 v80, v20, 16, 1
	v_add3_u32 v80, v20, v80, s86
                                        ; implicit-def: $vgpr20
; %bb.1457:                             ;   in Loop: Header=BB32_1319 Depth=2
	s_andn2_saveexec_b64 s[42:43], s[26:27]
; %bb.1458:                             ;   in Loop: Header=BB32_1319 Depth=2
	v_or_b32_e32 v80, 0x10000, v20
	v_cmp_eq_u32_sdwa s[26:27], v20, v3 src0_sel:WORD_0 src1_sel:DWORD
	s_nop 1
	v_cndmask_b32_e64 v80, v80, v20, s[26:27]
; %bb.1459:                             ;   in Loop: Header=BB32_1319 Depth=2
	s_or_b64 exec, exec, s[42:43]
	v_and_b32_e32 v20, 0xffff0000, v21
	v_and_b32_e32 v21, 0xffff0000, v69
	v_max_f32_e32 v20, v20, v20
	v_max_f32_e32 v21, v21, v21
	v_min_f32_e32 v69, v21, v20
	v_max_f32_e32 v20, v21, v20
	v_cndmask_b32_e32 v20, v20, v69, vcc
	v_and_b32_e32 v21, 0x7f800000, v20
	v_cmp_ne_u32_e64 s[26:27], s85, v21
                                        ; implicit-def: $vgpr69
	s_and_saveexec_b64 s[42:43], s[26:27]
	s_xor_b64 s[26:27], exec, s[42:43]
; %bb.1460:                             ;   in Loop: Header=BB32_1319 Depth=2
	v_bfe_u32 v21, v20, 16, 1
	v_add3_u32 v69, v20, v21, s86
                                        ; implicit-def: $vgpr20
; %bb.1461:                             ;   in Loop: Header=BB32_1319 Depth=2
	s_andn2_saveexec_b64 s[42:43], s[26:27]
; %bb.1462:                             ;   in Loop: Header=BB32_1319 Depth=2
	v_or_b32_e32 v21, 0x10000, v20
	v_cmp_eq_u32_sdwa s[26:27], v20, v3 src0_sel:WORD_0 src1_sel:DWORD
	s_nop 1
	v_cndmask_b32_e64 v69, v21, v20, s[26:27]
; %bb.1463:                             ;   in Loop: Header=BB32_1319 Depth=2
	s_or_b64 exec, exec, s[42:43]
	v_and_b32_e32 v20, 0xffff0000, v81
	v_lshlrev_b32_e32 v21, 16, v22
	v_max_f32_e32 v20, v20, v20
	v_max_f32_e32 v21, v21, v21
	v_min_f32_e32 v81, v20, v21
	v_max_f32_e32 v20, v20, v21
	v_cndmask_b32_e32 v20, v20, v81, vcc
	v_and_b32_e32 v21, 0x7f800000, v20
	v_cmp_ne_u32_e64 s[26:27], s85, v21
                                        ; implicit-def: $vgpr81
	s_and_saveexec_b64 s[42:43], s[26:27]
	s_xor_b64 s[26:27], exec, s[42:43]
; %bb.1464:                             ;   in Loop: Header=BB32_1319 Depth=2
	v_bfe_u32 v21, v20, 16, 1
	v_add3_u32 v81, v20, v21, s86
                                        ; implicit-def: $vgpr20
; %bb.1465:                             ;   in Loop: Header=BB32_1319 Depth=2
	s_andn2_saveexec_b64 s[42:43], s[26:27]
; %bb.1466:                             ;   in Loop: Header=BB32_1319 Depth=2
	v_or_b32_e32 v21, 0x10000, v20
	v_cmp_eq_u32_sdwa s[26:27], v20, v3 src0_sel:WORD_0 src1_sel:DWORD
	s_nop 1
	v_cndmask_b32_e64 v81, v21, v20, s[26:27]
; %bb.1467:                             ;   in Loop: Header=BB32_1319 Depth=2
	s_or_b64 exec, exec, s[42:43]
	v_and_b32_e32 v20, 0xffff0000, v22
	v_and_b32_e32 v21, 0xffff0000, v70
	v_max_f32_e32 v20, v20, v20
	v_max_f32_e32 v21, v21, v21
	v_min_f32_e32 v22, v21, v20
	v_max_f32_e32 v20, v21, v20
	v_cndmask_b32_e32 v20, v20, v22, vcc
	v_and_b32_e32 v21, 0x7f800000, v20
	v_cmp_ne_u32_e64 s[26:27], s85, v21
                                        ; implicit-def: $vgpr22
	s_and_saveexec_b64 s[42:43], s[26:27]
	s_xor_b64 s[26:27], exec, s[42:43]
; %bb.1468:                             ;   in Loop: Header=BB32_1319 Depth=2
	v_bfe_u32 v21, v20, 16, 1
	v_add3_u32 v22, v20, v21, s86
                                        ; implicit-def: $vgpr20
; %bb.1469:                             ;   in Loop: Header=BB32_1319 Depth=2
	s_andn2_saveexec_b64 s[42:43], s[26:27]
; %bb.1470:                             ;   in Loop: Header=BB32_1319 Depth=2
	v_or_b32_e32 v21, 0x10000, v20
	v_cmp_eq_u32_sdwa s[26:27], v20, v3 src0_sel:WORD_0 src1_sel:DWORD
	s_nop 1
	v_cndmask_b32_e64 v22, v21, v20, s[26:27]
; %bb.1471:                             ;   in Loop: Header=BB32_1319 Depth=2
	s_or_b64 exec, exec, s[42:43]
	v_and_b32_e32 v20, 0xffff0000, v82
	v_lshlrev_b32_e32 v21, 16, v23
	v_max_f32_e32 v20, v20, v20
	v_max_f32_e32 v21, v21, v21
	v_min_f32_e32 v70, v20, v21
	v_max_f32_e32 v20, v20, v21
	v_cndmask_b32_e32 v20, v20, v70, vcc
	v_and_b32_e32 v21, 0x7f800000, v20
	v_cmp_ne_u32_e64 s[26:27], s85, v21
                                        ; implicit-def: $vgpr70
	s_and_saveexec_b64 s[42:43], s[26:27]
	s_xor_b64 s[26:27], exec, s[42:43]
; %bb.1472:                             ;   in Loop: Header=BB32_1319 Depth=2
	v_bfe_u32 v21, v20, 16, 1
	v_add3_u32 v70, v20, v21, s86
                                        ; implicit-def: $vgpr20
; %bb.1473:                             ;   in Loop: Header=BB32_1319 Depth=2
	s_andn2_saveexec_b64 s[42:43], s[26:27]
; %bb.1474:                             ;   in Loop: Header=BB32_1319 Depth=2
	v_or_b32_e32 v21, 0x10000, v20
	v_cmp_eq_u32_sdwa s[26:27], v20, v3 src0_sel:WORD_0 src1_sel:DWORD
	s_nop 1
	v_cndmask_b32_e64 v70, v21, v20, s[26:27]
; %bb.1475:                             ;   in Loop: Header=BB32_1319 Depth=2
	s_or_b64 exec, exec, s[42:43]
	v_and_b32_e32 v20, 0xffff0000, v23
	v_and_b32_e32 v21, 0xffff0000, v71
	v_max_f32_e32 v20, v20, v20
	v_max_f32_e32 v21, v21, v21
	v_min_f32_e32 v23, v21, v20
	v_max_f32_e32 v20, v21, v20
	v_cndmask_b32_e32 v20, v20, v23, vcc
	v_and_b32_e32 v21, 0x7f800000, v20
	v_cmp_ne_u32_e64 s[26:27], s85, v21
                                        ; implicit-def: $vgpr23
	s_and_saveexec_b64 s[42:43], s[26:27]
	s_xor_b64 s[26:27], exec, s[42:43]
; %bb.1476:                             ;   in Loop: Header=BB32_1319 Depth=2
	v_bfe_u32 v21, v20, 16, 1
	v_add3_u32 v23, v20, v21, s86
                                        ; implicit-def: $vgpr20
; %bb.1477:                             ;   in Loop: Header=BB32_1319 Depth=2
	s_andn2_saveexec_b64 s[42:43], s[26:27]
; %bb.1478:                             ;   in Loop: Header=BB32_1319 Depth=2
	v_or_b32_e32 v21, 0x10000, v20
	v_cmp_eq_u32_sdwa s[26:27], v20, v3 src0_sel:WORD_0 src1_sel:DWORD
	s_nop 1
	v_cndmask_b32_e64 v23, v21, v20, s[26:27]
; %bb.1479:                             ;   in Loop: Header=BB32_1319 Depth=2
	s_or_b64 exec, exec, s[42:43]
	v_lshrrev_b32_e32 v35, 16, v35
	v_and_or_b32 v100, v68, s87, v35
	v_lshrrev_b32_e32 v35, 16, v81
	v_and_or_b32 v102, v22, s87, v35
	v_lshrrev_b32_e32 v22, 16, v70
	v_and_b32_e32 v71, 0xffff0000, v83
	v_and_or_b32 v103, v23, s87, v22
	v_lshlrev_b32_e32 v22, 16, v16
	v_max_f32_e32 v23, v71, v71
	v_max_f32_e32 v22, v22, v22
	v_min_f32_e32 v35, v23, v22
	v_max_f32_e32 v22, v23, v22
	v_cndmask_b32_e32 v23, v22, v35, vcc
	v_lshrrev_b32_e32 v80, 16, v80
	v_and_b32_e32 v22, 0x7f800000, v23
	v_lshl_add_u64 v[20:21], v[86:87], 0, v[98:99]
	v_and_or_b32 v101, v69, s87, v80
	v_cmp_ne_u32_e64 s[26:27], s85, v22
	global_store_dwordx4 v[20:21], v[100:103], off offset:-3072
                                        ; implicit-def: $vgpr22
	s_and_saveexec_b64 s[42:43], s[26:27]
	s_xor_b64 s[26:27], exec, s[42:43]
; %bb.1480:                             ;   in Loop: Header=BB32_1319 Depth=2
	v_bfe_u32 v22, v23, 16, 1
	v_add3_u32 v22, v23, v22, s86
                                        ; implicit-def: $vgpr23
; %bb.1481:                             ;   in Loop: Header=BB32_1319 Depth=2
	s_andn2_saveexec_b64 s[42:43], s[26:27]
; %bb.1482:                             ;   in Loop: Header=BB32_1319 Depth=2
	v_or_b32_e32 v22, 0x10000, v23
	v_cmp_eq_u32_sdwa s[26:27], v23, v3 src0_sel:WORD_0 src1_sel:DWORD
	s_nop 1
	v_cndmask_b32_e64 v22, v22, v23, s[26:27]
; %bb.1483:                             ;   in Loop: Header=BB32_1319 Depth=2
	s_or_b64 exec, exec, s[42:43]
	v_and_b32_e32 v16, 0xffff0000, v16
	v_and_b32_e32 v23, 0xffff0000, v52
	v_max_f32_e32 v16, v16, v16
	v_max_f32_e32 v23, v23, v23
	v_min_f32_e32 v35, v23, v16
	v_max_f32_e32 v16, v23, v16
	v_cndmask_b32_e32 v23, v16, v35, vcc
	v_and_b32_e32 v16, 0x7f800000, v23
	v_cmp_ne_u32_e64 s[26:27], s85, v16
                                        ; implicit-def: $vgpr16
	s_and_saveexec_b64 s[42:43], s[26:27]
	s_xor_b64 s[26:27], exec, s[42:43]
; %bb.1484:                             ;   in Loop: Header=BB32_1319 Depth=2
	v_bfe_u32 v16, v23, 16, 1
	v_add3_u32 v16, v23, v16, s86
                                        ; implicit-def: $vgpr23
; %bb.1485:                             ;   in Loop: Header=BB32_1319 Depth=2
	s_andn2_saveexec_b64 s[42:43], s[26:27]
; %bb.1486:                             ;   in Loop: Header=BB32_1319 Depth=2
	v_or_b32_e32 v16, 0x10000, v23
	v_cmp_eq_u32_sdwa s[26:27], v23, v3 src0_sel:WORD_0 src1_sel:DWORD
	s_nop 1
	v_cndmask_b32_e64 v16, v16, v23, s[26:27]
; %bb.1487:                             ;   in Loop: Header=BB32_1319 Depth=2
	s_or_b64 exec, exec, s[42:43]
	v_and_b32_e32 v23, 0xffff0000, v64
	v_lshlrev_b32_e32 v35, 16, v17
	v_max_f32_e32 v23, v23, v23
	v_max_f32_e32 v35, v35, v35
	v_min_f32_e32 v52, v23, v35
	v_max_f32_e32 v23, v23, v35
	v_cndmask_b32_e32 v35, v23, v52, vcc
	v_and_b32_e32 v23, 0x7f800000, v35
	v_cmp_ne_u32_e64 s[26:27], s85, v23
                                        ; implicit-def: $vgpr23
	s_and_saveexec_b64 s[42:43], s[26:27]
	s_xor_b64 s[26:27], exec, s[42:43]
; %bb.1488:                             ;   in Loop: Header=BB32_1319 Depth=2
	v_bfe_u32 v23, v35, 16, 1
	v_add3_u32 v23, v35, v23, s86
                                        ; implicit-def: $vgpr35
; %bb.1489:                             ;   in Loop: Header=BB32_1319 Depth=2
	s_andn2_saveexec_b64 s[42:43], s[26:27]
; %bb.1490:                             ;   in Loop: Header=BB32_1319 Depth=2
	v_or_b32_e32 v23, 0x10000, v35
	v_cmp_eq_u32_sdwa s[26:27], v35, v3 src0_sel:WORD_0 src1_sel:DWORD
	s_nop 1
	v_cndmask_b32_e64 v23, v23, v35, s[26:27]
; %bb.1491:                             ;   in Loop: Header=BB32_1319 Depth=2
	s_or_b64 exec, exec, s[42:43]
	v_and_b32_e32 v17, 0xffff0000, v17
	v_and_b32_e32 v35, 0xffff0000, v53
	v_max_f32_e32 v17, v17, v17
	v_max_f32_e32 v35, v35, v35
	v_min_f32_e32 v52, v35, v17
	v_max_f32_e32 v17, v35, v17
	v_cndmask_b32_e32 v35, v17, v52, vcc
	v_and_b32_e32 v17, 0x7f800000, v35
	v_cmp_ne_u32_e64 s[26:27], s85, v17
                                        ; implicit-def: $vgpr17
	s_and_saveexec_b64 s[42:43], s[26:27]
	s_xor_b64 s[26:27], exec, s[42:43]
; %bb.1492:                             ;   in Loop: Header=BB32_1319 Depth=2
	v_bfe_u32 v17, v35, 16, 1
	v_add3_u32 v17, v35, v17, s86
                                        ; implicit-def: $vgpr35
; %bb.1493:                             ;   in Loop: Header=BB32_1319 Depth=2
	s_andn2_saveexec_b64 s[42:43], s[26:27]
; %bb.1494:                             ;   in Loop: Header=BB32_1319 Depth=2
	v_or_b32_e32 v17, 0x10000, v35
	v_cmp_eq_u32_sdwa s[26:27], v35, v3 src0_sel:WORD_0 src1_sel:DWORD
	s_nop 1
	v_cndmask_b32_e64 v17, v17, v35, s[26:27]
; %bb.1495:                             ;   in Loop: Header=BB32_1319 Depth=2
	s_or_b64 exec, exec, s[42:43]
	v_and_b32_e32 v35, 0xffff0000, v65
	v_lshlrev_b32_e32 v52, 16, v18
	v_max_f32_e32 v35, v35, v35
	v_max_f32_e32 v52, v52, v52
	v_min_f32_e32 v53, v35, v52
	v_max_f32_e32 v35, v35, v52
	v_cndmask_b32_e32 v52, v35, v53, vcc
	v_and_b32_e32 v35, 0x7f800000, v52
	v_cmp_ne_u32_e64 s[26:27], s85, v35
                                        ; implicit-def: $vgpr35
	s_and_saveexec_b64 s[42:43], s[26:27]
	s_xor_b64 s[26:27], exec, s[42:43]
; %bb.1496:                             ;   in Loop: Header=BB32_1319 Depth=2
	v_bfe_u32 v35, v52, 16, 1
	v_add3_u32 v35, v52, v35, s86
                                        ; implicit-def: $vgpr52
; %bb.1497:                             ;   in Loop: Header=BB32_1319 Depth=2
	s_andn2_saveexec_b64 s[42:43], s[26:27]
; %bb.1498:                             ;   in Loop: Header=BB32_1319 Depth=2
	v_or_b32_e32 v35, 0x10000, v52
	v_cmp_eq_u32_sdwa s[26:27], v52, v3 src0_sel:WORD_0 src1_sel:DWORD
	s_nop 1
	v_cndmask_b32_e64 v35, v35, v52, s[26:27]
; %bb.1499:                             ;   in Loop: Header=BB32_1319 Depth=2
	s_or_b64 exec, exec, s[42:43]
	v_and_b32_e32 v18, 0xffff0000, v18
	v_and_b32_e32 v52, 0xffff0000, v54
	v_max_f32_e32 v18, v18, v18
	v_max_f32_e32 v52, v52, v52
	v_min_f32_e32 v53, v52, v18
	v_max_f32_e32 v18, v52, v18
	v_cndmask_b32_e32 v52, v18, v53, vcc
	v_and_b32_e32 v18, 0x7f800000, v52
	v_cmp_ne_u32_e64 s[26:27], s85, v18
                                        ; implicit-def: $vgpr18
	s_and_saveexec_b64 s[42:43], s[26:27]
	s_xor_b64 s[26:27], exec, s[42:43]
; %bb.1500:                             ;   in Loop: Header=BB32_1319 Depth=2
	v_bfe_u32 v18, v52, 16, 1
	v_add3_u32 v18, v52, v18, s86
                                        ; implicit-def: $vgpr52
; %bb.1501:                             ;   in Loop: Header=BB32_1319 Depth=2
	s_andn2_saveexec_b64 s[42:43], s[26:27]
; %bb.1502:                             ;   in Loop: Header=BB32_1319 Depth=2
	v_or_b32_e32 v18, 0x10000, v52
	v_cmp_eq_u32_sdwa s[26:27], v52, v3 src0_sel:WORD_0 src1_sel:DWORD
	s_nop 1
	v_cndmask_b32_e64 v18, v18, v52, s[26:27]
; %bb.1503:                             ;   in Loop: Header=BB32_1319 Depth=2
	s_or_b64 exec, exec, s[42:43]
	v_and_b32_e32 v52, 0xffff0000, v66
	v_lshlrev_b32_e32 v53, 16, v19
	v_max_f32_e32 v52, v52, v52
	v_max_f32_e32 v53, v53, v53
	v_min_f32_e32 v54, v52, v53
	v_max_f32_e32 v52, v52, v53
	v_cndmask_b32_e32 v53, v52, v54, vcc
	v_and_b32_e32 v52, 0x7f800000, v53
	v_cmp_ne_u32_e64 s[26:27], s85, v52
                                        ; implicit-def: $vgpr52
	s_and_saveexec_b64 s[42:43], s[26:27]
	s_xor_b64 s[26:27], exec, s[42:43]
; %bb.1504:                             ;   in Loop: Header=BB32_1319 Depth=2
	v_bfe_u32 v52, v53, 16, 1
	v_add3_u32 v52, v53, v52, s86
                                        ; implicit-def: $vgpr53
; %bb.1505:                             ;   in Loop: Header=BB32_1319 Depth=2
	s_andn2_saveexec_b64 s[42:43], s[26:27]
; %bb.1506:                             ;   in Loop: Header=BB32_1319 Depth=2
	v_or_b32_e32 v52, 0x10000, v53
	v_cmp_eq_u32_sdwa s[26:27], v53, v3 src0_sel:WORD_0 src1_sel:DWORD
	s_nop 1
	v_cndmask_b32_e64 v52, v52, v53, s[26:27]
; %bb.1507:                             ;   in Loop: Header=BB32_1319 Depth=2
	s_or_b64 exec, exec, s[42:43]
	v_and_b32_e32 v19, 0xffff0000, v19
	v_and_b32_e32 v53, 0xffff0000, v55
	v_max_f32_e32 v19, v19, v19
	v_max_f32_e32 v53, v53, v53
	v_min_f32_e32 v54, v53, v19
	v_max_f32_e32 v19, v53, v19
	v_cndmask_b32_e32 v53, v19, v54, vcc
	v_and_b32_e32 v19, 0x7f800000, v53
	v_cmp_ne_u32_e64 s[26:27], s85, v19
                                        ; implicit-def: $vgpr19
	s_and_saveexec_b64 s[42:43], s[26:27]
	s_xor_b64 s[26:27], exec, s[42:43]
; %bb.1508:                             ;   in Loop: Header=BB32_1319 Depth=2
	v_bfe_u32 v19, v53, 16, 1
	v_add3_u32 v19, v53, v19, s86
                                        ; implicit-def: $vgpr53
; %bb.1509:                             ;   in Loop: Header=BB32_1319 Depth=2
	s_andn2_saveexec_b64 s[42:43], s[26:27]
; %bb.1510:                             ;   in Loop: Header=BB32_1319 Depth=2
	v_or_b32_e32 v19, 0x10000, v53
	v_cmp_eq_u32_sdwa s[26:27], v53, v3 src0_sel:WORD_0 src1_sel:DWORD
	s_nop 1
	v_cndmask_b32_e64 v19, v19, v53, s[26:27]
; %bb.1511:                             ;   in Loop: Header=BB32_1319 Depth=2
	s_or_b64 exec, exec, s[42:43]
	v_lshrrev_b32_e32 v22, 16, v22
	v_and_or_b32 v16, v16, s87, v22
	v_lshrrev_b32_e32 v22, 16, v35
	v_lshrrev_b32_e32 v23, 16, v23
	v_and_or_b32 v18, v18, s87, v22
	v_lshrrev_b32_e32 v22, 16, v52
	v_and_or_b32 v17, v17, s87, v23
	v_and_or_b32 v19, v19, s87, v22
	v_and_b32_e32 v53, 0xffff0000, v67
	global_store_dwordx4 v[20:21], v[16:19], off offset:-2048
	s_nop 1
	v_lshlrev_b32_e32 v16, 16, v12
	v_max_f32_e32 v17, v53, v53
	v_max_f32_e32 v16, v16, v16
	v_min_f32_e32 v18, v17, v16
	v_max_f32_e32 v16, v17, v16
	v_cndmask_b32_e32 v17, v16, v18, vcc
	v_and_b32_e32 v16, 0x7f800000, v17
	v_cmp_ne_u32_e64 s[26:27], s85, v16
                                        ; implicit-def: $vgpr16
	s_and_saveexec_b64 s[42:43], s[26:27]
	s_xor_b64 s[26:27], exec, s[42:43]
; %bb.1512:                             ;   in Loop: Header=BB32_1319 Depth=2
	v_bfe_u32 v16, v17, 16, 1
	v_add3_u32 v16, v17, v16, s86
                                        ; implicit-def: $vgpr17
; %bb.1513:                             ;   in Loop: Header=BB32_1319 Depth=2
	s_andn2_saveexec_b64 s[42:43], s[26:27]
; %bb.1514:                             ;   in Loop: Header=BB32_1319 Depth=2
	v_or_b32_e32 v16, 0x10000, v17
	v_cmp_eq_u32_sdwa s[26:27], v17, v3 src0_sel:WORD_0 src1_sel:DWORD
	s_nop 1
	v_cndmask_b32_e64 v16, v16, v17, s[26:27]
; %bb.1515:                             ;   in Loop: Header=BB32_1319 Depth=2
	s_or_b64 exec, exec, s[42:43]
	v_and_b32_e32 v12, 0xffff0000, v12
	v_and_b32_e32 v17, 0xffff0000, v36
	v_max_f32_e32 v12, v12, v12
	v_max_f32_e32 v17, v17, v17
	v_min_f32_e32 v18, v17, v12
	v_max_f32_e32 v12, v17, v12
	v_cndmask_b32_e32 v17, v12, v18, vcc
	v_and_b32_e32 v12, 0x7f800000, v17
	v_cmp_ne_u32_e64 s[26:27], s85, v12
                                        ; implicit-def: $vgpr12
	s_and_saveexec_b64 s[42:43], s[26:27]
	s_xor_b64 s[26:27], exec, s[42:43]
; %bb.1516:                             ;   in Loop: Header=BB32_1319 Depth=2
	v_bfe_u32 v12, v17, 16, 1
	v_add3_u32 v12, v17, v12, s86
                                        ; implicit-def: $vgpr17
; %bb.1517:                             ;   in Loop: Header=BB32_1319 Depth=2
	s_andn2_saveexec_b64 s[42:43], s[26:27]
; %bb.1518:                             ;   in Loop: Header=BB32_1319 Depth=2
	v_or_b32_e32 v12, 0x10000, v17
	v_cmp_eq_u32_sdwa s[26:27], v17, v3 src0_sel:WORD_0 src1_sel:DWORD
	s_nop 1
	v_cndmask_b32_e64 v12, v12, v17, s[26:27]
; %bb.1519:                             ;   in Loop: Header=BB32_1319 Depth=2
	s_or_b64 exec, exec, s[42:43]
	v_and_b32_e32 v17, 0xffff0000, v48
	v_lshlrev_b32_e32 v18, 16, v13
	v_max_f32_e32 v17, v17, v17
	v_max_f32_e32 v18, v18, v18
	v_min_f32_e32 v19, v17, v18
	v_max_f32_e32 v17, v17, v18
	v_cndmask_b32_e32 v18, v17, v19, vcc
	v_and_b32_e32 v17, 0x7f800000, v18
	v_cmp_ne_u32_e64 s[26:27], s85, v17
                                        ; implicit-def: $vgpr17
	s_and_saveexec_b64 s[42:43], s[26:27]
	s_xor_b64 s[26:27], exec, s[42:43]
; %bb.1520:                             ;   in Loop: Header=BB32_1319 Depth=2
	v_bfe_u32 v17, v18, 16, 1
	v_add3_u32 v17, v18, v17, s86
                                        ; implicit-def: $vgpr18
; %bb.1521:                             ;   in Loop: Header=BB32_1319 Depth=2
	s_andn2_saveexec_b64 s[42:43], s[26:27]
; %bb.1522:                             ;   in Loop: Header=BB32_1319 Depth=2
	v_or_b32_e32 v17, 0x10000, v18
	v_cmp_eq_u32_sdwa s[26:27], v18, v3 src0_sel:WORD_0 src1_sel:DWORD
	s_nop 1
	v_cndmask_b32_e64 v17, v17, v18, s[26:27]
; %bb.1523:                             ;   in Loop: Header=BB32_1319 Depth=2
	s_or_b64 exec, exec, s[42:43]
	v_and_b32_e32 v13, 0xffff0000, v13
	v_and_b32_e32 v18, 0xffff0000, v37
	v_max_f32_e32 v13, v13, v13
	v_max_f32_e32 v18, v18, v18
	v_min_f32_e32 v19, v18, v13
	v_max_f32_e32 v13, v18, v13
	v_cndmask_b32_e32 v18, v13, v19, vcc
	v_and_b32_e32 v13, 0x7f800000, v18
	v_cmp_ne_u32_e64 s[26:27], s85, v13
                                        ; implicit-def: $vgpr13
	s_and_saveexec_b64 s[42:43], s[26:27]
	s_xor_b64 s[26:27], exec, s[42:43]
; %bb.1524:                             ;   in Loop: Header=BB32_1319 Depth=2
	v_bfe_u32 v13, v18, 16, 1
	v_add3_u32 v13, v18, v13, s86
                                        ; implicit-def: $vgpr18
; %bb.1525:                             ;   in Loop: Header=BB32_1319 Depth=2
	s_andn2_saveexec_b64 s[42:43], s[26:27]
; %bb.1526:                             ;   in Loop: Header=BB32_1319 Depth=2
	v_or_b32_e32 v13, 0x10000, v18
	v_cmp_eq_u32_sdwa s[26:27], v18, v3 src0_sel:WORD_0 src1_sel:DWORD
	s_nop 1
	v_cndmask_b32_e64 v13, v13, v18, s[26:27]
; %bb.1527:                             ;   in Loop: Header=BB32_1319 Depth=2
	s_or_b64 exec, exec, s[42:43]
	v_and_b32_e32 v18, 0xffff0000, v49
	v_lshlrev_b32_e32 v19, 16, v14
	v_max_f32_e32 v18, v18, v18
	v_max_f32_e32 v19, v19, v19
	v_min_f32_e32 v22, v18, v19
	v_max_f32_e32 v18, v18, v19
	v_cndmask_b32_e32 v19, v18, v22, vcc
	v_and_b32_e32 v18, 0x7f800000, v19
	v_cmp_ne_u32_e64 s[26:27], s85, v18
                                        ; implicit-def: $vgpr18
	s_and_saveexec_b64 s[42:43], s[26:27]
	s_xor_b64 s[26:27], exec, s[42:43]
; %bb.1528:                             ;   in Loop: Header=BB32_1319 Depth=2
	v_bfe_u32 v18, v19, 16, 1
	v_add3_u32 v18, v19, v18, s86
                                        ; implicit-def: $vgpr19
; %bb.1529:                             ;   in Loop: Header=BB32_1319 Depth=2
	s_andn2_saveexec_b64 s[42:43], s[26:27]
; %bb.1530:                             ;   in Loop: Header=BB32_1319 Depth=2
	v_or_b32_e32 v18, 0x10000, v19
	v_cmp_eq_u32_sdwa s[26:27], v19, v3 src0_sel:WORD_0 src1_sel:DWORD
	s_nop 1
	v_cndmask_b32_e64 v18, v18, v19, s[26:27]
; %bb.1531:                             ;   in Loop: Header=BB32_1319 Depth=2
	s_or_b64 exec, exec, s[42:43]
	v_and_b32_e32 v14, 0xffff0000, v14
	v_and_b32_e32 v19, 0xffff0000, v38
	v_max_f32_e32 v14, v14, v14
	v_max_f32_e32 v19, v19, v19
	v_min_f32_e32 v22, v19, v14
	v_max_f32_e32 v14, v19, v14
	v_cndmask_b32_e32 v19, v14, v22, vcc
	v_and_b32_e32 v14, 0x7f800000, v19
	v_cmp_ne_u32_e64 s[26:27], s85, v14
                                        ; implicit-def: $vgpr14
	s_and_saveexec_b64 s[42:43], s[26:27]
	s_xor_b64 s[26:27], exec, s[42:43]
; %bb.1532:                             ;   in Loop: Header=BB32_1319 Depth=2
	v_bfe_u32 v14, v19, 16, 1
	v_add3_u32 v14, v19, v14, s86
                                        ; implicit-def: $vgpr19
; %bb.1533:                             ;   in Loop: Header=BB32_1319 Depth=2
	s_andn2_saveexec_b64 s[42:43], s[26:27]
; %bb.1534:                             ;   in Loop: Header=BB32_1319 Depth=2
	v_or_b32_e32 v14, 0x10000, v19
	v_cmp_eq_u32_sdwa s[26:27], v19, v3 src0_sel:WORD_0 src1_sel:DWORD
	s_nop 1
	v_cndmask_b32_e64 v14, v14, v19, s[26:27]
; %bb.1535:                             ;   in Loop: Header=BB32_1319 Depth=2
	s_or_b64 exec, exec, s[42:43]
	v_and_b32_e32 v19, 0xffff0000, v50
	v_lshlrev_b32_e32 v22, 16, v15
	v_max_f32_e32 v19, v19, v19
	v_max_f32_e32 v22, v22, v22
	v_min_f32_e32 v23, v19, v22
	v_max_f32_e32 v19, v19, v22
	v_cndmask_b32_e32 v22, v19, v23, vcc
	v_and_b32_e32 v19, 0x7f800000, v22
	v_cmp_ne_u32_e64 s[26:27], s85, v19
                                        ; implicit-def: $vgpr19
	s_and_saveexec_b64 s[42:43], s[26:27]
	s_xor_b64 s[26:27], exec, s[42:43]
; %bb.1536:                             ;   in Loop: Header=BB32_1319 Depth=2
	v_bfe_u32 v19, v22, 16, 1
	v_add3_u32 v19, v22, v19, s86
                                        ; implicit-def: $vgpr22
; %bb.1537:                             ;   in Loop: Header=BB32_1319 Depth=2
	s_andn2_saveexec_b64 s[42:43], s[26:27]
; %bb.1538:                             ;   in Loop: Header=BB32_1319 Depth=2
	v_or_b32_e32 v19, 0x10000, v22
	v_cmp_eq_u32_sdwa s[26:27], v22, v3 src0_sel:WORD_0 src1_sel:DWORD
	s_nop 1
	v_cndmask_b32_e64 v19, v19, v22, s[26:27]
; %bb.1539:                             ;   in Loop: Header=BB32_1319 Depth=2
	s_or_b64 exec, exec, s[42:43]
	v_and_b32_e32 v15, 0xffff0000, v15
	v_and_b32_e32 v22, 0xffff0000, v39
	v_max_f32_e32 v15, v15, v15
	v_max_f32_e32 v22, v22, v22
	v_min_f32_e32 v23, v22, v15
	v_max_f32_e32 v15, v22, v15
	v_cndmask_b32_e32 v22, v15, v23, vcc
	v_and_b32_e32 v15, 0x7f800000, v22
	v_cmp_ne_u32_e64 s[26:27], s85, v15
                                        ; implicit-def: $vgpr15
	s_and_saveexec_b64 s[42:43], s[26:27]
	s_xor_b64 s[26:27], exec, s[42:43]
; %bb.1540:                             ;   in Loop: Header=BB32_1319 Depth=2
	v_bfe_u32 v15, v22, 16, 1
	v_add3_u32 v15, v22, v15, s86
                                        ; implicit-def: $vgpr22
; %bb.1541:                             ;   in Loop: Header=BB32_1319 Depth=2
	s_andn2_saveexec_b64 s[42:43], s[26:27]
; %bb.1542:                             ;   in Loop: Header=BB32_1319 Depth=2
	v_or_b32_e32 v15, 0x10000, v22
	v_cmp_eq_u32_sdwa s[26:27], v22, v3 src0_sel:WORD_0 src1_sel:DWORD
	s_nop 1
	v_cndmask_b32_e64 v15, v15, v22, s[26:27]
; %bb.1543:                             ;   in Loop: Header=BB32_1319 Depth=2
	s_or_b64 exec, exec, s[42:43]
	v_lshrrev_b32_e32 v16, 16, v16
	v_and_or_b32 v12, v12, s87, v16
	v_lshrrev_b32_e32 v16, 16, v18
	v_lshrrev_b32_e32 v17, 16, v17
	v_and_or_b32 v14, v14, s87, v16
	v_lshrrev_b32_e32 v16, 16, v19
	v_and_or_b32 v13, v13, s87, v17
	v_and_or_b32 v15, v15, s87, v16
	v_and_b32_e32 v22, 0xffff0000, v51
	global_store_dwordx4 v[20:21], v[12:15], off offset:-1024
	s_nop 1
	v_lshlrev_b32_e32 v12, 16, v8
	v_max_f32_e32 v13, v22, v22
	v_max_f32_e32 v12, v12, v12
	v_min_f32_e32 v14, v13, v12
	v_max_f32_e32 v12, v13, v12
	v_cndmask_b32_e32 v13, v12, v14, vcc
	v_and_b32_e32 v12, 0x7f800000, v13
	v_cmp_ne_u32_e64 s[26:27], s85, v12
                                        ; implicit-def: $vgpr12
	s_and_saveexec_b64 s[42:43], s[26:27]
	s_xor_b64 s[26:27], exec, s[42:43]
; %bb.1544:                             ;   in Loop: Header=BB32_1319 Depth=2
	v_bfe_u32 v12, v13, 16, 1
	v_add3_u32 v12, v13, v12, s86
                                        ; implicit-def: $vgpr13
; %bb.1545:                             ;   in Loop: Header=BB32_1319 Depth=2
	s_andn2_saveexec_b64 s[42:43], s[26:27]
; %bb.1546:                             ;   in Loop: Header=BB32_1319 Depth=2
	v_or_b32_e32 v12, 0x10000, v13
	v_cmp_eq_u32_sdwa s[26:27], v13, v3 src0_sel:WORD_0 src1_sel:DWORD
	s_nop 1
	v_cndmask_b32_e64 v12, v12, v13, s[26:27]
; %bb.1547:                             ;   in Loop: Header=BB32_1319 Depth=2
	s_or_b64 exec, exec, s[42:43]
	v_and_b32_e32 v8, 0xffff0000, v8
	v_and_b32_e32 v13, 0xffff0000, v24
	v_max_f32_e32 v8, v8, v8
	v_max_f32_e32 v13, v13, v13
	v_min_f32_e32 v14, v13, v8
	v_max_f32_e32 v8, v13, v8
	v_cndmask_b32_e32 v13, v8, v14, vcc
	v_and_b32_e32 v8, 0x7f800000, v13
	v_cmp_ne_u32_e64 s[26:27], s85, v8
                                        ; implicit-def: $vgpr8
	s_and_saveexec_b64 s[42:43], s[26:27]
	s_xor_b64 s[26:27], exec, s[42:43]
; %bb.1548:                             ;   in Loop: Header=BB32_1319 Depth=2
	v_bfe_u32 v8, v13, 16, 1
	v_add3_u32 v8, v13, v8, s86
                                        ; implicit-def: $vgpr13
; %bb.1549:                             ;   in Loop: Header=BB32_1319 Depth=2
	s_andn2_saveexec_b64 s[42:43], s[26:27]
; %bb.1550:                             ;   in Loop: Header=BB32_1319 Depth=2
	v_or_b32_e32 v8, 0x10000, v13
	v_cmp_eq_u32_sdwa s[26:27], v13, v3 src0_sel:WORD_0 src1_sel:DWORD
	s_nop 1
	v_cndmask_b32_e64 v8, v8, v13, s[26:27]
; %bb.1551:                             ;   in Loop: Header=BB32_1319 Depth=2
	s_or_b64 exec, exec, s[42:43]
	v_and_b32_e32 v13, 0xffff0000, v32
	v_lshlrev_b32_e32 v14, 16, v9
	v_max_f32_e32 v13, v13, v13
	v_max_f32_e32 v14, v14, v14
	v_min_f32_e32 v15, v13, v14
	v_max_f32_e32 v13, v13, v14
	v_cndmask_b32_e32 v14, v13, v15, vcc
	v_and_b32_e32 v13, 0x7f800000, v14
	v_cmp_ne_u32_e64 s[26:27], s85, v13
                                        ; implicit-def: $vgpr13
	s_and_saveexec_b64 s[42:43], s[26:27]
	s_xor_b64 s[26:27], exec, s[42:43]
; %bb.1552:                             ;   in Loop: Header=BB32_1319 Depth=2
	v_bfe_u32 v13, v14, 16, 1
	v_add3_u32 v13, v14, v13, s86
                                        ; implicit-def: $vgpr14
; %bb.1553:                             ;   in Loop: Header=BB32_1319 Depth=2
	s_andn2_saveexec_b64 s[42:43], s[26:27]
; %bb.1554:                             ;   in Loop: Header=BB32_1319 Depth=2
	v_or_b32_e32 v13, 0x10000, v14
	v_cmp_eq_u32_sdwa s[26:27], v14, v3 src0_sel:WORD_0 src1_sel:DWORD
	s_nop 1
	v_cndmask_b32_e64 v13, v13, v14, s[26:27]
; %bb.1555:                             ;   in Loop: Header=BB32_1319 Depth=2
	s_or_b64 exec, exec, s[42:43]
	v_and_b32_e32 v9, 0xffff0000, v9
	v_and_b32_e32 v14, 0xffff0000, v25
	v_max_f32_e32 v9, v9, v9
	v_max_f32_e32 v14, v14, v14
	v_min_f32_e32 v15, v14, v9
	v_max_f32_e32 v9, v14, v9
	v_cndmask_b32_e32 v14, v9, v15, vcc
	v_and_b32_e32 v9, 0x7f800000, v14
	v_cmp_ne_u32_e64 s[26:27], s85, v9
                                        ; implicit-def: $vgpr9
	s_and_saveexec_b64 s[42:43], s[26:27]
	s_xor_b64 s[26:27], exec, s[42:43]
; %bb.1556:                             ;   in Loop: Header=BB32_1319 Depth=2
	v_bfe_u32 v9, v14, 16, 1
	v_add3_u32 v9, v14, v9, s86
                                        ; implicit-def: $vgpr14
; %bb.1557:                             ;   in Loop: Header=BB32_1319 Depth=2
	s_andn2_saveexec_b64 s[42:43], s[26:27]
; %bb.1558:                             ;   in Loop: Header=BB32_1319 Depth=2
	v_or_b32_e32 v9, 0x10000, v14
	v_cmp_eq_u32_sdwa s[26:27], v14, v3 src0_sel:WORD_0 src1_sel:DWORD
	s_nop 1
	v_cndmask_b32_e64 v9, v9, v14, s[26:27]
; %bb.1559:                             ;   in Loop: Header=BB32_1319 Depth=2
	s_or_b64 exec, exec, s[42:43]
	v_and_b32_e32 v14, 0xffff0000, v33
	v_lshlrev_b32_e32 v15, 16, v10
	v_max_f32_e32 v14, v14, v14
	v_max_f32_e32 v15, v15, v15
	v_min_f32_e32 v16, v14, v15
	v_max_f32_e32 v14, v14, v15
	v_cndmask_b32_e32 v15, v14, v16, vcc
	v_and_b32_e32 v14, 0x7f800000, v15
	v_cmp_ne_u32_e64 s[26:27], s85, v14
                                        ; implicit-def: $vgpr14
	s_and_saveexec_b64 s[42:43], s[26:27]
	s_xor_b64 s[26:27], exec, s[42:43]
; %bb.1560:                             ;   in Loop: Header=BB32_1319 Depth=2
	v_bfe_u32 v14, v15, 16, 1
	v_add3_u32 v14, v15, v14, s86
                                        ; implicit-def: $vgpr15
; %bb.1561:                             ;   in Loop: Header=BB32_1319 Depth=2
	s_andn2_saveexec_b64 s[42:43], s[26:27]
; %bb.1562:                             ;   in Loop: Header=BB32_1319 Depth=2
	v_or_b32_e32 v14, 0x10000, v15
	v_cmp_eq_u32_sdwa s[26:27], v15, v3 src0_sel:WORD_0 src1_sel:DWORD
	s_nop 1
	v_cndmask_b32_e64 v14, v14, v15, s[26:27]
; %bb.1563:                             ;   in Loop: Header=BB32_1319 Depth=2
	s_or_b64 exec, exec, s[42:43]
	v_and_b32_e32 v10, 0xffff0000, v10
	v_and_b32_e32 v15, 0xffff0000, v26
	v_max_f32_e32 v10, v10, v10
	v_max_f32_e32 v15, v15, v15
	v_min_f32_e32 v16, v15, v10
	v_max_f32_e32 v10, v15, v10
	v_cndmask_b32_e32 v15, v10, v16, vcc
	v_and_b32_e32 v10, 0x7f800000, v15
	v_cmp_ne_u32_e64 s[26:27], s85, v10
                                        ; implicit-def: $vgpr10
	s_and_saveexec_b64 s[42:43], s[26:27]
	s_xor_b64 s[26:27], exec, s[42:43]
; %bb.1564:                             ;   in Loop: Header=BB32_1319 Depth=2
	v_bfe_u32 v10, v15, 16, 1
	v_add3_u32 v10, v15, v10, s86
                                        ; implicit-def: $vgpr15
; %bb.1565:                             ;   in Loop: Header=BB32_1319 Depth=2
	s_andn2_saveexec_b64 s[42:43], s[26:27]
; %bb.1566:                             ;   in Loop: Header=BB32_1319 Depth=2
	v_or_b32_e32 v10, 0x10000, v15
	v_cmp_eq_u32_sdwa s[26:27], v15, v3 src0_sel:WORD_0 src1_sel:DWORD
	s_nop 1
	v_cndmask_b32_e64 v10, v10, v15, s[26:27]
; %bb.1567:                             ;   in Loop: Header=BB32_1319 Depth=2
	s_or_b64 exec, exec, s[42:43]
	v_and_b32_e32 v15, 0xffff0000, v34
	v_lshlrev_b32_e32 v16, 16, v11
	v_max_f32_e32 v15, v15, v15
	v_max_f32_e32 v16, v16, v16
	v_min_f32_e32 v17, v15, v16
	v_max_f32_e32 v15, v15, v16
	v_cndmask_b32_e32 v16, v15, v17, vcc
	v_and_b32_e32 v15, 0x7f800000, v16
	v_cmp_ne_u32_e64 s[26:27], s85, v15
                                        ; implicit-def: $vgpr15
	s_and_saveexec_b64 s[42:43], s[26:27]
	s_xor_b64 s[26:27], exec, s[42:43]
; %bb.1568:                             ;   in Loop: Header=BB32_1319 Depth=2
	v_bfe_u32 v15, v16, 16, 1
	v_add3_u32 v15, v16, v15, s86
                                        ; implicit-def: $vgpr16
; %bb.1569:                             ;   in Loop: Header=BB32_1319 Depth=2
	s_andn2_saveexec_b64 s[42:43], s[26:27]
; %bb.1570:                             ;   in Loop: Header=BB32_1319 Depth=2
	v_or_b32_e32 v15, 0x10000, v16
	v_cmp_eq_u32_sdwa s[26:27], v16, v3 src0_sel:WORD_0 src1_sel:DWORD
	s_nop 1
	v_cndmask_b32_e64 v15, v15, v16, s[26:27]
; %bb.1571:                             ;   in Loop: Header=BB32_1319 Depth=2
	s_or_b64 exec, exec, s[42:43]
	v_and_b32_e32 v11, 0xffff0000, v11
	v_and_b32_e32 v16, 0xffff0000, v27
	v_max_f32_e32 v11, v11, v11
	v_max_f32_e32 v16, v16, v16
	v_min_f32_e32 v17, v16, v11
	v_max_f32_e32 v11, v16, v11
	v_cndmask_b32_e32 v16, v11, v17, vcc
	v_and_b32_e32 v11, 0x7f800000, v16
	v_cmp_ne_u32_e64 s[26:27], s85, v11
                                        ; implicit-def: $vgpr11
	s_and_saveexec_b64 s[42:43], s[26:27]
	s_xor_b64 s[26:27], exec, s[42:43]
; %bb.1572:                             ;   in Loop: Header=BB32_1319 Depth=2
	v_bfe_u32 v11, v16, 16, 1
	v_add3_u32 v11, v16, v11, s86
                                        ; implicit-def: $vgpr16
; %bb.1573:                             ;   in Loop: Header=BB32_1319 Depth=2
	s_andn2_saveexec_b64 s[42:43], s[26:27]
	s_cbranch_execz .LBB32_1318
; %bb.1574:                             ;   in Loop: Header=BB32_1319 Depth=2
	v_or_b32_e32 v11, 0x10000, v16
	v_cmp_eq_u32_sdwa s[26:27], v16, v3 src0_sel:WORD_0 src1_sel:DWORD
	s_nop 1
	v_cndmask_b32_e64 v11, v11, v16, s[26:27]
	s_branch .LBB32_1318
.LBB32_1575:                            ;   in Loop: Header=BB32_47 Depth=1
	s_or_b64 exec, exec, s[40:41]
	scratch_load_dword v100, off, s33 offset:252 ; 4-byte Folded Reload
	scratch_load_dwordx2 v[98:99], off, s33 offset:228 ; 8-byte Folded Reload
	v_mov_b64_e32 v[102:103], v[58:59]
	v_mov_b32_e32 v80, v118
.LBB32_1576:                            ;   in Loop: Header=BB32_47 Depth=1
	s_or_b64 exec, exec, s[28:29]
	v_lshlrev_b32_e32 v24, 12, v1
	v_cmp_ne_u32_e32 vcc, v2, v24
	s_mov_b64 s[26:27], 0
	v_mov_b32_e32 v1, 0
                                        ; implicit-def: $vgpr14
	s_and_saveexec_b64 s[40:41], vcc
	s_cbranch_execz .LBB32_1614
; %bb.1577:                             ;   in Loop: Header=BB32_47 Depth=1
	scratch_load_dword v1, off, s33 offset:208 ; 4-byte Folded Reload
	v_lshlrev_b32_e32 v0, 6, v0
	v_sub_u32_e32 v5, v2, v24
	s_waitcnt vmcnt(0)
	v_sub_u32_e32 v0, v1, v0
	v_ashrrev_i32_e32 v1, 31, v0
	v_lshrrev_b32_e32 v1, 26, v1
	v_add_u32_e32 v1, v0, v1
	v_ashrrev_i32_e32 v8, 6, v1
	v_and_b32_e32 v1, 0xffffffc0, v1
	v_sub_u32_e32 v0, v0, v1
	v_lshlrev_b32_e32 v1, 4, v0
	v_lshl_add_u32 v4, v8, 10, v1
	v_ashrrev_i32_e32 v1, 31, v5
	v_lshrrev_b32_e32 v1, 22, v1
	v_add_u32_e32 v1, v5, v1
	v_ashrrev_i32_e32 v9, 10, v1
	v_and_b32_e32 v1, 0xfffffc00, v1
	v_sub_u32_e32 v25, v5, v1
	v_cmp_lt_i32_e32 vcc, 15, v25
	v_sub_u32_e32 v27, v5, v4
	s_nop 0
	v_addc_co_u32_e64 v5, s[26:27], 0, v9, vcc
	v_sub_u32_e32 v26, v5, v8
	v_cmp_lt_i32_e64 s[26:27], 15, v27
	s_and_saveexec_b64 s[42:43], s[26:27]
	s_cbranch_execz .LBB32_1613
; %bb.1578:                             ;   in Loop: Header=BB32_47 Depth=1
	s_trap 2
	ds_read_b64 v[8:9], v0
	v_add_u32_e32 v4, v4, v24
	s_and_b32 s76, s97, 1
	v_ashrrev_i32_e32 v5, 31, v4
	s_cmp_eq_u64 s[76:77], 0
	v_lshl_add_u64 v[20:21], v[4:5], 0, v[96:97]
	s_waitcnt lgkmcnt(0)
	v_lshl_add_u64 v[22:23], v[8:9], 0, v[4:5]
	s_mov_b64 s[44:45], 0
	s_cselect_b64 s[26:27], -1, 0
	s_branch .LBB32_1580
.LBB32_1579:                            ;   in Loop: Header=BB32_1580 Depth=2
	s_or_b64 exec, exec, s[46:47]
	v_and_b32_e32 v19, 0xffff0000, v29
	v_and_b32_e32 v28, 0xffff0000, v28
	;; [unrolled: 1-line block ×3, first 2 shown]
	s_waitcnt vmcnt(0)
	v_and_b32_e32 v32, 0xffff0000, v8
	v_lshlrev_b32_e32 v8, 16, v8
	v_max_f32_e32 v28, v28, v28
	v_max_f32_e32 v8, v8, v8
	v_min_f32_e32 v33, v28, v8
	v_max_f32_e32 v8, v28, v8
	v_and_b32_e32 v16, 0xffff0000, v16
	v_cndmask_b32_e64 v8, v8, v33, s[26:27]
	v_bfe_u32 v33, v8, 16, 1
	v_or_b32_e32 v34, 0x10000, v8
	v_cmp_eq_u32_sdwa s[28:29], v8, v3 src0_sel:WORD_0 src1_sel:DWORD
	v_max_f32_e32 v16, v16, v16
	v_max_f32_e32 v32, v32, v32
	v_and_b32_e32 v28, 0x7f800000, v8
	v_add3_u32 v33, v8, v33, s86
	v_cndmask_b32_e64 v8, v34, v8, s[28:29]
	v_min_f32_e32 v34, v16, v32
	v_max_f32_e32 v16, v16, v32
	v_cndmask_b32_e64 v16, v16, v34, s[26:27]
	v_bfe_u32 v34, v16, 16, 1
	v_or_b32_e32 v35, 0x10000, v16
	v_cmp_eq_u32_sdwa s[28:29], v16, v3 src0_sel:WORD_0 src1_sel:DWORD
	v_and_b32_e32 v32, 0x7f800000, v16
	v_add3_u32 v34, v16, v34, s86
	v_cndmask_b32_e64 v16, v35, v16, s[28:29]
	v_and_b32_e32 v35, 0xffff0000, v9
	v_lshlrev_b32_e32 v9, 16, v9
	v_max_f32_e32 v19, v19, v19
	v_max_f32_e32 v9, v9, v9
	v_min_f32_e32 v36, v19, v9
	v_max_f32_e32 v9, v19, v9
	v_and_b32_e32 v17, 0xffff0000, v17
	v_cndmask_b32_e64 v9, v9, v36, s[26:27]
	v_bfe_u32 v36, v9, 16, 1
	v_or_b32_e32 v37, 0x10000, v9
	v_cmp_eq_u32_sdwa s[28:29], v9, v3 src0_sel:WORD_0 src1_sel:DWORD
	v_max_f32_e32 v17, v17, v17
	v_max_f32_e32 v35, v35, v35
	v_and_b32_e32 v19, 0x7f800000, v9
	v_add3_u32 v36, v9, v36, s86
	v_cndmask_b32_e64 v9, v37, v9, s[28:29]
	v_min_f32_e32 v37, v17, v35
	v_max_f32_e32 v17, v17, v35
	v_cndmask_b32_e64 v17, v17, v37, s[26:27]
	v_bfe_u32 v37, v17, 16, 1
	v_or_b32_e32 v38, 0x10000, v17
	v_cmp_eq_u32_sdwa s[28:29], v17, v3 src0_sel:WORD_0 src1_sel:DWORD
	v_and_b32_e32 v35, 0x7f800000, v17
	v_add3_u32 v37, v17, v37, s86
	v_cndmask_b32_e64 v17, v38, v17, s[28:29]
	v_and_b32_e32 v38, 0xffff0000, v10
	v_lshlrev_b32_e32 v10, 16, v10
	v_max_f32_e32 v29, v29, v29
	v_max_f32_e32 v10, v10, v10
	v_min_f32_e32 v39, v29, v10
	v_max_f32_e32 v10, v29, v10
	v_and_b32_e32 v14, 0xffff0000, v14
	v_cndmask_b32_e64 v10, v10, v39, s[26:27]
	v_bfe_u32 v39, v10, 16, 1
	v_or_b32_e32 v48, 0x10000, v10
	v_cmp_eq_u32_sdwa s[28:29], v10, v3 src0_sel:WORD_0 src1_sel:DWORD
	v_max_f32_e32 v14, v14, v14
	v_max_f32_e32 v38, v38, v38
	v_and_b32_e32 v29, 0x7f800000, v10
	v_add3_u32 v39, v10, v39, s86
	v_cndmask_b32_e64 v10, v48, v10, s[28:29]
	v_min_f32_e32 v48, v14, v38
	v_max_f32_e32 v14, v14, v38
	v_cndmask_b32_e64 v14, v14, v48, s[26:27]
	v_bfe_u32 v48, v14, 16, 1
	v_or_b32_e32 v49, 0x10000, v14
	v_cmp_eq_u32_sdwa s[28:29], v14, v3 src0_sel:WORD_0 src1_sel:DWORD
	v_and_b32_e32 v18, 0xffff0000, v18
	v_and_b32_e32 v38, 0x7f800000, v14
	v_add3_u32 v48, v14, v48, s86
	v_cndmask_b32_e64 v14, v49, v14, s[28:29]
	v_and_b32_e32 v49, 0xffff0000, v11
	v_lshlrev_b32_e32 v11, 16, v11
	v_max_f32_e32 v18, v18, v18
	v_max_f32_e32 v11, v11, v11
	v_min_f32_e32 v50, v18, v11
	v_max_f32_e32 v11, v18, v11
	v_and_b32_e32 v15, 0xffff0000, v15
	v_cndmask_b32_e64 v11, v11, v50, s[26:27]
	v_bfe_u32 v50, v11, 16, 1
	v_or_b32_e32 v51, 0x10000, v11
	v_cmp_eq_u32_sdwa s[28:29], v11, v3 src0_sel:WORD_0 src1_sel:DWORD
	v_max_f32_e32 v15, v15, v15
	v_max_f32_e32 v49, v49, v49
	v_and_b32_e32 v18, 0x7f800000, v11
	v_add3_u32 v50, v11, v50, s86
	v_cndmask_b32_e64 v11, v51, v11, s[28:29]
	v_min_f32_e32 v51, v15, v49
	v_max_f32_e32 v15, v15, v49
	v_cndmask_b32_e64 v15, v15, v51, s[26:27]
	v_bfe_u32 v51, v15, 16, 1
	v_or_b32_e32 v52, 0x10000, v15
	v_cmp_eq_u32_sdwa s[28:29], v15, v3 src0_sel:WORD_0 src1_sel:DWORD
	v_and_b32_e32 v49, 0x7f800000, v15
	v_add3_u32 v51, v15, v51, s86
	v_cndmask_b32_e64 v15, v52, v15, s[28:29]
	v_cmp_eq_u32_e64 s[28:29], s85, v28
	v_sub_u32_e32 v27, v27, v76
	v_lshl_add_u64 v[12:13], v[86:87], 0, v[4:5]
	v_cndmask_b32_e64 v8, v33, v8, s[28:29]
	v_cmp_eq_u32_e64 s[28:29], s85, v32
	v_lshrrev_b32_e32 v8, 16, v8
	v_lshl_add_u64 v[20:21], v[20:21], 0, v[76:77]
	v_cndmask_b32_e64 v16, v34, v16, s[28:29]
	v_cmp_eq_u32_e64 s[28:29], s85, v19
	v_and_or_b32 v8, v16, s87, v8
	v_lshl_add_u64 v[22:23], v[22:23], 0, v[76:77]
	v_cndmask_b32_e64 v9, v36, v9, s[28:29]
	v_cmp_eq_u32_e64 s[28:29], s85, v35
	v_lshrrev_b32_e32 v9, 16, v9
	v_lshl_add_u64 v[4:5], v[4:5], 0, v[76:77]
	v_cndmask_b32_e64 v17, v37, v17, s[28:29]
	v_cmp_eq_u32_e64 s[28:29], s85, v29
	v_and_or_b32 v9, v17, s87, v9
	v_sub_u32_e32 v26, v26, v60
	v_cndmask_b32_e64 v10, v39, v10, s[28:29]
	v_cmp_eq_u32_e64 s[28:29], s85, v38
	v_lshrrev_b32_e32 v10, 16, v10
	s_nop 0
	v_cndmask_b32_e64 v14, v48, v14, s[28:29]
	v_cmp_eq_u32_e64 s[28:29], s85, v18
	v_and_or_b32 v10, v14, s87, v10
	s_nop 0
	v_cndmask_b32_e64 v11, v50, v11, s[28:29]
	v_cmp_eq_u32_e64 s[28:29], s85, v49
	v_lshrrev_b32_e32 v11, 16, v11
	s_nop 0
	v_cndmask_b32_e64 v15, v51, v15, s[28:29]
	v_cmp_gt_i32_e64 s[28:29], 16, v27
	v_and_or_b32 v11, v15, s87, v11
	s_or_b64 s[44:45], s[28:29], s[44:45]
	global_store_dwordx4 v[12:13], v[8:11], off
	s_andn2_b64 exec, exec, s[44:45]
	s_cbranch_execz .LBB32_1612
.LBB32_1580:                            ;   Parent Loop BB32_47 Depth=1
                                        ; =>  This Inner Loop Header: Depth=2
	global_load_dwordx4 v[12:15], v[22:23], off nt
	global_load_dwordx4 v[16:19], v[20:21], off nt
	;; [unrolled: 1-line block ×3, first 2 shown]
	s_waitcnt vmcnt(2)
	v_lshlrev_b32_e32 v28, 16, v12
	s_waitcnt vmcnt(1)
	v_lshlrev_b32_e32 v29, 16, v16
	v_max_f32_e32 v28, v28, v28
	v_max_f32_e32 v29, v29, v29
	v_min_f32_e32 v32, v29, v28
	v_max_f32_e32 v28, v29, v28
	v_cndmask_b32_e64 v29, v28, v32, s[26:27]
	v_and_b32_e32 v28, 0x7f800000, v29
	v_cmp_ne_u32_e64 s[28:29], s85, v28
                                        ; implicit-def: $vgpr28
	s_and_saveexec_b64 s[46:47], s[28:29]
	s_xor_b64 s[28:29], exec, s[46:47]
; %bb.1581:                             ;   in Loop: Header=BB32_1580 Depth=2
	v_bfe_u32 v28, v29, 16, 1
	v_add3_u32 v28, v29, v28, s86
                                        ; implicit-def: $vgpr29
; %bb.1582:                             ;   in Loop: Header=BB32_1580 Depth=2
	s_andn2_saveexec_b64 s[46:47], s[28:29]
; %bb.1583:                             ;   in Loop: Header=BB32_1580 Depth=2
	v_or_b32_e32 v28, 0x10000, v29
	v_cmp_eq_u32_sdwa s[28:29], v29, v3 src0_sel:WORD_0 src1_sel:DWORD
	s_nop 1
	v_cndmask_b32_e64 v28, v28, v29, s[28:29]
; %bb.1584:                             ;   in Loop: Header=BB32_1580 Depth=2
	s_or_b64 exec, exec, s[46:47]
	v_and_b32_e32 v12, 0xffff0000, v12
	v_and_b32_e32 v16, 0xffff0000, v16
	v_max_f32_e32 v12, v12, v12
	v_max_f32_e32 v16, v16, v16
	v_min_f32_e32 v29, v16, v12
	v_max_f32_e32 v12, v16, v12
	v_cndmask_b32_e64 v12, v12, v29, s[26:27]
	v_and_b32_e32 v16, 0x7f800000, v12
	v_cmp_ne_u32_e64 s[28:29], s85, v16
                                        ; implicit-def: $vgpr16
	s_and_saveexec_b64 s[46:47], s[28:29]
	s_xor_b64 s[28:29], exec, s[46:47]
; %bb.1585:                             ;   in Loop: Header=BB32_1580 Depth=2
	v_bfe_u32 v16, v12, 16, 1
	v_add3_u32 v16, v12, v16, s86
                                        ; implicit-def: $vgpr12
; %bb.1586:                             ;   in Loop: Header=BB32_1580 Depth=2
	s_andn2_saveexec_b64 s[46:47], s[28:29]
; %bb.1587:                             ;   in Loop: Header=BB32_1580 Depth=2
	v_or_b32_e32 v16, 0x10000, v12
	v_cmp_eq_u32_sdwa s[28:29], v12, v3 src0_sel:WORD_0 src1_sel:DWORD
	s_nop 1
	v_cndmask_b32_e64 v16, v16, v12, s[28:29]
; %bb.1588:                             ;   in Loop: Header=BB32_1580 Depth=2
	s_or_b64 exec, exec, s[46:47]
	v_lshlrev_b32_e32 v12, 16, v13
	v_lshlrev_b32_e32 v29, 16, v17
	v_max_f32_e32 v12, v12, v12
	v_max_f32_e32 v29, v29, v29
	v_min_f32_e32 v32, v29, v12
	v_max_f32_e32 v12, v29, v12
	v_cndmask_b32_e64 v12, v12, v32, s[26:27]
	v_and_b32_e32 v29, 0x7f800000, v12
	v_cmp_ne_u32_e64 s[28:29], s85, v29
                                        ; implicit-def: $vgpr29
	s_and_saveexec_b64 s[46:47], s[28:29]
	s_xor_b64 s[28:29], exec, s[46:47]
; %bb.1589:                             ;   in Loop: Header=BB32_1580 Depth=2
	v_bfe_u32 v29, v12, 16, 1
	v_add3_u32 v29, v12, v29, s86
                                        ; implicit-def: $vgpr12
; %bb.1590:                             ;   in Loop: Header=BB32_1580 Depth=2
	s_andn2_saveexec_b64 s[46:47], s[28:29]
; %bb.1591:                             ;   in Loop: Header=BB32_1580 Depth=2
	v_or_b32_e32 v29, 0x10000, v12
	v_cmp_eq_u32_sdwa s[28:29], v12, v3 src0_sel:WORD_0 src1_sel:DWORD
	s_nop 1
	v_cndmask_b32_e64 v29, v29, v12, s[28:29]
; %bb.1592:                             ;   in Loop: Header=BB32_1580 Depth=2
	s_or_b64 exec, exec, s[46:47]
	v_and_b32_e32 v12, 0xffff0000, v17
	v_and_b32_e32 v13, 0xffff0000, v13
	v_max_f32_e32 v13, v13, v13
	v_max_f32_e32 v12, v12, v12
	v_min_f32_e32 v17, v12, v13
	v_max_f32_e32 v12, v12, v13
	v_cndmask_b32_e64 v12, v12, v17, s[26:27]
	v_and_b32_e32 v13, 0x7f800000, v12
	v_cmp_ne_u32_e64 s[28:29], s85, v13
                                        ; implicit-def: $vgpr17
	s_and_saveexec_b64 s[46:47], s[28:29]
	s_xor_b64 s[28:29], exec, s[46:47]
; %bb.1593:                             ;   in Loop: Header=BB32_1580 Depth=2
	v_bfe_u32 v13, v12, 16, 1
	v_add3_u32 v17, v12, v13, s86
                                        ; implicit-def: $vgpr12
; %bb.1594:                             ;   in Loop: Header=BB32_1580 Depth=2
	s_andn2_saveexec_b64 s[46:47], s[28:29]
; %bb.1595:                             ;   in Loop: Header=BB32_1580 Depth=2
	v_or_b32_e32 v13, 0x10000, v12
	v_cmp_eq_u32_sdwa s[28:29], v12, v3 src0_sel:WORD_0 src1_sel:DWORD
	s_nop 1
	v_cndmask_b32_e64 v17, v13, v12, s[28:29]
; %bb.1596:                             ;   in Loop: Header=BB32_1580 Depth=2
	s_or_b64 exec, exec, s[46:47]
	v_lshlrev_b32_e32 v12, 16, v14
	v_lshlrev_b32_e32 v13, 16, v18
	v_max_f32_e32 v12, v12, v12
	v_max_f32_e32 v13, v13, v13
	v_min_f32_e32 v32, v13, v12
	v_max_f32_e32 v12, v13, v12
	v_cndmask_b32_e64 v12, v12, v32, s[26:27]
	v_and_b32_e32 v13, 0x7f800000, v12
	v_cmp_ne_u32_e64 s[28:29], s85, v13
                                        ; implicit-def: $vgpr32
	s_and_saveexec_b64 s[46:47], s[28:29]
	s_xor_b64 s[28:29], exec, s[46:47]
; %bb.1597:                             ;   in Loop: Header=BB32_1580 Depth=2
	v_bfe_u32 v13, v12, 16, 1
	v_add3_u32 v32, v12, v13, s86
                                        ; implicit-def: $vgpr12
; %bb.1598:                             ;   in Loop: Header=BB32_1580 Depth=2
	s_andn2_saveexec_b64 s[46:47], s[28:29]
; %bb.1599:                             ;   in Loop: Header=BB32_1580 Depth=2
	v_or_b32_e32 v13, 0x10000, v12
	v_cmp_eq_u32_sdwa s[28:29], v12, v3 src0_sel:WORD_0 src1_sel:DWORD
	s_nop 1
	v_cndmask_b32_e64 v32, v13, v12, s[28:29]
; %bb.1600:                             ;   in Loop: Header=BB32_1580 Depth=2
	s_or_b64 exec, exec, s[46:47]
	v_and_b32_e32 v12, 0xffff0000, v18
	v_and_b32_e32 v13, 0xffff0000, v14
	v_max_f32_e32 v13, v13, v13
	v_max_f32_e32 v12, v12, v12
	v_min_f32_e32 v14, v12, v13
	v_max_f32_e32 v12, v12, v13
	v_cndmask_b32_e64 v12, v12, v14, s[26:27]
	v_and_b32_e32 v13, 0x7f800000, v12
	v_cmp_ne_u32_e64 s[28:29], s85, v13
                                        ; implicit-def: $vgpr14
	s_and_saveexec_b64 s[46:47], s[28:29]
	s_xor_b64 s[28:29], exec, s[46:47]
; %bb.1601:                             ;   in Loop: Header=BB32_1580 Depth=2
	v_bfe_u32 v13, v12, 16, 1
	v_add3_u32 v14, v12, v13, s86
                                        ; implicit-def: $vgpr12
; %bb.1602:                             ;   in Loop: Header=BB32_1580 Depth=2
	s_andn2_saveexec_b64 s[46:47], s[28:29]
; %bb.1603:                             ;   in Loop: Header=BB32_1580 Depth=2
	v_or_b32_e32 v13, 0x10000, v12
	v_cmp_eq_u32_sdwa s[28:29], v12, v3 src0_sel:WORD_0 src1_sel:DWORD
	s_nop 1
	v_cndmask_b32_e64 v14, v13, v12, s[28:29]
; %bb.1604:                             ;   in Loop: Header=BB32_1580 Depth=2
	s_or_b64 exec, exec, s[46:47]
	v_lshlrev_b32_e32 v12, 16, v15
	v_lshlrev_b32_e32 v13, 16, v19
	v_max_f32_e32 v12, v12, v12
	v_max_f32_e32 v13, v13, v13
	v_min_f32_e32 v18, v13, v12
	v_max_f32_e32 v12, v13, v12
	v_cndmask_b32_e64 v12, v12, v18, s[26:27]
	v_and_b32_e32 v13, 0x7f800000, v12
	v_cmp_ne_u32_e64 s[28:29], s85, v13
                                        ; implicit-def: $vgpr18
	s_and_saveexec_b64 s[46:47], s[28:29]
	s_xor_b64 s[28:29], exec, s[46:47]
; %bb.1605:                             ;   in Loop: Header=BB32_1580 Depth=2
	v_bfe_u32 v13, v12, 16, 1
	v_add3_u32 v18, v12, v13, s86
                                        ; implicit-def: $vgpr12
; %bb.1606:                             ;   in Loop: Header=BB32_1580 Depth=2
	s_andn2_saveexec_b64 s[46:47], s[28:29]
; %bb.1607:                             ;   in Loop: Header=BB32_1580 Depth=2
	v_or_b32_e32 v13, 0x10000, v12
	v_cmp_eq_u32_sdwa s[28:29], v12, v3 src0_sel:WORD_0 src1_sel:DWORD
	s_nop 1
	v_cndmask_b32_e64 v18, v13, v12, s[28:29]
; %bb.1608:                             ;   in Loop: Header=BB32_1580 Depth=2
	s_or_b64 exec, exec, s[46:47]
	v_and_b32_e32 v12, 0xffff0000, v19
	v_and_b32_e32 v13, 0xffff0000, v15
	v_max_f32_e32 v13, v13, v13
	v_max_f32_e32 v12, v12, v12
	v_min_f32_e32 v15, v12, v13
	v_max_f32_e32 v12, v12, v13
	v_cndmask_b32_e64 v12, v12, v15, s[26:27]
	v_and_b32_e32 v13, 0x7f800000, v12
	v_cmp_ne_u32_e64 s[28:29], s85, v13
                                        ; implicit-def: $vgpr15
	s_and_saveexec_b64 s[46:47], s[28:29]
	s_xor_b64 s[28:29], exec, s[46:47]
; %bb.1609:                             ;   in Loop: Header=BB32_1580 Depth=2
	v_bfe_u32 v13, v12, 16, 1
	v_add3_u32 v15, v12, v13, s86
                                        ; implicit-def: $vgpr12
; %bb.1610:                             ;   in Loop: Header=BB32_1580 Depth=2
	s_andn2_saveexec_b64 s[46:47], s[28:29]
	s_cbranch_execz .LBB32_1579
; %bb.1611:                             ;   in Loop: Header=BB32_1580 Depth=2
	v_or_b32_e32 v13, 0x10000, v12
	v_cmp_eq_u32_sdwa s[28:29], v12, v3 src0_sel:WORD_0 src1_sel:DWORD
	s_nop 1
	v_cndmask_b32_e64 v15, v13, v12, s[28:29]
	s_branch .LBB32_1579
.LBB32_1612:                            ;   in Loop: Header=BB32_47 Depth=1
	s_or_b64 exec, exec, s[44:45]
.LBB32_1613:                            ;   in Loop: Header=BB32_47 Depth=1
	s_or_b64 exec, exec, s[42:43]
	v_and_b32_e32 v2, 14, v2
	v_sub_u32_e32 v4, v25, v2
	v_cndmask_b32_e32 v4, 0, v4, vcc
	v_cndmask_b32_e32 v2, v25, v2, vcc
	v_cmp_lt_i32_e32 vcc, 0, v26
	v_add3_u32 v1, v1, v24, v4
	s_nop 0
	v_cndmask_b32_e32 v4, 0, v60, vcc
	v_sub_u32_e32 v4, v4, v26
	v_cmp_ne_u32_e32 vcc, 0, v2
	v_lshl_add_u32 v14, v4, 6, v0
	s_and_b64 s[26:27], vcc, exec
.LBB32_1614:                            ;   in Loop: Header=BB32_47 Depth=1
	s_or_b64 exec, exec, s[40:41]
	s_and_saveexec_b64 s[28:29], s[26:27]
	s_cbranch_execz .LBB32_1755
.LBB32_1615:                            ;   in Loop: Header=BB32_47 Depth=1
	s_waitcnt vmcnt(0)
	v_ashrrev_i32_e32 v0, 31, v14
	v_ashrrev_i32_e32 v5, 31, v2
	v_lshrrev_b32_e32 v0, 26, v0
	v_lshrrev_b32_e32 v5, 21, v5
	v_add_u32_e32 v4, v14, v0
	v_add_u32_e32 v5, v2, v5
	v_ashrrev_i32_e32 v0, 6, v4
	v_ashrrev_i32_e32 v16, 11, v5
	v_sub_u32_e32 v15, v16, v0
	v_cmp_lt_i32_e32 vcc, 0, v15
	s_and_saveexec_b64 s[40:41], vcc
	s_cbranch_execz .LBB32_1747
; %bb.1616:                             ;   in Loop: Header=BB32_47 Depth=1
	v_and_b32_e32 v4, 0x7fffffc0, v4
	s_trap 2
	ds_read_b64 v[8:9], v0
	v_sub_u32_e32 v4, v14, v4
	v_lshlrev_b32_e32 v4, 1, v4
	v_lshlrev_b32_e32 v5, 11, v0
	v_add3_u32 v10, v4, v1, v5
	s_and_b32 s76, s97, 1
	v_ashrrev_i32_e32 v11, 31, v10
	s_cmp_eq_u64 s[76:77], 0
	v_mov_b32_e32 v118, 0xc8
	v_mov_b64_e32 v[58:59], v[102:103]
	v_lshl_add_u64 v[4:5], v[10:11], 0, v[96:97]
	s_waitcnt lgkmcnt(0)
	v_lshl_add_u64 v[8:9], v[8:9], 0, v[10:11]
	s_mov_b64 s[42:43], 0
	s_cselect_b64 s[26:27], -1, 0
	v_lshl_add_u64 v[10:11], v[10:11], 0, s[36:37]
	s_branch .LBB32_1618
.LBB32_1617:                            ;   in Loop: Header=BB32_1618 Depth=2
	s_or_b64 exec, exec, s[44:45]
	v_sub_u32_e32 v15, v15, v60
	v_cmp_gt_i32_e32 vcc, 1, v15
	v_lshl_add_u64 v[4:5], v[4:5], 0, v[78:79]
	v_lshl_add_u64 v[8:9], v[8:9], 0, v[78:79]
	s_or_b64 s[42:43], vcc, s[42:43]
	v_lshl_add_u64 v[10:11], v[10:11], 0, v[78:79]
	flat_store_short_d16_hi v[12:13], v18 nt
	s_andn2_b64 exec, exec, s[42:43]
	s_cbranch_execz .LBB32_1746
.LBB32_1618:                            ;   Parent Loop BB32_47 Depth=1
                                        ; =>  This Inner Loop Header: Depth=2
	v_add_co_u32_e32 v12, vcc, 0xfffff880, v10
	s_nop 1
	v_addc_co_u32_e32 v13, vcc, -1, v11, vcc
	v_add_co_u32_e32 v18, vcc, 0xfffff900, v10
	flat_load_ushort v12, v[12:13] nt
	s_nop 0
	v_addc_co_u32_e32 v19, vcc, -1, v11, vcc
	flat_load_ushort v33, v[18:19] nt
	v_add_co_u32_e32 v18, vcc, 0xfffff980, v10
	s_nop 1
	v_addc_co_u32_e32 v19, vcc, -1, v11, vcc
	flat_load_ushort v32, v[18:19] nt
	v_add_co_u32_e32 v18, vcc, 0xfffffa00, v10
	;; [unrolled: 4-line block ×13, first 2 shown]
	s_nop 1
	v_addc_co_u32_e32 v35, vcc, -1, v11, vcc
	flat_load_ushort v18, v[34:35] nt
	flat_load_ushort v48, v[4:5] offset:1024 nt
	flat_load_ushort v39, v[4:5] offset:1152 nt
	;; [unrolled: 1-line block ×8, first 2 shown]
	flat_load_ushort v17, v[10:11] nt
	flat_load_ushort v65, v[4:5] offset:128 nt
	flat_load_ushort v55, v[4:5] offset:256 nt
	flat_load_ushort v54, v[4:5] offset:384 nt
	flat_load_ushort v53, v[4:5] offset:512 nt
	flat_load_ushort v52, v[4:5] offset:640 nt
	flat_load_ushort v51, v[4:5] offset:768 nt
	flat_load_ushort v50, v[4:5] offset:896 nt
	flat_load_ushort v64, v[4:5] nt
	flat_load_ushort v101, v[8:9] offset:128 nt
	flat_load_ushort v100, v[8:9] offset:256 nt
	flat_load_ushort v99, v[8:9] offset:384 nt
	flat_load_ushort v98, v[8:9] offset:512 nt
	flat_load_ushort v83, v[8:9] offset:640 nt
	flat_load_ushort v82, v[8:9] offset:768 nt
	flat_load_ushort v81, v[8:9] offset:896 nt
	;; [unrolled: 8-line block ×3, first 2 shown]
	flat_load_ushort v66, v[8:9] offset:1920 nt
	s_waitcnt vmcnt(0) lgkmcnt(0)
	v_lshlrev_b32_e32 v64, 16, v64
	v_max_f32_e32 v64, v64, v64
	v_lshlrev_b32_e32 v102, 16, v102
	v_max_f32_e32 v102, v102, v102
	v_min_f32_e32 v103, v64, v102
	v_max_f32_e32 v64, v64, v102
	v_cndmask_b32_e64 v102, v64, v103, s[26:27]
	v_and_b32_e32 v64, 0x7f800000, v102
	v_cmp_ne_u32_e32 vcc, s85, v64
                                        ; implicit-def: $vgpr64
	s_and_saveexec_b64 s[44:45], vcc
	s_xor_b64 s[44:45], exec, s[44:45]
; %bb.1619:                             ;   in Loop: Header=BB32_1618 Depth=2
	v_bfe_u32 v64, v102, 16, 1
	v_add3_u32 v64, v102, v64, s86
                                        ; implicit-def: $vgpr102
; %bb.1620:                             ;   in Loop: Header=BB32_1618 Depth=2
	s_andn2_saveexec_b64 s[44:45], s[44:45]
; %bb.1621:                             ;   in Loop: Header=BB32_1618 Depth=2
	v_or_b32_e32 v64, 0x10000, v102
	v_cmp_eq_u32_sdwa vcc, v102, v3 src0_sel:WORD_0 src1_sel:DWORD
	s_nop 1
	v_cndmask_b32_e32 v64, v64, v102, vcc
; %bb.1622:                             ;   in Loop: Header=BB32_1618 Depth=2
	s_or_b64 exec, exec, s[44:45]
	v_lshlrev_b32_e32 v65, 16, v65
	v_lshlrev_b32_e32 v101, 16, v101
	v_max_f32_e32 v101, v101, v101
	v_max_f32_e32 v65, v65, v65
	v_min_f32_e32 v102, v65, v101
	v_max_f32_e32 v65, v65, v101
	v_cndmask_b32_e64 v101, v65, v102, s[26:27]
	v_and_b32_e32 v65, 0x7f800000, v101
	v_cmp_ne_u32_e32 vcc, s85, v65
                                        ; implicit-def: $vgpr65
	s_and_saveexec_b64 s[44:45], vcc
	s_xor_b64 s[44:45], exec, s[44:45]
; %bb.1623:                             ;   in Loop: Header=BB32_1618 Depth=2
	v_bfe_u32 v65, v101, 16, 1
	v_add3_u32 v65, v101, v65, s86
                                        ; implicit-def: $vgpr101
; %bb.1624:                             ;   in Loop: Header=BB32_1618 Depth=2
	s_andn2_saveexec_b64 s[44:45], s[44:45]
; %bb.1625:                             ;   in Loop: Header=BB32_1618 Depth=2
	v_or_b32_e32 v65, 0x10000, v101
	v_cmp_eq_u32_sdwa vcc, v101, v3 src0_sel:WORD_0 src1_sel:DWORD
	s_nop 1
	v_cndmask_b32_e32 v65, v65, v101, vcc
; %bb.1626:                             ;   in Loop: Header=BB32_1618 Depth=2
	s_or_b64 exec, exec, s[44:45]
	v_lshlrev_b32_e32 v55, 16, v55
	v_lshlrev_b32_e32 v100, 16, v100
	v_max_f32_e32 v100, v100, v100
	v_max_f32_e32 v55, v55, v55
	v_min_f32_e32 v101, v55, v100
	v_max_f32_e32 v55, v55, v100
	v_cndmask_b32_e64 v100, v55, v101, s[26:27]
	v_and_b32_e32 v55, 0x7f800000, v100
	v_cmp_ne_u32_e32 vcc, s85, v55
                                        ; implicit-def: $vgpr55
	s_and_saveexec_b64 s[44:45], vcc
	s_xor_b64 s[44:45], exec, s[44:45]
; %bb.1627:                             ;   in Loop: Header=BB32_1618 Depth=2
	v_bfe_u32 v55, v100, 16, 1
	v_add3_u32 v55, v100, v55, s86
                                        ; implicit-def: $vgpr100
; %bb.1628:                             ;   in Loop: Header=BB32_1618 Depth=2
	s_andn2_saveexec_b64 s[44:45], s[44:45]
; %bb.1629:                             ;   in Loop: Header=BB32_1618 Depth=2
	v_or_b32_e32 v55, 0x10000, v100
	v_cmp_eq_u32_sdwa vcc, v100, v3 src0_sel:WORD_0 src1_sel:DWORD
	s_nop 1
	v_cndmask_b32_e32 v55, v55, v100, vcc
; %bb.1630:                             ;   in Loop: Header=BB32_1618 Depth=2
	s_or_b64 exec, exec, s[44:45]
	v_lshlrev_b32_e32 v54, 16, v54
	v_lshlrev_b32_e32 v99, 16, v99
	v_max_f32_e32 v99, v99, v99
	v_max_f32_e32 v54, v54, v54
	v_min_f32_e32 v100, v54, v99
	v_max_f32_e32 v54, v54, v99
	v_cndmask_b32_e64 v99, v54, v100, s[26:27]
	v_and_b32_e32 v54, 0x7f800000, v99
	v_cmp_ne_u32_e32 vcc, s85, v54
                                        ; implicit-def: $vgpr54
	s_and_saveexec_b64 s[44:45], vcc
	s_xor_b64 s[44:45], exec, s[44:45]
; %bb.1631:                             ;   in Loop: Header=BB32_1618 Depth=2
	v_bfe_u32 v54, v99, 16, 1
	v_add3_u32 v54, v99, v54, s86
                                        ; implicit-def: $vgpr99
; %bb.1632:                             ;   in Loop: Header=BB32_1618 Depth=2
	s_andn2_saveexec_b64 s[44:45], s[44:45]
; %bb.1633:                             ;   in Loop: Header=BB32_1618 Depth=2
	v_or_b32_e32 v54, 0x10000, v99
	v_cmp_eq_u32_sdwa vcc, v99, v3 src0_sel:WORD_0 src1_sel:DWORD
	s_nop 1
	v_cndmask_b32_e32 v54, v54, v99, vcc
; %bb.1634:                             ;   in Loop: Header=BB32_1618 Depth=2
	s_or_b64 exec, exec, s[44:45]
	v_lshlrev_b32_e32 v53, 16, v53
	v_lshlrev_b32_e32 v98, 16, v98
	v_max_f32_e32 v98, v98, v98
	v_max_f32_e32 v53, v53, v53
	v_min_f32_e32 v99, v53, v98
	v_max_f32_e32 v53, v53, v98
	v_cndmask_b32_e64 v98, v53, v99, s[26:27]
	v_and_b32_e32 v53, 0x7f800000, v98
	v_cmp_ne_u32_e32 vcc, s85, v53
                                        ; implicit-def: $vgpr53
	s_and_saveexec_b64 s[44:45], vcc
	s_xor_b64 s[44:45], exec, s[44:45]
; %bb.1635:                             ;   in Loop: Header=BB32_1618 Depth=2
	v_bfe_u32 v53, v98, 16, 1
	v_add3_u32 v53, v98, v53, s86
                                        ; implicit-def: $vgpr98
; %bb.1636:                             ;   in Loop: Header=BB32_1618 Depth=2
	s_andn2_saveexec_b64 s[44:45], s[44:45]
; %bb.1637:                             ;   in Loop: Header=BB32_1618 Depth=2
	v_or_b32_e32 v53, 0x10000, v98
	v_cmp_eq_u32_sdwa vcc, v98, v3 src0_sel:WORD_0 src1_sel:DWORD
	s_nop 1
	v_cndmask_b32_e32 v53, v53, v98, vcc
; %bb.1638:                             ;   in Loop: Header=BB32_1618 Depth=2
	s_or_b64 exec, exec, s[44:45]
	v_lshlrev_b32_e32 v52, 16, v52
	v_lshlrev_b32_e32 v83, 16, v83
	v_max_f32_e32 v83, v83, v83
	v_max_f32_e32 v52, v52, v52
	v_min_f32_e32 v98, v52, v83
	v_max_f32_e32 v52, v52, v83
	v_cndmask_b32_e64 v83, v52, v98, s[26:27]
	v_and_b32_e32 v52, 0x7f800000, v83
	v_cmp_ne_u32_e32 vcc, s85, v52
                                        ; implicit-def: $vgpr52
	s_and_saveexec_b64 s[44:45], vcc
	s_xor_b64 s[44:45], exec, s[44:45]
; %bb.1639:                             ;   in Loop: Header=BB32_1618 Depth=2
	v_bfe_u32 v52, v83, 16, 1
	v_add3_u32 v52, v83, v52, s86
                                        ; implicit-def: $vgpr83
; %bb.1640:                             ;   in Loop: Header=BB32_1618 Depth=2
	s_andn2_saveexec_b64 s[44:45], s[44:45]
; %bb.1641:                             ;   in Loop: Header=BB32_1618 Depth=2
	v_or_b32_e32 v52, 0x10000, v83
	v_cmp_eq_u32_sdwa vcc, v83, v3 src0_sel:WORD_0 src1_sel:DWORD
	s_nop 1
	v_cndmask_b32_e32 v52, v52, v83, vcc
; %bb.1642:                             ;   in Loop: Header=BB32_1618 Depth=2
	s_or_b64 exec, exec, s[44:45]
	v_lshlrev_b32_e32 v51, 16, v51
	v_lshlrev_b32_e32 v82, 16, v82
	v_max_f32_e32 v82, v82, v82
	v_max_f32_e32 v51, v51, v51
	v_min_f32_e32 v83, v51, v82
	v_max_f32_e32 v51, v51, v82
	v_cndmask_b32_e64 v82, v51, v83, s[26:27]
	v_and_b32_e32 v51, 0x7f800000, v82
	v_cmp_ne_u32_e32 vcc, s85, v51
                                        ; implicit-def: $vgpr51
	s_and_saveexec_b64 s[44:45], vcc
	s_xor_b64 s[44:45], exec, s[44:45]
; %bb.1643:                             ;   in Loop: Header=BB32_1618 Depth=2
	v_bfe_u32 v51, v82, 16, 1
	v_add3_u32 v51, v82, v51, s86
                                        ; implicit-def: $vgpr82
; %bb.1644:                             ;   in Loop: Header=BB32_1618 Depth=2
	s_andn2_saveexec_b64 s[44:45], s[44:45]
; %bb.1645:                             ;   in Loop: Header=BB32_1618 Depth=2
	v_or_b32_e32 v51, 0x10000, v82
	v_cmp_eq_u32_sdwa vcc, v82, v3 src0_sel:WORD_0 src1_sel:DWORD
	s_nop 1
	v_cndmask_b32_e32 v51, v51, v82, vcc
; %bb.1646:                             ;   in Loop: Header=BB32_1618 Depth=2
	s_or_b64 exec, exec, s[44:45]
	v_lshlrev_b32_e32 v50, 16, v50
	v_lshlrev_b32_e32 v81, 16, v81
	v_max_f32_e32 v81, v81, v81
	v_max_f32_e32 v50, v50, v50
	v_min_f32_e32 v82, v50, v81
	v_max_f32_e32 v50, v50, v81
	v_cndmask_b32_e64 v81, v50, v82, s[26:27]
	v_and_b32_e32 v50, 0x7f800000, v81
	v_cmp_ne_u32_e32 vcc, s85, v50
                                        ; implicit-def: $vgpr50
	s_and_saveexec_b64 s[44:45], vcc
	s_xor_b64 s[44:45], exec, s[44:45]
; %bb.1647:                             ;   in Loop: Header=BB32_1618 Depth=2
	v_bfe_u32 v50, v81, 16, 1
	v_add3_u32 v50, v81, v50, s86
                                        ; implicit-def: $vgpr81
; %bb.1648:                             ;   in Loop: Header=BB32_1618 Depth=2
	s_andn2_saveexec_b64 s[44:45], s[44:45]
; %bb.1649:                             ;   in Loop: Header=BB32_1618 Depth=2
	v_or_b32_e32 v50, 0x10000, v81
	v_cmp_eq_u32_sdwa vcc, v81, v3 src0_sel:WORD_0 src1_sel:DWORD
	s_nop 1
	v_cndmask_b32_e32 v50, v50, v81, vcc
; %bb.1650:                             ;   in Loop: Header=BB32_1618 Depth=2
	s_or_b64 exec, exec, s[44:45]
	v_lshlrev_b32_e32 v48, 16, v48
	v_lshlrev_b32_e32 v49, 16, v49
	v_max_f32_e32 v49, v49, v49
	v_max_f32_e32 v48, v48, v48
	v_min_f32_e32 v81, v48, v49
	v_max_f32_e32 v48, v48, v49
	v_cndmask_b32_e64 v48, v48, v81, s[26:27]
	v_and_b32_e32 v49, 0x7f800000, v48
	v_cmp_ne_u32_e32 vcc, s85, v49
                                        ; implicit-def: $vgpr49
	s_and_saveexec_b64 s[44:45], vcc
	s_xor_b64 s[44:45], exec, s[44:45]
; %bb.1651:                             ;   in Loop: Header=BB32_1618 Depth=2
	v_bfe_u32 v49, v48, 16, 1
	v_add3_u32 v49, v48, v49, s86
                                        ; implicit-def: $vgpr48
; %bb.1652:                             ;   in Loop: Header=BB32_1618 Depth=2
	s_andn2_saveexec_b64 s[44:45], s[44:45]
; %bb.1653:                             ;   in Loop: Header=BB32_1618 Depth=2
	v_or_b32_e32 v49, 0x10000, v48
	v_cmp_eq_u32_sdwa vcc, v48, v3 src0_sel:WORD_0 src1_sel:DWORD
	s_nop 1
	v_cndmask_b32_e32 v49, v49, v48, vcc
; %bb.1654:                             ;   in Loop: Header=BB32_1618 Depth=2
	s_or_b64 exec, exec, s[44:45]
	v_lshlrev_b32_e32 v39, 16, v39
	v_lshlrev_b32_e32 v48, 16, v80
	v_max_f32_e32 v48, v48, v48
	v_max_f32_e32 v39, v39, v39
	v_min_f32_e32 v80, v39, v48
	v_max_f32_e32 v39, v39, v48
	v_cndmask_b32_e64 v39, v39, v80, s[26:27]
	v_and_b32_e32 v48, 0x7f800000, v39
	v_cmp_ne_u32_e32 vcc, s85, v48
                                        ; implicit-def: $vgpr48
	s_and_saveexec_b64 s[44:45], vcc
	s_xor_b64 s[44:45], exec, s[44:45]
; %bb.1655:                             ;   in Loop: Header=BB32_1618 Depth=2
	v_bfe_u32 v48, v39, 16, 1
	v_add3_u32 v48, v39, v48, s86
                                        ; implicit-def: $vgpr39
; %bb.1656:                             ;   in Loop: Header=BB32_1618 Depth=2
	s_andn2_saveexec_b64 s[44:45], s[44:45]
; %bb.1657:                             ;   in Loop: Header=BB32_1618 Depth=2
	v_or_b32_e32 v48, 0x10000, v39
	v_cmp_eq_u32_sdwa vcc, v39, v3 src0_sel:WORD_0 src1_sel:DWORD
	s_nop 1
	v_cndmask_b32_e32 v48, v48, v39, vcc
; %bb.1658:                             ;   in Loop: Header=BB32_1618 Depth=2
	s_or_b64 exec, exec, s[44:45]
	v_lshlrev_b32_e32 v38, 16, v38
	v_lshlrev_b32_e32 v39, 16, v71
	v_max_f32_e32 v39, v39, v39
	v_max_f32_e32 v38, v38, v38
	v_min_f32_e32 v71, v38, v39
	v_max_f32_e32 v38, v38, v39
	v_cndmask_b32_e64 v38, v38, v71, s[26:27]
	v_and_b32_e32 v39, 0x7f800000, v38
	v_cmp_ne_u32_e32 vcc, s85, v39
                                        ; implicit-def: $vgpr39
	s_and_saveexec_b64 s[44:45], vcc
	s_xor_b64 s[44:45], exec, s[44:45]
; %bb.1659:                             ;   in Loop: Header=BB32_1618 Depth=2
	v_bfe_u32 v39, v38, 16, 1
	v_add3_u32 v39, v38, v39, s86
                                        ; implicit-def: $vgpr38
; %bb.1660:                             ;   in Loop: Header=BB32_1618 Depth=2
	s_andn2_saveexec_b64 s[44:45], s[44:45]
; %bb.1661:                             ;   in Loop: Header=BB32_1618 Depth=2
	v_or_b32_e32 v39, 0x10000, v38
	v_cmp_eq_u32_sdwa vcc, v38, v3 src0_sel:WORD_0 src1_sel:DWORD
	s_nop 1
	v_cndmask_b32_e32 v39, v39, v38, vcc
; %bb.1662:                             ;   in Loop: Header=BB32_1618 Depth=2
	s_or_b64 exec, exec, s[44:45]
	v_lshlrev_b32_e32 v37, 16, v37
	v_lshlrev_b32_e32 v38, 16, v70
	v_max_f32_e32 v38, v38, v38
	v_max_f32_e32 v37, v37, v37
	v_min_f32_e32 v70, v37, v38
	v_max_f32_e32 v37, v37, v38
	v_cndmask_b32_e64 v37, v37, v70, s[26:27]
	v_and_b32_e32 v38, 0x7f800000, v37
	v_cmp_ne_u32_e32 vcc, s85, v38
                                        ; implicit-def: $vgpr38
	s_and_saveexec_b64 s[44:45], vcc
	s_xor_b64 s[44:45], exec, s[44:45]
; %bb.1663:                             ;   in Loop: Header=BB32_1618 Depth=2
	v_bfe_u32 v38, v37, 16, 1
	v_add3_u32 v38, v37, v38, s86
                                        ; implicit-def: $vgpr37
; %bb.1664:                             ;   in Loop: Header=BB32_1618 Depth=2
	s_andn2_saveexec_b64 s[44:45], s[44:45]
; %bb.1665:                             ;   in Loop: Header=BB32_1618 Depth=2
	v_or_b32_e32 v38, 0x10000, v37
	v_cmp_eq_u32_sdwa vcc, v37, v3 src0_sel:WORD_0 src1_sel:DWORD
	s_nop 1
	v_cndmask_b32_e32 v38, v38, v37, vcc
; %bb.1666:                             ;   in Loop: Header=BB32_1618 Depth=2
	s_or_b64 exec, exec, s[44:45]
	v_lshlrev_b32_e32 v36, 16, v36
	v_lshlrev_b32_e32 v37, 16, v69
	v_max_f32_e32 v37, v37, v37
	v_max_f32_e32 v36, v36, v36
	v_min_f32_e32 v69, v36, v37
	v_max_f32_e32 v36, v36, v37
	v_cndmask_b32_e64 v36, v36, v69, s[26:27]
	v_and_b32_e32 v37, 0x7f800000, v36
	v_cmp_ne_u32_e32 vcc, s85, v37
                                        ; implicit-def: $vgpr37
	s_and_saveexec_b64 s[44:45], vcc
	s_xor_b64 s[44:45], exec, s[44:45]
; %bb.1667:                             ;   in Loop: Header=BB32_1618 Depth=2
	v_bfe_u32 v37, v36, 16, 1
	v_add3_u32 v37, v36, v37, s86
                                        ; implicit-def: $vgpr36
; %bb.1668:                             ;   in Loop: Header=BB32_1618 Depth=2
	s_andn2_saveexec_b64 s[44:45], s[44:45]
; %bb.1669:                             ;   in Loop: Header=BB32_1618 Depth=2
	v_or_b32_e32 v37, 0x10000, v36
	v_cmp_eq_u32_sdwa vcc, v36, v3 src0_sel:WORD_0 src1_sel:DWORD
	s_nop 1
	v_cndmask_b32_e32 v37, v37, v36, vcc
; %bb.1670:                             ;   in Loop: Header=BB32_1618 Depth=2
	s_or_b64 exec, exec, s[44:45]
	v_lshlrev_b32_e32 v35, 16, v35
	v_lshlrev_b32_e32 v36, 16, v68
	v_max_f32_e32 v36, v36, v36
	v_max_f32_e32 v35, v35, v35
	v_min_f32_e32 v68, v35, v36
	v_max_f32_e32 v35, v35, v36
	v_cndmask_b32_e64 v35, v35, v68, s[26:27]
	v_and_b32_e32 v36, 0x7f800000, v35
	v_cmp_ne_u32_e32 vcc, s85, v36
                                        ; implicit-def: $vgpr36
	s_and_saveexec_b64 s[44:45], vcc
	s_xor_b64 s[44:45], exec, s[44:45]
; %bb.1671:                             ;   in Loop: Header=BB32_1618 Depth=2
	v_bfe_u32 v36, v35, 16, 1
	v_add3_u32 v36, v35, v36, s86
                                        ; implicit-def: $vgpr35
; %bb.1672:                             ;   in Loop: Header=BB32_1618 Depth=2
	s_andn2_saveexec_b64 s[44:45], s[44:45]
; %bb.1673:                             ;   in Loop: Header=BB32_1618 Depth=2
	v_or_b32_e32 v36, 0x10000, v35
	v_cmp_eq_u32_sdwa vcc, v35, v3 src0_sel:WORD_0 src1_sel:DWORD
	s_nop 1
	v_cndmask_b32_e32 v36, v36, v35, vcc
; %bb.1674:                             ;   in Loop: Header=BB32_1618 Depth=2
	s_or_b64 exec, exec, s[44:45]
	v_lshlrev_b32_e32 v34, 16, v34
	v_lshlrev_b32_e32 v35, 16, v67
	v_max_f32_e32 v35, v35, v35
	v_max_f32_e32 v34, v34, v34
	v_min_f32_e32 v67, v34, v35
	v_max_f32_e32 v34, v34, v35
	v_cndmask_b32_e64 v34, v34, v67, s[26:27]
	v_and_b32_e32 v35, 0x7f800000, v34
	v_cmp_ne_u32_e32 vcc, s85, v35
                                        ; implicit-def: $vgpr35
	s_and_saveexec_b64 s[44:45], vcc
	s_xor_b64 s[44:45], exec, s[44:45]
; %bb.1675:                             ;   in Loop: Header=BB32_1618 Depth=2
	v_bfe_u32 v35, v34, 16, 1
	v_add3_u32 v35, v34, v35, s86
                                        ; implicit-def: $vgpr34
; %bb.1676:                             ;   in Loop: Header=BB32_1618 Depth=2
	s_andn2_saveexec_b64 s[44:45], s[44:45]
; %bb.1677:                             ;   in Loop: Header=BB32_1618 Depth=2
	v_or_b32_e32 v35, 0x10000, v34
	v_cmp_eq_u32_sdwa vcc, v34, v3 src0_sel:WORD_0 src1_sel:DWORD
	s_nop 1
	v_cndmask_b32_e32 v35, v35, v34, vcc
; %bb.1678:                             ;   in Loop: Header=BB32_1618 Depth=2
	s_or_b64 exec, exec, s[44:45]
	v_lshlrev_b32_e32 v13, 16, v13
	v_lshlrev_b32_e32 v34, 16, v66
	v_max_f32_e32 v34, v34, v34
	v_max_f32_e32 v13, v13, v13
	v_min_f32_e32 v66, v13, v34
	v_max_f32_e32 v13, v13, v34
	v_cndmask_b32_e64 v13, v13, v66, s[26:27]
	v_and_b32_e32 v34, 0x7f800000, v13
	v_cmp_ne_u32_e32 vcc, s85, v34
                                        ; implicit-def: $vgpr34
	s_and_saveexec_b64 s[44:45], vcc
	s_xor_b64 s[44:45], exec, s[44:45]
; %bb.1679:                             ;   in Loop: Header=BB32_1618 Depth=2
	v_bfe_u32 v34, v13, 16, 1
	v_add3_u32 v34, v13, v34, s86
                                        ; implicit-def: $vgpr13
; %bb.1680:                             ;   in Loop: Header=BB32_1618 Depth=2
	s_andn2_saveexec_b64 s[44:45], s[44:45]
; %bb.1681:                             ;   in Loop: Header=BB32_1618 Depth=2
	v_or_b32_e32 v34, 0x10000, v13
	v_cmp_eq_u32_sdwa vcc, v13, v3 src0_sel:WORD_0 src1_sel:DWORD
	s_nop 1
	v_cndmask_b32_e32 v34, v34, v13, vcc
; %bb.1682:                             ;   in Loop: Header=BB32_1618 Depth=2
	s_or_b64 exec, exec, s[44:45]
	v_and_b32_e32 v13, 0xffff0000, v64
	v_lshlrev_b32_e32 v12, 16, v12
	v_max_f32_e32 v13, v13, v13
	v_max_f32_e32 v12, v12, v12
	v_min_f32_e32 v64, v13, v12
	v_max_f32_e32 v12, v13, v12
	v_cndmask_b32_e64 v12, v12, v64, s[26:27]
	v_and_b32_e32 v13, 0x7f800000, v12
	v_cmp_ne_u32_e32 vcc, s85, v13
                                        ; implicit-def: $vgpr64
	s_and_saveexec_b64 s[44:45], vcc
	s_xor_b64 s[44:45], exec, s[44:45]
; %bb.1683:                             ;   in Loop: Header=BB32_1618 Depth=2
	v_bfe_u32 v13, v12, 16, 1
	v_add3_u32 v64, v12, v13, s86
                                        ; implicit-def: $vgpr12
; %bb.1684:                             ;   in Loop: Header=BB32_1618 Depth=2
	s_andn2_saveexec_b64 s[44:45], s[44:45]
; %bb.1685:                             ;   in Loop: Header=BB32_1618 Depth=2
	v_or_b32_e32 v13, 0x10000, v12
	v_cmp_eq_u32_sdwa vcc, v12, v3 src0_sel:WORD_0 src1_sel:DWORD
	s_nop 1
	v_cndmask_b32_e32 v64, v13, v12, vcc
; %bb.1686:                             ;   in Loop: Header=BB32_1618 Depth=2
	s_or_b64 exec, exec, s[44:45]
	v_lshl_add_u64 v[12:13], v[86:87], 0, v[10:11]
	v_add_co_u32_e32 v66, vcc, 0xfffff880, v12
	v_and_b32_e32 v65, 0xffff0000, v65
	s_nop 0
	v_addc_co_u32_e32 v67, vcc, -1, v13, vcc
	v_lshlrev_b32_e32 v33, 16, v33
	flat_store_short_d16_hi v[66:67], v64 nt
	v_max_f32_e32 v64, v65, v65
	v_max_f32_e32 v33, v33, v33
	v_min_f32_e32 v65, v64, v33
	v_max_f32_e32 v33, v64, v33
	v_cndmask_b32_e64 v64, v33, v65, s[26:27]
	v_and_b32_e32 v33, 0x7f800000, v64
	v_cmp_ne_u32_e32 vcc, s85, v33
                                        ; implicit-def: $vgpr33
	s_and_saveexec_b64 s[44:45], vcc
	s_xor_b64 s[44:45], exec, s[44:45]
; %bb.1687:                             ;   in Loop: Header=BB32_1618 Depth=2
	v_bfe_u32 v33, v64, 16, 1
	v_add3_u32 v33, v64, v33, s86
                                        ; implicit-def: $vgpr64
; %bb.1688:                             ;   in Loop: Header=BB32_1618 Depth=2
	s_andn2_saveexec_b64 s[44:45], s[44:45]
; %bb.1689:                             ;   in Loop: Header=BB32_1618 Depth=2
	v_or_b32_e32 v33, 0x10000, v64
	v_cmp_eq_u32_sdwa vcc, v64, v3 src0_sel:WORD_0 src1_sel:DWORD
	s_nop 1
	v_cndmask_b32_e32 v33, v33, v64, vcc
; %bb.1690:                             ;   in Loop: Header=BB32_1618 Depth=2
	s_or_b64 exec, exec, s[44:45]
	v_add_co_u32_e32 v64, vcc, 0xfffff900, v12
	v_and_b32_e32 v55, 0xffff0000, v55
	s_nop 0
	v_addc_co_u32_e32 v65, vcc, -1, v13, vcc
	v_lshlrev_b32_e32 v32, 16, v32
	flat_store_short_d16_hi v[64:65], v33 nt
	v_max_f32_e32 v33, v55, v55
	v_max_f32_e32 v32, v32, v32
	v_min_f32_e32 v55, v33, v32
	v_max_f32_e32 v32, v33, v32
	v_cndmask_b32_e64 v33, v32, v55, s[26:27]
	v_and_b32_e32 v32, 0x7f800000, v33
	v_cmp_ne_u32_e32 vcc, s85, v32
                                        ; implicit-def: $vgpr32
	s_and_saveexec_b64 s[44:45], vcc
	s_xor_b64 s[44:45], exec, s[44:45]
; %bb.1691:                             ;   in Loop: Header=BB32_1618 Depth=2
	v_bfe_u32 v32, v33, 16, 1
	v_add3_u32 v32, v33, v32, s86
                                        ; implicit-def: $vgpr33
; %bb.1692:                             ;   in Loop: Header=BB32_1618 Depth=2
	s_andn2_saveexec_b64 s[44:45], s[44:45]
; %bb.1693:                             ;   in Loop: Header=BB32_1618 Depth=2
	v_or_b32_e32 v32, 0x10000, v33
	v_cmp_eq_u32_sdwa vcc, v33, v3 src0_sel:WORD_0 src1_sel:DWORD
	s_nop 1
	v_cndmask_b32_e32 v32, v32, v33, vcc
; %bb.1694:                             ;   in Loop: Header=BB32_1618 Depth=2
	s_or_b64 exec, exec, s[44:45]
	v_and_b32_e32 v33, 0xffff0000, v54
	v_add_co_u32_e32 v54, vcc, 0xfffff980, v12
	v_lshlrev_b32_e32 v29, 16, v29
	s_nop 0
	v_addc_co_u32_e32 v55, vcc, -1, v13, vcc
	flat_store_short_d16_hi v[54:55], v32 nt
	v_max_f32_e32 v32, v33, v33
	v_max_f32_e32 v29, v29, v29
	v_min_f32_e32 v33, v32, v29
	v_max_f32_e32 v29, v32, v29
	v_cndmask_b32_e64 v32, v29, v33, s[26:27]
	v_and_b32_e32 v29, 0x7f800000, v32
	v_cmp_ne_u32_e32 vcc, s85, v29
                                        ; implicit-def: $vgpr29
	s_and_saveexec_b64 s[44:45], vcc
	s_xor_b64 s[44:45], exec, s[44:45]
; %bb.1695:                             ;   in Loop: Header=BB32_1618 Depth=2
	v_bfe_u32 v29, v32, 16, 1
	v_add3_u32 v29, v32, v29, s86
                                        ; implicit-def: $vgpr32
; %bb.1696:                             ;   in Loop: Header=BB32_1618 Depth=2
	s_andn2_saveexec_b64 s[44:45], s[44:45]
; %bb.1697:                             ;   in Loop: Header=BB32_1618 Depth=2
	v_or_b32_e32 v29, 0x10000, v32
	v_cmp_eq_u32_sdwa vcc, v32, v3 src0_sel:WORD_0 src1_sel:DWORD
	s_nop 1
	v_cndmask_b32_e32 v29, v29, v32, vcc
; %bb.1698:                             ;   in Loop: Header=BB32_1618 Depth=2
	s_or_b64 exec, exec, s[44:45]
	v_add_co_u32_e32 v32, vcc, 0xfffffa00, v12
	v_and_b32_e32 v53, 0xffff0000, v53
	s_nop 0
	v_addc_co_u32_e32 v33, vcc, -1, v13, vcc
	v_lshlrev_b32_e32 v28, 16, v28
	flat_store_short_d16_hi v[32:33], v29 nt
	v_max_f32_e32 v29, v53, v53
	v_max_f32_e32 v28, v28, v28
	v_min_f32_e32 v32, v29, v28
	v_max_f32_e32 v28, v29, v28
	v_cndmask_b32_e64 v29, v28, v32, s[26:27]
	v_and_b32_e32 v28, 0x7f800000, v29
	v_cmp_ne_u32_e32 vcc, s85, v28
                                        ; implicit-def: $vgpr28
	s_and_saveexec_b64 s[44:45], vcc
	s_xor_b64 s[44:45], exec, s[44:45]
; %bb.1699:                             ;   in Loop: Header=BB32_1618 Depth=2
	v_bfe_u32 v28, v29, 16, 1
	v_add3_u32 v28, v29, v28, s86
                                        ; implicit-def: $vgpr29
; %bb.1700:                             ;   in Loop: Header=BB32_1618 Depth=2
	s_andn2_saveexec_b64 s[44:45], s[44:45]
; %bb.1701:                             ;   in Loop: Header=BB32_1618 Depth=2
	v_or_b32_e32 v28, 0x10000, v29
	v_cmp_eq_u32_sdwa vcc, v29, v3 src0_sel:WORD_0 src1_sel:DWORD
	s_nop 1
	v_cndmask_b32_e32 v28, v28, v29, vcc
; %bb.1702:                             ;   in Loop: Header=BB32_1618 Depth=2
	s_or_b64 exec, exec, s[44:45]
	v_add_co_u32_e32 v32, vcc, 0xfffffa80, v12
	v_and_b32_e32 v29, 0xffff0000, v52
	s_nop 0
	v_addc_co_u32_e32 v33, vcc, -1, v13, vcc
	v_lshlrev_b32_e32 v27, 16, v27
	flat_store_short_d16_hi v[32:33], v28 nt
	v_max_f32_e32 v28, v29, v29
	v_max_f32_e32 v27, v27, v27
	v_min_f32_e32 v29, v28, v27
	v_max_f32_e32 v27, v28, v27
	v_cndmask_b32_e64 v28, v27, v29, s[26:27]
	v_and_b32_e32 v27, 0x7f800000, v28
	v_cmp_ne_u32_e32 vcc, s85, v27
                                        ; implicit-def: $vgpr27
	s_and_saveexec_b64 s[44:45], vcc
	s_xor_b64 s[44:45], exec, s[44:45]
; %bb.1703:                             ;   in Loop: Header=BB32_1618 Depth=2
	v_bfe_u32 v27, v28, 16, 1
	v_add3_u32 v27, v28, v27, s86
                                        ; implicit-def: $vgpr28
; %bb.1704:                             ;   in Loop: Header=BB32_1618 Depth=2
	s_andn2_saveexec_b64 s[44:45], s[44:45]
; %bb.1705:                             ;   in Loop: Header=BB32_1618 Depth=2
	v_or_b32_e32 v27, 0x10000, v28
	v_cmp_eq_u32_sdwa vcc, v28, v3 src0_sel:WORD_0 src1_sel:DWORD
	s_nop 1
	v_cndmask_b32_e32 v27, v27, v28, vcc
; %bb.1706:                             ;   in Loop: Header=BB32_1618 Depth=2
	s_or_b64 exec, exec, s[44:45]
	v_add_co_u32_e32 v28, vcc, 0xfffffb00, v12
	v_and_b32_e32 v32, 0xffff0000, v51
	s_nop 0
	v_addc_co_u32_e32 v29, vcc, -1, v13, vcc
	v_lshlrev_b32_e32 v26, 16, v26
	flat_store_short_d16_hi v[28:29], v27 nt
	v_max_f32_e32 v27, v32, v32
	v_max_f32_e32 v26, v26, v26
	v_min_f32_e32 v28, v27, v26
	v_max_f32_e32 v26, v27, v26
	v_cndmask_b32_e64 v27, v26, v28, s[26:27]
	v_and_b32_e32 v26, 0x7f800000, v27
	v_cmp_ne_u32_e32 vcc, s85, v26
                                        ; implicit-def: $vgpr26
	s_and_saveexec_b64 s[44:45], vcc
	s_xor_b64 s[44:45], exec, s[44:45]
; %bb.1707:                             ;   in Loop: Header=BB32_1618 Depth=2
	v_bfe_u32 v26, v27, 16, 1
	v_add3_u32 v26, v27, v26, s86
                                        ; implicit-def: $vgpr27
; %bb.1708:                             ;   in Loop: Header=BB32_1618 Depth=2
	s_andn2_saveexec_b64 s[44:45], s[44:45]
; %bb.1709:                             ;   in Loop: Header=BB32_1618 Depth=2
	v_or_b32_e32 v26, 0x10000, v27
	v_cmp_eq_u32_sdwa vcc, v27, v3 src0_sel:WORD_0 src1_sel:DWORD
	s_nop 1
	v_cndmask_b32_e32 v26, v26, v27, vcc
; %bb.1710:                             ;   in Loop: Header=BB32_1618 Depth=2
	s_or_b64 exec, exec, s[44:45]
	v_add_co_u32_e32 v28, vcc, 0xfffffb80, v12
	v_and_b32_e32 v27, 0xffff0000, v50
	s_nop 0
	v_addc_co_u32_e32 v29, vcc, -1, v13, vcc
	v_lshlrev_b32_e32 v25, 16, v25
	flat_store_short_d16_hi v[28:29], v26 nt
	v_max_f32_e32 v26, v27, v27
	v_max_f32_e32 v25, v25, v25
	v_min_f32_e32 v27, v26, v25
	v_max_f32_e32 v25, v26, v25
	v_cndmask_b32_e64 v26, v25, v27, s[26:27]
	v_and_b32_e32 v25, 0x7f800000, v26
	v_cmp_ne_u32_e32 vcc, s85, v25
                                        ; implicit-def: $vgpr25
	s_and_saveexec_b64 s[44:45], vcc
	s_xor_b64 s[44:45], exec, s[44:45]
; %bb.1711:                             ;   in Loop: Header=BB32_1618 Depth=2
	v_bfe_u32 v25, v26, 16, 1
	v_add3_u32 v25, v26, v25, s86
                                        ; implicit-def: $vgpr26
; %bb.1712:                             ;   in Loop: Header=BB32_1618 Depth=2
	s_andn2_saveexec_b64 s[44:45], s[44:45]
; %bb.1713:                             ;   in Loop: Header=BB32_1618 Depth=2
	v_or_b32_e32 v25, 0x10000, v26
	v_cmp_eq_u32_sdwa vcc, v26, v3 src0_sel:WORD_0 src1_sel:DWORD
	s_nop 1
	v_cndmask_b32_e32 v25, v25, v26, vcc
; %bb.1714:                             ;   in Loop: Header=BB32_1618 Depth=2
	s_or_b64 exec, exec, s[44:45]
	v_add_co_u32_e32 v26, vcc, 0xfffffc00, v12
	v_and_b32_e32 v28, 0xffff0000, v49
	s_nop 0
	v_addc_co_u32_e32 v27, vcc, -1, v13, vcc
	v_lshlrev_b32_e32 v24, 16, v24
	flat_store_short_d16_hi v[26:27], v25 nt
	v_max_f32_e32 v25, v28, v28
	v_max_f32_e32 v24, v24, v24
	v_min_f32_e32 v26, v25, v24
	v_max_f32_e32 v24, v25, v24
	v_cndmask_b32_e64 v25, v24, v26, s[26:27]
	v_and_b32_e32 v24, 0x7f800000, v25
	v_cmp_ne_u32_e32 vcc, s85, v24
                                        ; implicit-def: $vgpr24
	s_and_saveexec_b64 s[44:45], vcc
	s_xor_b64 s[44:45], exec, s[44:45]
; %bb.1715:                             ;   in Loop: Header=BB32_1618 Depth=2
	v_bfe_u32 v24, v25, 16, 1
	v_add3_u32 v24, v25, v24, s86
                                        ; implicit-def: $vgpr25
; %bb.1716:                             ;   in Loop: Header=BB32_1618 Depth=2
	s_andn2_saveexec_b64 s[44:45], s[44:45]
; %bb.1717:                             ;   in Loop: Header=BB32_1618 Depth=2
	v_or_b32_e32 v24, 0x10000, v25
	v_cmp_eq_u32_sdwa vcc, v25, v3 src0_sel:WORD_0 src1_sel:DWORD
	s_nop 1
	v_cndmask_b32_e32 v24, v24, v25, vcc
; %bb.1718:                             ;   in Loop: Header=BB32_1618 Depth=2
	s_or_b64 exec, exec, s[44:45]
	v_add_co_u32_e32 v26, vcc, 0xfffffc80, v12
	v_and_b32_e32 v25, 0xffff0000, v48
	s_nop 0
	v_addc_co_u32_e32 v27, vcc, -1, v13, vcc
	v_lshlrev_b32_e32 v23, 16, v23
	flat_store_short_d16_hi v[26:27], v24 nt
	v_max_f32_e32 v24, v25, v25
	v_max_f32_e32 v23, v23, v23
	v_min_f32_e32 v25, v24, v23
	v_max_f32_e32 v23, v24, v23
	v_cndmask_b32_e64 v24, v23, v25, s[26:27]
	v_and_b32_e32 v23, 0x7f800000, v24
	v_cmp_ne_u32_e32 vcc, s85, v23
                                        ; implicit-def: $vgpr23
	s_and_saveexec_b64 s[44:45], vcc
	s_xor_b64 s[44:45], exec, s[44:45]
; %bb.1719:                             ;   in Loop: Header=BB32_1618 Depth=2
	v_bfe_u32 v23, v24, 16, 1
	v_add3_u32 v23, v24, v23, s86
                                        ; implicit-def: $vgpr24
; %bb.1720:                             ;   in Loop: Header=BB32_1618 Depth=2
	s_andn2_saveexec_b64 s[44:45], s[44:45]
; %bb.1721:                             ;   in Loop: Header=BB32_1618 Depth=2
	v_or_b32_e32 v23, 0x10000, v24
	v_cmp_eq_u32_sdwa vcc, v24, v3 src0_sel:WORD_0 src1_sel:DWORD
	s_nop 1
	v_cndmask_b32_e32 v23, v23, v24, vcc
; %bb.1722:                             ;   in Loop: Header=BB32_1618 Depth=2
	s_or_b64 exec, exec, s[44:45]
	v_add_co_u32_e32 v24, vcc, 0xfffffd00, v12
	v_and_b32_e32 v26, 0xffff0000, v39
	s_nop 0
	v_addc_co_u32_e32 v25, vcc, -1, v13, vcc
	v_lshlrev_b32_e32 v22, 16, v22
	flat_store_short_d16_hi v[24:25], v23 nt
	v_max_f32_e32 v23, v26, v26
	v_max_f32_e32 v22, v22, v22
	v_min_f32_e32 v24, v23, v22
	v_max_f32_e32 v22, v23, v22
	v_cndmask_b32_e64 v23, v22, v24, s[26:27]
	v_and_b32_e32 v22, 0x7f800000, v23
	v_cmp_ne_u32_e32 vcc, s85, v22
                                        ; implicit-def: $vgpr22
	s_and_saveexec_b64 s[44:45], vcc
	s_xor_b64 s[44:45], exec, s[44:45]
; %bb.1723:                             ;   in Loop: Header=BB32_1618 Depth=2
	v_bfe_u32 v22, v23, 16, 1
	v_add3_u32 v22, v23, v22, s86
                                        ; implicit-def: $vgpr23
; %bb.1724:                             ;   in Loop: Header=BB32_1618 Depth=2
	s_andn2_saveexec_b64 s[44:45], s[44:45]
; %bb.1725:                             ;   in Loop: Header=BB32_1618 Depth=2
	v_or_b32_e32 v22, 0x10000, v23
	v_cmp_eq_u32_sdwa vcc, v23, v3 src0_sel:WORD_0 src1_sel:DWORD
	s_nop 1
	v_cndmask_b32_e32 v22, v22, v23, vcc
; %bb.1726:                             ;   in Loop: Header=BB32_1618 Depth=2
	s_or_b64 exec, exec, s[44:45]
	v_add_co_u32_e32 v24, vcc, 0xfffffd80, v12
	v_and_b32_e32 v23, 0xffff0000, v38
	s_nop 0
	v_addc_co_u32_e32 v25, vcc, -1, v13, vcc
	v_lshlrev_b32_e32 v21, 16, v21
	flat_store_short_d16_hi v[24:25], v22 nt
	v_max_f32_e32 v22, v23, v23
	v_max_f32_e32 v21, v21, v21
	v_min_f32_e32 v23, v22, v21
	v_max_f32_e32 v21, v22, v21
	v_cndmask_b32_e64 v22, v21, v23, s[26:27]
	v_and_b32_e32 v21, 0x7f800000, v22
	v_cmp_ne_u32_e32 vcc, s85, v21
                                        ; implicit-def: $vgpr21
	s_and_saveexec_b64 s[44:45], vcc
	s_xor_b64 s[44:45], exec, s[44:45]
; %bb.1727:                             ;   in Loop: Header=BB32_1618 Depth=2
	v_bfe_u32 v21, v22, 16, 1
	v_add3_u32 v21, v22, v21, s86
                                        ; implicit-def: $vgpr22
; %bb.1728:                             ;   in Loop: Header=BB32_1618 Depth=2
	s_andn2_saveexec_b64 s[44:45], s[44:45]
; %bb.1729:                             ;   in Loop: Header=BB32_1618 Depth=2
	v_or_b32_e32 v21, 0x10000, v22
	v_cmp_eq_u32_sdwa vcc, v22, v3 src0_sel:WORD_0 src1_sel:DWORD
	s_nop 1
	v_cndmask_b32_e32 v21, v21, v22, vcc
; %bb.1730:                             ;   in Loop: Header=BB32_1618 Depth=2
	s_or_b64 exec, exec, s[44:45]
	v_add_co_u32_e32 v22, vcc, 0xfffffe00, v12
	v_and_b32_e32 v24, 0xffff0000, v37
	s_nop 0
	v_addc_co_u32_e32 v23, vcc, -1, v13, vcc
	v_lshlrev_b32_e32 v20, 16, v20
	flat_store_short_d16_hi v[22:23], v21 nt
	v_max_f32_e32 v21, v24, v24
	v_max_f32_e32 v20, v20, v20
	v_min_f32_e32 v22, v21, v20
	v_max_f32_e32 v20, v21, v20
	v_cndmask_b32_e64 v21, v20, v22, s[26:27]
	v_and_b32_e32 v20, 0x7f800000, v21
	v_cmp_ne_u32_e32 vcc, s85, v20
                                        ; implicit-def: $vgpr20
	s_and_saveexec_b64 s[44:45], vcc
	s_xor_b64 s[44:45], exec, s[44:45]
; %bb.1731:                             ;   in Loop: Header=BB32_1618 Depth=2
	v_bfe_u32 v20, v21, 16, 1
	v_add3_u32 v20, v21, v20, s86
                                        ; implicit-def: $vgpr21
; %bb.1732:                             ;   in Loop: Header=BB32_1618 Depth=2
	s_andn2_saveexec_b64 s[44:45], s[44:45]
; %bb.1733:                             ;   in Loop: Header=BB32_1618 Depth=2
	v_or_b32_e32 v20, 0x10000, v21
	v_cmp_eq_u32_sdwa vcc, v21, v3 src0_sel:WORD_0 src1_sel:DWORD
	s_nop 1
	v_cndmask_b32_e32 v20, v20, v21, vcc
; %bb.1734:                             ;   in Loop: Header=BB32_1618 Depth=2
	s_or_b64 exec, exec, s[44:45]
	v_add_co_u32_e32 v22, vcc, 0xfffffe80, v12
	v_and_b32_e32 v21, 0xffff0000, v36
	s_nop 0
	v_addc_co_u32_e32 v23, vcc, -1, v13, vcc
	v_lshlrev_b32_e32 v19, 16, v19
	flat_store_short_d16_hi v[22:23], v20 nt
	v_max_f32_e32 v20, v21, v21
	v_max_f32_e32 v19, v19, v19
	v_min_f32_e32 v21, v20, v19
	v_max_f32_e32 v19, v20, v19
	v_cndmask_b32_e64 v20, v19, v21, s[26:27]
	v_and_b32_e32 v19, 0x7f800000, v20
	v_cmp_ne_u32_e32 vcc, s85, v19
                                        ; implicit-def: $vgpr19
	s_and_saveexec_b64 s[44:45], vcc
	s_xor_b64 s[44:45], exec, s[44:45]
; %bb.1735:                             ;   in Loop: Header=BB32_1618 Depth=2
	v_bfe_u32 v19, v20, 16, 1
	v_add3_u32 v19, v20, v19, s86
                                        ; implicit-def: $vgpr20
; %bb.1736:                             ;   in Loop: Header=BB32_1618 Depth=2
	s_andn2_saveexec_b64 s[44:45], s[44:45]
; %bb.1737:                             ;   in Loop: Header=BB32_1618 Depth=2
	v_or_b32_e32 v19, 0x10000, v20
	v_cmp_eq_u32_sdwa vcc, v20, v3 src0_sel:WORD_0 src1_sel:DWORD
	s_nop 1
	v_cndmask_b32_e32 v19, v19, v20, vcc
; %bb.1738:                             ;   in Loop: Header=BB32_1618 Depth=2
	s_or_b64 exec, exec, s[44:45]
	v_add_co_u32_e32 v20, vcc, 0xffffff00, v12
	v_and_b32_e32 v22, 0xffff0000, v35
	s_nop 0
	v_addc_co_u32_e32 v21, vcc, -1, v13, vcc
	v_lshlrev_b32_e32 v18, 16, v18
	flat_store_short_d16_hi v[20:21], v19 nt
	v_max_f32_e32 v19, v22, v22
	v_max_f32_e32 v18, v18, v18
	v_min_f32_e32 v20, v19, v18
	v_max_f32_e32 v18, v19, v18
	v_cndmask_b32_e64 v19, v18, v20, s[26:27]
	v_and_b32_e32 v18, 0x7f800000, v19
	v_cmp_ne_u32_e32 vcc, s85, v18
                                        ; implicit-def: $vgpr18
	s_and_saveexec_b64 s[44:45], vcc
	s_xor_b64 s[44:45], exec, s[44:45]
; %bb.1739:                             ;   in Loop: Header=BB32_1618 Depth=2
	v_bfe_u32 v18, v19, 16, 1
	v_add3_u32 v18, v19, v18, s86
                                        ; implicit-def: $vgpr19
; %bb.1740:                             ;   in Loop: Header=BB32_1618 Depth=2
	s_andn2_saveexec_b64 s[44:45], s[44:45]
; %bb.1741:                             ;   in Loop: Header=BB32_1618 Depth=2
	v_or_b32_e32 v18, 0x10000, v19
	v_cmp_eq_u32_sdwa vcc, v19, v3 src0_sel:WORD_0 src1_sel:DWORD
	s_nop 1
	v_cndmask_b32_e32 v18, v18, v19, vcc
; %bb.1742:                             ;   in Loop: Header=BB32_1618 Depth=2
	s_or_b64 exec, exec, s[44:45]
	v_add_co_u32_e32 v20, vcc, 0xffffff80, v12
	v_and_b32_e32 v19, 0xffff0000, v34
	s_nop 0
	v_addc_co_u32_e32 v21, vcc, -1, v13, vcc
	v_lshlrev_b32_e32 v17, 16, v17
	flat_store_short_d16_hi v[20:21], v18 nt
	v_max_f32_e32 v18, v19, v19
	v_max_f32_e32 v17, v17, v17
	v_min_f32_e32 v19, v18, v17
	v_max_f32_e32 v17, v18, v17
	v_cndmask_b32_e64 v17, v17, v19, s[26:27]
	v_and_b32_e32 v18, 0x7f800000, v17
	v_cmp_ne_u32_e32 vcc, s85, v18
                                        ; implicit-def: $vgpr18
	s_and_saveexec_b64 s[44:45], vcc
	s_xor_b64 s[44:45], exec, s[44:45]
; %bb.1743:                             ;   in Loop: Header=BB32_1618 Depth=2
	v_bfe_u32 v18, v17, 16, 1
	v_add3_u32 v18, v17, v18, s86
                                        ; implicit-def: $vgpr17
; %bb.1744:                             ;   in Loop: Header=BB32_1618 Depth=2
	s_andn2_saveexec_b64 s[44:45], s[44:45]
	s_cbranch_execz .LBB32_1617
; %bb.1745:                             ;   in Loop: Header=BB32_1618 Depth=2
	v_or_b32_e32 v18, 0x10000, v17
	v_cmp_eq_u32_sdwa vcc, v17, v3 src0_sel:WORD_0 src1_sel:DWORD
	s_nop 1
	v_cndmask_b32_e32 v18, v18, v17, vcc
	s_branch .LBB32_1617
.LBB32_1746:                            ;   in Loop: Header=BB32_47 Depth=1
	s_or_b64 exec, exec, s[42:43]
	scratch_load_dword v100, off, s33 offset:252 ; 4-byte Folded Reload
	scratch_load_dwordx2 v[98:99], off, s33 offset:228 ; 8-byte Folded Reload
	v_mov_b64_e32 v[102:103], v[58:59]
	v_mov_b32_e32 v80, v118
.LBB32_1747:                            ;   in Loop: Header=BB32_47 Depth=1
	s_or_b64 exec, exec, s[40:41]
	v_lshlrev_b32_e32 v4, 11, v16
	v_cmp_ne_u32_e32 vcc, v2, v4
	s_and_b64 exec, exec, vcc
	s_cbranch_execz .LBB32_1755
; %bb.1748:                             ;   in Loop: Header=BB32_47 Depth=1
	v_lshlrev_b32_e32 v0, 6, v0
	v_sub_u32_e32 v0, v14, v0
	v_lshlrev_b32_e32 v5, 6, v15
	v_sub_u32_e32 v0, v0, v5
	v_ashrrev_i32_e32 v5, 31, v0
	v_lshrrev_b32_e32 v5, 26, v5
	v_add_u32_e32 v5, v0, v5
	v_and_b32_e32 v8, 0x7fffffc0, v5
	v_sub_u32_e32 v0, v0, v8
	v_lshlrev_b32_e32 v5, 1, v5
	v_and_b32_e32 v5, 0xffffff80, v5
	v_lshlrev_b32_e32 v0, 1, v0
	v_add3_u32 v4, v5, v0, v4
	v_sub_u32_e32 v0, v2, v4
	v_cmp_lt_i32_e32 vcc, 1, v0
	s_and_b64 exec, exec, vcc
	s_cbranch_execz .LBB32_1755
; %bb.1749:                             ;   in Loop: Header=BB32_47 Depth=1
	s_trap 2
	ds_read_b64 v[10:11], v0
	v_add_u32_e32 v4, v4, v1
	s_and_b32 s76, s97, 1
	v_ashrrev_i32_e32 v5, 31, v4
	s_cmp_eq_u64 s[76:77], 0
	v_lshl_add_u64 v[8:9], v[4:5], 0, v[96:97]
	s_waitcnt lgkmcnt(0)
	v_lshl_add_u64 v[10:11], v[10:11], 0, v[4:5]
	s_mov_b64 s[40:41], 0
	s_cselect_b64 vcc, -1, 0
	s_branch .LBB32_1751
.LBB32_1750:                            ;   in Loop: Header=BB32_1751 Depth=2
	s_or_b64 exec, exec, s[42:43]
	v_and_b32_e32 v2, 0xffff0000, v12
	v_lshlrev_b32_e32 v1, 16, v1
	v_max_f32_e32 v2, v2, v2
	v_max_f32_e32 v1, v1, v1
	v_min_f32_e32 v12, v2, v1
	v_max_f32_e32 v1, v2, v1
	v_cndmask_b32_e32 v1, v1, v12, vcc
	v_and_b32_e32 v2, 0x7f800000, v1
	v_bfe_u32 v12, v1, 16, 1
	v_or_b32_e32 v13, 0x10000, v1
	v_cmp_eq_u32_sdwa s[26:27], v1, v3 src0_sel:WORD_0 src1_sel:DWORD
	v_add3_u32 v12, v1, v12, s86
	v_sub_u32_e32 v0, v0, v88
	v_cndmask_b32_e64 v1, v13, v1, s[26:27]
	v_cmp_eq_u32_e64 s[26:27], s85, v2
	v_lshl_add_u64 v[14:15], v[86:87], 0, v[4:5]
	v_lshl_add_u64 v[8:9], v[8:9], 0, v[88:89]
	v_cndmask_b32_e64 v1, v12, v1, s[26:27]
	v_cmp_gt_i32_e64 s[26:27], 2, v0
	v_lshl_add_u64 v[10:11], v[10:11], 0, v[88:89]
	s_or_b64 s[40:41], s[26:27], s[40:41]
	v_lshl_add_u64 v[4:5], v[4:5], 0, v[88:89]
	flat_store_short_d16_hi v[14:15], v1 nt
	s_andn2_b64 exec, exec, s[40:41]
	s_cbranch_execz .LBB32_1755
.LBB32_1751:                            ;   Parent Loop BB32_47 Depth=1
                                        ; =>  This Inner Loop Header: Depth=2
	flat_load_ushort v2, v[10:11] nt
	flat_load_ushort v12, v[8:9] nt
	;; [unrolled: 1-line block ×3, first 2 shown]
	s_waitcnt vmcnt(0) lgkmcnt(0)
	v_lshlrev_b32_e32 v2, 16, v2
	v_lshlrev_b32_e32 v12, 16, v12
	v_max_f32_e32 v2, v2, v2
	v_max_f32_e32 v12, v12, v12
	v_min_f32_e32 v13, v12, v2
	v_max_f32_e32 v2, v12, v2
	v_cndmask_b32_e32 v2, v2, v13, vcc
	v_and_b32_e32 v12, 0x7f800000, v2
	v_cmp_ne_u32_e64 s[26:27], s85, v12
                                        ; implicit-def: $vgpr12
	s_and_saveexec_b64 s[42:43], s[26:27]
	s_xor_b64 s[26:27], exec, s[42:43]
; %bb.1752:                             ;   in Loop: Header=BB32_1751 Depth=2
	v_bfe_u32 v12, v2, 16, 1
	v_add3_u32 v12, v2, v12, s86
                                        ; implicit-def: $vgpr2
; %bb.1753:                             ;   in Loop: Header=BB32_1751 Depth=2
	s_andn2_saveexec_b64 s[42:43], s[26:27]
	s_cbranch_execz .LBB32_1750
; %bb.1754:                             ;   in Loop: Header=BB32_1751 Depth=2
	v_or_b32_e32 v12, 0x10000, v2
	v_cmp_eq_u32_sdwa s[26:27], v2, v3 src0_sel:WORD_0 src1_sel:DWORD
	s_nop 1
	v_cndmask_b32_e64 v12, v12, v2, s[26:27]
	s_branch .LBB32_1750
.LBB32_1755:                            ;   in Loop: Header=BB32_47 Depth=1
	s_or_b64 exec, exec, s[28:29]
	v_cmp_lt_i32_e64 s[26:27], 0, v85
	scratch_load_dwordx2 v[86:87], off, s33 offset:212 ; 8-byte Folded Reload
	s_and_saveexec_b64 s[28:29], s[6:7]
	s_cbranch_execz .LBB32_847
.LBB32_1756:                            ;   in Loop: Header=BB32_47 Depth=1
	s_and_saveexec_b64 s[40:41], s[78:79]
	s_xor_b64 s[40:41], exec, s[40:41]
	s_cbranch_execz .LBB32_1771
; %bb.1757:                             ;   in Loop: Header=BB32_47 Depth=1
	s_and_saveexec_b64 s[42:43], s[14:15]
	s_cbranch_execz .LBB32_1770
; %bb.1758:                             ;   in Loop: Header=BB32_47 Depth=1
	s_mov_b64 s[46:47], exec
	v_mbcnt_lo_u32_b32 v0, s46, 0
	v_mbcnt_hi_u32_b32 v0, s47, v0
	v_cmp_eq_u32_e32 vcc, 0, v0
	s_waitcnt lgkmcnt(0)
	s_and_saveexec_b64 s[44:45], vcc
	s_cbranch_execz .LBB32_1760
; %bb.1759:                             ;   in Loop: Header=BB32_47 Depth=1
	s_bcnt1_i32_b64 s46, s[46:47]
	s_waitcnt vmcnt(0)
	v_mov_b32_e32 v2, s46
	ds_add_u64 v0, v[2:3]
	s_trap 2
.LBB32_1760:                            ;   in Loop: Header=BB32_47 Depth=1
	s_or_b64 exec, exec, s[44:45]
	s_trap 2
	ds_read_b64 v[0:1], v0
	s_waitcnt lgkmcnt(0)
	v_lshl_add_u64 v[46:47], v[46:47], 0, v[60:61]
	v_cmp_lt_u64_e32 vcc, v[0:1], v[46:47]
	s_and_saveexec_b64 s[44:45], vcc
	s_cbranch_execz .LBB32_1769
; %bb.1761:                             ;   in Loop: Header=BB32_47 Depth=1
	s_mov_b32 s76, 0
	s_mov_b64 s[46:47], 0
                                        ; implicit-def: $sgpr56_sgpr57
                                        ; implicit-def: $sgpr58_sgpr59
	s_branch .LBB32_1763
.LBB32_1762:                            ;   in Loop: Header=BB32_1763 Depth=2
	s_or_b64 exec, exec, s[62:63]
	s_and_b64 s[60:61], exec, vcc
	s_or_b64 s[46:47], s[60:61], s[46:47]
	s_andn2_b64 s[56:57], s[56:57], exec
	s_and_b64 s[60:61], s[58:59], exec
	s_or_b64 s[56:57], s[56:57], s[60:61]
	s_andn2_b64 exec, exec, s[46:47]
	s_cbranch_execz .LBB32_1767
.LBB32_1763:                            ;   Parent Loop BB32_47 Depth=1
                                        ; =>  This Inner Loop Header: Depth=2
	s_add_i32 s76, s76, 1
	s_cmpk_lg_i32 s76, 0x2710
	s_cselect_b64 s[60:61], -1, 0
	s_and_b64 vcc, exec, s[60:61]
	s_cbranch_vccz .LBB32_1765
; %bb.1764:                             ;   in Loop: Header=BB32_1763 Depth=2
	s_mov_b64 vcc, -1
	s_or_b64 s[58:59], s[58:59], exec
	s_and_saveexec_b64 s[62:63], s[60:61]
	s_cbranch_execz .LBB32_1762
	s_branch .LBB32_1766
.LBB32_1765:                            ;   in Loop: Header=BB32_1763 Depth=2
	s_trap 2
	ds_read_b64 v[0:1], v0
	s_andn2_b64 s[60:61], s[60:61], exec
	s_mov_b32 s76, 0
	s_waitcnt vmcnt(0) lgkmcnt(0)
	flat_load_dword v0, v[0:1] sc0 sc1
	s_waitcnt vmcnt(0) lgkmcnt(0)
	buffer_inv sc0 sc1
	v_cmp_eq_u32_e32 vcc, 0, v0
	s_and_b64 s[62:63], vcc, exec
	s_or_b64 s[60:61], s[60:61], s[62:63]
	s_mov_b64 vcc, -1
	s_or_b64 s[58:59], s[58:59], exec
	s_and_saveexec_b64 s[62:63], s[60:61]
	s_cbranch_execz .LBB32_1762
.LBB32_1766:                            ;   in Loop: Header=BB32_1763 Depth=2
	s_sleep 1
	s_trap 2
	ds_read_b64 v[0:1], v0
	s_waitcnt lgkmcnt(0)
	s_andn2_b64 s[58:59], s[58:59], exec
	v_cmp_ge_u64_e32 vcc, v[0:1], v[46:47]
	s_orn2_b64 vcc, vcc, exec
	s_branch .LBB32_1762
.LBB32_1767:                            ;   in Loop: Header=BB32_47 Depth=1
	s_or_b64 exec, exec, s[46:47]
	s_and_saveexec_b64 s[46:47], s[56:57]
	s_xor_b64 s[46:47], exec, s[46:47]
	s_cbranch_execz .LBB32_1769
; %bb.1768:                             ;   in Loop: Header=BB32_47 Depth=1
	ds_write_b32 v0, v31
	s_trap 2
.LBB32_1769:                            ;   in Loop: Header=BB32_47 Depth=1
	s_or_b64 exec, exec, s[44:45]
	;;#ASMSTART
	s_wakeup
	;;#ASMEND
.LBB32_1770:                            ;   in Loop: Header=BB32_47 Depth=1
	s_or_b64 exec, exec, s[42:43]
.LBB32_1771:                            ;   in Loop: Header=BB32_47 Depth=1
	s_andn2_saveexec_b64 s[40:41], s[40:41]
	s_cbranch_execz .LBB32_1773
; %bb.1772:                             ;   in Loop: Header=BB32_47 Depth=1
	s_waitcnt lgkmcnt(0)
	s_barrier
.LBB32_1773:                            ;   in Loop: Header=BB32_47 Depth=1
	s_or_b64 exec, exec, s[40:41]
	s_or_b64 exec, exec, s[28:29]
                                        ; implicit-def: $vgpr0
	s_and_saveexec_b64 s[28:29], s[22:23]
	s_xor_b64 s[28:29], exec, s[28:29]
	s_cbranch_execnz .LBB32_848
.LBB32_1774:                            ;   in Loop: Header=BB32_47 Depth=1
	s_andn2_saveexec_b64 s[26:27], s[28:29]
	s_cbranch_execz .LBB32_1793
.LBB32_1775:                            ;   in Loop: Header=BB32_47 Depth=1
	s_and_saveexec_b64 s[28:29], s[78:79]
	s_xor_b64 s[28:29], exec, s[28:29]
	s_cbranch_execz .LBB32_1790
; %bb.1776:                             ;   in Loop: Header=BB32_47 Depth=1
	s_and_saveexec_b64 s[40:41], s[14:15]
	s_cbranch_execz .LBB32_1789
; %bb.1777:                             ;   in Loop: Header=BB32_47 Depth=1
	s_mov_b64 s[44:45], exec
	v_mbcnt_lo_u32_b32 v0, s44, 0
	v_mbcnt_hi_u32_b32 v0, s45, v0
	v_cmp_eq_u32_e32 vcc, 0, v0
	;;#ASMSTART
	s_waitcnt lgkmcnt(0) vmcnt(0)
	;;#ASMEND
	s_and_saveexec_b64 s[42:43], vcc
	s_cbranch_execz .LBB32_1779
; %bb.1778:                             ;   in Loop: Header=BB32_47 Depth=1
	s_bcnt1_i32_b64 s44, s[44:45]
	s_waitcnt vmcnt(0)
	v_mov_b32_e32 v2, s44
	s_waitcnt lgkmcnt(0)
	ds_add_u64 v0, v[2:3]
	s_trap 2
.LBB32_1779:                            ;   in Loop: Header=BB32_47 Depth=1
	s_or_b64 exec, exec, s[42:43]
	s_trap 2
	ds_read_b64 v[0:1], v0
	s_waitcnt lgkmcnt(0)
	v_lshl_add_u64 v[46:47], v[46:47], 0, v[60:61]
	v_cmp_lt_u64_e32 vcc, v[0:1], v[46:47]
	s_and_saveexec_b64 s[42:43], vcc
	s_cbranch_execz .LBB32_1788
; %bb.1780:                             ;   in Loop: Header=BB32_47 Depth=1
	s_mov_b32 s76, 0
	s_mov_b64 s[44:45], 0
                                        ; implicit-def: $sgpr46_sgpr47
                                        ; implicit-def: $sgpr56_sgpr57
	s_branch .LBB32_1782
.LBB32_1781:                            ;   in Loop: Header=BB32_1782 Depth=2
	s_or_b64 exec, exec, s[60:61]
	s_and_b64 s[58:59], exec, s[62:63]
	s_or_b64 s[44:45], s[58:59], s[44:45]
	s_andn2_b64 s[46:47], s[46:47], exec
	s_and_b64 s[58:59], s[56:57], exec
	s_or_b64 s[46:47], s[46:47], s[58:59]
	s_andn2_b64 exec, exec, s[44:45]
	s_cbranch_execz .LBB32_1786
.LBB32_1782:                            ;   Parent Loop BB32_47 Depth=1
                                        ; =>  This Inner Loop Header: Depth=2
	s_add_i32 s76, s76, 1
	s_cmpk_lg_i32 s76, 0x2710
	s_cselect_b64 s[58:59], -1, 0
	s_and_b64 vcc, exec, s[58:59]
	s_cbranch_vccz .LBB32_1784
; %bb.1783:                             ;   in Loop: Header=BB32_1782 Depth=2
	s_mov_b64 s[62:63], -1
	s_or_b64 s[56:57], s[56:57], exec
	s_and_saveexec_b64 s[60:61], s[58:59]
	s_cbranch_execz .LBB32_1781
	s_branch .LBB32_1785
.LBB32_1784:                            ;   in Loop: Header=BB32_1782 Depth=2
	s_trap 2
	ds_read_b64 v[0:1], v0
	s_andn2_b64 s[58:59], s[58:59], exec
	s_mov_b32 s76, 0
	s_waitcnt vmcnt(0) lgkmcnt(0)
	flat_load_dword v0, v[0:1] sc0 sc1
	s_waitcnt vmcnt(0) lgkmcnt(0)
	buffer_inv sc0 sc1
	v_cmp_eq_u32_e32 vcc, 0, v0
	s_and_b64 s[60:61], vcc, exec
	s_or_b64 s[58:59], s[58:59], s[60:61]
	s_mov_b64 s[62:63], -1
	s_or_b64 s[56:57], s[56:57], exec
	s_and_saveexec_b64 s[60:61], s[58:59]
	s_cbranch_execz .LBB32_1781
.LBB32_1785:                            ;   in Loop: Header=BB32_1782 Depth=2
	s_sleep 1
	s_trap 2
	ds_read_b64 v[0:1], v0
	s_waitcnt lgkmcnt(0)
	s_andn2_b64 s[56:57], s[56:57], exec
	v_cmp_ge_u64_e32 vcc, v[0:1], v[46:47]
	s_orn2_b64 s[62:63], vcc, exec
	s_branch .LBB32_1781
.LBB32_1786:                            ;   in Loop: Header=BB32_47 Depth=1
	s_or_b64 exec, exec, s[44:45]
	s_and_saveexec_b64 s[44:45], s[46:47]
	s_xor_b64 s[44:45], exec, s[44:45]
	s_cbranch_execz .LBB32_1788
; %bb.1787:                             ;   in Loop: Header=BB32_47 Depth=1
	ds_write_b32 v0, v31
	s_trap 2
.LBB32_1788:                            ;   in Loop: Header=BB32_47 Depth=1
	s_or_b64 exec, exec, s[42:43]
	;;#ASMSTART
	s_wakeup
	;;#ASMEND
.LBB32_1789:                            ;   in Loop: Header=BB32_47 Depth=1
	s_or_b64 exec, exec, s[40:41]
.LBB32_1790:                            ;   in Loop: Header=BB32_47 Depth=1
	s_andn2_saveexec_b64 s[28:29], s[28:29]
	s_cbranch_execz .LBB32_1792
; %bb.1791:                             ;   in Loop: Header=BB32_47 Depth=1
	;;#ASMSTART
	s_waitcnt lgkmcnt(0) vmcnt(0)
	;;#ASMEND
	s_barrier
.LBB32_1792:                            ;   in Loop: Header=BB32_47 Depth=1
	s_or_b64 exec, exec, s[28:29]
	v_and_b32_e32 v0, 16, v126
.LBB32_1793:                            ;   in Loop: Header=BB32_47 Depth=1
	s_or_b64 exec, exec, s[26:27]
	v_cmp_ne_u32_e32 vcc, 0, v0
	s_xor_b64 s[26:27], s[10:11], -1
	s_and_b64 s[28:29], vcc, s[26:27]
	s_and_saveexec_b64 s[26:27], s[28:29]
	s_cbranch_execz .LBB32_1795
; %bb.1794:                             ;   in Loop: Header=BB32_47 Depth=1
	flat_store_dword v[44:45], v31 sc0 sc1
.LBB32_1795:                            ;   in Loop: Header=BB32_47 Depth=1
	s_or_b64 exec, exec, s[26:27]
	v_and_b32_e32 v0, 48, v126
	v_cmp_ne_u32_e32 vcc, 0, v0
	s_and_saveexec_b64 s[26:27], vcc
	s_cbranch_execz .LBB32_1797
; %bb.1796:                             ;   in Loop: Header=BB32_47 Depth=1
	v_lshl_add_u64 v[116:117], v[116:117], 0, 4
	flat_store_dwordx2 v[40:41], v[116:117] sc0 sc1
.LBB32_1797:                            ;   in Loop: Header=BB32_47 Depth=1
	s_or_b64 exec, exec, s[26:27]
	v_mov_b32_e32 v0, v84
	s_or_b64 exec, exec, s[48:49]
	s_and_saveexec_b64 s[28:29], s[38:39]
	s_cbranch_execnz .LBB32_715
.LBB32_1798:                            ;   in Loop: Header=BB32_47 Depth=1
	s_or_b64 exec, exec, s[28:29]
	scratch_load_dwordx2 v[84:85], off, s33 offset:200 ; 8-byte Folded Reload
	s_and_b64 vcc, exec, s[24:25]
	s_cbranch_vccnz .LBB32_2563
.LBB32_1799:                            ;   in Loop: Header=BB32_47 Depth=1
	s_mov_b32 s54, 1
.LBB32_1800:                            ;   Parent Loop BB32_47 Depth=1
                                        ; =>  This Loop Header: Depth=2
                                        ;       Child Loop BB32_1813 Depth 3
                                        ;       Child Loop BB32_1853 Depth 3
	;; [unrolled: 1-line block ×9, first 2 shown]
                                        ;         Child Loop BB32_2093 Depth 4
                                        ;       Child Loop BB32_2101 Depth 3
                                        ;       Child Loop BB32_2169 Depth 3
                                        ;         Child Loop BB32_2170 Depth 4
                                        ;       Child Loop BB32_2526 Depth 3
                                        ;       Child Loop BB32_2545 Depth 3
	;; [unrolled: 1-line block ×5, first 2 shown]
	s_sub_i32 s24, s68, s54
	s_cmp_ge_i32 s24, s64
	s_cselect_b32 s25, s64, 0
	s_sub_i32 s24, s24, s25
	s_ashr_i32 s25, s24, 31
	v_mul_lo_u32 v0, v124, s25
	v_mul_lo_u32 v1, v125, s24
	v_mad_u64_u32 v[4:5], s[24:25], v124, s24, 0
	v_add3_u32 v5, v5, v0, v1
	v_sub_co_u32_e32 v0, vcc, v104, v4
	s_nop 1
	v_subb_co_u32_e32 v1, vcc, v105, v5, vcc
	v_cmp_lt_i64_e32 vcc, v[124:125], v[0:1]
	s_nop 1
	v_cndmask_b32_e32 v0, v0, v124, vcc
	v_max_i32_e32 v59, 0, v0
	v_add_u32_e32 v1, 15, v59
	s_waitcnt vmcnt(0)
	v_ashrrev_i32_e32 v2, 31, v1
	v_lshrrev_b32_e32 v2, 28, v2
	v_add_u32_e32 v1, v1, v2
	v_cmp_gt_i32_e32 vcc, 1, v0
	v_and_b32_e32 v1, -16, v1
	s_or_b64 s[62:63], s[2:3], vcc
	v_max_i32_e32 v106, s71, v1
	s_xor_b64 s[24:25], s[62:63], -1
	v_mov_b32_e32 v0, 0
	s_and_saveexec_b64 s[38:39], s[24:25]
	s_cbranch_execz .LBB32_1806
; %bb.1801:                             ;   in Loop: Header=BB32_1800 Depth=2
	s_and_saveexec_b64 s[24:25], s[0:1]
	s_cbranch_execz .LBB32_1803
; %bb.1802:                             ;   in Loop: Header=BB32_1800 Depth=2
	s_trap 2
	ds_read_b128 v[8:11], v0
	v_lshl_add_u64 v[0:1], v[4:5], 0, v[74:75]
	v_lshlrev_b64 v[0:1], 1, v[0:1]
	s_waitcnt lgkmcnt(0)
	v_lshl_add_u64 v[4:5], v[8:9], 0, v[0:1]
	v_lshl_add_u64 v[0:1], v[10:11], 0, v[0:1]
	v_cmp_ne_u64_e32 vcc, 0, v[10:11]
	ds_write_b64 v0, v[4:5]
	s_nop 0
	v_cndmask_b32_e32 v1, 0, v1, vcc
	v_cndmask_b32_e32 v0, 0, v0, vcc
	ds_write_b64 v0, v[0:1]
.LBB32_1803:                            ;   in Loop: Header=BB32_1800 Depth=2
	s_or_b64 exec, exec, s[24:25]
	v_and_b32_e32 v0, 12, v126
	v_min_i32_e32 v106, v106, v59
	v_cmp_ne_u32_e32 vcc, 0, v0
	s_and_saveexec_b64 s[26:27], vcc
	s_cbranch_execz .LBB32_1845
; %bb.1804:                             ;   in Loop: Header=BB32_1800 Depth=2
	v_and_b32_e32 v2, 8, v126
	s_waitcnt lgkmcnt(0)
	v_lshl_add_u64 v[0:1], v[56:57], 0, v[2:3]
	v_lshl_add_u64 v[4:5], v[116:117], 0, 4
	v_cmp_lt_u64_e32 vcc, v[0:1], v[4:5]
	s_and_saveexec_b64 s[28:29], vcc
	s_cbranch_execz .LBB32_1832
; %bb.1805:                             ;   in Loop: Header=BB32_1800 Depth=2
	v_and_b32_e32 v0, 64, v126
	s_mov_b32 s76, 0
	v_cmp_eq_u32_e32 vcc, 0, v0
	s_mov_b64 s[40:41], 0
                                        ; implicit-def: $sgpr42_sgpr43
                                        ; implicit-def: $sgpr44_sgpr45
                                        ; implicit-def: $sgpr46_sgpr47
	s_branch .LBB32_1813
.LBB32_1806:                            ;   in Loop: Header=BB32_1800 Depth=2
	s_or_b64 exec, exec, s[38:39]
	s_and_saveexec_b64 s[26:27], s[62:63]
	s_cbranch_execz .LBB32_2561
.LBB32_1807:                            ;   in Loop: Header=BB32_1800 Depth=2
	v_sub_u32_e32 v0, v59, v0
	v_min_i32_e32 v4, v106, v0
	v_and_b32_e32 v0, 12, v126
	v_cmp_ne_u32_e32 vcc, 0, v0
	s_and_saveexec_b64 s[28:29], vcc
	s_cbranch_execz .LBB32_1824
; %bb.1808:                             ;   in Loop: Header=BB32_1800 Depth=2
	v_and_b32_e32 v2, 8, v126
	s_waitcnt vmcnt(0) lgkmcnt(0)
	v_lshl_add_u64 v[0:1], v[56:57], 0, v[2:3]
	v_lshl_add_u64 v[8:9], v[116:117], 0, 4
	v_cmp_lt_u64_e32 vcc, v[0:1], v[8:9]
	s_and_saveexec_b64 s[40:41], vcc
	s_cbranch_execz .LBB32_1860
; %bb.1809:                             ;   in Loop: Header=BB32_1800 Depth=2
	v_and_b32_e32 v0, 64, v126
	s_mov_b32 s76, 0
	v_cmp_eq_u32_e32 vcc, 0, v0
	s_mov_b64 s[42:43], 0
                                        ; implicit-def: $sgpr44_sgpr45
                                        ; implicit-def: $sgpr46_sgpr47
                                        ; implicit-def: $sgpr56_sgpr57
	s_branch .LBB32_1820
.LBB32_1810:                            ;   in Loop: Header=BB32_1813 Depth=3
	s_waitcnt vmcnt(0) lgkmcnt(0)
	v_lshl_add_u64 v[8:9], v[56:57], 0, v[2:3]
	v_cmp_ge_u64_e64 s[24:25], v[8:9], v[4:5]
	s_or_b64 s[60:61], s[60:61], exec
	s_orn2_b64 s[58:59], s[24:25], exec
.LBB32_1811:                            ;   in Loop: Header=BB32_1813 Depth=3
	s_or_b64 exec, exec, s[50:51]
	s_andn2_b64 s[24:25], s[46:47], exec
	s_and_b64 s[46:47], s[60:61], exec
	s_or_b64 s[46:47], s[24:25], s[46:47]
	s_andn2_b64 s[24:25], s[44:45], exec
	s_and_b64 s[44:45], s[58:59], exec
	s_or_b64 s[44:45], s[24:25], s[44:45]
.LBB32_1812:                            ;   in Loop: Header=BB32_1813 Depth=3
	s_or_b64 exec, exec, s[56:57]
	s_and_b64 s[24:25], exec, s[44:45]
	s_or_b64 s[40:41], s[24:25], s[40:41]
	s_andn2_b64 s[24:25], s[42:43], exec
	s_and_b64 s[42:43], s[46:47], exec
	s_or_b64 s[42:43], s[24:25], s[42:43]
	s_andn2_b64 exec, exec, s[40:41]
	s_cbranch_execz .LBB32_1829
.LBB32_1813:                            ;   Parent Loop BB32_47 Depth=1
                                        ;     Parent Loop BB32_1800 Depth=2
                                        ; =>    This Inner Loop Header: Depth=3
	s_sleep 1
	s_waitcnt vmcnt(0) lgkmcnt(0)
	flat_load_dwordx2 v[56:57], v[40:41] sc0 sc1
	s_or_b64 s[46:47], s[46:47], exec
	s_or_b64 s[44:45], s[44:45], exec
                                        ; implicit-def: $vgpr0
	s_and_saveexec_b64 s[56:57], vcc
	s_cbranch_execz .LBB32_1812
; %bb.1814:                             ;   in Loop: Header=BB32_1813 Depth=3
	s_cmpk_lt_i32 s76, 0x270f
	s_cselect_b64 s[48:49], -1, 0
	s_cmpk_gt_i32 s76, 0x270e
	s_mov_b64 s[58:59], -1
	s_cbranch_scc0 .LBB32_1816
; %bb.1815:                             ;   in Loop: Header=BB32_1813 Depth=3
	s_trap 2
	ds_read_b64 v[0:1], v0
	s_andn2_b64 s[48:49], s[48:49], exec
	s_mov_b32 s76, 0
	s_mov_b64 s[60:61], 0
	s_waitcnt vmcnt(0) lgkmcnt(0)
	flat_load_dword v0, v[0:1] sc0 sc1
	s_waitcnt vmcnt(0) lgkmcnt(0)
	buffer_inv sc0 sc1
	v_cmp_eq_u32_e64 s[24:25], 0, v0
	s_and_b64 s[24:25], s[24:25], exec
	s_or_b64 s[48:49], s[48:49], s[24:25]
	s_and_saveexec_b64 s[50:51], s[48:49]
	s_cbranch_execz .LBB32_1811
	s_branch .LBB32_1810
.LBB32_1816:                            ;   in Loop: Header=BB32_1813 Depth=3
	s_add_i32 s76, s76, 1
	s_mov_b64 s[60:61], -1
                                        ; implicit-def: $vgpr0
	s_and_saveexec_b64 s[50:51], s[48:49]
	s_cbranch_execz .LBB32_1811
	s_branch .LBB32_1810
.LBB32_1817:                            ;   in Loop: Header=BB32_1820 Depth=3
	s_waitcnt vmcnt(0) lgkmcnt(0)
	v_lshl_add_u64 v[10:11], v[56:57], 0, v[2:3]
	v_cmp_ge_u64_e64 s[24:25], v[10:11], v[8:9]
	s_or_b64 s[62:63], s[62:63], exec
	s_orn2_b64 s[60:61], s[24:25], exec
.LBB32_1818:                            ;   in Loop: Header=BB32_1820 Depth=3
	s_or_b64 exec, exec, s[48:49]
	s_andn2_b64 s[24:25], s[56:57], exec
	s_and_b64 s[56:57], s[62:63], exec
	s_or_b64 s[56:57], s[24:25], s[56:57]
	s_andn2_b64 s[24:25], s[46:47], exec
	s_and_b64 s[46:47], s[60:61], exec
	s_or_b64 s[46:47], s[24:25], s[46:47]
.LBB32_1819:                            ;   in Loop: Header=BB32_1820 Depth=3
	s_or_b64 exec, exec, s[58:59]
	s_and_b64 s[24:25], exec, s[46:47]
	s_or_b64 s[42:43], s[24:25], s[42:43]
	s_andn2_b64 s[24:25], s[44:45], exec
	s_and_b64 s[44:45], s[56:57], exec
	s_or_b64 s[44:45], s[24:25], s[44:45]
	s_andn2_b64 exec, exec, s[42:43]
	s_cbranch_execz .LBB32_1857
.LBB32_1820:                            ;   Parent Loop BB32_47 Depth=1
                                        ;     Parent Loop BB32_1800 Depth=2
                                        ; =>    This Inner Loop Header: Depth=3
	s_sleep 1
	s_waitcnt vmcnt(0) lgkmcnt(0)
	flat_load_dwordx2 v[56:57], v[40:41] sc0 sc1
	s_or_b64 s[56:57], s[56:57], exec
	s_or_b64 s[46:47], s[46:47], exec
                                        ; implicit-def: $vgpr0
	s_and_saveexec_b64 s[58:59], vcc
	s_cbranch_execz .LBB32_1819
; %bb.1821:                             ;   in Loop: Header=BB32_1820 Depth=3
	s_cmpk_lt_i32 s76, 0x270f
	s_cselect_b64 s[38:39], -1, 0
	s_cmpk_gt_i32 s76, 0x270e
	s_mov_b64 s[60:61], -1
	s_cbranch_scc0 .LBB32_1823
; %bb.1822:                             ;   in Loop: Header=BB32_1820 Depth=3
	s_trap 2
	ds_read_b64 v[0:1], v0
	s_andn2_b64 s[38:39], s[38:39], exec
	s_mov_b32 s76, 0
	s_mov_b64 s[62:63], 0
	s_waitcnt vmcnt(0) lgkmcnt(0)
	flat_load_dword v0, v[0:1] sc0 sc1
	s_waitcnt vmcnt(0) lgkmcnt(0)
	buffer_inv sc0 sc1
	v_cmp_eq_u32_e64 s[24:25], 0, v0
	s_and_b64 s[24:25], s[24:25], exec
	s_or_b64 s[38:39], s[38:39], s[24:25]
	s_and_saveexec_b64 s[48:49], s[38:39]
	s_cbranch_execz .LBB32_1818
	s_branch .LBB32_1817
.LBB32_1823:                            ;   in Loop: Header=BB32_1820 Depth=3
	s_add_i32 s76, s76, 1
	s_mov_b64 s[62:63], -1
                                        ; implicit-def: $vgpr0
	s_and_saveexec_b64 s[48:49], s[38:39]
	s_cbranch_execz .LBB32_1818
	s_branch .LBB32_1817
.LBB32_1824:                            ;   in Loop: Header=BB32_1800 Depth=2
	s_or_b64 exec, exec, s[28:29]
	s_and_saveexec_b64 s[24:25], s[6:7]
	s_cbranch_execnz .LBB32_1873
.LBB32_1825:                            ;   in Loop: Header=BB32_1800 Depth=2
	s_or_b64 exec, exec, s[24:25]
                                        ; implicit-def: $vgpr0
	s_and_saveexec_b64 s[24:25], s[22:23]
	s_xor_b64 s[24:25], exec, s[24:25]
	s_cbranch_execz .LBB32_1910
.LBB32_1826:                            ;   in Loop: Header=BB32_1800 Depth=2
	s_trap 2
	ds_read_b32 v1, v0
	v_cmp_lt_i32_e32 vcc, 0, v4
	v_and_b32_e32 v2, 16, v126
	v_and_b32_e32 v0, 16, v126
	s_waitcnt lgkmcnt(0)
	v_readfirstlane_b32 s28, v1
	s_cmp_eq_u32 s28, 0
	s_cselect_b64 s[28:29], -1, 0
	s_and_b64 s[28:29], vcc, s[28:29]
	v_cmp_ne_u32_e32 vcc, 0, v2
	s_and_b64 s[40:41], vcc, s[28:29]
	s_and_saveexec_b64 s[28:29], s[40:41]
	s_cbranch_execz .LBB32_1828
; %bb.1827:                             ;   in Loop: Header=BB32_1800 Depth=2
	v_mov_b32_e32 v0, 1
	buffer_wbl2 sc1
	s_waitcnt vmcnt(0)
	buffer_inv sc1
.LBB32_1828:                            ;   in Loop: Header=BB32_1800 Depth=2
	s_or_b64 exec, exec, s[28:29]
	s_andn2_saveexec_b64 s[24:25], s[24:25]
	s_cbranch_execz .LBB32_2083
	s_branch .LBB32_1911
.LBB32_1829:                            ;   in Loop: Header=BB32_1800 Depth=2
	s_or_b64 exec, exec, s[40:41]
	s_xor_b64 s[24:25], s[42:43], -1
	s_and_saveexec_b64 s[40:41], s[24:25]
	s_xor_b64 s[24:25], exec, s[40:41]
	s_cbranch_execz .LBB32_1831
; %bb.1830:                             ;   in Loop: Header=BB32_1800 Depth=2
	v_or_b32_e32 v126, 64, v126
	s_waitcnt lgkmcnt(0)
	ds_write_b32 v0, v0
	s_trap 2
.LBB32_1831:                            ;   in Loop: Header=BB32_1800 Depth=2
	s_or_b64 exec, exec, s[24:25]
.LBB32_1832:                            ;   in Loop: Header=BB32_1800 Depth=2
	s_or_b64 exec, exec, s[28:29]
	v_and_b32_e32 v0, 0x108, v126
	v_cmp_ne_u32_e32 vcc, s84, v0
	;;#ASMSTART
	s_wakeup
	;;#ASMEND
                                        ; implicit-def: $vgpr8_vgpr9
	s_and_saveexec_b64 s[24:25], vcc
	s_xor_b64 s[24:25], exec, s[24:25]
; %bb.1833:                             ;   in Loop: Header=BB32_1800 Depth=2
	v_and_b32_e32 v8, 7, v116
	v_mov_b32_e32 v9, v3
                                        ; implicit-def: $vgpr116_vgpr117
; %bb.1834:                             ;   in Loop: Header=BB32_1800 Depth=2
	s_andn2_saveexec_b64 s[24:25], s[24:25]
	s_cbranch_execz .LBB32_1836
; %bb.1835:                             ;   in Loop: Header=BB32_1800 Depth=2
	v_and_b32_e32 v8, 7, v116
	v_ashrrev_i32_e32 v107, 31, v106
	v_mov_b32_e32 v9, v3
	v_mad_u64_u32 v[0:1], s[28:29], v8, 24, v[6:7]
	v_lshlrev_b64 v[10:11], 1, v[106:107]
	flat_store_dwordx2 v[0:1], v[10:11] offset:8
.LBB32_1836:                            ;   in Loop: Header=BB32_1800 Depth=2
	s_or_b64 exec, exec, s[24:25]
	v_and_b32_e32 v0, 0x100, v126
	v_cmp_ne_u32_e32 vcc, 0, v0
	s_mov_b64 s[24:25], -1
                                        ; implicit-def: $vgpr10_vgpr11
	s_and_saveexec_b64 s[28:29], vcc
	s_cbranch_execz .LBB32_1840
; %bb.1837:                             ;   in Loop: Header=BB32_1800 Depth=2
	v_mad_u64_u32 v[12:13], s[24:25], v8, 24, v[6:7]
	v_mov_b32_e32 v0, v13
	v_mad_u64_u32 v[0:1], s[24:25], v9, 24, v[0:1]
	v_mov_b32_e32 v13, v0
	flat_load_dword v0, v[12:13]
                                        ; implicit-def: $vgpr10_vgpr11
	s_waitcnt vmcnt(0) lgkmcnt(0)
	v_cmp_ne_u32_e32 vcc, 1, v0
	v_cmp_eq_u32_e64 s[24:25], 1, v0
	s_and_saveexec_b64 s[40:41], s[24:25]
	s_cbranch_execz .LBB32_1839
; %bb.1838:                             ;   in Loop: Header=BB32_1800 Depth=2
	flat_load_dword v0, v[12:13] offset:4 sc0 sc1
	s_waitcnt vmcnt(0) lgkmcnt(0)
	v_ashrrev_i32_e32 v1, 31, v0
	v_lshrrev_b64 v[10:11], 1, v[0:1]
.LBB32_1839:                            ;   in Loop: Header=BB32_1800 Depth=2
	s_or_b64 exec, exec, s[40:41]
	s_orn2_b64 s[24:25], vcc, exec
.LBB32_1840:                            ;   in Loop: Header=BB32_1800 Depth=2
	s_or_b64 exec, exec, s[28:29]
	s_and_saveexec_b64 s[28:29], s[24:25]
; %bb.1841:                             ;   in Loop: Header=BB32_1800 Depth=2
	v_mul_lo_u32 v0, v9, v30
	v_mul_lo_u32 v1, v8, v119
	v_mad_u64_u32 v[10:11], s[24:25], v8, v30, 0
	v_add3_u32 v11, v11, v1, v0
; %bb.1842:                             ;   in Loop: Header=BB32_1800 Depth=2
	s_or_b64 exec, exec, s[28:29]
	v_cmp_eq_u32_e32 vcc, 0, v2
	v_mov_b32_e32 v0, 0xd0
	v_mov_b32_e32 v1, 0x88
	v_cndmask_b32_e32 v2, v0, v1, vcc
	v_lshl_add_u64 v[0:1], v[10:11], 1, v[42:43]
	v_add_u32_e32 v2, v0, v2
	ds_write_b64 v2, v[0:1] offset:584
	v_and_b32_e32 v0, 0x2000, v126
	v_cmp_ne_u32_e32 vcc, 0, v0
	s_and_saveexec_b64 s[24:25], vcc
	s_cbranch_execz .LBB32_1844
; %bb.1843:                             ;   in Loop: Header=BB32_1800 Depth=2
	ds_read_b64 v[0:1], v0 offset:872
	s_waitcnt lgkmcnt(0)
	v_lshl_add_u64 v[0:1], v[0:1], 0, 1
	ds_write_b64 v0, v[0:1] offset:872
.LBB32_1844:                            ;   in Loop: Header=BB32_1800 Depth=2
	s_or_b64 exec, exec, s[24:25]
	v_mov_b64_e32 v[116:117], v[4:5]
.LBB32_1845:                            ;   in Loop: Header=BB32_1800 Depth=2
	s_or_b64 exec, exec, s[26:27]
	s_and_saveexec_b64 s[24:25], s[6:7]
	s_cbranch_execz .LBB32_1891
; %bb.1846:                             ;   in Loop: Header=BB32_1800 Depth=2
	s_and_saveexec_b64 s[26:27], s[78:79]
	s_xor_b64 s[26:27], exec, s[26:27]
	s_cbranch_execz .LBB32_1888
; %bb.1847:                             ;   in Loop: Header=BB32_1800 Depth=2
	s_and_saveexec_b64 s[28:29], s[14:15]
	s_cbranch_execz .LBB32_1887
; %bb.1848:                             ;   in Loop: Header=BB32_1800 Depth=2
	s_mov_b64 s[42:43], exec
	v_mbcnt_lo_u32_b32 v0, s42, 0
	v_mbcnt_hi_u32_b32 v0, s43, v0
	v_cmp_eq_u32_e32 vcc, 0, v0
	s_waitcnt lgkmcnt(0)
	s_and_saveexec_b64 s[40:41], vcc
	s_cbranch_execz .LBB32_1850
; %bb.1849:                             ;   in Loop: Header=BB32_1800 Depth=2
	s_bcnt1_i32_b64 s42, s[42:43]
	v_mov_b32_e32 v2, s42
	ds_add_u64 v0, v[2:3]
	s_trap 2
.LBB32_1850:                            ;   in Loop: Header=BB32_1800 Depth=2
	s_or_b64 exec, exec, s[40:41]
	s_trap 2
	ds_read_b64 v[0:1], v0
	s_waitcnt lgkmcnt(0)
	v_lshl_add_u64 v[46:47], v[46:47], 0, v[60:61]
	v_cmp_lt_u64_e32 vcc, v[0:1], v[46:47]
	s_and_saveexec_b64 s[40:41], vcc
	s_cbranch_execz .LBB32_1886
; %bb.1851:                             ;   in Loop: Header=BB32_1800 Depth=2
	s_mov_b32 s76, 0
	s_mov_b64 s[42:43], 0
                                        ; implicit-def: $sgpr44_sgpr45
                                        ; implicit-def: $sgpr46_sgpr47
	s_branch .LBB32_1853
.LBB32_1852:                            ;   in Loop: Header=BB32_1853 Depth=3
	s_or_b64 exec, exec, s[58:59]
	s_and_b64 s[56:57], exec, s[60:61]
	s_or_b64 s[42:43], s[56:57], s[42:43]
	s_andn2_b64 s[44:45], s[44:45], exec
	s_and_b64 s[56:57], s[46:47], exec
	s_or_b64 s[44:45], s[44:45], s[56:57]
	s_andn2_b64 exec, exec, s[42:43]
	s_cbranch_execz .LBB32_1884
.LBB32_1853:                            ;   Parent Loop BB32_47 Depth=1
                                        ;     Parent Loop BB32_1800 Depth=2
                                        ; =>    This Inner Loop Header: Depth=3
	s_add_i32 s76, s76, 1
	s_cmpk_lg_i32 s76, 0x2710
	s_cselect_b64 s[56:57], -1, 0
	s_and_b64 vcc, exec, s[56:57]
	s_cbranch_vccz .LBB32_1855
; %bb.1854:                             ;   in Loop: Header=BB32_1853 Depth=3
	s_mov_b64 s[60:61], -1
	s_or_b64 s[46:47], s[46:47], exec
	s_and_saveexec_b64 s[58:59], s[56:57]
	s_cbranch_execz .LBB32_1852
	s_branch .LBB32_1856
.LBB32_1855:                            ;   in Loop: Header=BB32_1853 Depth=3
	s_trap 2
	ds_read_b64 v[0:1], v0
	s_andn2_b64 s[56:57], s[56:57], exec
	s_mov_b32 s76, 0
	s_waitcnt vmcnt(0) lgkmcnt(0)
	flat_load_dword v0, v[0:1] sc0 sc1
	s_waitcnt vmcnt(0) lgkmcnt(0)
	buffer_inv sc0 sc1
	v_cmp_eq_u32_e32 vcc, 0, v0
	s_and_b64 s[58:59], vcc, exec
	s_or_b64 s[56:57], s[56:57], s[58:59]
	s_mov_b64 s[60:61], -1
	s_or_b64 s[46:47], s[46:47], exec
	s_and_saveexec_b64 s[58:59], s[56:57]
	s_cbranch_execz .LBB32_1852
.LBB32_1856:                            ;   in Loop: Header=BB32_1853 Depth=3
	s_sleep 1
	s_trap 2
	ds_read_b64 v[0:1], v0
	s_waitcnt lgkmcnt(0)
	s_andn2_b64 s[46:47], s[46:47], exec
	v_cmp_ge_u64_e32 vcc, v[0:1], v[46:47]
	s_orn2_b64 s[60:61], vcc, exec
	s_branch .LBB32_1852
.LBB32_1857:                            ;   in Loop: Header=BB32_1800 Depth=2
	s_or_b64 exec, exec, s[42:43]
	s_xor_b64 s[24:25], s[44:45], -1
	s_and_saveexec_b64 s[42:43], s[24:25]
	s_xor_b64 s[24:25], exec, s[42:43]
	s_cbranch_execz .LBB32_1859
; %bb.1858:                             ;   in Loop: Header=BB32_1800 Depth=2
	v_or_b32_e32 v126, 64, v126
	s_waitcnt lgkmcnt(0)
	ds_write_b32 v0, v0
	s_trap 2
.LBB32_1859:                            ;   in Loop: Header=BB32_1800 Depth=2
	s_or_b64 exec, exec, s[24:25]
.LBB32_1860:                            ;   in Loop: Header=BB32_1800 Depth=2
	s_or_b64 exec, exec, s[40:41]
	v_and_b32_e32 v0, 0x108, v126
	v_cmp_ne_u32_e32 vcc, s84, v0
	;;#ASMSTART
	s_wakeup
	;;#ASMEND
                                        ; implicit-def: $vgpr10_vgpr11
	s_and_saveexec_b64 s[24:25], vcc
	s_xor_b64 s[24:25], exec, s[24:25]
; %bb.1861:                             ;   in Loop: Header=BB32_1800 Depth=2
	v_and_b32_e32 v10, 7, v116
	v_mov_b32_e32 v11, v3
                                        ; implicit-def: $vgpr116_vgpr117
; %bb.1862:                             ;   in Loop: Header=BB32_1800 Depth=2
	s_andn2_saveexec_b64 s[24:25], s[24:25]
	s_cbranch_execz .LBB32_1864
; %bb.1863:                             ;   in Loop: Header=BB32_1800 Depth=2
	v_and_b32_e32 v10, 7, v116
	v_ashrrev_i32_e32 v5, 31, v4
	v_mov_b32_e32 v11, v3
	v_mad_u64_u32 v[0:1], s[40:41], v10, 24, v[6:7]
	v_lshlrev_b64 v[12:13], 1, v[4:5]
	flat_store_dwordx2 v[0:1], v[12:13] offset:8
.LBB32_1864:                            ;   in Loop: Header=BB32_1800 Depth=2
	s_or_b64 exec, exec, s[24:25]
	v_and_b32_e32 v0, 0x100, v126
	v_cmp_ne_u32_e32 vcc, 0, v0
	s_mov_b64 s[24:25], -1
                                        ; implicit-def: $vgpr12_vgpr13
	s_and_saveexec_b64 s[40:41], vcc
	s_cbranch_execz .LBB32_1868
; %bb.1865:                             ;   in Loop: Header=BB32_1800 Depth=2
	v_mad_u64_u32 v[14:15], s[24:25], v10, 24, v[6:7]
	v_mov_b32_e32 v0, v15
	v_mad_u64_u32 v[0:1], s[24:25], v11, 24, v[0:1]
	v_mov_b32_e32 v15, v0
	flat_load_dword v0, v[14:15]
                                        ; implicit-def: $vgpr12_vgpr13
	s_waitcnt vmcnt(0) lgkmcnt(0)
	v_cmp_ne_u32_e32 vcc, 1, v0
	v_cmp_eq_u32_e64 s[24:25], 1, v0
	s_and_saveexec_b64 s[42:43], s[24:25]
	s_cbranch_execz .LBB32_1867
; %bb.1866:                             ;   in Loop: Header=BB32_1800 Depth=2
	flat_load_dword v0, v[14:15] offset:4 sc0 sc1
	s_waitcnt vmcnt(0) lgkmcnt(0)
	v_ashrrev_i32_e32 v1, 31, v0
	v_lshrrev_b64 v[12:13], 1, v[0:1]
.LBB32_1867:                            ;   in Loop: Header=BB32_1800 Depth=2
	s_or_b64 exec, exec, s[42:43]
	s_orn2_b64 s[24:25], vcc, exec
.LBB32_1868:                            ;   in Loop: Header=BB32_1800 Depth=2
	s_or_b64 exec, exec, s[40:41]
	s_and_saveexec_b64 s[40:41], s[24:25]
; %bb.1869:                             ;   in Loop: Header=BB32_1800 Depth=2
	v_mul_lo_u32 v0, v11, v30
	v_mul_lo_u32 v1, v10, v119
	v_mad_u64_u32 v[12:13], s[24:25], v10, v30, 0
	v_add3_u32 v13, v13, v1, v0
; %bb.1870:                             ;   in Loop: Header=BB32_1800 Depth=2
	s_or_b64 exec, exec, s[40:41]
	v_cmp_eq_u32_e32 vcc, 0, v2
	v_mov_b32_e32 v0, 0xd0
	v_mov_b32_e32 v1, 0x88
	v_cndmask_b32_e32 v2, v0, v1, vcc
	v_lshl_add_u64 v[0:1], v[12:13], 1, v[42:43]
	v_add_u32_e32 v2, v0, v2
	ds_write_b64 v2, v[0:1] offset:584
	v_and_b32_e32 v0, 0x2000, v126
	v_cmp_ne_u32_e32 vcc, 0, v0
	s_and_saveexec_b64 s[24:25], vcc
	s_cbranch_execz .LBB32_1872
; %bb.1871:                             ;   in Loop: Header=BB32_1800 Depth=2
	ds_read_b64 v[0:1], v0 offset:872
	s_waitcnt lgkmcnt(0)
	v_lshl_add_u64 v[0:1], v[0:1], 0, 1
	ds_write_b64 v0, v[0:1] offset:872
.LBB32_1872:                            ;   in Loop: Header=BB32_1800 Depth=2
	s_or_b64 exec, exec, s[24:25]
	v_mov_b64_e32 v[116:117], v[8:9]
	s_or_b64 exec, exec, s[28:29]
	s_and_saveexec_b64 s[24:25], s[6:7]
	s_cbranch_execz .LBB32_1825
.LBB32_1873:                            ;   in Loop: Header=BB32_1800 Depth=2
	s_and_saveexec_b64 s[28:29], s[78:79]
	s_xor_b64 s[28:29], exec, s[28:29]
	s_cbranch_execz .LBB32_1907
; %bb.1874:                             ;   in Loop: Header=BB32_1800 Depth=2
	s_and_saveexec_b64 s[40:41], s[14:15]
	s_cbranch_execz .LBB32_1906
; %bb.1875:                             ;   in Loop: Header=BB32_1800 Depth=2
	s_mov_b64 s[44:45], exec
	v_mbcnt_lo_u32_b32 v0, s44, 0
	v_mbcnt_hi_u32_b32 v0, s45, v0
	v_cmp_eq_u32_e32 vcc, 0, v0
	s_waitcnt lgkmcnt(0)
	s_and_saveexec_b64 s[42:43], vcc
	s_cbranch_execz .LBB32_1877
; %bb.1876:                             ;   in Loop: Header=BB32_1800 Depth=2
	s_bcnt1_i32_b64 s44, s[44:45]
	v_mov_b32_e32 v2, s44
	ds_add_u64 v0, v[2:3]
	s_trap 2
.LBB32_1877:                            ;   in Loop: Header=BB32_1800 Depth=2
	s_or_b64 exec, exec, s[42:43]
	s_trap 2
	ds_read_b64 v[0:1], v0
	s_waitcnt lgkmcnt(0)
	v_lshl_add_u64 v[46:47], v[46:47], 0, v[60:61]
	v_cmp_lt_u64_e32 vcc, v[0:1], v[46:47]
	s_and_saveexec_b64 s[42:43], vcc
	s_cbranch_execz .LBB32_1905
; %bb.1878:                             ;   in Loop: Header=BB32_1800 Depth=2
	s_mov_b32 s76, 0
	s_mov_b64 s[44:45], 0
                                        ; implicit-def: $sgpr46_sgpr47
                                        ; implicit-def: $sgpr56_sgpr57
	s_branch .LBB32_1880
.LBB32_1879:                            ;   in Loop: Header=BB32_1880 Depth=3
	s_or_b64 exec, exec, s[60:61]
	s_and_b64 s[58:59], exec, s[62:63]
	s_or_b64 s[44:45], s[58:59], s[44:45]
	s_andn2_b64 s[46:47], s[46:47], exec
	s_and_b64 s[58:59], s[56:57], exec
	s_or_b64 s[46:47], s[46:47], s[58:59]
	s_andn2_b64 exec, exec, s[44:45]
	s_cbranch_execz .LBB32_1903
.LBB32_1880:                            ;   Parent Loop BB32_47 Depth=1
                                        ;     Parent Loop BB32_1800 Depth=2
                                        ; =>    This Inner Loop Header: Depth=3
	s_add_i32 s76, s76, 1
	s_cmpk_lg_i32 s76, 0x2710
	s_cselect_b64 s[58:59], -1, 0
	s_and_b64 vcc, exec, s[58:59]
	s_cbranch_vccz .LBB32_1882
; %bb.1881:                             ;   in Loop: Header=BB32_1880 Depth=3
	s_mov_b64 s[62:63], -1
	s_or_b64 s[56:57], s[56:57], exec
	s_and_saveexec_b64 s[60:61], s[58:59]
	s_cbranch_execz .LBB32_1879
	s_branch .LBB32_1883
.LBB32_1882:                            ;   in Loop: Header=BB32_1880 Depth=3
	s_trap 2
	ds_read_b64 v[0:1], v0
	s_andn2_b64 s[58:59], s[58:59], exec
	s_mov_b32 s76, 0
	s_waitcnt vmcnt(0) lgkmcnt(0)
	flat_load_dword v0, v[0:1] sc0 sc1
	s_waitcnt vmcnt(0) lgkmcnt(0)
	buffer_inv sc0 sc1
	v_cmp_eq_u32_e32 vcc, 0, v0
	s_and_b64 s[60:61], vcc, exec
	s_or_b64 s[58:59], s[58:59], s[60:61]
	s_mov_b64 s[62:63], -1
	s_or_b64 s[56:57], s[56:57], exec
	s_and_saveexec_b64 s[60:61], s[58:59]
	s_cbranch_execz .LBB32_1879
.LBB32_1883:                            ;   in Loop: Header=BB32_1880 Depth=3
	s_sleep 1
	s_trap 2
	ds_read_b64 v[0:1], v0
	s_waitcnt lgkmcnt(0)
	s_andn2_b64 s[56:57], s[56:57], exec
	v_cmp_ge_u64_e32 vcc, v[0:1], v[46:47]
	s_orn2_b64 s[62:63], vcc, exec
	s_branch .LBB32_1879
.LBB32_1884:                            ;   in Loop: Header=BB32_1800 Depth=2
	s_or_b64 exec, exec, s[42:43]
	s_and_saveexec_b64 s[42:43], s[44:45]
	s_xor_b64 s[42:43], exec, s[42:43]
	s_cbranch_execz .LBB32_1886
; %bb.1885:                             ;   in Loop: Header=BB32_1800 Depth=2
	ds_write_b32 v0, v31
	s_trap 2
.LBB32_1886:                            ;   in Loop: Header=BB32_1800 Depth=2
	s_or_b64 exec, exec, s[40:41]
	;;#ASMSTART
	s_wakeup
	;;#ASMEND
.LBB32_1887:                            ;   in Loop: Header=BB32_1800 Depth=2
	s_or_b64 exec, exec, s[28:29]
.LBB32_1888:                            ;   in Loop: Header=BB32_1800 Depth=2
	s_andn2_saveexec_b64 s[26:27], s[26:27]
	s_cbranch_execz .LBB32_1890
; %bb.1889:                             ;   in Loop: Header=BB32_1800 Depth=2
	s_waitcnt lgkmcnt(0)
	s_barrier
.LBB32_1890:                            ;   in Loop: Header=BB32_1800 Depth=2
	s_or_b64 exec, exec, s[26:27]
.LBB32_1891:                            ;   in Loop: Header=BB32_1800 Depth=2
	s_or_b64 exec, exec, s[24:25]
	s_trap 2
	ds_read_b32 v0, v0
	v_and_b32_e32 v1, 0x4000, v126
	v_cmp_ne_u32_e32 vcc, 0, v1
	s_xor_b64 s[24:25], s[4:5], -1
	s_and_b64 s[26:27], s[24:25], vcc
	s_and_saveexec_b64 s[24:25], s[26:27]
	s_cbranch_execz .LBB32_1929
; %bb.1892:                             ;   in Loop: Header=BB32_1800 Depth=2
	s_and_saveexec_b64 s[26:27], s[78:79]
	s_xor_b64 s[26:27], exec, s[26:27]
	s_cbranch_execz .LBB32_1926
; %bb.1893:                             ;   in Loop: Header=BB32_1800 Depth=2
	s_and_saveexec_b64 s[28:29], s[14:15]
	s_cbranch_execz .LBB32_1925
; %bb.1894:                             ;   in Loop: Header=BB32_1800 Depth=2
	s_mov_b64 s[42:43], exec
	v_mbcnt_lo_u32_b32 v1, s42, 0
	v_mbcnt_hi_u32_b32 v1, s43, v1
	v_cmp_eq_u32_e32 vcc, 0, v1
	s_waitcnt lgkmcnt(0)
	s_and_saveexec_b64 s[40:41], vcc
	s_cbranch_execz .LBB32_1896
; %bb.1895:                             ;   in Loop: Header=BB32_1800 Depth=2
	s_bcnt1_i32_b64 s42, s[42:43]
	v_mov_b32_e32 v2, s42
	ds_add_u64 v0, v[2:3]
	s_trap 2
.LBB32_1896:                            ;   in Loop: Header=BB32_1800 Depth=2
	s_or_b64 exec, exec, s[40:41]
	s_trap 2
	ds_read_b64 v[4:5], v0
	s_waitcnt lgkmcnt(0)
	v_lshl_add_u64 v[46:47], v[46:47], 0, v[60:61]
	v_cmp_lt_u64_e32 vcc, v[4:5], v[46:47]
	s_and_saveexec_b64 s[40:41], vcc
	s_cbranch_execz .LBB32_1924
; %bb.1897:                             ;   in Loop: Header=BB32_1800 Depth=2
	s_mov_b32 s76, 0
	s_mov_b64 s[42:43], 0
                                        ; implicit-def: $sgpr44_sgpr45
                                        ; implicit-def: $sgpr46_sgpr47
	s_branch .LBB32_1899
.LBB32_1898:                            ;   in Loop: Header=BB32_1899 Depth=3
	s_or_b64 exec, exec, s[58:59]
	s_and_b64 s[56:57], exec, s[60:61]
	s_or_b64 s[42:43], s[56:57], s[42:43]
	s_andn2_b64 s[44:45], s[44:45], exec
	s_and_b64 s[56:57], s[46:47], exec
	s_or_b64 s[44:45], s[44:45], s[56:57]
	s_andn2_b64 exec, exec, s[42:43]
	s_cbranch_execz .LBB32_1922
.LBB32_1899:                            ;   Parent Loop BB32_47 Depth=1
                                        ;     Parent Loop BB32_1800 Depth=2
                                        ; =>    This Inner Loop Header: Depth=3
	s_add_i32 s76, s76, 1
	s_cmpk_lg_i32 s76, 0x2710
	s_cselect_b64 s[56:57], -1, 0
	s_and_b64 vcc, exec, s[56:57]
	s_cbranch_vccz .LBB32_1901
; %bb.1900:                             ;   in Loop: Header=BB32_1899 Depth=3
	s_mov_b64 s[60:61], -1
	s_or_b64 s[46:47], s[46:47], exec
	s_and_saveexec_b64 s[58:59], s[56:57]
	s_cbranch_execz .LBB32_1898
	s_branch .LBB32_1902
.LBB32_1901:                            ;   in Loop: Header=BB32_1899 Depth=3
	s_trap 2
	ds_read_b64 v[4:5], v0
	s_andn2_b64 s[56:57], s[56:57], exec
	s_mov_b32 s76, 0
	s_waitcnt vmcnt(0) lgkmcnt(0)
	flat_load_dword v1, v[4:5] sc0 sc1
	s_waitcnt vmcnt(0) lgkmcnt(0)
	buffer_inv sc0 sc1
	v_cmp_eq_u32_e32 vcc, 0, v1
	s_and_b64 s[58:59], vcc, exec
	s_or_b64 s[56:57], s[56:57], s[58:59]
	s_mov_b64 s[60:61], -1
	s_or_b64 s[46:47], s[46:47], exec
	s_and_saveexec_b64 s[58:59], s[56:57]
	s_cbranch_execz .LBB32_1898
.LBB32_1902:                            ;   in Loop: Header=BB32_1899 Depth=3
	s_sleep 1
	s_trap 2
	ds_read_b64 v[4:5], v0
	s_waitcnt lgkmcnt(0)
	s_andn2_b64 s[46:47], s[46:47], exec
	v_cmp_ge_u64_e32 vcc, v[4:5], v[46:47]
	s_orn2_b64 s[60:61], vcc, exec
	s_branch .LBB32_1898
.LBB32_1903:                            ;   in Loop: Header=BB32_1800 Depth=2
	s_or_b64 exec, exec, s[44:45]
	s_and_saveexec_b64 s[44:45], s[46:47]
	s_xor_b64 s[44:45], exec, s[44:45]
	s_cbranch_execz .LBB32_1905
; %bb.1904:                             ;   in Loop: Header=BB32_1800 Depth=2
	ds_write_b32 v0, v31
	s_trap 2
.LBB32_1905:                            ;   in Loop: Header=BB32_1800 Depth=2
	s_or_b64 exec, exec, s[42:43]
	;;#ASMSTART
	s_wakeup
	;;#ASMEND
.LBB32_1906:                            ;   in Loop: Header=BB32_1800 Depth=2
	s_or_b64 exec, exec, s[40:41]
.LBB32_1907:                            ;   in Loop: Header=BB32_1800 Depth=2
	s_andn2_saveexec_b64 s[28:29], s[28:29]
	s_cbranch_execz .LBB32_1909
; %bb.1908:                             ;   in Loop: Header=BB32_1800 Depth=2
	s_waitcnt lgkmcnt(0)
	s_barrier
.LBB32_1909:                            ;   in Loop: Header=BB32_1800 Depth=2
	s_or_b64 exec, exec, s[28:29]
	s_or_b64 exec, exec, s[24:25]
                                        ; implicit-def: $vgpr0
	s_and_saveexec_b64 s[24:25], s[22:23]
	s_xor_b64 s[24:25], exec, s[24:25]
	s_cbranch_execnz .LBB32_1826
.LBB32_1910:                            ;   in Loop: Header=BB32_1800 Depth=2
	s_andn2_saveexec_b64 s[24:25], s[24:25]
	s_cbranch_execz .LBB32_2083
.LBB32_1911:                            ;   in Loop: Header=BB32_1800 Depth=2
	s_and_saveexec_b64 s[28:29], s[78:79]
	s_xor_b64 s[28:29], exec, s[28:29]
	s_cbranch_execz .LBB32_2080
; %bb.1912:                             ;   in Loop: Header=BB32_1800 Depth=2
	s_and_saveexec_b64 s[40:41], s[14:15]
	s_cbranch_execz .LBB32_2079
; %bb.1913:                             ;   in Loop: Header=BB32_1800 Depth=2
	s_mov_b64 s[44:45], exec
	v_mbcnt_lo_u32_b32 v0, s44, 0
	v_mbcnt_hi_u32_b32 v0, s45, v0
	v_cmp_eq_u32_e32 vcc, 0, v0
	;;#ASMSTART
	s_waitcnt lgkmcnt(0) vmcnt(0)
	;;#ASMEND
	s_and_saveexec_b64 s[42:43], vcc
	s_cbranch_execz .LBB32_1915
; %bb.1914:                             ;   in Loop: Header=BB32_1800 Depth=2
	s_bcnt1_i32_b64 s44, s[44:45]
	v_mov_b32_e32 v2, s44
	s_waitcnt lgkmcnt(0)
	ds_add_u64 v0, v[2:3]
	s_trap 2
.LBB32_1915:                            ;   in Loop: Header=BB32_1800 Depth=2
	s_or_b64 exec, exec, s[42:43]
	s_trap 2
	ds_read_b64 v[0:1], v0
	s_waitcnt lgkmcnt(0)
	v_lshl_add_u64 v[46:47], v[46:47], 0, v[60:61]
	v_cmp_lt_u64_e32 vcc, v[0:1], v[46:47]
	s_and_saveexec_b64 s[42:43], vcc
	s_cbranch_execz .LBB32_2078
; %bb.1916:                             ;   in Loop: Header=BB32_1800 Depth=2
	s_mov_b32 s76, 0
	s_mov_b64 s[44:45], 0
                                        ; implicit-def: $sgpr46_sgpr47
                                        ; implicit-def: $sgpr56_sgpr57
	s_branch .LBB32_1918
.LBB32_1917:                            ;   in Loop: Header=BB32_1918 Depth=3
	s_or_b64 exec, exec, s[60:61]
	s_and_b64 s[58:59], exec, s[62:63]
	s_or_b64 s[44:45], s[58:59], s[44:45]
	s_andn2_b64 s[46:47], s[46:47], exec
	s_and_b64 s[58:59], s[56:57], exec
	s_or_b64 s[46:47], s[46:47], s[58:59]
	s_andn2_b64 exec, exec, s[44:45]
	s_cbranch_execz .LBB32_2076
.LBB32_1918:                            ;   Parent Loop BB32_47 Depth=1
                                        ;     Parent Loop BB32_1800 Depth=2
                                        ; =>    This Inner Loop Header: Depth=3
	s_add_i32 s76, s76, 1
	s_cmpk_lg_i32 s76, 0x2710
	s_cselect_b64 s[58:59], -1, 0
	s_and_b64 vcc, exec, s[58:59]
	s_cbranch_vccz .LBB32_1920
; %bb.1919:                             ;   in Loop: Header=BB32_1918 Depth=3
	s_mov_b64 s[62:63], -1
	s_or_b64 s[56:57], s[56:57], exec
	s_and_saveexec_b64 s[60:61], s[58:59]
	s_cbranch_execz .LBB32_1917
	s_branch .LBB32_1921
.LBB32_1920:                            ;   in Loop: Header=BB32_1918 Depth=3
	s_trap 2
	ds_read_b64 v[0:1], v0
	s_andn2_b64 s[58:59], s[58:59], exec
	s_mov_b32 s76, 0
	s_waitcnt vmcnt(0) lgkmcnt(0)
	flat_load_dword v0, v[0:1] sc0 sc1
	s_waitcnt vmcnt(0) lgkmcnt(0)
	buffer_inv sc0 sc1
	v_cmp_eq_u32_e32 vcc, 0, v0
	s_and_b64 s[60:61], vcc, exec
	s_or_b64 s[58:59], s[58:59], s[60:61]
	s_mov_b64 s[62:63], -1
	s_or_b64 s[56:57], s[56:57], exec
	s_and_saveexec_b64 s[60:61], s[58:59]
	s_cbranch_execz .LBB32_1917
.LBB32_1921:                            ;   in Loop: Header=BB32_1918 Depth=3
	s_sleep 1
	s_trap 2
	ds_read_b64 v[0:1], v0
	s_waitcnt lgkmcnt(0)
	s_andn2_b64 s[56:57], s[56:57], exec
	v_cmp_ge_u64_e32 vcc, v[0:1], v[46:47]
	s_orn2_b64 s[62:63], vcc, exec
	s_branch .LBB32_1917
.LBB32_1922:                            ;   in Loop: Header=BB32_1800 Depth=2
	s_or_b64 exec, exec, s[42:43]
	s_and_saveexec_b64 s[42:43], s[44:45]
	s_xor_b64 s[42:43], exec, s[42:43]
	s_cbranch_execz .LBB32_1924
; %bb.1923:                             ;   in Loop: Header=BB32_1800 Depth=2
	ds_write_b32 v0, v31
	s_trap 2
.LBB32_1924:                            ;   in Loop: Header=BB32_1800 Depth=2
	s_or_b64 exec, exec, s[40:41]
	;;#ASMSTART
	s_wakeup
	;;#ASMEND
.LBB32_1925:                            ;   in Loop: Header=BB32_1800 Depth=2
	s_or_b64 exec, exec, s[28:29]
.LBB32_1926:                            ;   in Loop: Header=BB32_1800 Depth=2
	s_andn2_saveexec_b64 s[26:27], s[26:27]
	s_cbranch_execz .LBB32_1928
; %bb.1927:                             ;   in Loop: Header=BB32_1800 Depth=2
	s_waitcnt lgkmcnt(0)
	s_barrier
.LBB32_1928:                            ;   in Loop: Header=BB32_1800 Depth=2
	s_or_b64 exec, exec, s[26:27]
.LBB32_1929:                            ;   in Loop: Header=BB32_1800 Depth=2
	s_or_b64 exec, exec, s[24:25]
	s_trap 2
	s_waitcnt lgkmcnt(0)
	ds_read_b64 v[28:29], v0
	s_waitcnt lgkmcnt(0)
	v_cmp_eq_u64_e32 vcc, 0, v[28:29]
	s_cbranch_vccnz .LBB32_1938
; %bb.1930:                             ;   in Loop: Header=BB32_1800 Depth=2
	s_trap 2
	ds_read_b64 v[72:73], v0
	s_waitcnt lgkmcnt(0)
	v_cmp_eq_u64_e32 vcc, 0, v[72:73]
	s_cbranch_vccnz .LBB32_1938
; %bb.1931:                             ;   in Loop: Header=BB32_1800 Depth=2
	s_trap 2
	ds_read_b64 v[52:53], v0
	v_cmp_eq_u32_e32 vcc, 0, v0
	s_waitcnt lgkmcnt(0)
	v_readfirstlane_b32 s55, v52
	v_cndmask_b32_e32 v107, 0, v106, vcc
	v_cmp_ne_u64_e32 vcc, 0, v[52:53]
	s_cbranch_vccz .LBB32_1943
; %bb.1932:                             ;   in Loop: Header=BB32_1800 Depth=2
	s_trap 2
	ds_read_b64 v[54:55], v0
	s_mov_b64 s[26:27], -1
	s_and_saveexec_b64 s[24:25], s[18:19]
	s_cbranch_execz .LBB32_1934
; %bb.1933:                             ;   in Loop: Header=BB32_1800 Depth=2
	ds_read_b32 v0, v0 offset:720
	s_waitcnt lgkmcnt(0)
	v_and_b32_e32 v0, 15, v0
	v_cmp_eq_u32_e32 vcc, 0, v0
	s_orn2_b64 s[26:27], vcc, exec
.LBB32_1934:                            ;   in Loop: Header=BB32_1800 Depth=2
	s_or_b64 exec, exec, s[24:25]
	s_and_saveexec_b64 s[24:25], s[20:21]
	s_cbranch_execz .LBB32_1936
; %bb.1935:                             ;   in Loop: Header=BB32_1800 Depth=2
	ds_read_b32 v0, v0 offset:784
	s_waitcnt lgkmcnt(0)
	v_and_b32_e32 v0, 15, v0
	v_cmp_eq_u32_e32 vcc, 0, v0
	s_and_b64 s[28:29], s[26:27], vcc
	s_andn2_b64 s[26:27], s[26:27], exec
	s_and_b64 s[28:29], s[28:29], exec
	s_or_b64 s[26:27], s[26:27], s[28:29]
.LBB32_1936:                            ;   in Loop: Header=BB32_1800 Depth=2
	s_or_b64 exec, exec, s[24:25]
	s_xor_b64 s[26:27], s[26:27], -1
	v_cndmask_b32_e64 v0, 0, 1, s[26:27]
	v_lshlrev_b32_e32 v1, 1, v107
	s_mov_b64 s[24:25], -1
	v_mov_b32_e32 v2, 0
	v_cmp_ne_u32_e32 vcc, 0, v0
	s_cbranch_vccz .LBB32_1945
; %bb.1937:                             ;   in Loop: Header=BB32_1800 Depth=2
	scratch_load_dword v16, off, s33 offset:188 ; 4-byte Folded Reload
	s_and_saveexec_b64 s[42:43], s[24:25]
	s_cbranch_execnz .LBB32_2098
	s_branch .LBB32_2172
.LBB32_1938:                            ;   in Loop: Header=BB32_1800 Depth=2
	s_mov_b64 s[24:25], 0
	s_and_saveexec_b64 s[26:27], s[6:7]
	s_cbranch_execnz .LBB32_2519
.LBB32_1939:                            ;   in Loop: Header=BB32_1800 Depth=2
	s_or_b64 exec, exec, s[26:27]
                                        ; implicit-def: $vgpr0
	s_and_saveexec_b64 s[26:27], s[22:23]
	s_xor_b64 s[26:27], exec, s[26:27]
	s_cbranch_execz .LBB32_2537
.LBB32_1940:                            ;   in Loop: Header=BB32_1800 Depth=2
	v_and_b32_e32 v1, 16, v126
	v_cmp_ne_u32_e32 vcc, 0, v1
	v_and_b32_e32 v0, 16, v126
	s_and_b64 s[28:29], vcc, s[24:25]
	s_and_saveexec_b64 s[24:25], s[28:29]
	s_cbranch_execz .LBB32_1942
; %bb.1941:                             ;   in Loop: Header=BB32_1800 Depth=2
	v_mov_b32_e32 v0, 1
	buffer_wbl2 sc1
	s_waitcnt vmcnt(0) lgkmcnt(0)
	buffer_inv sc1
.LBB32_1942:                            ;   in Loop: Header=BB32_1800 Depth=2
	s_or_b64 exec, exec, s[24:25]
	s_andn2_saveexec_b64 s[24:25], s[26:27]
	s_cbranch_execz .LBB32_2556
	s_branch .LBB32_2538
.LBB32_1943:                            ;   in Loop: Header=BB32_1800 Depth=2
	s_cbranch_execnz .LBB32_2173
.LBB32_1944:                            ;   in Loop: Header=BB32_1800 Depth=2
	v_cmp_lt_i32_e64 s[24:25], 0, v107
	s_and_saveexec_b64 s[26:27], s[6:7]
	s_cbranch_execnz .LBB32_2519
	s_branch .LBB32_1939
.LBB32_1945:                            ;   in Loop: Header=BB32_1800 Depth=2
	v_ashrrev_i32_e32 v0, 31, v1
	v_lshrrev_b32_e32 v0, 20, v0
	v_add_u32_e32 v0, v1, v0
	v_ashrrev_i32_e32 v2, 12, v0
	v_sub_u32_e32 v0, v2, v100
	v_cmp_lt_i32_e32 vcc, 0, v0
	s_and_saveexec_b64 s[26:27], vcc
	s_cbranch_execz .LBB32_2089
; %bb.1946:                             ;   in Loop: Header=BB32_1800 Depth=2
	s_and_b32 s76, s55, 1
	s_cmp_eq_u64 s[76:77], 0
	v_mov_b32_e32 v96, 0xc8
	v_lshl_add_u64 v[4:5], v[72:73], 0, v[90:91]
	v_lshl_add_u64 v[64:65], v[52:53], 0, v[90:91]
	s_mov_b64 s[28:29], 0
	s_cselect_b64 vcc, -1, 0
	v_mov_b64_e32 v[66:67], v[28:29]
	s_waitcnt lgkmcnt(0)
	v_mov_b64_e32 v[68:69], v[54:55]
	s_branch .LBB32_1948
.LBB32_1947:                            ;   in Loop: Header=BB32_1948 Depth=3
	s_or_b64 exec, exec, s[40:41]
	v_lshrrev_b32_e32 v32, 16, v32
	v_and_or_b32 v24, v24, s87, v32
	v_lshrrev_b32_e32 v32, 16, v34
	v_lshrrev_b32_e32 v33, 16, v33
	v_and_or_b32 v26, v26, s87, v32
	v_lshrrev_b32_e32 v32, 16, v35
	v_sub_u32_e32 v0, v0, v60
	v_and_or_b32 v25, v25, s87, v33
	v_and_or_b32 v27, v27, s87, v32
	v_cmp_gt_i32_e64 s[24:25], 1, v0
	global_store_dwordx4 v[4:5], v[24:27], off offset:3072
	global_store_dwordx4 v[64:65], v[20:23], off
	global_store_dwordx4 v[64:65], v[16:19], off offset:1024
	global_store_dwordx4 v[64:65], v[12:15], off offset:2048
	;; [unrolled: 1-line block ×3, first 2 shown]
	v_lshl_add_u64 v[4:5], v[4:5], 0, v[92:93]
	v_lshl_add_u64 v[64:65], v[64:65], 0, v[92:93]
	;; [unrolled: 1-line block ×3, first 2 shown]
	s_or_b64 s[28:29], s[24:25], s[28:29]
	v_lshl_add_u64 v[66:67], v[66:67], 0, v[92:93]
	s_andn2_b64 exec, exec, s[28:29]
	s_cbranch_execz .LBB32_2088
.LBB32_1948:                            ;   Parent Loop BB32_47 Depth=1
                                        ;     Parent Loop BB32_1800 Depth=2
                                        ; =>    This Inner Loop Header: Depth=3
	v_lshl_add_u64 v[24:25], v[90:91], 0, v[68:69]
	v_lshl_add_u64 v[8:9], v[90:91], 0, v[66:67]
	global_load_dwordx4 v[20:23], v[8:9], off nt
	global_load_dwordx4 v[48:51], v[24:25], off nt
	global_load_dwordx4 v[16:19], v[8:9], off offset:1024 nt
	global_load_dwordx4 v[36:39], v[24:25], off offset:1024 nt
	global_load_dwordx4 v[12:15], v[8:9], off offset:2048 nt
	s_nop 0
	global_load_dwordx4 v[8:11], v[8:9], off offset:3072 nt
	s_nop 0
	global_load_dwordx4 v[32:35], v[24:25], off offset:2048 nt
	;; [unrolled: 2-line block ×3, first 2 shown]
	s_waitcnt vmcnt(0)
	v_lshlrev_b32_e32 v70, 16, v20
	v_lshlrev_b32_e32 v71, 16, v48
	v_max_f32_e32 v71, v71, v71
	v_max_f32_e32 v70, v70, v70
	v_min_f32_e32 v80, v70, v71
	v_max_f32_e32 v70, v70, v71
	v_cndmask_b32_e32 v71, v70, v80, vcc
	v_and_b32_e32 v70, 0x7f800000, v71
	v_cmp_ne_u32_e64 s[24:25], s85, v70
                                        ; implicit-def: $vgpr70
	s_and_saveexec_b64 s[40:41], s[24:25]
	s_xor_b64 s[24:25], exec, s[40:41]
; %bb.1949:                             ;   in Loop: Header=BB32_1948 Depth=3
	v_bfe_u32 v70, v71, 16, 1
	v_add3_u32 v70, v71, v70, s86
                                        ; implicit-def: $vgpr71
; %bb.1950:                             ;   in Loop: Header=BB32_1948 Depth=3
	s_andn2_saveexec_b64 s[40:41], s[24:25]
; %bb.1951:                             ;   in Loop: Header=BB32_1948 Depth=3
	v_or_b32_e32 v70, 0x10000, v71
	v_cmp_eq_u32_sdwa s[24:25], v71, v3 src0_sel:WORD_0 src1_sel:DWORD
	s_nop 1
	v_cndmask_b32_e64 v70, v70, v71, s[24:25]
; %bb.1952:                             ;   in Loop: Header=BB32_1948 Depth=3
	s_or_b64 exec, exec, s[40:41]
	v_and_b32_e32 v71, 0xffff0000, v20
	v_and_b32_e32 v48, 0xffff0000, v48
	v_max_f32_e32 v48, v48, v48
	v_max_f32_e32 v71, v71, v71
	v_min_f32_e32 v80, v71, v48
	v_max_f32_e32 v48, v71, v48
	v_cndmask_b32_e32 v71, v48, v80, vcc
	v_and_b32_e32 v48, 0x7f800000, v71
	v_cmp_ne_u32_e64 s[24:25], s85, v48
                                        ; implicit-def: $vgpr48
	s_and_saveexec_b64 s[40:41], s[24:25]
	s_xor_b64 s[24:25], exec, s[40:41]
; %bb.1953:                             ;   in Loop: Header=BB32_1948 Depth=3
	v_bfe_u32 v48, v71, 16, 1
	v_add3_u32 v48, v71, v48, s86
                                        ; implicit-def: $vgpr71
; %bb.1954:                             ;   in Loop: Header=BB32_1948 Depth=3
	s_andn2_saveexec_b64 s[40:41], s[24:25]
; %bb.1955:                             ;   in Loop: Header=BB32_1948 Depth=3
	v_or_b32_e32 v48, 0x10000, v71
	v_cmp_eq_u32_sdwa s[24:25], v71, v3 src0_sel:WORD_0 src1_sel:DWORD
	s_nop 1
	v_cndmask_b32_e64 v48, v48, v71, s[24:25]
; %bb.1956:                             ;   in Loop: Header=BB32_1948 Depth=3
	s_or_b64 exec, exec, s[40:41]
	v_lshlrev_b32_e32 v71, 16, v21
	v_lshlrev_b32_e32 v80, 16, v49
	v_max_f32_e32 v80, v80, v80
	v_max_f32_e32 v71, v71, v71
	v_min_f32_e32 v81, v71, v80
	v_max_f32_e32 v71, v71, v80
	v_cndmask_b32_e32 v80, v71, v81, vcc
	v_and_b32_e32 v71, 0x7f800000, v80
	v_cmp_ne_u32_e64 s[24:25], s85, v71
                                        ; implicit-def: $vgpr71
	s_and_saveexec_b64 s[40:41], s[24:25]
	s_xor_b64 s[24:25], exec, s[40:41]
; %bb.1957:                             ;   in Loop: Header=BB32_1948 Depth=3
	v_bfe_u32 v71, v80, 16, 1
	v_add3_u32 v71, v80, v71, s86
                                        ; implicit-def: $vgpr80
; %bb.1958:                             ;   in Loop: Header=BB32_1948 Depth=3
	s_andn2_saveexec_b64 s[40:41], s[24:25]
; %bb.1959:                             ;   in Loop: Header=BB32_1948 Depth=3
	v_or_b32_e32 v71, 0x10000, v80
	v_cmp_eq_u32_sdwa s[24:25], v80, v3 src0_sel:WORD_0 src1_sel:DWORD
	s_nop 1
	v_cndmask_b32_e64 v71, v71, v80, s[24:25]
; %bb.1960:                             ;   in Loop: Header=BB32_1948 Depth=3
	s_or_b64 exec, exec, s[40:41]
	v_and_b32_e32 v80, 0xffff0000, v21
	v_and_b32_e32 v49, 0xffff0000, v49
	v_max_f32_e32 v49, v49, v49
	v_max_f32_e32 v80, v80, v80
	v_min_f32_e32 v81, v80, v49
	v_max_f32_e32 v49, v80, v49
	v_cndmask_b32_e32 v80, v49, v81, vcc
	v_and_b32_e32 v49, 0x7f800000, v80
	v_cmp_ne_u32_e64 s[24:25], s85, v49
                                        ; implicit-def: $vgpr49
	s_and_saveexec_b64 s[40:41], s[24:25]
	s_xor_b64 s[24:25], exec, s[40:41]
; %bb.1961:                             ;   in Loop: Header=BB32_1948 Depth=3
	v_bfe_u32 v49, v80, 16, 1
	v_add3_u32 v49, v80, v49, s86
                                        ; implicit-def: $vgpr80
; %bb.1962:                             ;   in Loop: Header=BB32_1948 Depth=3
	s_andn2_saveexec_b64 s[40:41], s[24:25]
; %bb.1963:                             ;   in Loop: Header=BB32_1948 Depth=3
	v_or_b32_e32 v49, 0x10000, v80
	v_cmp_eq_u32_sdwa s[24:25], v80, v3 src0_sel:WORD_0 src1_sel:DWORD
	s_nop 1
	v_cndmask_b32_e64 v49, v49, v80, s[24:25]
; %bb.1964:                             ;   in Loop: Header=BB32_1948 Depth=3
	s_or_b64 exec, exec, s[40:41]
	v_lshlrev_b32_e32 v80, 16, v22
	v_lshlrev_b32_e32 v81, 16, v50
	v_max_f32_e32 v81, v81, v81
	v_max_f32_e32 v80, v80, v80
	v_min_f32_e32 v82, v80, v81
	v_max_f32_e32 v80, v80, v81
	v_cndmask_b32_e32 v81, v80, v82, vcc
	v_and_b32_e32 v80, 0x7f800000, v81
	v_cmp_ne_u32_e64 s[24:25], s85, v80
                                        ; implicit-def: $vgpr80
	s_and_saveexec_b64 s[40:41], s[24:25]
	s_xor_b64 s[24:25], exec, s[40:41]
; %bb.1965:                             ;   in Loop: Header=BB32_1948 Depth=3
	v_bfe_u32 v80, v81, 16, 1
	v_add3_u32 v80, v81, v80, s86
                                        ; implicit-def: $vgpr81
; %bb.1966:                             ;   in Loop: Header=BB32_1948 Depth=3
	s_andn2_saveexec_b64 s[40:41], s[24:25]
; %bb.1967:                             ;   in Loop: Header=BB32_1948 Depth=3
	v_or_b32_e32 v80, 0x10000, v81
	v_cmp_eq_u32_sdwa s[24:25], v81, v3 src0_sel:WORD_0 src1_sel:DWORD
	s_nop 1
	v_cndmask_b32_e64 v80, v80, v81, s[24:25]
; %bb.1968:                             ;   in Loop: Header=BB32_1948 Depth=3
	s_or_b64 exec, exec, s[40:41]
	v_and_b32_e32 v81, 0xffff0000, v22
	v_and_b32_e32 v50, 0xffff0000, v50
	v_max_f32_e32 v50, v50, v50
	v_max_f32_e32 v81, v81, v81
	v_min_f32_e32 v82, v81, v50
	v_max_f32_e32 v50, v81, v50
	v_cndmask_b32_e32 v81, v50, v82, vcc
	v_and_b32_e32 v50, 0x7f800000, v81
	v_cmp_ne_u32_e64 s[24:25], s85, v50
                                        ; implicit-def: $vgpr50
	s_and_saveexec_b64 s[40:41], s[24:25]
	s_xor_b64 s[24:25], exec, s[40:41]
; %bb.1969:                             ;   in Loop: Header=BB32_1948 Depth=3
	v_bfe_u32 v50, v81, 16, 1
	v_add3_u32 v50, v81, v50, s86
                                        ; implicit-def: $vgpr81
; %bb.1970:                             ;   in Loop: Header=BB32_1948 Depth=3
	s_andn2_saveexec_b64 s[40:41], s[24:25]
; %bb.1971:                             ;   in Loop: Header=BB32_1948 Depth=3
	v_or_b32_e32 v50, 0x10000, v81
	v_cmp_eq_u32_sdwa s[24:25], v81, v3 src0_sel:WORD_0 src1_sel:DWORD
	s_nop 1
	v_cndmask_b32_e64 v50, v50, v81, s[24:25]
; %bb.1972:                             ;   in Loop: Header=BB32_1948 Depth=3
	s_or_b64 exec, exec, s[40:41]
	v_lshlrev_b32_e32 v81, 16, v23
	v_lshlrev_b32_e32 v82, 16, v51
	v_max_f32_e32 v82, v82, v82
	v_max_f32_e32 v81, v81, v81
	v_min_f32_e32 v83, v81, v82
	v_max_f32_e32 v81, v81, v82
	v_cndmask_b32_e32 v82, v81, v83, vcc
	v_and_b32_e32 v81, 0x7f800000, v82
	v_cmp_ne_u32_e64 s[24:25], s85, v81
                                        ; implicit-def: $vgpr81
	s_and_saveexec_b64 s[40:41], s[24:25]
	s_xor_b64 s[24:25], exec, s[40:41]
; %bb.1973:                             ;   in Loop: Header=BB32_1948 Depth=3
	v_bfe_u32 v81, v82, 16, 1
	v_add3_u32 v81, v82, v81, s86
                                        ; implicit-def: $vgpr82
; %bb.1974:                             ;   in Loop: Header=BB32_1948 Depth=3
	s_andn2_saveexec_b64 s[40:41], s[24:25]
; %bb.1975:                             ;   in Loop: Header=BB32_1948 Depth=3
	v_or_b32_e32 v81, 0x10000, v82
	v_cmp_eq_u32_sdwa s[24:25], v82, v3 src0_sel:WORD_0 src1_sel:DWORD
	s_nop 1
	v_cndmask_b32_e64 v81, v81, v82, s[24:25]
; %bb.1976:                             ;   in Loop: Header=BB32_1948 Depth=3
	s_or_b64 exec, exec, s[40:41]
	v_and_b32_e32 v82, 0xffff0000, v23
	v_and_b32_e32 v51, 0xffff0000, v51
	v_max_f32_e32 v51, v51, v51
	v_max_f32_e32 v82, v82, v82
	v_min_f32_e32 v83, v82, v51
	v_max_f32_e32 v51, v82, v51
	v_cndmask_b32_e32 v82, v51, v83, vcc
	v_and_b32_e32 v51, 0x7f800000, v82
	v_cmp_ne_u32_e64 s[24:25], s85, v51
                                        ; implicit-def: $vgpr51
	s_and_saveexec_b64 s[40:41], s[24:25]
	s_xor_b64 s[24:25], exec, s[40:41]
; %bb.1977:                             ;   in Loop: Header=BB32_1948 Depth=3
	v_bfe_u32 v51, v82, 16, 1
	v_add3_u32 v51, v82, v51, s86
                                        ; implicit-def: $vgpr82
; %bb.1978:                             ;   in Loop: Header=BB32_1948 Depth=3
	s_andn2_saveexec_b64 s[40:41], s[24:25]
; %bb.1979:                             ;   in Loop: Header=BB32_1948 Depth=3
	v_or_b32_e32 v51, 0x10000, v82
	v_cmp_eq_u32_sdwa s[24:25], v82, v3 src0_sel:WORD_0 src1_sel:DWORD
	s_nop 1
	v_cndmask_b32_e64 v51, v51, v82, s[24:25]
; %bb.1980:                             ;   in Loop: Header=BB32_1948 Depth=3
	s_or_b64 exec, exec, s[40:41]
	v_lshrrev_b32_e32 v70, 16, v70
	v_and_or_b32 v48, v48, s87, v70
	v_lshrrev_b32_e32 v70, 16, v80
	v_lshrrev_b32_e32 v71, 16, v71
	v_and_or_b32 v50, v50, s87, v70
	v_lshrrev_b32_e32 v70, 16, v81
	v_and_or_b32 v49, v49, s87, v71
	v_and_or_b32 v51, v51, s87, v70
	global_store_dwordx4 v[4:5], v[48:51], off
	s_nop 1
	v_lshlrev_b32_e32 v48, 16, v16
	v_lshlrev_b32_e32 v49, 16, v36
	v_max_f32_e32 v49, v49, v49
	v_max_f32_e32 v48, v48, v48
	v_min_f32_e32 v50, v48, v49
	v_max_f32_e32 v48, v48, v49
	v_cndmask_b32_e32 v49, v48, v50, vcc
	v_and_b32_e32 v48, 0x7f800000, v49
	v_cmp_ne_u32_e64 s[24:25], s85, v48
                                        ; implicit-def: $vgpr48
	s_and_saveexec_b64 s[40:41], s[24:25]
	s_xor_b64 s[24:25], exec, s[40:41]
; %bb.1981:                             ;   in Loop: Header=BB32_1948 Depth=3
	v_bfe_u32 v48, v49, 16, 1
	v_add3_u32 v48, v49, v48, s86
                                        ; implicit-def: $vgpr49
; %bb.1982:                             ;   in Loop: Header=BB32_1948 Depth=3
	s_andn2_saveexec_b64 s[40:41], s[24:25]
; %bb.1983:                             ;   in Loop: Header=BB32_1948 Depth=3
	v_or_b32_e32 v48, 0x10000, v49
	v_cmp_eq_u32_sdwa s[24:25], v49, v3 src0_sel:WORD_0 src1_sel:DWORD
	s_nop 1
	v_cndmask_b32_e64 v48, v48, v49, s[24:25]
; %bb.1984:                             ;   in Loop: Header=BB32_1948 Depth=3
	s_or_b64 exec, exec, s[40:41]
	v_and_b32_e32 v49, 0xffff0000, v16
	v_and_b32_e32 v36, 0xffff0000, v36
	v_max_f32_e32 v36, v36, v36
	v_max_f32_e32 v49, v49, v49
	v_min_f32_e32 v50, v49, v36
	v_max_f32_e32 v36, v49, v36
	v_cndmask_b32_e32 v49, v36, v50, vcc
	v_and_b32_e32 v36, 0x7f800000, v49
	v_cmp_ne_u32_e64 s[24:25], s85, v36
                                        ; implicit-def: $vgpr36
	s_and_saveexec_b64 s[40:41], s[24:25]
	s_xor_b64 s[24:25], exec, s[40:41]
; %bb.1985:                             ;   in Loop: Header=BB32_1948 Depth=3
	v_bfe_u32 v36, v49, 16, 1
	v_add3_u32 v36, v49, v36, s86
                                        ; implicit-def: $vgpr49
; %bb.1986:                             ;   in Loop: Header=BB32_1948 Depth=3
	s_andn2_saveexec_b64 s[40:41], s[24:25]
; %bb.1987:                             ;   in Loop: Header=BB32_1948 Depth=3
	v_or_b32_e32 v36, 0x10000, v49
	v_cmp_eq_u32_sdwa s[24:25], v49, v3 src0_sel:WORD_0 src1_sel:DWORD
	s_nop 1
	v_cndmask_b32_e64 v36, v36, v49, s[24:25]
; %bb.1988:                             ;   in Loop: Header=BB32_1948 Depth=3
	s_or_b64 exec, exec, s[40:41]
	v_lshlrev_b32_e32 v49, 16, v17
	v_lshlrev_b32_e32 v50, 16, v37
	v_max_f32_e32 v50, v50, v50
	v_max_f32_e32 v49, v49, v49
	v_min_f32_e32 v51, v49, v50
	v_max_f32_e32 v49, v49, v50
	v_cndmask_b32_e32 v50, v49, v51, vcc
	v_and_b32_e32 v49, 0x7f800000, v50
	v_cmp_ne_u32_e64 s[24:25], s85, v49
                                        ; implicit-def: $vgpr49
	s_and_saveexec_b64 s[40:41], s[24:25]
	s_xor_b64 s[24:25], exec, s[40:41]
; %bb.1989:                             ;   in Loop: Header=BB32_1948 Depth=3
	v_bfe_u32 v49, v50, 16, 1
	v_add3_u32 v49, v50, v49, s86
                                        ; implicit-def: $vgpr50
; %bb.1990:                             ;   in Loop: Header=BB32_1948 Depth=3
	s_andn2_saveexec_b64 s[40:41], s[24:25]
; %bb.1991:                             ;   in Loop: Header=BB32_1948 Depth=3
	v_or_b32_e32 v49, 0x10000, v50
	v_cmp_eq_u32_sdwa s[24:25], v50, v3 src0_sel:WORD_0 src1_sel:DWORD
	s_nop 1
	v_cndmask_b32_e64 v49, v49, v50, s[24:25]
; %bb.1992:                             ;   in Loop: Header=BB32_1948 Depth=3
	s_or_b64 exec, exec, s[40:41]
	v_and_b32_e32 v50, 0xffff0000, v17
	v_and_b32_e32 v37, 0xffff0000, v37
	v_max_f32_e32 v37, v37, v37
	v_max_f32_e32 v50, v50, v50
	v_min_f32_e32 v51, v50, v37
	v_max_f32_e32 v37, v50, v37
	v_cndmask_b32_e32 v50, v37, v51, vcc
	v_and_b32_e32 v37, 0x7f800000, v50
	v_cmp_ne_u32_e64 s[24:25], s85, v37
                                        ; implicit-def: $vgpr37
	s_and_saveexec_b64 s[40:41], s[24:25]
	s_xor_b64 s[24:25], exec, s[40:41]
; %bb.1993:                             ;   in Loop: Header=BB32_1948 Depth=3
	v_bfe_u32 v37, v50, 16, 1
	v_add3_u32 v37, v50, v37, s86
                                        ; implicit-def: $vgpr50
; %bb.1994:                             ;   in Loop: Header=BB32_1948 Depth=3
	s_andn2_saveexec_b64 s[40:41], s[24:25]
; %bb.1995:                             ;   in Loop: Header=BB32_1948 Depth=3
	v_or_b32_e32 v37, 0x10000, v50
	v_cmp_eq_u32_sdwa s[24:25], v50, v3 src0_sel:WORD_0 src1_sel:DWORD
	s_nop 1
	v_cndmask_b32_e64 v37, v37, v50, s[24:25]
; %bb.1996:                             ;   in Loop: Header=BB32_1948 Depth=3
	s_or_b64 exec, exec, s[40:41]
	v_lshlrev_b32_e32 v50, 16, v18
	v_lshlrev_b32_e32 v51, 16, v38
	v_max_f32_e32 v51, v51, v51
	v_max_f32_e32 v50, v50, v50
	v_min_f32_e32 v70, v50, v51
	v_max_f32_e32 v50, v50, v51
	v_cndmask_b32_e32 v51, v50, v70, vcc
	v_and_b32_e32 v50, 0x7f800000, v51
	v_cmp_ne_u32_e64 s[24:25], s85, v50
                                        ; implicit-def: $vgpr50
	s_and_saveexec_b64 s[40:41], s[24:25]
	s_xor_b64 s[24:25], exec, s[40:41]
; %bb.1997:                             ;   in Loop: Header=BB32_1948 Depth=3
	v_bfe_u32 v50, v51, 16, 1
	v_add3_u32 v50, v51, v50, s86
                                        ; implicit-def: $vgpr51
; %bb.1998:                             ;   in Loop: Header=BB32_1948 Depth=3
	s_andn2_saveexec_b64 s[40:41], s[24:25]
; %bb.1999:                             ;   in Loop: Header=BB32_1948 Depth=3
	v_or_b32_e32 v50, 0x10000, v51
	v_cmp_eq_u32_sdwa s[24:25], v51, v3 src0_sel:WORD_0 src1_sel:DWORD
	s_nop 1
	v_cndmask_b32_e64 v50, v50, v51, s[24:25]
; %bb.2000:                             ;   in Loop: Header=BB32_1948 Depth=3
	s_or_b64 exec, exec, s[40:41]
	v_and_b32_e32 v51, 0xffff0000, v18
	v_and_b32_e32 v38, 0xffff0000, v38
	v_max_f32_e32 v38, v38, v38
	v_max_f32_e32 v51, v51, v51
	v_min_f32_e32 v70, v51, v38
	v_max_f32_e32 v38, v51, v38
	v_cndmask_b32_e32 v51, v38, v70, vcc
	v_and_b32_e32 v38, 0x7f800000, v51
	v_cmp_ne_u32_e64 s[24:25], s85, v38
                                        ; implicit-def: $vgpr38
	s_and_saveexec_b64 s[40:41], s[24:25]
	s_xor_b64 s[24:25], exec, s[40:41]
; %bb.2001:                             ;   in Loop: Header=BB32_1948 Depth=3
	v_bfe_u32 v38, v51, 16, 1
	v_add3_u32 v38, v51, v38, s86
                                        ; implicit-def: $vgpr51
; %bb.2002:                             ;   in Loop: Header=BB32_1948 Depth=3
	s_andn2_saveexec_b64 s[40:41], s[24:25]
; %bb.2003:                             ;   in Loop: Header=BB32_1948 Depth=3
	v_or_b32_e32 v38, 0x10000, v51
	v_cmp_eq_u32_sdwa s[24:25], v51, v3 src0_sel:WORD_0 src1_sel:DWORD
	s_nop 1
	v_cndmask_b32_e64 v38, v38, v51, s[24:25]
; %bb.2004:                             ;   in Loop: Header=BB32_1948 Depth=3
	s_or_b64 exec, exec, s[40:41]
	v_lshlrev_b32_e32 v51, 16, v19
	v_lshlrev_b32_e32 v70, 16, v39
	v_max_f32_e32 v70, v70, v70
	v_max_f32_e32 v51, v51, v51
	v_min_f32_e32 v71, v51, v70
	v_max_f32_e32 v51, v51, v70
	v_cndmask_b32_e32 v70, v51, v71, vcc
	v_and_b32_e32 v51, 0x7f800000, v70
	v_cmp_ne_u32_e64 s[24:25], s85, v51
                                        ; implicit-def: $vgpr51
	s_and_saveexec_b64 s[40:41], s[24:25]
	s_xor_b64 s[24:25], exec, s[40:41]
; %bb.2005:                             ;   in Loop: Header=BB32_1948 Depth=3
	v_bfe_u32 v51, v70, 16, 1
	v_add3_u32 v51, v70, v51, s86
                                        ; implicit-def: $vgpr70
; %bb.2006:                             ;   in Loop: Header=BB32_1948 Depth=3
	s_andn2_saveexec_b64 s[40:41], s[24:25]
; %bb.2007:                             ;   in Loop: Header=BB32_1948 Depth=3
	v_or_b32_e32 v51, 0x10000, v70
	v_cmp_eq_u32_sdwa s[24:25], v70, v3 src0_sel:WORD_0 src1_sel:DWORD
	s_nop 1
	v_cndmask_b32_e64 v51, v51, v70, s[24:25]
; %bb.2008:                             ;   in Loop: Header=BB32_1948 Depth=3
	s_or_b64 exec, exec, s[40:41]
	v_and_b32_e32 v70, 0xffff0000, v19
	v_and_b32_e32 v39, 0xffff0000, v39
	v_max_f32_e32 v39, v39, v39
	v_max_f32_e32 v70, v70, v70
	v_min_f32_e32 v71, v70, v39
	v_max_f32_e32 v39, v70, v39
	v_cndmask_b32_e32 v70, v39, v71, vcc
	v_and_b32_e32 v39, 0x7f800000, v70
	v_cmp_ne_u32_e64 s[24:25], s85, v39
                                        ; implicit-def: $vgpr39
	s_and_saveexec_b64 s[40:41], s[24:25]
	s_xor_b64 s[24:25], exec, s[40:41]
; %bb.2009:                             ;   in Loop: Header=BB32_1948 Depth=3
	v_bfe_u32 v39, v70, 16, 1
	v_add3_u32 v39, v70, v39, s86
                                        ; implicit-def: $vgpr70
; %bb.2010:                             ;   in Loop: Header=BB32_1948 Depth=3
	s_andn2_saveexec_b64 s[40:41], s[24:25]
; %bb.2011:                             ;   in Loop: Header=BB32_1948 Depth=3
	v_or_b32_e32 v39, 0x10000, v70
	v_cmp_eq_u32_sdwa s[24:25], v70, v3 src0_sel:WORD_0 src1_sel:DWORD
	s_nop 1
	v_cndmask_b32_e64 v39, v39, v70, s[24:25]
; %bb.2012:                             ;   in Loop: Header=BB32_1948 Depth=3
	s_or_b64 exec, exec, s[40:41]
	v_lshrrev_b32_e32 v48, 16, v48
	v_and_or_b32 v36, v36, s87, v48
	v_lshrrev_b32_e32 v48, 16, v50
	v_lshrrev_b32_e32 v49, 16, v49
	v_and_or_b32 v38, v38, s87, v48
	v_lshrrev_b32_e32 v48, 16, v51
	v_and_or_b32 v37, v37, s87, v49
	v_and_or_b32 v39, v39, s87, v48
	global_store_dwordx4 v[4:5], v[36:39], off offset:1024
	s_nop 1
	v_lshlrev_b32_e32 v36, 16, v12
	v_lshlrev_b32_e32 v37, 16, v32
	v_max_f32_e32 v37, v37, v37
	v_max_f32_e32 v36, v36, v36
	v_min_f32_e32 v38, v36, v37
	v_max_f32_e32 v36, v36, v37
	v_cndmask_b32_e32 v37, v36, v38, vcc
	v_and_b32_e32 v36, 0x7f800000, v37
	v_cmp_ne_u32_e64 s[24:25], s85, v36
                                        ; implicit-def: $vgpr36
	s_and_saveexec_b64 s[40:41], s[24:25]
	s_xor_b64 s[24:25], exec, s[40:41]
; %bb.2013:                             ;   in Loop: Header=BB32_1948 Depth=3
	v_bfe_u32 v36, v37, 16, 1
	v_add3_u32 v36, v37, v36, s86
                                        ; implicit-def: $vgpr37
; %bb.2014:                             ;   in Loop: Header=BB32_1948 Depth=3
	s_andn2_saveexec_b64 s[40:41], s[24:25]
; %bb.2015:                             ;   in Loop: Header=BB32_1948 Depth=3
	v_or_b32_e32 v36, 0x10000, v37
	v_cmp_eq_u32_sdwa s[24:25], v37, v3 src0_sel:WORD_0 src1_sel:DWORD
	s_nop 1
	v_cndmask_b32_e64 v36, v36, v37, s[24:25]
; %bb.2016:                             ;   in Loop: Header=BB32_1948 Depth=3
	s_or_b64 exec, exec, s[40:41]
	v_and_b32_e32 v37, 0xffff0000, v12
	v_and_b32_e32 v32, 0xffff0000, v32
	v_max_f32_e32 v32, v32, v32
	v_max_f32_e32 v37, v37, v37
	v_min_f32_e32 v38, v37, v32
	v_max_f32_e32 v32, v37, v32
	v_cndmask_b32_e32 v37, v32, v38, vcc
	v_and_b32_e32 v32, 0x7f800000, v37
	v_cmp_ne_u32_e64 s[24:25], s85, v32
                                        ; implicit-def: $vgpr32
	s_and_saveexec_b64 s[40:41], s[24:25]
	s_xor_b64 s[24:25], exec, s[40:41]
; %bb.2017:                             ;   in Loop: Header=BB32_1948 Depth=3
	v_bfe_u32 v32, v37, 16, 1
	v_add3_u32 v32, v37, v32, s86
                                        ; implicit-def: $vgpr37
; %bb.2018:                             ;   in Loop: Header=BB32_1948 Depth=3
	s_andn2_saveexec_b64 s[40:41], s[24:25]
; %bb.2019:                             ;   in Loop: Header=BB32_1948 Depth=3
	v_or_b32_e32 v32, 0x10000, v37
	v_cmp_eq_u32_sdwa s[24:25], v37, v3 src0_sel:WORD_0 src1_sel:DWORD
	s_nop 1
	v_cndmask_b32_e64 v32, v32, v37, s[24:25]
; %bb.2020:                             ;   in Loop: Header=BB32_1948 Depth=3
	s_or_b64 exec, exec, s[40:41]
	v_lshlrev_b32_e32 v37, 16, v13
	v_lshlrev_b32_e32 v38, 16, v33
	v_max_f32_e32 v38, v38, v38
	v_max_f32_e32 v37, v37, v37
	v_min_f32_e32 v39, v37, v38
	v_max_f32_e32 v37, v37, v38
	v_cndmask_b32_e32 v38, v37, v39, vcc
	v_and_b32_e32 v37, 0x7f800000, v38
	v_cmp_ne_u32_e64 s[24:25], s85, v37
                                        ; implicit-def: $vgpr37
	s_and_saveexec_b64 s[40:41], s[24:25]
	s_xor_b64 s[24:25], exec, s[40:41]
; %bb.2021:                             ;   in Loop: Header=BB32_1948 Depth=3
	v_bfe_u32 v37, v38, 16, 1
	v_add3_u32 v37, v38, v37, s86
                                        ; implicit-def: $vgpr38
; %bb.2022:                             ;   in Loop: Header=BB32_1948 Depth=3
	s_andn2_saveexec_b64 s[40:41], s[24:25]
; %bb.2023:                             ;   in Loop: Header=BB32_1948 Depth=3
	v_or_b32_e32 v37, 0x10000, v38
	v_cmp_eq_u32_sdwa s[24:25], v38, v3 src0_sel:WORD_0 src1_sel:DWORD
	s_nop 1
	v_cndmask_b32_e64 v37, v37, v38, s[24:25]
; %bb.2024:                             ;   in Loop: Header=BB32_1948 Depth=3
	s_or_b64 exec, exec, s[40:41]
	v_and_b32_e32 v38, 0xffff0000, v13
	v_and_b32_e32 v33, 0xffff0000, v33
	v_max_f32_e32 v33, v33, v33
	v_max_f32_e32 v38, v38, v38
	v_min_f32_e32 v39, v38, v33
	v_max_f32_e32 v33, v38, v33
	v_cndmask_b32_e32 v38, v33, v39, vcc
	v_and_b32_e32 v33, 0x7f800000, v38
	v_cmp_ne_u32_e64 s[24:25], s85, v33
                                        ; implicit-def: $vgpr33
	s_and_saveexec_b64 s[40:41], s[24:25]
	s_xor_b64 s[24:25], exec, s[40:41]
; %bb.2025:                             ;   in Loop: Header=BB32_1948 Depth=3
	v_bfe_u32 v33, v38, 16, 1
	v_add3_u32 v33, v38, v33, s86
                                        ; implicit-def: $vgpr38
; %bb.2026:                             ;   in Loop: Header=BB32_1948 Depth=3
	s_andn2_saveexec_b64 s[40:41], s[24:25]
; %bb.2027:                             ;   in Loop: Header=BB32_1948 Depth=3
	v_or_b32_e32 v33, 0x10000, v38
	v_cmp_eq_u32_sdwa s[24:25], v38, v3 src0_sel:WORD_0 src1_sel:DWORD
	s_nop 1
	v_cndmask_b32_e64 v33, v33, v38, s[24:25]
; %bb.2028:                             ;   in Loop: Header=BB32_1948 Depth=3
	s_or_b64 exec, exec, s[40:41]
	v_lshlrev_b32_e32 v38, 16, v14
	v_lshlrev_b32_e32 v39, 16, v34
	v_max_f32_e32 v39, v39, v39
	v_max_f32_e32 v38, v38, v38
	v_min_f32_e32 v48, v38, v39
	v_max_f32_e32 v38, v38, v39
	v_cndmask_b32_e32 v39, v38, v48, vcc
	v_and_b32_e32 v38, 0x7f800000, v39
	v_cmp_ne_u32_e64 s[24:25], s85, v38
                                        ; implicit-def: $vgpr38
	s_and_saveexec_b64 s[40:41], s[24:25]
	s_xor_b64 s[24:25], exec, s[40:41]
; %bb.2029:                             ;   in Loop: Header=BB32_1948 Depth=3
	v_bfe_u32 v38, v39, 16, 1
	v_add3_u32 v38, v39, v38, s86
                                        ; implicit-def: $vgpr39
; %bb.2030:                             ;   in Loop: Header=BB32_1948 Depth=3
	s_andn2_saveexec_b64 s[40:41], s[24:25]
; %bb.2031:                             ;   in Loop: Header=BB32_1948 Depth=3
	v_or_b32_e32 v38, 0x10000, v39
	v_cmp_eq_u32_sdwa s[24:25], v39, v3 src0_sel:WORD_0 src1_sel:DWORD
	s_nop 1
	v_cndmask_b32_e64 v38, v38, v39, s[24:25]
; %bb.2032:                             ;   in Loop: Header=BB32_1948 Depth=3
	s_or_b64 exec, exec, s[40:41]
	v_and_b32_e32 v39, 0xffff0000, v14
	v_and_b32_e32 v34, 0xffff0000, v34
	v_max_f32_e32 v34, v34, v34
	v_max_f32_e32 v39, v39, v39
	v_min_f32_e32 v48, v39, v34
	v_max_f32_e32 v34, v39, v34
	v_cndmask_b32_e32 v39, v34, v48, vcc
	v_and_b32_e32 v34, 0x7f800000, v39
	v_cmp_ne_u32_e64 s[24:25], s85, v34
                                        ; implicit-def: $vgpr34
	s_and_saveexec_b64 s[40:41], s[24:25]
	s_xor_b64 s[24:25], exec, s[40:41]
; %bb.2033:                             ;   in Loop: Header=BB32_1948 Depth=3
	v_bfe_u32 v34, v39, 16, 1
	v_add3_u32 v34, v39, v34, s86
                                        ; implicit-def: $vgpr39
; %bb.2034:                             ;   in Loop: Header=BB32_1948 Depth=3
	s_andn2_saveexec_b64 s[40:41], s[24:25]
; %bb.2035:                             ;   in Loop: Header=BB32_1948 Depth=3
	v_or_b32_e32 v34, 0x10000, v39
	v_cmp_eq_u32_sdwa s[24:25], v39, v3 src0_sel:WORD_0 src1_sel:DWORD
	s_nop 1
	v_cndmask_b32_e64 v34, v34, v39, s[24:25]
; %bb.2036:                             ;   in Loop: Header=BB32_1948 Depth=3
	s_or_b64 exec, exec, s[40:41]
	v_lshlrev_b32_e32 v39, 16, v15
	v_lshlrev_b32_e32 v48, 16, v35
	v_max_f32_e32 v48, v48, v48
	v_max_f32_e32 v39, v39, v39
	v_min_f32_e32 v49, v39, v48
	v_max_f32_e32 v39, v39, v48
	v_cndmask_b32_e32 v48, v39, v49, vcc
	v_and_b32_e32 v39, 0x7f800000, v48
	v_cmp_ne_u32_e64 s[24:25], s85, v39
                                        ; implicit-def: $vgpr39
	s_and_saveexec_b64 s[40:41], s[24:25]
	s_xor_b64 s[24:25], exec, s[40:41]
; %bb.2037:                             ;   in Loop: Header=BB32_1948 Depth=3
	v_bfe_u32 v39, v48, 16, 1
	v_add3_u32 v39, v48, v39, s86
                                        ; implicit-def: $vgpr48
; %bb.2038:                             ;   in Loop: Header=BB32_1948 Depth=3
	s_andn2_saveexec_b64 s[40:41], s[24:25]
; %bb.2039:                             ;   in Loop: Header=BB32_1948 Depth=3
	v_or_b32_e32 v39, 0x10000, v48
	v_cmp_eq_u32_sdwa s[24:25], v48, v3 src0_sel:WORD_0 src1_sel:DWORD
	s_nop 1
	v_cndmask_b32_e64 v39, v39, v48, s[24:25]
; %bb.2040:                             ;   in Loop: Header=BB32_1948 Depth=3
	s_or_b64 exec, exec, s[40:41]
	v_and_b32_e32 v48, 0xffff0000, v15
	v_and_b32_e32 v35, 0xffff0000, v35
	v_max_f32_e32 v35, v35, v35
	v_max_f32_e32 v48, v48, v48
	v_min_f32_e32 v49, v48, v35
	v_max_f32_e32 v35, v48, v35
	v_cndmask_b32_e32 v48, v35, v49, vcc
	v_and_b32_e32 v35, 0x7f800000, v48
	v_cmp_ne_u32_e64 s[24:25], s85, v35
                                        ; implicit-def: $vgpr35
	s_and_saveexec_b64 s[40:41], s[24:25]
	s_xor_b64 s[24:25], exec, s[40:41]
; %bb.2041:                             ;   in Loop: Header=BB32_1948 Depth=3
	v_bfe_u32 v35, v48, 16, 1
	v_add3_u32 v35, v48, v35, s86
                                        ; implicit-def: $vgpr48
; %bb.2042:                             ;   in Loop: Header=BB32_1948 Depth=3
	s_andn2_saveexec_b64 s[40:41], s[24:25]
; %bb.2043:                             ;   in Loop: Header=BB32_1948 Depth=3
	v_or_b32_e32 v35, 0x10000, v48
	v_cmp_eq_u32_sdwa s[24:25], v48, v3 src0_sel:WORD_0 src1_sel:DWORD
	s_nop 1
	v_cndmask_b32_e64 v35, v35, v48, s[24:25]
; %bb.2044:                             ;   in Loop: Header=BB32_1948 Depth=3
	s_or_b64 exec, exec, s[40:41]
	v_lshrrev_b32_e32 v36, 16, v36
	v_and_or_b32 v32, v32, s87, v36
	v_lshrrev_b32_e32 v36, 16, v38
	v_lshrrev_b32_e32 v37, 16, v37
	v_and_or_b32 v34, v34, s87, v36
	v_lshrrev_b32_e32 v36, 16, v39
	v_and_or_b32 v33, v33, s87, v37
	v_and_or_b32 v35, v35, s87, v36
	global_store_dwordx4 v[4:5], v[32:35], off offset:2048
	s_nop 1
	v_lshlrev_b32_e32 v32, 16, v8
	v_lshlrev_b32_e32 v33, 16, v24
	v_max_f32_e32 v33, v33, v33
	v_max_f32_e32 v32, v32, v32
	v_min_f32_e32 v34, v32, v33
	v_max_f32_e32 v32, v32, v33
	v_cndmask_b32_e32 v33, v32, v34, vcc
	v_and_b32_e32 v32, 0x7f800000, v33
	v_cmp_ne_u32_e64 s[24:25], s85, v32
                                        ; implicit-def: $vgpr32
	s_and_saveexec_b64 s[40:41], s[24:25]
	s_xor_b64 s[24:25], exec, s[40:41]
; %bb.2045:                             ;   in Loop: Header=BB32_1948 Depth=3
	v_bfe_u32 v32, v33, 16, 1
	v_add3_u32 v32, v33, v32, s86
                                        ; implicit-def: $vgpr33
; %bb.2046:                             ;   in Loop: Header=BB32_1948 Depth=3
	s_andn2_saveexec_b64 s[40:41], s[24:25]
; %bb.2047:                             ;   in Loop: Header=BB32_1948 Depth=3
	v_or_b32_e32 v32, 0x10000, v33
	v_cmp_eq_u32_sdwa s[24:25], v33, v3 src0_sel:WORD_0 src1_sel:DWORD
	s_nop 1
	v_cndmask_b32_e64 v32, v32, v33, s[24:25]
; %bb.2048:                             ;   in Loop: Header=BB32_1948 Depth=3
	s_or_b64 exec, exec, s[40:41]
	v_and_b32_e32 v33, 0xffff0000, v8
	v_and_b32_e32 v24, 0xffff0000, v24
	v_max_f32_e32 v24, v24, v24
	v_max_f32_e32 v33, v33, v33
	v_min_f32_e32 v34, v33, v24
	v_max_f32_e32 v24, v33, v24
	v_cndmask_b32_e32 v33, v24, v34, vcc
	v_and_b32_e32 v24, 0x7f800000, v33
	v_cmp_ne_u32_e64 s[24:25], s85, v24
                                        ; implicit-def: $vgpr24
	s_and_saveexec_b64 s[40:41], s[24:25]
	s_xor_b64 s[24:25], exec, s[40:41]
; %bb.2049:                             ;   in Loop: Header=BB32_1948 Depth=3
	v_bfe_u32 v24, v33, 16, 1
	v_add3_u32 v24, v33, v24, s86
                                        ; implicit-def: $vgpr33
; %bb.2050:                             ;   in Loop: Header=BB32_1948 Depth=3
	s_andn2_saveexec_b64 s[40:41], s[24:25]
; %bb.2051:                             ;   in Loop: Header=BB32_1948 Depth=3
	v_or_b32_e32 v24, 0x10000, v33
	v_cmp_eq_u32_sdwa s[24:25], v33, v3 src0_sel:WORD_0 src1_sel:DWORD
	s_nop 1
	v_cndmask_b32_e64 v24, v24, v33, s[24:25]
; %bb.2052:                             ;   in Loop: Header=BB32_1948 Depth=3
	s_or_b64 exec, exec, s[40:41]
	v_lshlrev_b32_e32 v33, 16, v9
	v_lshlrev_b32_e32 v34, 16, v25
	v_max_f32_e32 v34, v34, v34
	v_max_f32_e32 v33, v33, v33
	v_min_f32_e32 v35, v33, v34
	v_max_f32_e32 v33, v33, v34
	v_cndmask_b32_e32 v34, v33, v35, vcc
	v_and_b32_e32 v33, 0x7f800000, v34
	v_cmp_ne_u32_e64 s[24:25], s85, v33
                                        ; implicit-def: $vgpr33
	s_and_saveexec_b64 s[40:41], s[24:25]
	s_xor_b64 s[24:25], exec, s[40:41]
; %bb.2053:                             ;   in Loop: Header=BB32_1948 Depth=3
	v_bfe_u32 v33, v34, 16, 1
	v_add3_u32 v33, v34, v33, s86
                                        ; implicit-def: $vgpr34
; %bb.2054:                             ;   in Loop: Header=BB32_1948 Depth=3
	s_andn2_saveexec_b64 s[40:41], s[24:25]
; %bb.2055:                             ;   in Loop: Header=BB32_1948 Depth=3
	v_or_b32_e32 v33, 0x10000, v34
	v_cmp_eq_u32_sdwa s[24:25], v34, v3 src0_sel:WORD_0 src1_sel:DWORD
	s_nop 1
	v_cndmask_b32_e64 v33, v33, v34, s[24:25]
; %bb.2056:                             ;   in Loop: Header=BB32_1948 Depth=3
	s_or_b64 exec, exec, s[40:41]
	v_and_b32_e32 v34, 0xffff0000, v9
	v_and_b32_e32 v25, 0xffff0000, v25
	v_max_f32_e32 v25, v25, v25
	v_max_f32_e32 v34, v34, v34
	v_min_f32_e32 v35, v34, v25
	v_max_f32_e32 v25, v34, v25
	v_cndmask_b32_e32 v34, v25, v35, vcc
	v_and_b32_e32 v25, 0x7f800000, v34
	v_cmp_ne_u32_e64 s[24:25], s85, v25
                                        ; implicit-def: $vgpr25
	s_and_saveexec_b64 s[40:41], s[24:25]
	s_xor_b64 s[24:25], exec, s[40:41]
; %bb.2057:                             ;   in Loop: Header=BB32_1948 Depth=3
	v_bfe_u32 v25, v34, 16, 1
	v_add3_u32 v25, v34, v25, s86
                                        ; implicit-def: $vgpr34
; %bb.2058:                             ;   in Loop: Header=BB32_1948 Depth=3
	s_andn2_saveexec_b64 s[40:41], s[24:25]
; %bb.2059:                             ;   in Loop: Header=BB32_1948 Depth=3
	v_or_b32_e32 v25, 0x10000, v34
	v_cmp_eq_u32_sdwa s[24:25], v34, v3 src0_sel:WORD_0 src1_sel:DWORD
	s_nop 1
	v_cndmask_b32_e64 v25, v25, v34, s[24:25]
; %bb.2060:                             ;   in Loop: Header=BB32_1948 Depth=3
	s_or_b64 exec, exec, s[40:41]
	v_lshlrev_b32_e32 v34, 16, v10
	v_lshlrev_b32_e32 v35, 16, v26
	v_max_f32_e32 v35, v35, v35
	v_max_f32_e32 v34, v34, v34
	v_min_f32_e32 v36, v34, v35
	v_max_f32_e32 v34, v34, v35
	v_cndmask_b32_e32 v35, v34, v36, vcc
	v_and_b32_e32 v34, 0x7f800000, v35
	v_cmp_ne_u32_e64 s[24:25], s85, v34
                                        ; implicit-def: $vgpr34
	s_and_saveexec_b64 s[40:41], s[24:25]
	s_xor_b64 s[24:25], exec, s[40:41]
; %bb.2061:                             ;   in Loop: Header=BB32_1948 Depth=3
	v_bfe_u32 v34, v35, 16, 1
	v_add3_u32 v34, v35, v34, s86
                                        ; implicit-def: $vgpr35
; %bb.2062:                             ;   in Loop: Header=BB32_1948 Depth=3
	s_andn2_saveexec_b64 s[40:41], s[24:25]
; %bb.2063:                             ;   in Loop: Header=BB32_1948 Depth=3
	v_or_b32_e32 v34, 0x10000, v35
	v_cmp_eq_u32_sdwa s[24:25], v35, v3 src0_sel:WORD_0 src1_sel:DWORD
	s_nop 1
	v_cndmask_b32_e64 v34, v34, v35, s[24:25]
; %bb.2064:                             ;   in Loop: Header=BB32_1948 Depth=3
	s_or_b64 exec, exec, s[40:41]
	v_and_b32_e32 v35, 0xffff0000, v10
	v_and_b32_e32 v26, 0xffff0000, v26
	v_max_f32_e32 v26, v26, v26
	v_max_f32_e32 v35, v35, v35
	v_min_f32_e32 v36, v35, v26
	v_max_f32_e32 v26, v35, v26
	v_cndmask_b32_e32 v35, v26, v36, vcc
	v_and_b32_e32 v26, 0x7f800000, v35
	v_cmp_ne_u32_e64 s[24:25], s85, v26
                                        ; implicit-def: $vgpr26
	s_and_saveexec_b64 s[40:41], s[24:25]
	s_xor_b64 s[24:25], exec, s[40:41]
; %bb.2065:                             ;   in Loop: Header=BB32_1948 Depth=3
	v_bfe_u32 v26, v35, 16, 1
	v_add3_u32 v26, v35, v26, s86
                                        ; implicit-def: $vgpr35
; %bb.2066:                             ;   in Loop: Header=BB32_1948 Depth=3
	s_andn2_saveexec_b64 s[40:41], s[24:25]
; %bb.2067:                             ;   in Loop: Header=BB32_1948 Depth=3
	v_or_b32_e32 v26, 0x10000, v35
	v_cmp_eq_u32_sdwa s[24:25], v35, v3 src0_sel:WORD_0 src1_sel:DWORD
	s_nop 1
	v_cndmask_b32_e64 v26, v26, v35, s[24:25]
; %bb.2068:                             ;   in Loop: Header=BB32_1948 Depth=3
	s_or_b64 exec, exec, s[40:41]
	v_lshlrev_b32_e32 v35, 16, v11
	v_lshlrev_b32_e32 v36, 16, v27
	v_max_f32_e32 v36, v36, v36
	v_max_f32_e32 v35, v35, v35
	v_min_f32_e32 v37, v35, v36
	v_max_f32_e32 v35, v35, v36
	v_cndmask_b32_e32 v36, v35, v37, vcc
	v_and_b32_e32 v35, 0x7f800000, v36
	v_cmp_ne_u32_e64 s[24:25], s85, v35
                                        ; implicit-def: $vgpr35
	s_and_saveexec_b64 s[40:41], s[24:25]
	s_xor_b64 s[24:25], exec, s[40:41]
; %bb.2069:                             ;   in Loop: Header=BB32_1948 Depth=3
	v_bfe_u32 v35, v36, 16, 1
	v_add3_u32 v35, v36, v35, s86
                                        ; implicit-def: $vgpr36
; %bb.2070:                             ;   in Loop: Header=BB32_1948 Depth=3
	s_andn2_saveexec_b64 s[40:41], s[24:25]
; %bb.2071:                             ;   in Loop: Header=BB32_1948 Depth=3
	v_or_b32_e32 v35, 0x10000, v36
	v_cmp_eq_u32_sdwa s[24:25], v36, v3 src0_sel:WORD_0 src1_sel:DWORD
	s_nop 1
	v_cndmask_b32_e64 v35, v35, v36, s[24:25]
; %bb.2072:                             ;   in Loop: Header=BB32_1948 Depth=3
	s_or_b64 exec, exec, s[40:41]
	v_and_b32_e32 v36, 0xffff0000, v11
	v_and_b32_e32 v27, 0xffff0000, v27
	v_max_f32_e32 v27, v27, v27
	v_max_f32_e32 v36, v36, v36
	v_min_f32_e32 v37, v36, v27
	v_max_f32_e32 v27, v36, v27
	v_cndmask_b32_e32 v36, v27, v37, vcc
	v_and_b32_e32 v27, 0x7f800000, v36
	v_cmp_ne_u32_e64 s[24:25], s85, v27
                                        ; implicit-def: $vgpr27
	s_and_saveexec_b64 s[40:41], s[24:25]
	s_xor_b64 s[24:25], exec, s[40:41]
; %bb.2073:                             ;   in Loop: Header=BB32_1948 Depth=3
	v_bfe_u32 v27, v36, 16, 1
	v_add3_u32 v27, v36, v27, s86
                                        ; implicit-def: $vgpr36
; %bb.2074:                             ;   in Loop: Header=BB32_1948 Depth=3
	s_andn2_saveexec_b64 s[40:41], s[24:25]
	s_cbranch_execz .LBB32_1947
; %bb.2075:                             ;   in Loop: Header=BB32_1948 Depth=3
	v_or_b32_e32 v27, 0x10000, v36
	v_cmp_eq_u32_sdwa s[24:25], v36, v3 src0_sel:WORD_0 src1_sel:DWORD
	s_nop 1
	v_cndmask_b32_e64 v27, v27, v36, s[24:25]
	s_branch .LBB32_1947
.LBB32_2076:                            ;   in Loop: Header=BB32_1800 Depth=2
	s_or_b64 exec, exec, s[44:45]
	s_and_saveexec_b64 s[44:45], s[46:47]
	s_xor_b64 s[44:45], exec, s[44:45]
	s_cbranch_execz .LBB32_2078
; %bb.2077:                             ;   in Loop: Header=BB32_1800 Depth=2
	ds_write_b32 v0, v31
	s_trap 2
.LBB32_2078:                            ;   in Loop: Header=BB32_1800 Depth=2
	s_or_b64 exec, exec, s[42:43]
	;;#ASMSTART
	s_wakeup
	;;#ASMEND
.LBB32_2079:                            ;   in Loop: Header=BB32_1800 Depth=2
	s_or_b64 exec, exec, s[40:41]
.LBB32_2080:                            ;   in Loop: Header=BB32_1800 Depth=2
	s_andn2_saveexec_b64 s[28:29], s[28:29]
	s_cbranch_execz .LBB32_2082
; %bb.2081:                             ;   in Loop: Header=BB32_1800 Depth=2
	;;#ASMSTART
	s_waitcnt lgkmcnt(0) vmcnt(0)
	;;#ASMEND
	s_barrier
.LBB32_2082:                            ;   in Loop: Header=BB32_1800 Depth=2
	s_or_b64 exec, exec, s[28:29]
	v_and_b32_e32 v0, 16, v126
.LBB32_2083:                            ;   in Loop: Header=BB32_1800 Depth=2
	s_or_b64 exec, exec, s[24:25]
	v_cmp_ne_u32_e32 vcc, 0, v0
	s_xor_b64 s[24:25], s[10:11], -1
	s_and_b64 s[28:29], vcc, s[24:25]
	s_and_saveexec_b64 s[24:25], s[28:29]
	s_cbranch_execz .LBB32_2085
; %bb.2084:                             ;   in Loop: Header=BB32_1800 Depth=2
	flat_store_dword v[44:45], v31 sc0 sc1
.LBB32_2085:                            ;   in Loop: Header=BB32_1800 Depth=2
	s_or_b64 exec, exec, s[24:25]
	v_and_b32_e32 v0, 48, v126
	v_cmp_ne_u32_e32 vcc, 0, v0
	s_and_saveexec_b64 s[24:25], vcc
	s_cbranch_execz .LBB32_2087
; %bb.2086:                             ;   in Loop: Header=BB32_1800 Depth=2
	v_lshl_add_u64 v[116:117], v[116:117], 0, 4
	flat_store_dwordx2 v[40:41], v[116:117] sc0 sc1
.LBB32_2087:                            ;   in Loop: Header=BB32_1800 Depth=2
	s_or_b64 exec, exec, s[24:25]
	s_or_b64 exec, exec, s[26:27]
	s_add_i32 s24, s54, 1
	s_cmp_eq_u32 s54, s80
	s_cbranch_scc0 .LBB32_2562
	s_branch .LBB32_2563
.LBB32_2088:                            ;   in Loop: Header=BB32_1800 Depth=2
	s_or_b64 exec, exec, s[28:29]
	v_mov_b32_e32 v80, v96
.LBB32_2089:                            ;   in Loop: Header=BB32_1800 Depth=2
	s_or_b64 exec, exec, s[26:27]
	v_lshlrev_b32_e32 v22, 12, v2
	v_cmp_ne_u32_e32 vcc, v1, v22
	s_mov_b64 s[24:25], 0
	v_mov_b32_e32 v2, 0
                                        ; implicit-def: $vgpr16
	s_and_saveexec_b64 s[48:49], vcc
	s_cbranch_execz .LBB32_2097
; %bb.2090:                             ;   in Loop: Header=BB32_1800 Depth=2
	scratch_load_dword v2, off, s33 offset:208 ; 4-byte Folded Reload
	v_lshlrev_b32_e32 v0, 6, v0
	v_sub_u32_e32 v4, v1, v22
	v_ashrrev_i32_e32 v8, 31, v4
	v_lshrrev_b32_e32 v8, 22, v8
	v_add_u32_e32 v8, v4, v8
	v_and_b32_e32 v23, 0xfffffc00, v8
	v_sub_u32_e32 v24, v4, v23
	v_ashrrev_i32_e32 v9, 10, v8
	v_cmp_lt_i32_e64 s[24:25], 15, v24
	s_waitcnt vmcnt(0)
	v_sub_u32_e32 v0, v2, v0
	v_ashrrev_i32_e32 v2, 31, v0
	v_lshrrev_b32_e32 v2, 26, v2
	v_add_u32_e32 v2, v0, v2
	v_ashrrev_i32_e32 v5, 6, v2
	v_and_b32_e32 v2, 0xffffffc0, v2
	v_sub_u32_e32 v0, v0, v2
	v_lshlrev_b32_e32 v2, 4, v0
	v_lshl_add_u32 v2, v5, 10, v2
	v_sub_u32_e32 v26, v4, v2
	v_addc_co_u32_e64 v4, vcc, 0, v9, s[24:25]
	v_sub_u32_e32 v25, v4, v5
	v_cmp_lt_i32_e32 vcc, 15, v26
	s_and_saveexec_b64 s[50:51], vcc
	s_cbranch_execz .LBB32_2096
; %bb.2091:                             ;   in Loop: Header=BB32_1800 Depth=2
	v_add_u32_e32 v8, v2, v22
	s_and_b32 s76, s55, 1
	v_ashrrev_i32_e32 v9, 31, v8
	s_cmp_eq_u64 s[76:77], 0
	v_lshl_add_u64 v[4:5], v[8:9], 0, v[28:29]
	s_waitcnt lgkmcnt(0)
	v_lshl_add_u64 v[16:17], v[8:9], 0, v[54:55]
	v_lshl_add_u64 v[18:19], v[8:9], 0, v[72:73]
	v_lshl_add_u64 v[20:21], v[8:9], 0, v[52:53]
	s_mov_b64 s[52:53], 0
	s_cselect_b64 s[26:27], -1, 0
.LBB32_2092:                            ;   Parent Loop BB32_47 Depth=1
                                        ;     Parent Loop BB32_1800 Depth=2
                                        ; =>    This Loop Header: Depth=3
                                        ;         Child Loop BB32_2093 Depth 4
	global_load_dwordx4 v[8:11], v[4:5], off nt
	global_load_dwordx4 v[12:15], v[16:17], off nt
	s_waitcnt vmcnt(1)
	v_lshlrev_b32_e32 v2, 16, v8
	s_waitcnt vmcnt(0)
	v_and_b32_e32 v32, 0xffff0000, v12
	v_lshlrev_b32_e32 v12, 16, v12
	v_max_f32_e32 v12, v12, v12
	v_max_f32_e32 v2, v2, v2
	v_min_f32_e32 v33, v2, v12
	v_max_f32_e32 v2, v2, v12
	v_cndmask_b32_e64 v12, v2, v33, s[26:27]
	v_and_b32_e32 v27, 0xffff0000, v8
	v_and_b32_e32 v2, 0x7f800000, v12
	v_cmp_eq_u32_e32 vcc, s85, v2
	v_bfe_u32 v2, v12, 16, 1
	v_cmp_eq_u32_sdwa s[28:29], v12, v3 src0_sel:WORD_0 src1_sel:DWORD
	v_or_b32_e32 v33, 0x10000, v12
	v_max_f32_e32 v32, v32, v32
	v_max_f32_e32 v27, v27, v27
	v_add3_u32 v2, v12, v2, s86
	v_cndmask_b32_e64 v12, v33, v12, s[28:29]
	v_min_f32_e32 v33, v27, v32
	v_max_f32_e32 v27, v27, v32
	v_cndmask_b32_e64 v32, v27, v33, s[26:27]
	v_and_b32_e32 v27, 0x7f800000, v32
	v_cmp_eq_u32_e64 s[28:29], s85, v27
	v_bfe_u32 v27, v32, 16, 1
	v_cmp_eq_u32_sdwa s[40:41], v32, v3 src0_sel:WORD_0 src1_sel:DWORD
	v_or_b32_e32 v33, 0x10000, v32
	v_add3_u32 v27, v32, v27, s86
	v_cndmask_b32_e64 v32, v33, v32, s[40:41]
	v_and_b32_e32 v35, 0xffff0000, v13
	v_lshlrev_b32_e32 v33, 16, v9
	v_lshlrev_b32_e32 v13, 16, v13
	v_max_f32_e32 v13, v13, v13
	v_max_f32_e32 v33, v33, v33
	v_min_f32_e32 v36, v33, v13
	v_max_f32_e32 v13, v33, v13
	v_cndmask_b32_e64 v33, v13, v36, s[26:27]
	v_and_b32_e32 v34, 0xffff0000, v9
	v_and_b32_e32 v13, 0x7f800000, v33
	v_cmp_eq_u32_e64 s[40:41], s85, v13
	v_bfe_u32 v13, v33, 16, 1
	v_cmp_eq_u32_sdwa s[42:43], v33, v3 src0_sel:WORD_0 src1_sel:DWORD
	v_or_b32_e32 v36, 0x10000, v33
	v_max_f32_e32 v35, v35, v35
	v_max_f32_e32 v34, v34, v34
	v_add3_u32 v13, v33, v13, s86
	v_cndmask_b32_e64 v33, v36, v33, s[42:43]
	v_min_f32_e32 v36, v34, v35
	v_max_f32_e32 v34, v34, v35
	v_cndmask_b32_e64 v35, v34, v36, s[26:27]
	v_and_b32_e32 v34, 0x7f800000, v35
	v_cmp_eq_u32_e64 s[42:43], s85, v34
	v_bfe_u32 v34, v35, 16, 1
	v_cmp_eq_u32_sdwa s[44:45], v35, v3 src0_sel:WORD_0 src1_sel:DWORD
	v_or_b32_e32 v36, 0x10000, v35
	v_add3_u32 v34, v35, v34, s86
	v_cndmask_b32_e64 v35, v36, v35, s[44:45]
	v_and_b32_e32 v38, 0xffff0000, v14
	v_lshlrev_b32_e32 v36, 16, v10
	v_lshlrev_b32_e32 v14, 16, v14
	v_max_f32_e32 v14, v14, v14
	v_max_f32_e32 v36, v36, v36
	v_min_f32_e32 v39, v36, v14
	v_max_f32_e32 v14, v36, v14
	v_cndmask_b32_e64 v36, v14, v39, s[26:27]
	v_and_b32_e32 v37, 0xffff0000, v10
	v_and_b32_e32 v14, 0x7f800000, v36
	v_cmp_eq_u32_e64 s[44:45], s85, v14
	v_bfe_u32 v14, v36, 16, 1
	v_cmp_eq_u32_sdwa s[46:47], v36, v3 src0_sel:WORD_0 src1_sel:DWORD
	v_or_b32_e32 v39, 0x10000, v36
	v_max_f32_e32 v38, v38, v38
	v_max_f32_e32 v37, v37, v37
	v_add3_u32 v14, v36, v14, s86
	v_cndmask_b32_e64 v36, v39, v36, s[46:47]
	v_min_f32_e32 v39, v37, v38
	v_max_f32_e32 v37, v37, v38
	v_and_b32_e32 v48, 0xffff0000, v15
	v_lshlrev_b32_e32 v49, 16, v11
	v_lshlrev_b32_e32 v15, 16, v15
	v_cndmask_b32_e64 v38, v37, v39, s[26:27]
	v_max_f32_e32 v15, v15, v15
	v_max_f32_e32 v49, v49, v49
	v_and_b32_e32 v37, 0x7f800000, v38
	v_min_f32_e32 v50, v49, v15
	v_max_f32_e32 v15, v49, v15
	v_cmp_eq_u32_e64 s[46:47], s85, v37
	v_bfe_u32 v37, v38, 16, 1
	v_cmp_eq_u32_sdwa s[56:57], v38, v3 src0_sel:WORD_0 src1_sel:DWORD
	v_or_b32_e32 v39, 0x10000, v38
	v_cndmask_b32_e64 v15, v15, v50, s[26:27]
	v_add3_u32 v37, v38, v37, s86
	v_cndmask_b32_e64 v38, v39, v38, s[56:57]
	v_and_b32_e32 v39, 0xffff0000, v11
	v_and_b32_e32 v49, 0x7f800000, v15
	v_cmp_eq_u32_e64 s[56:57], s85, v49
	v_bfe_u32 v49, v15, 16, 1
	v_cmp_eq_u32_sdwa s[58:59], v15, v3 src0_sel:WORD_0 src1_sel:DWORD
	v_or_b32_e32 v50, 0x10000, v15
	v_max_f32_e32 v48, v48, v48
	v_max_f32_e32 v39, v39, v39
	v_add3_u32 v49, v15, v49, s86
	v_cndmask_b32_e64 v15, v50, v15, s[58:59]
	v_min_f32_e32 v50, v39, v48
	v_max_f32_e32 v39, v39, v48
	v_cndmask_b32_e64 v39, v39, v50, s[26:27]
	v_and_b32_e32 v48, 0x7f800000, v39
	v_cmp_eq_u32_e64 s[58:59], s85, v48
	v_bfe_u32 v48, v39, 16, 1
	v_cmp_eq_u32_sdwa s[60:61], v39, v3 src0_sel:WORD_0 src1_sel:DWORD
	v_or_b32_e32 v50, 0x10000, v39
	v_cndmask_b32_e32 v2, v2, v12, vcc
	v_add3_u32 v48, v39, v48, s86
	v_cndmask_b32_e64 v39, v50, v39, s[60:61]
	v_cndmask_b32_e64 v12, v27, v32, s[28:29]
	;; [unrolled: 1-line block ×5, first 2 shown]
	v_lshrrev_b32_e32 v2, 16, v2
	v_cndmask_b32_e64 v27, v34, v35, s[42:43]
	v_cndmask_b32_e64 v32, v37, v38, s[46:47]
	;; [unrolled: 1-line block ×3, first 2 shown]
	v_lshrrev_b32_e32 v13, 16, v13
	v_and_or_b32 v2, v12, s87, v2
	v_lshrrev_b32_e32 v12, 16, v14
	v_lshrrev_b32_e32 v14, 16, v15
	v_and_or_b32 v13, v27, s87, v13
	v_and_or_b32 v12, v32, s87, v12
	;; [unrolled: 1-line block ×3, first 2 shown]
	s_mov_b64 s[42:43], -1
	s_mov_b64 s[44:45], 0
.LBB32_2093:                            ;   Parent Loop BB32_47 Depth=1
                                        ;     Parent Loop BB32_1800 Depth=2
                                        ;       Parent Loop BB32_2092 Depth=3
                                        ; =>      This Inner Loop Header: Depth=4
	v_cndmask_b32_e64 v14, 0, 1, s[42:43]
	s_cmp_eq_u32 s44, 1
	v_cmp_ne_u32_e32 vcc, 1, v14
	s_cselect_b64 s[28:29], -1, 0
	v_cndmask_b32_e64 v33, v9, v13, s[42:43]
	v_cndmask_b32_e64 v32, v8, v2, s[42:43]
	;; [unrolled: 1-line block ×4, first 2 shown]
	v_cndmask_b32_e32 v37, v19, v21, vcc
	v_cndmask_b32_e64 v39, v19, v21, s[28:29]
	s_cmp_eq_u32 s44, 0
	v_cndmask_b32_e32 v36, v18, v20, vcc
	v_cndmask_b32_e64 v38, v18, v20, s[28:29]
	global_store_dwordx4 v[36:37], v[32:35], off
	s_cselect_b64 vcc, -1, 0
	s_and_b64 s[40:41], exec, s[42:43]
	v_lshl_add_u64 v[32:33], v[38:39], 0, s[90:91]
	s_mov_b64 s[44:45], 1
	s_mov_b64 s[42:43], 0
	v_cndmask_b32_e64 v21, v21, v33, s[28:29]
	v_cndmask_b32_e64 v20, v20, v32, s[28:29]
	v_cndmask_b32_e32 v19, v19, v33, vcc
	v_cndmask_b32_e32 v18, v18, v32, vcc
	s_mov_b64 vcc, s[40:41]
	s_cbranch_vccnz .LBB32_2093
; %bb.2094:                             ;   in Loop: Header=BB32_2092 Depth=3
	v_sub_u32_e32 v26, v26, v76
	v_cmp_gt_i32_e32 vcc, 16, v26
	v_lshl_add_u64 v[18:19], v[18:19], 0, v[98:99]
	v_lshl_add_u64 v[20:21], v[20:21], 0, v[98:99]
	;; [unrolled: 1-line block ×4, first 2 shown]
	s_or_b64 s[52:53], vcc, s[52:53]
	v_sub_u32_e32 v25, v25, v60
	s_andn2_b64 exec, exec, s[52:53]
	s_cbranch_execnz .LBB32_2092
; %bb.2095:                             ;   in Loop: Header=BB32_1800 Depth=2
	s_or_b64 exec, exec, s[52:53]
.LBB32_2096:                            ;   in Loop: Header=BB32_1800 Depth=2
	s_or_b64 exec, exec, s[50:51]
	v_and_b32_e32 v1, 14, v1
	v_cmp_lt_i32_e32 vcc, 0, v25
	v_sub_u32_e32 v2, v24, v1
	v_cndmask_b32_e64 v1, v24, v1, s[24:25]
	v_cndmask_b32_e32 v4, 0, v60, vcc
	v_cndmask_b32_e64 v2, 0, v2, s[24:25]
	v_sub_u32_e32 v4, v4, v25
	v_cmp_ne_u32_e32 vcc, 0, v1
	v_add3_u32 v2, v23, v22, v2
	v_lshl_add_u32 v16, v4, 6, v0
	s_and_b64 s[24:25], vcc, exec
.LBB32_2097:                            ;   in Loop: Header=BB32_1800 Depth=2
	s_or_b64 exec, exec, s[48:49]
	s_and_saveexec_b64 s[42:43], s[24:25]
	s_cbranch_execz .LBB32_2172
.LBB32_2098:                            ;   in Loop: Header=BB32_1800 Depth=2
	s_waitcnt vmcnt(0)
	v_ashrrev_i32_e32 v0, 31, v16
	v_ashrrev_i32_e32 v5, 31, v1
	v_lshrrev_b32_e32 v0, 26, v0
	v_lshrrev_b32_e32 v5, 21, v5
	v_add_u32_e32 v4, v16, v0
	v_add_u32_e32 v5, v1, v5
	v_ashrrev_i32_e32 v0, 6, v4
	v_ashrrev_i32_e32 v18, 11, v5
	v_sub_u32_e32 v17, v18, v0
	v_cmp_lt_i32_e32 vcc, 0, v17
	s_and_saveexec_b64 s[26:27], vcc
	s_cbranch_execz .LBB32_2166
; %bb.2099:                             ;   in Loop: Header=BB32_1800 Depth=2
	v_and_b32_e32 v4, 0x7fffffc0, v4
	v_sub_u32_e32 v4, v16, v4
	v_lshlrev_b32_e32 v4, 1, v4
	v_lshlrev_b32_e32 v5, 11, v0
	v_add3_u32 v4, v4, v2, v5
	s_and_b32 s76, s55, 1
	v_ashrrev_i32_e32 v5, 31, v4
	s_cmp_eq_u64 s[76:77], 0
	v_mov_b32_e32 v96, 0xc8
	v_lshl_add_u64 v[8:9], v[4:5], 0, v[72:73]
	v_lshl_add_u64 v[10:11], v[4:5], 0, v[52:53]
	s_mov_b64 s[28:29], 0
	s_cselect_b64 vcc, -1, 0
	v_mov_b64_e32 v[12:13], v[28:29]
	s_waitcnt lgkmcnt(0)
	v_mov_b64_e32 v[14:15], v[54:55]
	s_branch .LBB32_2101
.LBB32_2100:                            ;   in Loop: Header=BB32_2101 Depth=3
	s_or_b64 exec, exec, s[40:41]
	v_sub_u32_e32 v17, v17, v60
	v_cmp_gt_i32_e64 s[24:25], 1, v17
	flat_store_short_d16_hi v[8:9], v48 offset:1920 nt
	flat_store_short v[10:11], v19 nt
	flat_store_short v[10:11], v20 offset:128 nt
	flat_store_short v[10:11], v21 offset:256 nt
	;; [unrolled: 1-line block ×15, first 2 shown]
	v_lshl_add_u64 v[8:9], v[8:9], 0, v[78:79]
	v_lshl_add_u64 v[10:11], v[10:11], 0, v[78:79]
	;; [unrolled: 1-line block ×3, first 2 shown]
	s_or_b64 s[28:29], s[24:25], s[28:29]
	v_lshl_add_u64 v[12:13], v[12:13], 0, v[78:79]
	s_andn2_b64 exec, exec, s[28:29]
	s_cbranch_execz .LBB32_2165
.LBB32_2101:                            ;   Parent Loop BB32_47 Depth=1
                                        ;     Parent Loop BB32_1800 Depth=2
                                        ; =>    This Inner Loop Header: Depth=3
	v_lshl_add_u64 v[38:39], v[4:5], 0, v[12:13]
	v_lshl_add_u64 v[82:83], v[4:5], 0, v[14:15]
	flat_load_ushort v19, v[38:39] nt
	flat_load_ushort v20, v[38:39] offset:128 nt
	flat_load_ushort v21, v[38:39] offset:256 nt
	;; [unrolled: 1-line block ×14, first 2 shown]
	s_nop 0
	flat_load_ushort v38, v[38:39] offset:1920 nt
	s_nop 0
	flat_load_ushort v81, v[82:83] offset:128 nt
	flat_load_ushort v80, v[82:83] offset:256 nt
	;; [unrolled: 1-line block ×7, first 2 shown]
	flat_load_ushort v84, v[82:83] nt
	flat_load_ushort v66, v[82:83] offset:1024 nt
	flat_load_ushort v65, v[82:83] offset:1152 nt
	;; [unrolled: 1-line block ×8, first 2 shown]
	s_waitcnt vmcnt(0) lgkmcnt(0)
	v_lshlrev_b32_e32 v82, 16, v19
	v_max_f32_e32 v82, v82, v82
	v_lshlrev_b32_e32 v83, 16, v84
	v_max_f32_e32 v83, v83, v83
	v_min_f32_e32 v84, v82, v83
	v_max_f32_e32 v82, v82, v83
	v_cndmask_b32_e32 v82, v82, v84, vcc
	v_and_b32_e32 v83, 0x7f800000, v82
	v_cmp_ne_u32_e64 s[24:25], s85, v83
                                        ; implicit-def: $vgpr83
	s_and_saveexec_b64 s[40:41], s[24:25]
	s_xor_b64 s[24:25], exec, s[40:41]
; %bb.2102:                             ;   in Loop: Header=BB32_2101 Depth=3
	v_bfe_u32 v83, v82, 16, 1
	v_add3_u32 v83, v82, v83, s86
                                        ; implicit-def: $vgpr82
; %bb.2103:                             ;   in Loop: Header=BB32_2101 Depth=3
	s_andn2_saveexec_b64 s[40:41], s[24:25]
; %bb.2104:                             ;   in Loop: Header=BB32_2101 Depth=3
	v_or_b32_e32 v83, 0x10000, v82
	v_cmp_eq_u32_sdwa s[24:25], v82, v3 src0_sel:WORD_0 src1_sel:DWORD
	s_nop 1
	v_cndmask_b32_e64 v83, v83, v82, s[24:25]
; %bb.2105:                             ;   in Loop: Header=BB32_2101 Depth=3
	s_or_b64 exec, exec, s[40:41]
	v_lshlrev_b32_e32 v82, 16, v20
	v_lshlrev_b32_e32 v81, 16, v81
	v_max_f32_e32 v81, v81, v81
	v_max_f32_e32 v82, v82, v82
	flat_store_short_d16_hi v[8:9], v83 nt
	v_min_f32_e32 v83, v82, v81
	v_max_f32_e32 v81, v82, v81
	v_cndmask_b32_e32 v81, v81, v83, vcc
	v_and_b32_e32 v82, 0x7f800000, v81
	v_cmp_ne_u32_e64 s[24:25], s85, v82
                                        ; implicit-def: $vgpr82
	s_and_saveexec_b64 s[40:41], s[24:25]
	s_xor_b64 s[24:25], exec, s[40:41]
; %bb.2106:                             ;   in Loop: Header=BB32_2101 Depth=3
	v_bfe_u32 v82, v81, 16, 1
	v_add3_u32 v82, v81, v82, s86
                                        ; implicit-def: $vgpr81
; %bb.2107:                             ;   in Loop: Header=BB32_2101 Depth=3
	s_andn2_saveexec_b64 s[40:41], s[24:25]
; %bb.2108:                             ;   in Loop: Header=BB32_2101 Depth=3
	v_or_b32_e32 v82, 0x10000, v81
	v_cmp_eq_u32_sdwa s[24:25], v81, v3 src0_sel:WORD_0 src1_sel:DWORD
	s_nop 1
	v_cndmask_b32_e64 v82, v82, v81, s[24:25]
; %bb.2109:                             ;   in Loop: Header=BB32_2101 Depth=3
	s_or_b64 exec, exec, s[40:41]
	v_lshlrev_b32_e32 v81, 16, v21
	v_lshlrev_b32_e32 v80, 16, v80
	v_max_f32_e32 v80, v80, v80
	v_max_f32_e32 v81, v81, v81
	flat_store_short_d16_hi v[8:9], v82 offset:128 nt
	v_min_f32_e32 v82, v81, v80
	v_max_f32_e32 v80, v81, v80
	v_cndmask_b32_e32 v80, v80, v82, vcc
	v_and_b32_e32 v81, 0x7f800000, v80
	v_cmp_ne_u32_e64 s[24:25], s85, v81
                                        ; implicit-def: $vgpr81
	s_and_saveexec_b64 s[40:41], s[24:25]
	s_xor_b64 s[24:25], exec, s[40:41]
; %bb.2110:                             ;   in Loop: Header=BB32_2101 Depth=3
	v_bfe_u32 v81, v80, 16, 1
	v_add3_u32 v81, v80, v81, s86
                                        ; implicit-def: $vgpr80
; %bb.2111:                             ;   in Loop: Header=BB32_2101 Depth=3
	s_andn2_saveexec_b64 s[40:41], s[24:25]
; %bb.2112:                             ;   in Loop: Header=BB32_2101 Depth=3
	v_or_b32_e32 v81, 0x10000, v80
	v_cmp_eq_u32_sdwa s[24:25], v80, v3 src0_sel:WORD_0 src1_sel:DWORD
	s_nop 1
	v_cndmask_b32_e64 v81, v81, v80, s[24:25]
; %bb.2113:                             ;   in Loop: Header=BB32_2101 Depth=3
	s_or_b64 exec, exec, s[40:41]
	v_lshlrev_b32_e32 v80, 16, v22
	v_lshlrev_b32_e32 v71, 16, v71
	v_max_f32_e32 v71, v71, v71
	v_max_f32_e32 v80, v80, v80
	flat_store_short_d16_hi v[8:9], v81 offset:256 nt
	v_min_f32_e32 v81, v80, v71
	v_max_f32_e32 v71, v80, v71
	v_cndmask_b32_e32 v71, v71, v81, vcc
	v_and_b32_e32 v80, 0x7f800000, v71
	v_cmp_ne_u32_e64 s[24:25], s85, v80
                                        ; implicit-def: $vgpr80
	s_and_saveexec_b64 s[40:41], s[24:25]
	s_xor_b64 s[24:25], exec, s[40:41]
; %bb.2114:                             ;   in Loop: Header=BB32_2101 Depth=3
	v_bfe_u32 v80, v71, 16, 1
	v_add3_u32 v80, v71, v80, s86
                                        ; implicit-def: $vgpr71
; %bb.2115:                             ;   in Loop: Header=BB32_2101 Depth=3
	s_andn2_saveexec_b64 s[40:41], s[24:25]
; %bb.2116:                             ;   in Loop: Header=BB32_2101 Depth=3
	v_or_b32_e32 v80, 0x10000, v71
	v_cmp_eq_u32_sdwa s[24:25], v71, v3 src0_sel:WORD_0 src1_sel:DWORD
	s_nop 1
	v_cndmask_b32_e64 v80, v80, v71, s[24:25]
; %bb.2117:                             ;   in Loop: Header=BB32_2101 Depth=3
	s_or_b64 exec, exec, s[40:41]
	v_lshlrev_b32_e32 v71, 16, v23
	v_lshlrev_b32_e32 v70, 16, v70
	v_max_f32_e32 v70, v70, v70
	v_max_f32_e32 v71, v71, v71
	flat_store_short_d16_hi v[8:9], v80 offset:384 nt
	v_min_f32_e32 v80, v71, v70
	v_max_f32_e32 v70, v71, v70
	v_cndmask_b32_e32 v70, v70, v80, vcc
	v_and_b32_e32 v71, 0x7f800000, v70
	v_cmp_ne_u32_e64 s[24:25], s85, v71
                                        ; implicit-def: $vgpr71
	s_and_saveexec_b64 s[40:41], s[24:25]
	s_xor_b64 s[24:25], exec, s[40:41]
; %bb.2118:                             ;   in Loop: Header=BB32_2101 Depth=3
	v_bfe_u32 v71, v70, 16, 1
	v_add3_u32 v71, v70, v71, s86
                                        ; implicit-def: $vgpr70
; %bb.2119:                             ;   in Loop: Header=BB32_2101 Depth=3
	s_andn2_saveexec_b64 s[40:41], s[24:25]
; %bb.2120:                             ;   in Loop: Header=BB32_2101 Depth=3
	v_or_b32_e32 v71, 0x10000, v70
	v_cmp_eq_u32_sdwa s[24:25], v70, v3 src0_sel:WORD_0 src1_sel:DWORD
	s_nop 1
	v_cndmask_b32_e64 v71, v71, v70, s[24:25]
; %bb.2121:                             ;   in Loop: Header=BB32_2101 Depth=3
	s_or_b64 exec, exec, s[40:41]
	v_lshlrev_b32_e32 v70, 16, v24
	v_lshlrev_b32_e32 v69, 16, v69
	v_max_f32_e32 v69, v69, v69
	v_max_f32_e32 v70, v70, v70
	flat_store_short_d16_hi v[8:9], v71 offset:512 nt
	v_min_f32_e32 v71, v70, v69
	v_max_f32_e32 v69, v70, v69
	v_cndmask_b32_e32 v69, v69, v71, vcc
	v_and_b32_e32 v70, 0x7f800000, v69
	v_cmp_ne_u32_e64 s[24:25], s85, v70
                                        ; implicit-def: $vgpr70
	s_and_saveexec_b64 s[40:41], s[24:25]
	s_xor_b64 s[24:25], exec, s[40:41]
; %bb.2122:                             ;   in Loop: Header=BB32_2101 Depth=3
	v_bfe_u32 v70, v69, 16, 1
	v_add3_u32 v70, v69, v70, s86
                                        ; implicit-def: $vgpr69
; %bb.2123:                             ;   in Loop: Header=BB32_2101 Depth=3
	s_andn2_saveexec_b64 s[40:41], s[24:25]
; %bb.2124:                             ;   in Loop: Header=BB32_2101 Depth=3
	v_or_b32_e32 v70, 0x10000, v69
	v_cmp_eq_u32_sdwa s[24:25], v69, v3 src0_sel:WORD_0 src1_sel:DWORD
	s_nop 1
	v_cndmask_b32_e64 v70, v70, v69, s[24:25]
; %bb.2125:                             ;   in Loop: Header=BB32_2101 Depth=3
	s_or_b64 exec, exec, s[40:41]
	v_lshlrev_b32_e32 v69, 16, v25
	v_lshlrev_b32_e32 v68, 16, v68
	v_max_f32_e32 v68, v68, v68
	v_max_f32_e32 v69, v69, v69
	flat_store_short_d16_hi v[8:9], v70 offset:640 nt
	v_min_f32_e32 v70, v69, v68
	v_max_f32_e32 v68, v69, v68
	v_cndmask_b32_e32 v68, v68, v70, vcc
	v_and_b32_e32 v69, 0x7f800000, v68
	v_cmp_ne_u32_e64 s[24:25], s85, v69
                                        ; implicit-def: $vgpr69
	s_and_saveexec_b64 s[40:41], s[24:25]
	s_xor_b64 s[24:25], exec, s[40:41]
; %bb.2126:                             ;   in Loop: Header=BB32_2101 Depth=3
	v_bfe_u32 v69, v68, 16, 1
	v_add3_u32 v69, v68, v69, s86
                                        ; implicit-def: $vgpr68
; %bb.2127:                             ;   in Loop: Header=BB32_2101 Depth=3
	s_andn2_saveexec_b64 s[40:41], s[24:25]
; %bb.2128:                             ;   in Loop: Header=BB32_2101 Depth=3
	v_or_b32_e32 v69, 0x10000, v68
	v_cmp_eq_u32_sdwa s[24:25], v68, v3 src0_sel:WORD_0 src1_sel:DWORD
	s_nop 1
	v_cndmask_b32_e64 v69, v69, v68, s[24:25]
; %bb.2129:                             ;   in Loop: Header=BB32_2101 Depth=3
	s_or_b64 exec, exec, s[40:41]
	v_lshlrev_b32_e32 v68, 16, v26
	v_lshlrev_b32_e32 v67, 16, v67
	v_max_f32_e32 v67, v67, v67
	v_max_f32_e32 v68, v68, v68
	flat_store_short_d16_hi v[8:9], v69 offset:768 nt
	v_min_f32_e32 v69, v68, v67
	v_max_f32_e32 v67, v68, v67
	v_cndmask_b32_e32 v67, v67, v69, vcc
	v_and_b32_e32 v68, 0x7f800000, v67
	v_cmp_ne_u32_e64 s[24:25], s85, v68
                                        ; implicit-def: $vgpr68
	s_and_saveexec_b64 s[40:41], s[24:25]
	s_xor_b64 s[24:25], exec, s[40:41]
; %bb.2130:                             ;   in Loop: Header=BB32_2101 Depth=3
	v_bfe_u32 v68, v67, 16, 1
	v_add3_u32 v68, v67, v68, s86
                                        ; implicit-def: $vgpr67
; %bb.2131:                             ;   in Loop: Header=BB32_2101 Depth=3
	s_andn2_saveexec_b64 s[40:41], s[24:25]
; %bb.2132:                             ;   in Loop: Header=BB32_2101 Depth=3
	v_or_b32_e32 v68, 0x10000, v67
	v_cmp_eq_u32_sdwa s[24:25], v67, v3 src0_sel:WORD_0 src1_sel:DWORD
	s_nop 1
	v_cndmask_b32_e64 v68, v68, v67, s[24:25]
; %bb.2133:                             ;   in Loop: Header=BB32_2101 Depth=3
	s_or_b64 exec, exec, s[40:41]
	v_lshlrev_b32_e32 v67, 16, v27
	v_lshlrev_b32_e32 v66, 16, v66
	v_max_f32_e32 v66, v66, v66
	v_max_f32_e32 v67, v67, v67
	flat_store_short_d16_hi v[8:9], v68 offset:896 nt
	v_min_f32_e32 v68, v67, v66
	v_max_f32_e32 v66, v67, v66
	v_cndmask_b32_e32 v66, v66, v68, vcc
	v_and_b32_e32 v67, 0x7f800000, v66
	v_cmp_ne_u32_e64 s[24:25], s85, v67
                                        ; implicit-def: $vgpr67
	s_and_saveexec_b64 s[40:41], s[24:25]
	s_xor_b64 s[24:25], exec, s[40:41]
; %bb.2134:                             ;   in Loop: Header=BB32_2101 Depth=3
	v_bfe_u32 v67, v66, 16, 1
	v_add3_u32 v67, v66, v67, s86
                                        ; implicit-def: $vgpr66
; %bb.2135:                             ;   in Loop: Header=BB32_2101 Depth=3
	s_andn2_saveexec_b64 s[40:41], s[24:25]
; %bb.2136:                             ;   in Loop: Header=BB32_2101 Depth=3
	v_or_b32_e32 v67, 0x10000, v66
	v_cmp_eq_u32_sdwa s[24:25], v66, v3 src0_sel:WORD_0 src1_sel:DWORD
	s_nop 1
	v_cndmask_b32_e64 v67, v67, v66, s[24:25]
; %bb.2137:                             ;   in Loop: Header=BB32_2101 Depth=3
	s_or_b64 exec, exec, s[40:41]
	v_lshlrev_b32_e32 v66, 16, v32
	v_lshlrev_b32_e32 v65, 16, v65
	v_max_f32_e32 v65, v65, v65
	v_max_f32_e32 v66, v66, v66
	flat_store_short_d16_hi v[8:9], v67 offset:1024 nt
	v_min_f32_e32 v67, v66, v65
	v_max_f32_e32 v65, v66, v65
	v_cndmask_b32_e32 v65, v65, v67, vcc
	v_and_b32_e32 v66, 0x7f800000, v65
	v_cmp_ne_u32_e64 s[24:25], s85, v66
                                        ; implicit-def: $vgpr66
	s_and_saveexec_b64 s[40:41], s[24:25]
	s_xor_b64 s[24:25], exec, s[40:41]
; %bb.2138:                             ;   in Loop: Header=BB32_2101 Depth=3
	v_bfe_u32 v66, v65, 16, 1
	v_add3_u32 v66, v65, v66, s86
                                        ; implicit-def: $vgpr65
; %bb.2139:                             ;   in Loop: Header=BB32_2101 Depth=3
	s_andn2_saveexec_b64 s[40:41], s[24:25]
; %bb.2140:                             ;   in Loop: Header=BB32_2101 Depth=3
	v_or_b32_e32 v66, 0x10000, v65
	v_cmp_eq_u32_sdwa s[24:25], v65, v3 src0_sel:WORD_0 src1_sel:DWORD
	s_nop 1
	v_cndmask_b32_e64 v66, v66, v65, s[24:25]
; %bb.2141:                             ;   in Loop: Header=BB32_2101 Depth=3
	s_or_b64 exec, exec, s[40:41]
	v_lshlrev_b32_e32 v65, 16, v33
	v_lshlrev_b32_e32 v64, 16, v64
	v_max_f32_e32 v64, v64, v64
	v_max_f32_e32 v65, v65, v65
	flat_store_short_d16_hi v[8:9], v66 offset:1152 nt
	v_min_f32_e32 v66, v65, v64
	v_max_f32_e32 v64, v65, v64
	v_cndmask_b32_e32 v64, v64, v66, vcc
	v_and_b32_e32 v65, 0x7f800000, v64
	v_cmp_ne_u32_e64 s[24:25], s85, v65
                                        ; implicit-def: $vgpr65
	s_and_saveexec_b64 s[40:41], s[24:25]
	s_xor_b64 s[24:25], exec, s[40:41]
; %bb.2142:                             ;   in Loop: Header=BB32_2101 Depth=3
	v_bfe_u32 v65, v64, 16, 1
	v_add3_u32 v65, v64, v65, s86
                                        ; implicit-def: $vgpr64
; %bb.2143:                             ;   in Loop: Header=BB32_2101 Depth=3
	s_andn2_saveexec_b64 s[40:41], s[24:25]
; %bb.2144:                             ;   in Loop: Header=BB32_2101 Depth=3
	v_or_b32_e32 v65, 0x10000, v64
	v_cmp_eq_u32_sdwa s[24:25], v64, v3 src0_sel:WORD_0 src1_sel:DWORD
	s_nop 1
	v_cndmask_b32_e64 v65, v65, v64, s[24:25]
; %bb.2145:                             ;   in Loop: Header=BB32_2101 Depth=3
	s_or_b64 exec, exec, s[40:41]
	v_lshlrev_b32_e32 v64, 16, v34
	v_lshlrev_b32_e32 v51, 16, v51
	v_max_f32_e32 v51, v51, v51
	v_max_f32_e32 v64, v64, v64
	flat_store_short_d16_hi v[8:9], v65 offset:1280 nt
	v_min_f32_e32 v65, v64, v51
	v_max_f32_e32 v51, v64, v51
	v_cndmask_b32_e32 v51, v51, v65, vcc
	v_and_b32_e32 v64, 0x7f800000, v51
	v_cmp_ne_u32_e64 s[24:25], s85, v64
                                        ; implicit-def: $vgpr64
	s_and_saveexec_b64 s[40:41], s[24:25]
	s_xor_b64 s[24:25], exec, s[40:41]
; %bb.2146:                             ;   in Loop: Header=BB32_2101 Depth=3
	v_bfe_u32 v64, v51, 16, 1
	v_add3_u32 v64, v51, v64, s86
                                        ; implicit-def: $vgpr51
; %bb.2147:                             ;   in Loop: Header=BB32_2101 Depth=3
	s_andn2_saveexec_b64 s[40:41], s[24:25]
; %bb.2148:                             ;   in Loop: Header=BB32_2101 Depth=3
	v_or_b32_e32 v64, 0x10000, v51
	v_cmp_eq_u32_sdwa s[24:25], v51, v3 src0_sel:WORD_0 src1_sel:DWORD
	s_nop 1
	v_cndmask_b32_e64 v64, v64, v51, s[24:25]
; %bb.2149:                             ;   in Loop: Header=BB32_2101 Depth=3
	s_or_b64 exec, exec, s[40:41]
	v_lshlrev_b32_e32 v51, 16, v35
	v_lshlrev_b32_e32 v50, 16, v50
	v_max_f32_e32 v50, v50, v50
	v_max_f32_e32 v51, v51, v51
	flat_store_short_d16_hi v[8:9], v64 offset:1408 nt
	v_min_f32_e32 v64, v51, v50
	v_max_f32_e32 v50, v51, v50
	v_cndmask_b32_e32 v50, v50, v64, vcc
	v_and_b32_e32 v51, 0x7f800000, v50
	v_cmp_ne_u32_e64 s[24:25], s85, v51
                                        ; implicit-def: $vgpr51
	s_and_saveexec_b64 s[40:41], s[24:25]
	s_xor_b64 s[24:25], exec, s[40:41]
; %bb.2150:                             ;   in Loop: Header=BB32_2101 Depth=3
	v_bfe_u32 v51, v50, 16, 1
	v_add3_u32 v51, v50, v51, s86
                                        ; implicit-def: $vgpr50
; %bb.2151:                             ;   in Loop: Header=BB32_2101 Depth=3
	s_andn2_saveexec_b64 s[40:41], s[24:25]
; %bb.2152:                             ;   in Loop: Header=BB32_2101 Depth=3
	v_or_b32_e32 v51, 0x10000, v50
	v_cmp_eq_u32_sdwa s[24:25], v50, v3 src0_sel:WORD_0 src1_sel:DWORD
	s_nop 1
	v_cndmask_b32_e64 v51, v51, v50, s[24:25]
; %bb.2153:                             ;   in Loop: Header=BB32_2101 Depth=3
	s_or_b64 exec, exec, s[40:41]
	v_lshlrev_b32_e32 v50, 16, v36
	v_lshlrev_b32_e32 v49, 16, v49
	v_max_f32_e32 v49, v49, v49
	v_max_f32_e32 v50, v50, v50
	flat_store_short_d16_hi v[8:9], v51 offset:1536 nt
	v_min_f32_e32 v51, v50, v49
	v_max_f32_e32 v49, v50, v49
	v_cndmask_b32_e32 v49, v49, v51, vcc
	v_and_b32_e32 v50, 0x7f800000, v49
	v_cmp_ne_u32_e64 s[24:25], s85, v50
                                        ; implicit-def: $vgpr50
	s_and_saveexec_b64 s[40:41], s[24:25]
	s_xor_b64 s[24:25], exec, s[40:41]
; %bb.2154:                             ;   in Loop: Header=BB32_2101 Depth=3
	v_bfe_u32 v50, v49, 16, 1
	v_add3_u32 v50, v49, v50, s86
                                        ; implicit-def: $vgpr49
; %bb.2155:                             ;   in Loop: Header=BB32_2101 Depth=3
	s_andn2_saveexec_b64 s[40:41], s[24:25]
; %bb.2156:                             ;   in Loop: Header=BB32_2101 Depth=3
	v_or_b32_e32 v50, 0x10000, v49
	v_cmp_eq_u32_sdwa s[24:25], v49, v3 src0_sel:WORD_0 src1_sel:DWORD
	s_nop 1
	v_cndmask_b32_e64 v50, v50, v49, s[24:25]
; %bb.2157:                             ;   in Loop: Header=BB32_2101 Depth=3
	s_or_b64 exec, exec, s[40:41]
	v_lshlrev_b32_e32 v49, 16, v37
	v_lshlrev_b32_e32 v48, 16, v48
	v_max_f32_e32 v48, v48, v48
	v_max_f32_e32 v49, v49, v49
	flat_store_short_d16_hi v[8:9], v50 offset:1664 nt
	v_min_f32_e32 v50, v49, v48
	v_max_f32_e32 v48, v49, v48
	v_cndmask_b32_e32 v48, v48, v50, vcc
	v_and_b32_e32 v49, 0x7f800000, v48
	v_cmp_ne_u32_e64 s[24:25], s85, v49
                                        ; implicit-def: $vgpr49
	s_and_saveexec_b64 s[40:41], s[24:25]
	s_xor_b64 s[24:25], exec, s[40:41]
; %bb.2158:                             ;   in Loop: Header=BB32_2101 Depth=3
	v_bfe_u32 v49, v48, 16, 1
	v_add3_u32 v49, v48, v49, s86
                                        ; implicit-def: $vgpr48
; %bb.2159:                             ;   in Loop: Header=BB32_2101 Depth=3
	s_andn2_saveexec_b64 s[40:41], s[24:25]
; %bb.2160:                             ;   in Loop: Header=BB32_2101 Depth=3
	v_or_b32_e32 v49, 0x10000, v48
	v_cmp_eq_u32_sdwa s[24:25], v48, v3 src0_sel:WORD_0 src1_sel:DWORD
	s_nop 1
	v_cndmask_b32_e64 v49, v49, v48, s[24:25]
; %bb.2161:                             ;   in Loop: Header=BB32_2101 Depth=3
	s_or_b64 exec, exec, s[40:41]
	v_lshlrev_b32_e32 v48, 16, v38
	v_lshlrev_b32_e32 v39, 16, v39
	v_max_f32_e32 v39, v39, v39
	v_max_f32_e32 v48, v48, v48
	flat_store_short_d16_hi v[8:9], v49 offset:1792 nt
	v_min_f32_e32 v49, v48, v39
	v_max_f32_e32 v39, v48, v39
	v_cndmask_b32_e32 v39, v39, v49, vcc
	v_and_b32_e32 v48, 0x7f800000, v39
	v_cmp_ne_u32_e64 s[24:25], s85, v48
                                        ; implicit-def: $vgpr48
	s_and_saveexec_b64 s[40:41], s[24:25]
	s_xor_b64 s[24:25], exec, s[40:41]
; %bb.2162:                             ;   in Loop: Header=BB32_2101 Depth=3
	v_bfe_u32 v48, v39, 16, 1
	v_add3_u32 v48, v39, v48, s86
                                        ; implicit-def: $vgpr39
; %bb.2163:                             ;   in Loop: Header=BB32_2101 Depth=3
	s_andn2_saveexec_b64 s[40:41], s[24:25]
	s_cbranch_execz .LBB32_2100
; %bb.2164:                             ;   in Loop: Header=BB32_2101 Depth=3
	v_or_b32_e32 v48, 0x10000, v39
	v_cmp_eq_u32_sdwa s[24:25], v39, v3 src0_sel:WORD_0 src1_sel:DWORD
	s_nop 1
	v_cndmask_b32_e64 v48, v48, v39, s[24:25]
	s_branch .LBB32_2100
.LBB32_2165:                            ;   in Loop: Header=BB32_1800 Depth=2
	s_or_b64 exec, exec, s[28:29]
	scratch_load_dwordx2 v[84:85], off, s33 offset:200 ; 8-byte Folded Reload
	v_mov_b32_e32 v80, v96
.LBB32_2166:                            ;   in Loop: Header=BB32_1800 Depth=2
	s_or_b64 exec, exec, s[26:27]
	v_lshlrev_b32_e32 v4, 11, v18
	v_cmp_ne_u32_e32 vcc, v1, v4
	s_and_b64 exec, exec, vcc
	s_cbranch_execz .LBB32_2172
; %bb.2167:                             ;   in Loop: Header=BB32_1800 Depth=2
	v_lshlrev_b32_e32 v0, 6, v0
	v_sub_u32_e32 v0, v16, v0
	v_lshlrev_b32_e32 v5, 6, v17
	v_sub_u32_e32 v0, v0, v5
	v_ashrrev_i32_e32 v5, 31, v0
	v_lshrrev_b32_e32 v5, 26, v5
	v_add_u32_e32 v5, v0, v5
	v_and_b32_e32 v8, 0x7fffffc0, v5
	v_sub_u32_e32 v0, v0, v8
	v_lshlrev_b32_e32 v5, 1, v5
	v_and_b32_e32 v5, 0xffffff80, v5
	v_lshlrev_b32_e32 v0, 1, v0
	v_add3_u32 v4, v5, v0, v4
	v_sub_u32_e32 v0, v1, v4
	v_cmp_lt_i32_e32 vcc, 1, v0
	s_and_b64 exec, exec, vcc
	s_cbranch_execz .LBB32_2172
; %bb.2168:                             ;   in Loop: Header=BB32_1800 Depth=2
	v_add_u32_e32 v12, v4, v2
	s_and_b32 s76, s55, 1
	v_ashrrev_i32_e32 v13, 31, v12
	s_cmp_eq_u64 s[76:77], 0
	v_lshl_add_u64 v[4:5], v[12:13], 0, v[28:29]
	s_waitcnt lgkmcnt(0)
	v_lshl_add_u64 v[8:9], v[12:13], 0, v[54:55]
	v_lshl_add_u64 v[10:11], v[12:13], 0, v[72:73]
	;; [unrolled: 1-line block ×3, first 2 shown]
	s_mov_b64 s[44:45], 0
	s_cselect_b64 s[24:25], -1, 0
.LBB32_2169:                            ;   Parent Loop BB32_47 Depth=1
                                        ;     Parent Loop BB32_1800 Depth=2
                                        ; =>    This Loop Header: Depth=3
                                        ;         Child Loop BB32_2170 Depth 4
	flat_load_ushort v1, v[4:5] nt
	flat_load_ushort v2, v[8:9] nt
	s_mov_b64 s[26:27], -1
	s_mov_b64 s[46:47], 0
	s_waitcnt vmcnt(0) lgkmcnt(0)
	v_lshlrev_b32_e32 v14, 16, v1
	v_lshlrev_b32_e32 v2, 16, v2
	v_max_f32_e32 v2, v2, v2
	v_max_f32_e32 v14, v14, v14
	v_min_f32_e32 v15, v14, v2
	v_max_f32_e32 v2, v14, v2
	v_cndmask_b32_e64 v2, v2, v15, s[24:25]
	v_and_b32_e32 v14, 0x7f800000, v2
	v_bfe_u32 v15, v2, 16, 1
	v_or_b32_e32 v16, 0x10000, v2
	v_cmp_eq_u32_sdwa vcc, v2, v3 src0_sel:WORD_0 src1_sel:DWORD
	v_add3_u32 v15, v2, v15, s86
	s_nop 0
	v_cndmask_b32_e32 v2, v16, v2, vcc
	v_cmp_eq_u32_e32 vcc, s85, v14
	s_nop 1
	v_cndmask_b32_e32 v2, v15, v2, vcc
.LBB32_2170:                            ;   Parent Loop BB32_47 Depth=1
                                        ;     Parent Loop BB32_1800 Depth=2
                                        ;       Parent Loop BB32_2169 Depth=3
                                        ; =>      This Inner Loop Header: Depth=4
	s_mov_b64 vcc, s[26:27]
	v_cndmask_b32_e64 v14, 0, 1, s[26:27]
	s_cmp_eq_u32 s46, 1
	v_cndmask_b32_sdwa v18, v1, v2, vcc dst_sel:DWORD dst_unused:UNUSED_PAD src0_sel:DWORD src1_sel:WORD_1
	v_cmp_ne_u32_e32 vcc, 1, v14
	s_cselect_b64 s[28:29], -1, 0
	v_cndmask_b32_e64 v17, v11, v13, s[28:29]
	v_cndmask_b32_e32 v15, v11, v13, vcc
	s_cmp_eq_u32 s46, 0
	v_cndmask_b32_e32 v14, v10, v12, vcc
	v_cndmask_b32_e64 v16, v10, v12, s[28:29]
	flat_store_short v[14:15], v18 nt
	v_lshl_add_u64 v[14:15], v[16:17], 0, s[92:93]
	s_cselect_b64 vcc, -1, 0
	s_and_b64 s[40:41], exec, s[26:27]
	s_mov_b64 s[46:47], 1
	s_mov_b64 s[26:27], 0
	v_cndmask_b32_e64 v13, v13, v15, s[28:29]
	v_cndmask_b32_e64 v12, v12, v14, s[28:29]
	v_cndmask_b32_e32 v11, v11, v15, vcc
	v_cndmask_b32_e32 v10, v10, v14, vcc
	s_mov_b64 vcc, s[40:41]
	s_cbranch_vccnz .LBB32_2170
; %bb.2171:                             ;   in Loop: Header=BB32_2169 Depth=3
	v_sub_u32_e32 v0, v0, v88
	v_cmp_gt_i32_e32 vcc, 2, v0
	v_lshl_add_u64 v[10:11], v[10:11], 0, v[110:111]
	v_lshl_add_u64 v[12:13], v[12:13], 0, v[110:111]
	;; [unrolled: 1-line block ×3, first 2 shown]
	s_or_b64 s[44:45], vcc, s[44:45]
	v_lshl_add_u64 v[8:9], v[8:9], 0, v[122:123]
	s_andn2_b64 exec, exec, s[44:45]
	s_cbranch_execnz .LBB32_2169
.LBB32_2172:                            ;   in Loop: Header=BB32_1800 Depth=2
	s_or_b64 exec, exec, s[42:43]
	s_branch .LBB32_1944
.LBB32_2173:                            ;   in Loop: Header=BB32_1800 Depth=2
	s_mov_b64 s[26:27], -1
	s_and_saveexec_b64 s[24:25], s[18:19]
	s_cbranch_execz .LBB32_2175
; %bb.2174:                             ;   in Loop: Header=BB32_1800 Depth=2
	ds_read_b32 v0, v0 offset:720
	s_waitcnt lgkmcnt(0)
	v_and_b32_e32 v0, 15, v0
	v_cmp_eq_u32_e32 vcc, 0, v0
	s_orn2_b64 s[26:27], vcc, exec
.LBB32_2175:                            ;   in Loop: Header=BB32_1800 Depth=2
	s_or_b64 exec, exec, s[24:25]
	s_and_saveexec_b64 s[24:25], s[16:17]
	s_cbranch_execz .LBB32_2177
; %bb.2176:                             ;   in Loop: Header=BB32_1800 Depth=2
	ds_read_b32 v0, v0 offset:784
	s_waitcnt lgkmcnt(0)
	v_and_b32_e32 v0, 15, v0
	v_cmp_eq_u32_e32 vcc, 0, v0
	s_and_b64 s[28:29], s[26:27], vcc
	s_andn2_b64 s[26:27], s[26:27], exec
	s_and_b64 s[28:29], s[28:29], exec
	s_or_b64 s[26:27], s[26:27], s[28:29]
.LBB32_2177:                            ;   in Loop: Header=BB32_1800 Depth=2
	s_or_b64 exec, exec, s[24:25]
	s_xor_b64 s[26:27], s[26:27], -1
	v_cndmask_b32_e64 v1, 0, 1, s[26:27]
	v_lshlrev_b32_e32 v2, 1, v107
	s_mov_b64 s[24:25], -1
	v_mov_b32_e32 v0, 0
	v_cmp_ne_u32_e32 vcc, 0, v1
	s_cbranch_vccz .LBB32_2179
; %bb.2178:                             ;   in Loop: Header=BB32_1800 Depth=2
	scratch_load_dword v10, off, s33 offset:188 ; 4-byte Folded Reload
	s_and_saveexec_b64 s[40:41], s[24:25]
	s_cbranch_execnz .LBB32_2446
	s_branch .LBB32_2518
.LBB32_2179:                            ;   in Loop: Header=BB32_1800 Depth=2
	v_ashrrev_i32_e32 v0, 31, v2
	v_lshrrev_b32_e32 v0, 19, v0
	v_add_u32_e32 v0, v2, v0
	v_ashrrev_i32_e32 v58, 13, v0
	v_sub_u32_e32 v1, v58, v100
	v_cmp_lt_i32_e32 vcc, 0, v1
	s_and_saveexec_b64 s[26:27], vcc
	s_cbranch_execz .LBB32_2439
; %bb.2180:                             ;   in Loop: Header=BB32_1800 Depth=2
	scratch_load_dwordx2 v[4:5], off, s33 offset:264 ; 8-byte Folded Reload
	s_and_b32 s76, s55, 1
	s_cmp_eq_u64 s[76:77], 0
	v_mov_b64_e32 v[108:109], v[102:103]
	s_mov_b64 s[28:29], 0
	s_cselect_b64 s[24:25], -1, 0
	s_branch .LBB32_2182
.LBB32_2181:                            ;   in Loop: Header=BB32_2182 Depth=3
	s_or_b64 exec, exec, s[40:41]
	v_lshrrev_b32_e32 v0, 16, v0
	v_and_or_b32 v8, v8, s87, v0
	v_lshrrev_b32_e32 v0, 16, v13
	v_sub_u32_e32 v1, v1, v60
	v_lshrrev_b32_e32 v12, 16, v12
	v_and_or_b32 v10, v10, s87, v0
	v_lshrrev_b32_e32 v0, 16, v14
	v_cmp_gt_i32_e32 vcc, 1, v1
	v_and_or_b32 v9, v9, s87, v12
	v_and_or_b32 v11, v11, s87, v0
	s_or_b64 s[28:29], vcc, s[28:29]
	v_lshl_add_u64 v[4:5], v[4:5], 0, v[62:63]
	global_store_dwordx4 v[100:101], v[8:11], off
	s_andn2_b64 exec, exec, s[28:29]
	s_cbranch_execz .LBB32_2438
.LBB32_2182:                            ;   Parent Loop BB32_47 Depth=1
                                        ;     Parent Loop BB32_1800 Depth=2
                                        ; =>    This Inner Loop Header: Depth=3
	s_waitcnt vmcnt(0)
	v_lshl_add_u64 v[8:9], v[28:29], 0, v[4:5]
	v_add_co_u32_e32 v10, vcc, 0xfffff000, v8
	s_nop 1
	v_addc_co_u32_e32 v11, vcc, -1, v9, vcc
	global_load_dwordx4 v[100:103], v[10:11], off offset:-3072 nt
	v_add_co_u32_e32 v12, vcc, 0xfffff000, v4
	s_waitcnt vmcnt(0)
	v_lshlrev_b32_e32 v0, 16, v100
	v_addc_co_u32_e32 v13, vcc, -1, v5, vcc
	global_load_dwordx4 v[112:115], v[12:13], off offset:-3072 nt
	global_load_dwordx4 v[84:87], v[10:11], off offset:-2048 nt
	;; [unrolled: 1-line block ×5, first 2 shown]
	s_waitcnt lgkmcnt(0)
	global_load_dwordx4 v[52:55], v[8:9], off offset:-4096 nt
	global_load_dwordx4 v[64:67], v[4:5], off offset:-4096 nt
	;; [unrolled: 1-line block ×8, first 2 shown]
	s_nop 0
	global_load_dwordx4 v[8:11], v[8:9], off nt
	s_nop 0
	global_load_dwordx4 v[12:15], v[4:5], off nt
	v_max_f32_e32 v0, v0, v0
	s_waitcnt vmcnt(14)
	v_lshlrev_b32_e32 v118, 16, v112
	v_max_f32_e32 v118, v118, v118
	v_min_f32_e32 v119, v0, v118
	v_max_f32_e32 v0, v0, v118
	v_cndmask_b32_e64 v94, v0, v119, s[24:25]
	v_and_b32_e32 v0, 0x7f800000, v94
	v_cmp_ne_u32_e32 vcc, s85, v0
                                        ; implicit-def: $vgpr0
	s_and_saveexec_b64 s[40:41], vcc
	s_xor_b64 s[40:41], exec, s[40:41]
; %bb.2183:                             ;   in Loop: Header=BB32_2182 Depth=3
	v_bfe_u32 v0, v94, 16, 1
	v_add3_u32 v0, v94, v0, s86
                                        ; implicit-def: $vgpr94
; %bb.2184:                             ;   in Loop: Header=BB32_2182 Depth=3
	s_andn2_saveexec_b64 s[40:41], s[40:41]
; %bb.2185:                             ;   in Loop: Header=BB32_2182 Depth=3
	v_or_b32_e32 v0, 0x10000, v94
	v_cmp_eq_u32_sdwa vcc, v94, v3 src0_sel:WORD_0 src1_sel:DWORD
	s_nop 1
	v_cndmask_b32_e32 v0, v0, v94, vcc
; %bb.2186:                             ;   in Loop: Header=BB32_2182 Depth=3
	s_or_b64 exec, exec, s[40:41]
	v_and_b32_e32 v100, 0xffff0000, v100
	v_and_b32_e32 v112, 0xffff0000, v112
	v_max_f32_e32 v112, v112, v112
	v_max_f32_e32 v100, v100, v100
	v_min_f32_e32 v118, v100, v112
	v_max_f32_e32 v100, v100, v112
	v_cndmask_b32_e64 v100, v100, v118, s[24:25]
	v_and_b32_e32 v112, 0x7f800000, v100
	v_cmp_ne_u32_e32 vcc, s85, v112
                                        ; implicit-def: $vgpr112
	s_and_saveexec_b64 s[40:41], vcc
	s_xor_b64 s[40:41], exec, s[40:41]
; %bb.2187:                             ;   in Loop: Header=BB32_2182 Depth=3
	v_bfe_u32 v112, v100, 16, 1
	v_add3_u32 v112, v100, v112, s86
                                        ; implicit-def: $vgpr100
; %bb.2188:                             ;   in Loop: Header=BB32_2182 Depth=3
	s_andn2_saveexec_b64 s[40:41], s[40:41]
; %bb.2189:                             ;   in Loop: Header=BB32_2182 Depth=3
	v_or_b32_e32 v112, 0x10000, v100
	v_cmp_eq_u32_sdwa vcc, v100, v3 src0_sel:WORD_0 src1_sel:DWORD
	s_nop 1
	v_cndmask_b32_e32 v112, v112, v100, vcc
; %bb.2190:                             ;   in Loop: Header=BB32_2182 Depth=3
	s_or_b64 exec, exec, s[40:41]
	v_lshlrev_b32_e32 v100, 16, v101
	v_lshlrev_b32_e32 v118, 16, v113
	v_max_f32_e32 v118, v118, v118
	v_max_f32_e32 v100, v100, v100
	v_min_f32_e32 v119, v100, v118
	v_max_f32_e32 v100, v100, v118
	v_cndmask_b32_e64 v100, v100, v119, s[24:25]
	v_and_b32_e32 v118, 0x7f800000, v100
	v_cmp_ne_u32_e32 vcc, s85, v118
                                        ; implicit-def: $vgpr94
	s_and_saveexec_b64 s[40:41], vcc
	s_xor_b64 s[40:41], exec, s[40:41]
; %bb.2191:                             ;   in Loop: Header=BB32_2182 Depth=3
	v_bfe_u32 v118, v100, 16, 1
	v_add3_u32 v94, v100, v118, s86
                                        ; implicit-def: $vgpr100
; %bb.2192:                             ;   in Loop: Header=BB32_2182 Depth=3
	s_andn2_saveexec_b64 s[40:41], s[40:41]
; %bb.2193:                             ;   in Loop: Header=BB32_2182 Depth=3
	v_or_b32_e32 v118, 0x10000, v100
	v_cmp_eq_u32_sdwa vcc, v100, v3 src0_sel:WORD_0 src1_sel:DWORD
	s_nop 1
	v_cndmask_b32_e32 v94, v118, v100, vcc
; %bb.2194:                             ;   in Loop: Header=BB32_2182 Depth=3
	s_or_b64 exec, exec, s[40:41]
	v_and_b32_e32 v100, 0xffff0000, v101
	v_and_b32_e32 v101, 0xffff0000, v113
	v_max_f32_e32 v101, v101, v101
	v_max_f32_e32 v100, v100, v100
	v_min_f32_e32 v113, v100, v101
	v_max_f32_e32 v100, v100, v101
	v_cndmask_b32_e64 v100, v100, v113, s[24:25]
	v_and_b32_e32 v101, 0x7f800000, v100
	v_cmp_ne_u32_e32 vcc, s85, v101
                                        ; implicit-def: $vgpr113
	s_and_saveexec_b64 s[40:41], vcc
	s_xor_b64 s[40:41], exec, s[40:41]
; %bb.2195:                             ;   in Loop: Header=BB32_2182 Depth=3
	v_bfe_u32 v101, v100, 16, 1
	v_add3_u32 v113, v100, v101, s86
                                        ; implicit-def: $vgpr100
; %bb.2196:                             ;   in Loop: Header=BB32_2182 Depth=3
	s_andn2_saveexec_b64 s[40:41], s[40:41]
; %bb.2197:                             ;   in Loop: Header=BB32_2182 Depth=3
	v_or_b32_e32 v101, 0x10000, v100
	v_cmp_eq_u32_sdwa vcc, v100, v3 src0_sel:WORD_0 src1_sel:DWORD
	s_nop 1
	v_cndmask_b32_e32 v113, v101, v100, vcc
; %bb.2198:                             ;   in Loop: Header=BB32_2182 Depth=3
	s_or_b64 exec, exec, s[40:41]
	v_lshlrev_b32_e32 v100, 16, v102
	v_lshlrev_b32_e32 v101, 16, v114
	v_max_f32_e32 v101, v101, v101
	v_max_f32_e32 v100, v100, v100
	v_min_f32_e32 v118, v100, v101
	v_max_f32_e32 v100, v100, v101
	v_cndmask_b32_e64 v100, v100, v118, s[24:25]
	v_and_b32_e32 v101, 0x7f800000, v100
	v_cmp_ne_u32_e32 vcc, s85, v101
                                        ; implicit-def: $vgpr95
	s_and_saveexec_b64 s[40:41], vcc
	s_xor_b64 s[40:41], exec, s[40:41]
; %bb.2199:                             ;   in Loop: Header=BB32_2182 Depth=3
	v_bfe_u32 v101, v100, 16, 1
	v_add3_u32 v95, v100, v101, s86
                                        ; implicit-def: $vgpr100
; %bb.2200:                             ;   in Loop: Header=BB32_2182 Depth=3
	s_andn2_saveexec_b64 s[40:41], s[40:41]
; %bb.2201:                             ;   in Loop: Header=BB32_2182 Depth=3
	v_or_b32_e32 v101, 0x10000, v100
	v_cmp_eq_u32_sdwa vcc, v100, v3 src0_sel:WORD_0 src1_sel:DWORD
	s_nop 1
	v_cndmask_b32_e32 v95, v101, v100, vcc
; %bb.2202:                             ;   in Loop: Header=BB32_2182 Depth=3
	s_or_b64 exec, exec, s[40:41]
	v_and_b32_e32 v100, 0xffff0000, v102
	v_and_b32_e32 v101, 0xffff0000, v114
	v_max_f32_e32 v101, v101, v101
	v_max_f32_e32 v100, v100, v100
	v_min_f32_e32 v102, v100, v101
	v_max_f32_e32 v100, v100, v101
	v_cndmask_b32_e64 v100, v100, v102, s[24:25]
	v_and_b32_e32 v101, 0x7f800000, v100
	v_cmp_ne_u32_e32 vcc, s85, v101
                                        ; implicit-def: $vgpr102
	s_and_saveexec_b64 s[40:41], vcc
	s_xor_b64 s[40:41], exec, s[40:41]
; %bb.2203:                             ;   in Loop: Header=BB32_2182 Depth=3
	v_bfe_u32 v101, v100, 16, 1
	v_add3_u32 v102, v100, v101, s86
                                        ; implicit-def: $vgpr100
; %bb.2204:                             ;   in Loop: Header=BB32_2182 Depth=3
	s_andn2_saveexec_b64 s[40:41], s[40:41]
; %bb.2205:                             ;   in Loop: Header=BB32_2182 Depth=3
	v_or_b32_e32 v101, 0x10000, v100
	v_cmp_eq_u32_sdwa vcc, v100, v3 src0_sel:WORD_0 src1_sel:DWORD
	s_nop 1
	v_cndmask_b32_e32 v102, v101, v100, vcc
; %bb.2206:                             ;   in Loop: Header=BB32_2182 Depth=3
	s_or_b64 exec, exec, s[40:41]
	v_lshlrev_b32_e32 v100, 16, v103
	v_lshlrev_b32_e32 v101, 16, v115
	v_max_f32_e32 v101, v101, v101
	v_max_f32_e32 v100, v100, v100
	v_min_f32_e32 v114, v100, v101
	v_max_f32_e32 v100, v100, v101
	v_cndmask_b32_e64 v100, v100, v114, s[24:25]
	v_and_b32_e32 v101, 0x7f800000, v100
	v_cmp_ne_u32_e32 vcc, s85, v101
                                        ; implicit-def: $vgpr114
	s_and_saveexec_b64 s[40:41], vcc
	s_xor_b64 s[40:41], exec, s[40:41]
; %bb.2207:                             ;   in Loop: Header=BB32_2182 Depth=3
	v_bfe_u32 v101, v100, 16, 1
	v_add3_u32 v114, v100, v101, s86
                                        ; implicit-def: $vgpr100
; %bb.2208:                             ;   in Loop: Header=BB32_2182 Depth=3
	s_andn2_saveexec_b64 s[40:41], s[40:41]
; %bb.2209:                             ;   in Loop: Header=BB32_2182 Depth=3
	v_or_b32_e32 v101, 0x10000, v100
	v_cmp_eq_u32_sdwa vcc, v100, v3 src0_sel:WORD_0 src1_sel:DWORD
	s_nop 1
	v_cndmask_b32_e32 v114, v101, v100, vcc
; %bb.2210:                             ;   in Loop: Header=BB32_2182 Depth=3
	s_or_b64 exec, exec, s[40:41]
	v_and_b32_e32 v100, 0xffff0000, v103
	v_and_b32_e32 v101, 0xffff0000, v115
	v_max_f32_e32 v101, v101, v101
	v_max_f32_e32 v100, v100, v100
	v_min_f32_e32 v103, v100, v101
	v_max_f32_e32 v100, v100, v101
	v_cndmask_b32_e64 v100, v100, v103, s[24:25]
	v_and_b32_e32 v101, 0x7f800000, v100
	v_cmp_ne_u32_e32 vcc, s85, v101
                                        ; implicit-def: $vgpr103
	s_and_saveexec_b64 s[40:41], vcc
	s_xor_b64 s[40:41], exec, s[40:41]
; %bb.2211:                             ;   in Loop: Header=BB32_2182 Depth=3
	v_bfe_u32 v101, v100, 16, 1
	v_add3_u32 v103, v100, v101, s86
                                        ; implicit-def: $vgpr100
; %bb.2212:                             ;   in Loop: Header=BB32_2182 Depth=3
	s_andn2_saveexec_b64 s[40:41], s[40:41]
; %bb.2213:                             ;   in Loop: Header=BB32_2182 Depth=3
	v_or_b32_e32 v101, 0x10000, v100
	v_cmp_eq_u32_sdwa vcc, v100, v3 src0_sel:WORD_0 src1_sel:DWORD
	s_nop 1
	v_cndmask_b32_e32 v103, v101, v100, vcc
; %bb.2214:                             ;   in Loop: Header=BB32_2182 Depth=3
	s_or_b64 exec, exec, s[40:41]
	v_lshrrev_b32_e32 v0, 16, v0
	v_lshl_add_u64 v[100:101], v[72:73], 0, v[4:5]
	v_and_or_b32 v118, v112, s87, v0
	v_lshrrev_b32_e32 v0, 16, v95
	v_lshrrev_b32_e32 v115, 16, v94
	v_and_or_b32 v120, v102, s87, v0
	v_lshrrev_b32_e32 v0, 16, v114
	v_add_co_u32_e32 v102, vcc, 0xfffff000, v100
	v_and_or_b32 v119, v113, s87, v115
	v_and_or_b32 v121, v103, s87, v0
	v_addc_co_u32_e32 v103, vcc, -1, v101, vcc
	global_store_dwordx4 v[102:103], v[118:121], off offset:-3072
	s_waitcnt vmcnt(14)
	v_lshlrev_b32_e32 v0, 16, v84
	s_waitcnt vmcnt(13)
	v_lshlrev_b32_e32 v102, 16, v96
	v_max_f32_e32 v102, v102, v102
	v_max_f32_e32 v0, v0, v0
	v_min_f32_e32 v103, v0, v102
	v_max_f32_e32 v0, v0, v102
	v_cndmask_b32_e64 v102, v0, v103, s[24:25]
	v_and_b32_e32 v0, 0x7f800000, v102
	v_cmp_ne_u32_e32 vcc, s85, v0
                                        ; implicit-def: $vgpr0
	s_and_saveexec_b64 s[40:41], vcc
	s_xor_b64 s[40:41], exec, s[40:41]
; %bb.2215:                             ;   in Loop: Header=BB32_2182 Depth=3
	v_bfe_u32 v0, v102, 16, 1
	v_add3_u32 v0, v102, v0, s86
                                        ; implicit-def: $vgpr102
; %bb.2216:                             ;   in Loop: Header=BB32_2182 Depth=3
	s_andn2_saveexec_b64 s[40:41], s[40:41]
; %bb.2217:                             ;   in Loop: Header=BB32_2182 Depth=3
	v_or_b32_e32 v0, 0x10000, v102
	v_cmp_eq_u32_sdwa vcc, v102, v3 src0_sel:WORD_0 src1_sel:DWORD
	s_nop 1
	v_cndmask_b32_e32 v0, v0, v102, vcc
; %bb.2218:                             ;   in Loop: Header=BB32_2182 Depth=3
	s_or_b64 exec, exec, s[40:41]
	v_and_b32_e32 v84, 0xffff0000, v84
	v_and_b32_e32 v96, 0xffff0000, v96
	v_max_f32_e32 v96, v96, v96
	v_max_f32_e32 v84, v84, v84
	v_min_f32_e32 v102, v84, v96
	v_max_f32_e32 v84, v84, v96
	v_cndmask_b32_e64 v96, v84, v102, s[24:25]
	v_and_b32_e32 v84, 0x7f800000, v96
	v_cmp_ne_u32_e32 vcc, s85, v84
                                        ; implicit-def: $vgpr84
	s_and_saveexec_b64 s[40:41], vcc
	s_xor_b64 s[40:41], exec, s[40:41]
; %bb.2219:                             ;   in Loop: Header=BB32_2182 Depth=3
	v_bfe_u32 v84, v96, 16, 1
	v_add3_u32 v84, v96, v84, s86
                                        ; implicit-def: $vgpr96
; %bb.2220:                             ;   in Loop: Header=BB32_2182 Depth=3
	s_andn2_saveexec_b64 s[40:41], s[40:41]
; %bb.2221:                             ;   in Loop: Header=BB32_2182 Depth=3
	v_or_b32_e32 v84, 0x10000, v96
	v_cmp_eq_u32_sdwa vcc, v96, v3 src0_sel:WORD_0 src1_sel:DWORD
	s_nop 1
	v_cndmask_b32_e32 v84, v84, v96, vcc
; %bb.2222:                             ;   in Loop: Header=BB32_2182 Depth=3
	s_or_b64 exec, exec, s[40:41]
	v_lshlrev_b32_e32 v96, 16, v85
	v_lshlrev_b32_e32 v102, 16, v97
	v_max_f32_e32 v102, v102, v102
	v_max_f32_e32 v96, v96, v96
	v_min_f32_e32 v103, v96, v102
	v_max_f32_e32 v96, v96, v102
	v_cndmask_b32_e64 v102, v96, v103, s[24:25]
	v_and_b32_e32 v96, 0x7f800000, v102
	v_cmp_ne_u32_e32 vcc, s85, v96
                                        ; implicit-def: $vgpr96
	s_and_saveexec_b64 s[40:41], vcc
	s_xor_b64 s[40:41], exec, s[40:41]
; %bb.2223:                             ;   in Loop: Header=BB32_2182 Depth=3
	v_bfe_u32 v96, v102, 16, 1
	v_add3_u32 v96, v102, v96, s86
                                        ; implicit-def: $vgpr102
; %bb.2224:                             ;   in Loop: Header=BB32_2182 Depth=3
	s_andn2_saveexec_b64 s[40:41], s[40:41]
; %bb.2225:                             ;   in Loop: Header=BB32_2182 Depth=3
	v_or_b32_e32 v96, 0x10000, v102
	v_cmp_eq_u32_sdwa vcc, v102, v3 src0_sel:WORD_0 src1_sel:DWORD
	s_nop 1
	v_cndmask_b32_e32 v96, v96, v102, vcc
; %bb.2226:                             ;   in Loop: Header=BB32_2182 Depth=3
	s_or_b64 exec, exec, s[40:41]
	v_and_b32_e32 v85, 0xffff0000, v85
	v_and_b32_e32 v97, 0xffff0000, v97
	v_max_f32_e32 v97, v97, v97
	v_max_f32_e32 v85, v85, v85
	v_min_f32_e32 v102, v85, v97
	v_max_f32_e32 v85, v85, v97
	v_cndmask_b32_e64 v97, v85, v102, s[24:25]
	v_and_b32_e32 v85, 0x7f800000, v97
	v_cmp_ne_u32_e32 vcc, s85, v85
                                        ; implicit-def: $vgpr85
	s_and_saveexec_b64 s[40:41], vcc
	s_xor_b64 s[40:41], exec, s[40:41]
; %bb.2227:                             ;   in Loop: Header=BB32_2182 Depth=3
	v_bfe_u32 v85, v97, 16, 1
	v_add3_u32 v85, v97, v85, s86
                                        ; implicit-def: $vgpr97
; %bb.2228:                             ;   in Loop: Header=BB32_2182 Depth=3
	s_andn2_saveexec_b64 s[40:41], s[40:41]
; %bb.2229:                             ;   in Loop: Header=BB32_2182 Depth=3
	v_or_b32_e32 v85, 0x10000, v97
	v_cmp_eq_u32_sdwa vcc, v97, v3 src0_sel:WORD_0 src1_sel:DWORD
	s_nop 1
	v_cndmask_b32_e32 v85, v85, v97, vcc
; %bb.2230:                             ;   in Loop: Header=BB32_2182 Depth=3
	s_or_b64 exec, exec, s[40:41]
	v_lshlrev_b32_e32 v97, 16, v86
	v_lshlrev_b32_e32 v102, 16, v98
	v_max_f32_e32 v102, v102, v102
	v_max_f32_e32 v97, v97, v97
	v_min_f32_e32 v103, v97, v102
	v_max_f32_e32 v97, v97, v102
	v_cndmask_b32_e64 v102, v97, v103, s[24:25]
	v_and_b32_e32 v97, 0x7f800000, v102
	v_cmp_ne_u32_e32 vcc, s85, v97
                                        ; implicit-def: $vgpr97
	s_and_saveexec_b64 s[40:41], vcc
	s_xor_b64 s[40:41], exec, s[40:41]
; %bb.2231:                             ;   in Loop: Header=BB32_2182 Depth=3
	v_bfe_u32 v97, v102, 16, 1
	v_add3_u32 v97, v102, v97, s86
                                        ; implicit-def: $vgpr102
; %bb.2232:                             ;   in Loop: Header=BB32_2182 Depth=3
	s_andn2_saveexec_b64 s[40:41], s[40:41]
; %bb.2233:                             ;   in Loop: Header=BB32_2182 Depth=3
	v_or_b32_e32 v97, 0x10000, v102
	v_cmp_eq_u32_sdwa vcc, v102, v3 src0_sel:WORD_0 src1_sel:DWORD
	s_nop 1
	v_cndmask_b32_e32 v97, v97, v102, vcc
; %bb.2234:                             ;   in Loop: Header=BB32_2182 Depth=3
	s_or_b64 exec, exec, s[40:41]
	v_and_b32_e32 v86, 0xffff0000, v86
	v_and_b32_e32 v98, 0xffff0000, v98
	v_max_f32_e32 v98, v98, v98
	v_max_f32_e32 v86, v86, v86
	v_min_f32_e32 v102, v86, v98
	v_max_f32_e32 v86, v86, v98
	v_cndmask_b32_e64 v98, v86, v102, s[24:25]
	v_and_b32_e32 v86, 0x7f800000, v98
	v_cmp_ne_u32_e32 vcc, s85, v86
                                        ; implicit-def: $vgpr86
	s_and_saveexec_b64 s[40:41], vcc
	s_xor_b64 s[40:41], exec, s[40:41]
; %bb.2235:                             ;   in Loop: Header=BB32_2182 Depth=3
	v_bfe_u32 v86, v98, 16, 1
	v_add3_u32 v86, v98, v86, s86
                                        ; implicit-def: $vgpr98
; %bb.2236:                             ;   in Loop: Header=BB32_2182 Depth=3
	s_andn2_saveexec_b64 s[40:41], s[40:41]
; %bb.2237:                             ;   in Loop: Header=BB32_2182 Depth=3
	v_or_b32_e32 v86, 0x10000, v98
	v_cmp_eq_u32_sdwa vcc, v98, v3 src0_sel:WORD_0 src1_sel:DWORD
	s_nop 1
	v_cndmask_b32_e32 v86, v86, v98, vcc
; %bb.2238:                             ;   in Loop: Header=BB32_2182 Depth=3
	s_or_b64 exec, exec, s[40:41]
	v_lshlrev_b32_e32 v98, 16, v87
	v_lshlrev_b32_e32 v102, 16, v99
	v_max_f32_e32 v102, v102, v102
	v_max_f32_e32 v98, v98, v98
	v_min_f32_e32 v103, v98, v102
	v_max_f32_e32 v98, v98, v102
	v_cndmask_b32_e64 v102, v98, v103, s[24:25]
	v_and_b32_e32 v98, 0x7f800000, v102
	v_cmp_ne_u32_e32 vcc, s85, v98
                                        ; implicit-def: $vgpr98
	s_and_saveexec_b64 s[40:41], vcc
	s_xor_b64 s[40:41], exec, s[40:41]
; %bb.2239:                             ;   in Loop: Header=BB32_2182 Depth=3
	v_bfe_u32 v98, v102, 16, 1
	v_add3_u32 v98, v102, v98, s86
                                        ; implicit-def: $vgpr102
; %bb.2240:                             ;   in Loop: Header=BB32_2182 Depth=3
	s_andn2_saveexec_b64 s[40:41], s[40:41]
; %bb.2241:                             ;   in Loop: Header=BB32_2182 Depth=3
	v_or_b32_e32 v98, 0x10000, v102
	v_cmp_eq_u32_sdwa vcc, v102, v3 src0_sel:WORD_0 src1_sel:DWORD
	s_nop 1
	v_cndmask_b32_e32 v98, v98, v102, vcc
; %bb.2242:                             ;   in Loop: Header=BB32_2182 Depth=3
	s_or_b64 exec, exec, s[40:41]
	v_and_b32_e32 v87, 0xffff0000, v87
	v_and_b32_e32 v99, 0xffff0000, v99
	v_max_f32_e32 v99, v99, v99
	v_max_f32_e32 v87, v87, v87
	v_min_f32_e32 v102, v87, v99
	v_max_f32_e32 v87, v87, v99
	v_cndmask_b32_e64 v99, v87, v102, s[24:25]
	v_and_b32_e32 v87, 0x7f800000, v99
	v_cmp_ne_u32_e32 vcc, s85, v87
                                        ; implicit-def: $vgpr87
	s_and_saveexec_b64 s[40:41], vcc
	s_xor_b64 s[40:41], exec, s[40:41]
; %bb.2243:                             ;   in Loop: Header=BB32_2182 Depth=3
	v_bfe_u32 v87, v99, 16, 1
	v_add3_u32 v87, v99, v87, s86
                                        ; implicit-def: $vgpr99
; %bb.2244:                             ;   in Loop: Header=BB32_2182 Depth=3
	s_andn2_saveexec_b64 s[40:41], s[40:41]
; %bb.2245:                             ;   in Loop: Header=BB32_2182 Depth=3
	v_or_b32_e32 v87, 0x10000, v99
	v_cmp_eq_u32_sdwa vcc, v99, v3 src0_sel:WORD_0 src1_sel:DWORD
	s_nop 1
	v_cndmask_b32_e32 v87, v87, v99, vcc
; %bb.2246:                             ;   in Loop: Header=BB32_2182 Depth=3
	s_or_b64 exec, exec, s[40:41]
	v_lshrrev_b32_e32 v0, 16, v0
	v_lshrrev_b32_e32 v96, 16, v96
	v_and_or_b32 v84, v84, s87, v0
	v_lshrrev_b32_e32 v0, 16, v97
	v_and_or_b32 v85, v85, s87, v96
	v_and_or_b32 v86, v86, s87, v0
	v_lshrrev_b32_e32 v0, 16, v98
	v_add_co_u32_e32 v96, vcc, 0xfffff000, v100
	v_and_or_b32 v87, v87, s87, v0
	s_nop 0
	v_addc_co_u32_e32 v97, vcc, -1, v101, vcc
	global_store_dwordx4 v[96:97], v[84:87], off offset:-2048
	s_waitcnt vmcnt(13)
	v_lshlrev_b32_e32 v0, 16, v68
	v_max_f32_e32 v0, v0, v0
	s_waitcnt vmcnt(12)
	v_lshlrev_b32_e32 v84, 16, v80
	v_max_f32_e32 v84, v84, v84
	v_min_f32_e32 v85, v0, v84
	v_max_f32_e32 v0, v0, v84
	v_cndmask_b32_e64 v84, v0, v85, s[24:25]
	v_and_b32_e32 v0, 0x7f800000, v84
	v_cmp_ne_u32_e32 vcc, s85, v0
                                        ; implicit-def: $vgpr0
	s_and_saveexec_b64 s[40:41], vcc
	s_xor_b64 s[40:41], exec, s[40:41]
; %bb.2247:                             ;   in Loop: Header=BB32_2182 Depth=3
	v_bfe_u32 v0, v84, 16, 1
	v_add3_u32 v0, v84, v0, s86
                                        ; implicit-def: $vgpr84
; %bb.2248:                             ;   in Loop: Header=BB32_2182 Depth=3
	s_andn2_saveexec_b64 s[40:41], s[40:41]
; %bb.2249:                             ;   in Loop: Header=BB32_2182 Depth=3
	v_or_b32_e32 v0, 0x10000, v84
	v_cmp_eq_u32_sdwa vcc, v84, v3 src0_sel:WORD_0 src1_sel:DWORD
	s_nop 1
	v_cndmask_b32_e32 v0, v0, v84, vcc
; %bb.2250:                             ;   in Loop: Header=BB32_2182 Depth=3
	s_or_b64 exec, exec, s[40:41]
	v_and_b32_e32 v68, 0xffff0000, v68
	v_and_b32_e32 v80, 0xffff0000, v80
	v_max_f32_e32 v80, v80, v80
	v_max_f32_e32 v68, v68, v68
	v_min_f32_e32 v84, v68, v80
	v_max_f32_e32 v68, v68, v80
	v_cndmask_b32_e64 v80, v68, v84, s[24:25]
	v_and_b32_e32 v68, 0x7f800000, v80
	v_cmp_ne_u32_e32 vcc, s85, v68
                                        ; implicit-def: $vgpr68
	s_and_saveexec_b64 s[40:41], vcc
	s_xor_b64 s[40:41], exec, s[40:41]
; %bb.2251:                             ;   in Loop: Header=BB32_2182 Depth=3
	v_bfe_u32 v68, v80, 16, 1
	v_add3_u32 v68, v80, v68, s86
                                        ; implicit-def: $vgpr80
; %bb.2252:                             ;   in Loop: Header=BB32_2182 Depth=3
	s_andn2_saveexec_b64 s[40:41], s[40:41]
; %bb.2253:                             ;   in Loop: Header=BB32_2182 Depth=3
	v_or_b32_e32 v68, 0x10000, v80
	v_cmp_eq_u32_sdwa vcc, v80, v3 src0_sel:WORD_0 src1_sel:DWORD
	s_nop 1
	v_cndmask_b32_e32 v68, v68, v80, vcc
; %bb.2254:                             ;   in Loop: Header=BB32_2182 Depth=3
	s_or_b64 exec, exec, s[40:41]
	v_lshlrev_b32_e32 v80, 16, v69
	v_lshlrev_b32_e32 v84, 16, v81
	v_max_f32_e32 v84, v84, v84
	v_max_f32_e32 v80, v80, v80
	v_min_f32_e32 v85, v80, v84
	v_max_f32_e32 v80, v80, v84
	v_cndmask_b32_e64 v84, v80, v85, s[24:25]
	v_and_b32_e32 v80, 0x7f800000, v84
	v_cmp_ne_u32_e32 vcc, s85, v80
                                        ; implicit-def: $vgpr80
	s_and_saveexec_b64 s[40:41], vcc
	s_xor_b64 s[40:41], exec, s[40:41]
; %bb.2255:                             ;   in Loop: Header=BB32_2182 Depth=3
	v_bfe_u32 v80, v84, 16, 1
	v_add3_u32 v80, v84, v80, s86
                                        ; implicit-def: $vgpr84
; %bb.2256:                             ;   in Loop: Header=BB32_2182 Depth=3
	s_andn2_saveexec_b64 s[40:41], s[40:41]
; %bb.2257:                             ;   in Loop: Header=BB32_2182 Depth=3
	v_or_b32_e32 v80, 0x10000, v84
	v_cmp_eq_u32_sdwa vcc, v84, v3 src0_sel:WORD_0 src1_sel:DWORD
	s_nop 1
	v_cndmask_b32_e32 v80, v80, v84, vcc
; %bb.2258:                             ;   in Loop: Header=BB32_2182 Depth=3
	s_or_b64 exec, exec, s[40:41]
	v_and_b32_e32 v69, 0xffff0000, v69
	v_and_b32_e32 v81, 0xffff0000, v81
	v_max_f32_e32 v81, v81, v81
	v_max_f32_e32 v69, v69, v69
	v_min_f32_e32 v84, v69, v81
	v_max_f32_e32 v69, v69, v81
	v_cndmask_b32_e64 v81, v69, v84, s[24:25]
	v_and_b32_e32 v69, 0x7f800000, v81
	v_cmp_ne_u32_e32 vcc, s85, v69
                                        ; implicit-def: $vgpr69
	s_and_saveexec_b64 s[40:41], vcc
	s_xor_b64 s[40:41], exec, s[40:41]
; %bb.2259:                             ;   in Loop: Header=BB32_2182 Depth=3
	v_bfe_u32 v69, v81, 16, 1
	v_add3_u32 v69, v81, v69, s86
                                        ; implicit-def: $vgpr81
; %bb.2260:                             ;   in Loop: Header=BB32_2182 Depth=3
	s_andn2_saveexec_b64 s[40:41], s[40:41]
; %bb.2261:                             ;   in Loop: Header=BB32_2182 Depth=3
	v_or_b32_e32 v69, 0x10000, v81
	v_cmp_eq_u32_sdwa vcc, v81, v3 src0_sel:WORD_0 src1_sel:DWORD
	s_nop 1
	v_cndmask_b32_e32 v69, v69, v81, vcc
; %bb.2262:                             ;   in Loop: Header=BB32_2182 Depth=3
	s_or_b64 exec, exec, s[40:41]
	v_lshlrev_b32_e32 v81, 16, v70
	v_lshlrev_b32_e32 v84, 16, v82
	v_max_f32_e32 v84, v84, v84
	v_max_f32_e32 v81, v81, v81
	v_min_f32_e32 v85, v81, v84
	v_max_f32_e32 v81, v81, v84
	v_cndmask_b32_e64 v84, v81, v85, s[24:25]
	v_and_b32_e32 v81, 0x7f800000, v84
	v_cmp_ne_u32_e32 vcc, s85, v81
                                        ; implicit-def: $vgpr81
	s_and_saveexec_b64 s[40:41], vcc
	s_xor_b64 s[40:41], exec, s[40:41]
; %bb.2263:                             ;   in Loop: Header=BB32_2182 Depth=3
	v_bfe_u32 v81, v84, 16, 1
	v_add3_u32 v81, v84, v81, s86
                                        ; implicit-def: $vgpr84
; %bb.2264:                             ;   in Loop: Header=BB32_2182 Depth=3
	s_andn2_saveexec_b64 s[40:41], s[40:41]
; %bb.2265:                             ;   in Loop: Header=BB32_2182 Depth=3
	v_or_b32_e32 v81, 0x10000, v84
	v_cmp_eq_u32_sdwa vcc, v84, v3 src0_sel:WORD_0 src1_sel:DWORD
	s_nop 1
	v_cndmask_b32_e32 v81, v81, v84, vcc
; %bb.2266:                             ;   in Loop: Header=BB32_2182 Depth=3
	s_or_b64 exec, exec, s[40:41]
	v_and_b32_e32 v70, 0xffff0000, v70
	v_and_b32_e32 v82, 0xffff0000, v82
	v_max_f32_e32 v82, v82, v82
	v_max_f32_e32 v70, v70, v70
	v_min_f32_e32 v84, v70, v82
	v_max_f32_e32 v70, v70, v82
	v_cndmask_b32_e64 v82, v70, v84, s[24:25]
	v_and_b32_e32 v70, 0x7f800000, v82
	v_cmp_ne_u32_e32 vcc, s85, v70
                                        ; implicit-def: $vgpr70
	s_and_saveexec_b64 s[40:41], vcc
	s_xor_b64 s[40:41], exec, s[40:41]
; %bb.2267:                             ;   in Loop: Header=BB32_2182 Depth=3
	v_bfe_u32 v70, v82, 16, 1
	v_add3_u32 v70, v82, v70, s86
                                        ; implicit-def: $vgpr82
; %bb.2268:                             ;   in Loop: Header=BB32_2182 Depth=3
	s_andn2_saveexec_b64 s[40:41], s[40:41]
; %bb.2269:                             ;   in Loop: Header=BB32_2182 Depth=3
	v_or_b32_e32 v70, 0x10000, v82
	v_cmp_eq_u32_sdwa vcc, v82, v3 src0_sel:WORD_0 src1_sel:DWORD
	s_nop 1
	v_cndmask_b32_e32 v70, v70, v82, vcc
; %bb.2270:                             ;   in Loop: Header=BB32_2182 Depth=3
	s_or_b64 exec, exec, s[40:41]
	v_lshlrev_b32_e32 v82, 16, v71
	v_lshlrev_b32_e32 v84, 16, v83
	v_max_f32_e32 v84, v84, v84
	v_max_f32_e32 v82, v82, v82
	v_min_f32_e32 v85, v82, v84
	v_max_f32_e32 v82, v82, v84
	v_cndmask_b32_e64 v84, v82, v85, s[24:25]
	v_and_b32_e32 v82, 0x7f800000, v84
	v_cmp_ne_u32_e32 vcc, s85, v82
                                        ; implicit-def: $vgpr82
	s_and_saveexec_b64 s[40:41], vcc
	s_xor_b64 s[40:41], exec, s[40:41]
; %bb.2271:                             ;   in Loop: Header=BB32_2182 Depth=3
	v_bfe_u32 v82, v84, 16, 1
	v_add3_u32 v82, v84, v82, s86
                                        ; implicit-def: $vgpr84
; %bb.2272:                             ;   in Loop: Header=BB32_2182 Depth=3
	s_andn2_saveexec_b64 s[40:41], s[40:41]
; %bb.2273:                             ;   in Loop: Header=BB32_2182 Depth=3
	v_or_b32_e32 v82, 0x10000, v84
	v_cmp_eq_u32_sdwa vcc, v84, v3 src0_sel:WORD_0 src1_sel:DWORD
	s_nop 1
	v_cndmask_b32_e32 v82, v82, v84, vcc
; %bb.2274:                             ;   in Loop: Header=BB32_2182 Depth=3
	s_or_b64 exec, exec, s[40:41]
	v_and_b32_e32 v71, 0xffff0000, v71
	v_and_b32_e32 v83, 0xffff0000, v83
	v_max_f32_e32 v83, v83, v83
	v_max_f32_e32 v71, v71, v71
	v_min_f32_e32 v84, v71, v83
	v_max_f32_e32 v71, v71, v83
	v_cndmask_b32_e64 v83, v71, v84, s[24:25]
	v_and_b32_e32 v71, 0x7f800000, v83
	v_cmp_ne_u32_e32 vcc, s85, v71
                                        ; implicit-def: $vgpr71
	s_and_saveexec_b64 s[40:41], vcc
	s_xor_b64 s[40:41], exec, s[40:41]
; %bb.2275:                             ;   in Loop: Header=BB32_2182 Depth=3
	v_bfe_u32 v71, v83, 16, 1
	v_add3_u32 v71, v83, v71, s86
                                        ; implicit-def: $vgpr83
; %bb.2276:                             ;   in Loop: Header=BB32_2182 Depth=3
	s_andn2_saveexec_b64 s[40:41], s[40:41]
; %bb.2277:                             ;   in Loop: Header=BB32_2182 Depth=3
	v_or_b32_e32 v71, 0x10000, v83
	v_cmp_eq_u32_sdwa vcc, v83, v3 src0_sel:WORD_0 src1_sel:DWORD
	s_nop 1
	v_cndmask_b32_e32 v71, v71, v83, vcc
; %bb.2278:                             ;   in Loop: Header=BB32_2182 Depth=3
	s_or_b64 exec, exec, s[40:41]
	v_lshrrev_b32_e32 v0, 16, v0
	v_lshrrev_b32_e32 v80, 16, v80
	v_and_or_b32 v68, v68, s87, v0
	v_lshrrev_b32_e32 v0, 16, v81
	v_and_or_b32 v69, v69, s87, v80
	v_and_or_b32 v70, v70, s87, v0
	v_lshrrev_b32_e32 v0, 16, v82
	v_add_co_u32_e32 v80, vcc, 0xfffff000, v100
	v_and_or_b32 v71, v71, s87, v0
	s_nop 0
	v_addc_co_u32_e32 v81, vcc, -1, v101, vcc
	global_store_dwordx4 v[80:81], v[68:71], off offset:-1024
	s_waitcnt vmcnt(12)
	v_lshlrev_b32_e32 v0, 16, v52
	v_max_f32_e32 v0, v0, v0
	s_waitcnt vmcnt(11)
	v_lshlrev_b32_e32 v68, 16, v64
	v_max_f32_e32 v68, v68, v68
	v_min_f32_e32 v69, v0, v68
	v_max_f32_e32 v0, v0, v68
	v_cndmask_b32_e64 v68, v0, v69, s[24:25]
	v_and_b32_e32 v0, 0x7f800000, v68
	v_cmp_ne_u32_e32 vcc, s85, v0
                                        ; implicit-def: $vgpr0
	s_and_saveexec_b64 s[40:41], vcc
	s_xor_b64 s[40:41], exec, s[40:41]
; %bb.2279:                             ;   in Loop: Header=BB32_2182 Depth=3
	v_bfe_u32 v0, v68, 16, 1
	v_add3_u32 v0, v68, v0, s86
                                        ; implicit-def: $vgpr68
; %bb.2280:                             ;   in Loop: Header=BB32_2182 Depth=3
	s_andn2_saveexec_b64 s[40:41], s[40:41]
; %bb.2281:                             ;   in Loop: Header=BB32_2182 Depth=3
	v_or_b32_e32 v0, 0x10000, v68
	v_cmp_eq_u32_sdwa vcc, v68, v3 src0_sel:WORD_0 src1_sel:DWORD
	s_nop 1
	v_cndmask_b32_e32 v0, v0, v68, vcc
; %bb.2282:                             ;   in Loop: Header=BB32_2182 Depth=3
	s_or_b64 exec, exec, s[40:41]
	v_and_b32_e32 v52, 0xffff0000, v52
	v_and_b32_e32 v64, 0xffff0000, v64
	v_max_f32_e32 v64, v64, v64
	v_max_f32_e32 v52, v52, v52
	v_min_f32_e32 v68, v52, v64
	v_max_f32_e32 v52, v52, v64
	v_cndmask_b32_e64 v64, v52, v68, s[24:25]
	v_and_b32_e32 v52, 0x7f800000, v64
	v_cmp_ne_u32_e32 vcc, s85, v52
                                        ; implicit-def: $vgpr52
	s_and_saveexec_b64 s[40:41], vcc
	s_xor_b64 s[40:41], exec, s[40:41]
; %bb.2283:                             ;   in Loop: Header=BB32_2182 Depth=3
	v_bfe_u32 v52, v64, 16, 1
	v_add3_u32 v52, v64, v52, s86
                                        ; implicit-def: $vgpr64
; %bb.2284:                             ;   in Loop: Header=BB32_2182 Depth=3
	s_andn2_saveexec_b64 s[40:41], s[40:41]
; %bb.2285:                             ;   in Loop: Header=BB32_2182 Depth=3
	v_or_b32_e32 v52, 0x10000, v64
	v_cmp_eq_u32_sdwa vcc, v64, v3 src0_sel:WORD_0 src1_sel:DWORD
	s_nop 1
	v_cndmask_b32_e32 v52, v52, v64, vcc
; %bb.2286:                             ;   in Loop: Header=BB32_2182 Depth=3
	s_or_b64 exec, exec, s[40:41]
	v_lshlrev_b32_e32 v64, 16, v53
	v_lshlrev_b32_e32 v68, 16, v65
	v_max_f32_e32 v68, v68, v68
	v_max_f32_e32 v64, v64, v64
	v_min_f32_e32 v69, v64, v68
	v_max_f32_e32 v64, v64, v68
	v_cndmask_b32_e64 v68, v64, v69, s[24:25]
	v_and_b32_e32 v64, 0x7f800000, v68
	v_cmp_ne_u32_e32 vcc, s85, v64
                                        ; implicit-def: $vgpr64
	s_and_saveexec_b64 s[40:41], vcc
	s_xor_b64 s[40:41], exec, s[40:41]
; %bb.2287:                             ;   in Loop: Header=BB32_2182 Depth=3
	v_bfe_u32 v64, v68, 16, 1
	v_add3_u32 v64, v68, v64, s86
                                        ; implicit-def: $vgpr68
; %bb.2288:                             ;   in Loop: Header=BB32_2182 Depth=3
	s_andn2_saveexec_b64 s[40:41], s[40:41]
; %bb.2289:                             ;   in Loop: Header=BB32_2182 Depth=3
	v_or_b32_e32 v64, 0x10000, v68
	v_cmp_eq_u32_sdwa vcc, v68, v3 src0_sel:WORD_0 src1_sel:DWORD
	s_nop 1
	v_cndmask_b32_e32 v64, v64, v68, vcc
; %bb.2290:                             ;   in Loop: Header=BB32_2182 Depth=3
	s_or_b64 exec, exec, s[40:41]
	v_and_b32_e32 v53, 0xffff0000, v53
	v_and_b32_e32 v65, 0xffff0000, v65
	v_max_f32_e32 v65, v65, v65
	v_max_f32_e32 v53, v53, v53
	v_min_f32_e32 v68, v53, v65
	v_max_f32_e32 v53, v53, v65
	v_cndmask_b32_e64 v65, v53, v68, s[24:25]
	v_and_b32_e32 v53, 0x7f800000, v65
	v_cmp_ne_u32_e32 vcc, s85, v53
                                        ; implicit-def: $vgpr53
	s_and_saveexec_b64 s[40:41], vcc
	s_xor_b64 s[40:41], exec, s[40:41]
; %bb.2291:                             ;   in Loop: Header=BB32_2182 Depth=3
	v_bfe_u32 v53, v65, 16, 1
	v_add3_u32 v53, v65, v53, s86
                                        ; implicit-def: $vgpr65
; %bb.2292:                             ;   in Loop: Header=BB32_2182 Depth=3
	s_andn2_saveexec_b64 s[40:41], s[40:41]
; %bb.2293:                             ;   in Loop: Header=BB32_2182 Depth=3
	v_or_b32_e32 v53, 0x10000, v65
	v_cmp_eq_u32_sdwa vcc, v65, v3 src0_sel:WORD_0 src1_sel:DWORD
	s_nop 1
	v_cndmask_b32_e32 v53, v53, v65, vcc
; %bb.2294:                             ;   in Loop: Header=BB32_2182 Depth=3
	s_or_b64 exec, exec, s[40:41]
	v_lshlrev_b32_e32 v65, 16, v54
	v_lshlrev_b32_e32 v68, 16, v66
	v_max_f32_e32 v68, v68, v68
	v_max_f32_e32 v65, v65, v65
	v_min_f32_e32 v69, v65, v68
	v_max_f32_e32 v65, v65, v68
	v_cndmask_b32_e64 v68, v65, v69, s[24:25]
	v_and_b32_e32 v65, 0x7f800000, v68
	v_cmp_ne_u32_e32 vcc, s85, v65
                                        ; implicit-def: $vgpr65
	s_and_saveexec_b64 s[40:41], vcc
	s_xor_b64 s[40:41], exec, s[40:41]
; %bb.2295:                             ;   in Loop: Header=BB32_2182 Depth=3
	v_bfe_u32 v65, v68, 16, 1
	v_add3_u32 v65, v68, v65, s86
                                        ; implicit-def: $vgpr68
; %bb.2296:                             ;   in Loop: Header=BB32_2182 Depth=3
	s_andn2_saveexec_b64 s[40:41], s[40:41]
; %bb.2297:                             ;   in Loop: Header=BB32_2182 Depth=3
	v_or_b32_e32 v65, 0x10000, v68
	v_cmp_eq_u32_sdwa vcc, v68, v3 src0_sel:WORD_0 src1_sel:DWORD
	s_nop 1
	v_cndmask_b32_e32 v65, v65, v68, vcc
; %bb.2298:                             ;   in Loop: Header=BB32_2182 Depth=3
	s_or_b64 exec, exec, s[40:41]
	v_and_b32_e32 v54, 0xffff0000, v54
	v_and_b32_e32 v66, 0xffff0000, v66
	v_max_f32_e32 v66, v66, v66
	v_max_f32_e32 v54, v54, v54
	v_min_f32_e32 v68, v54, v66
	v_max_f32_e32 v54, v54, v66
	v_cndmask_b32_e64 v66, v54, v68, s[24:25]
	v_and_b32_e32 v54, 0x7f800000, v66
	v_cmp_ne_u32_e32 vcc, s85, v54
                                        ; implicit-def: $vgpr54
	s_and_saveexec_b64 s[40:41], vcc
	s_xor_b64 s[40:41], exec, s[40:41]
; %bb.2299:                             ;   in Loop: Header=BB32_2182 Depth=3
	v_bfe_u32 v54, v66, 16, 1
	v_add3_u32 v54, v66, v54, s86
                                        ; implicit-def: $vgpr66
; %bb.2300:                             ;   in Loop: Header=BB32_2182 Depth=3
	s_andn2_saveexec_b64 s[40:41], s[40:41]
; %bb.2301:                             ;   in Loop: Header=BB32_2182 Depth=3
	v_or_b32_e32 v54, 0x10000, v66
	v_cmp_eq_u32_sdwa vcc, v66, v3 src0_sel:WORD_0 src1_sel:DWORD
	s_nop 1
	v_cndmask_b32_e32 v54, v54, v66, vcc
; %bb.2302:                             ;   in Loop: Header=BB32_2182 Depth=3
	s_or_b64 exec, exec, s[40:41]
	v_lshlrev_b32_e32 v66, 16, v55
	v_lshlrev_b32_e32 v68, 16, v67
	v_max_f32_e32 v68, v68, v68
	v_max_f32_e32 v66, v66, v66
	v_min_f32_e32 v69, v66, v68
	v_max_f32_e32 v66, v66, v68
	v_cndmask_b32_e64 v68, v66, v69, s[24:25]
	v_and_b32_e32 v66, 0x7f800000, v68
	v_cmp_ne_u32_e32 vcc, s85, v66
                                        ; implicit-def: $vgpr66
	s_and_saveexec_b64 s[40:41], vcc
	s_xor_b64 s[40:41], exec, s[40:41]
; %bb.2303:                             ;   in Loop: Header=BB32_2182 Depth=3
	v_bfe_u32 v66, v68, 16, 1
	v_add3_u32 v66, v68, v66, s86
                                        ; implicit-def: $vgpr68
; %bb.2304:                             ;   in Loop: Header=BB32_2182 Depth=3
	s_andn2_saveexec_b64 s[40:41], s[40:41]
; %bb.2305:                             ;   in Loop: Header=BB32_2182 Depth=3
	v_or_b32_e32 v66, 0x10000, v68
	v_cmp_eq_u32_sdwa vcc, v68, v3 src0_sel:WORD_0 src1_sel:DWORD
	s_nop 1
	v_cndmask_b32_e32 v66, v66, v68, vcc
; %bb.2306:                             ;   in Loop: Header=BB32_2182 Depth=3
	s_or_b64 exec, exec, s[40:41]
	v_and_b32_e32 v55, 0xffff0000, v55
	v_and_b32_e32 v67, 0xffff0000, v67
	v_max_f32_e32 v67, v67, v67
	v_max_f32_e32 v55, v55, v55
	v_min_f32_e32 v68, v55, v67
	v_max_f32_e32 v55, v55, v67
	v_cndmask_b32_e64 v67, v55, v68, s[24:25]
	v_and_b32_e32 v55, 0x7f800000, v67
	v_cmp_ne_u32_e32 vcc, s85, v55
                                        ; implicit-def: $vgpr55
	s_and_saveexec_b64 s[40:41], vcc
	s_xor_b64 s[40:41], exec, s[40:41]
; %bb.2307:                             ;   in Loop: Header=BB32_2182 Depth=3
	v_bfe_u32 v55, v67, 16, 1
	v_add3_u32 v55, v67, v55, s86
                                        ; implicit-def: $vgpr67
; %bb.2308:                             ;   in Loop: Header=BB32_2182 Depth=3
	s_andn2_saveexec_b64 s[40:41], s[40:41]
; %bb.2309:                             ;   in Loop: Header=BB32_2182 Depth=3
	v_or_b32_e32 v55, 0x10000, v67
	v_cmp_eq_u32_sdwa vcc, v67, v3 src0_sel:WORD_0 src1_sel:DWORD
	s_nop 1
	v_cndmask_b32_e32 v55, v55, v67, vcc
; %bb.2310:                             ;   in Loop: Header=BB32_2182 Depth=3
	s_or_b64 exec, exec, s[40:41]
	v_lshrrev_b32_e32 v0, 16, v0
	v_and_or_b32 v52, v52, s87, v0
	v_lshrrev_b32_e32 v0, 16, v65
	v_lshrrev_b32_e32 v64, 16, v64
	v_and_or_b32 v54, v54, s87, v0
	v_lshrrev_b32_e32 v0, 16, v66
	v_and_or_b32 v53, v53, s87, v64
	v_and_or_b32 v55, v55, s87, v0
	global_store_dwordx4 v[100:101], v[52:55], off offset:-4096
	s_waitcnt vmcnt(11)
	v_lshlrev_b32_e32 v0, 16, v36
	v_max_f32_e32 v0, v0, v0
	s_waitcnt vmcnt(10)
	v_lshlrev_b32_e32 v52, 16, v48
	v_max_f32_e32 v52, v52, v52
	v_min_f32_e32 v53, v0, v52
	v_max_f32_e32 v0, v0, v52
	v_cndmask_b32_e64 v52, v0, v53, s[24:25]
	v_and_b32_e32 v0, 0x7f800000, v52
	v_cmp_ne_u32_e32 vcc, s85, v0
                                        ; implicit-def: $vgpr0
	s_and_saveexec_b64 s[40:41], vcc
	s_xor_b64 s[40:41], exec, s[40:41]
; %bb.2311:                             ;   in Loop: Header=BB32_2182 Depth=3
	v_bfe_u32 v0, v52, 16, 1
	v_add3_u32 v0, v52, v0, s86
                                        ; implicit-def: $vgpr52
; %bb.2312:                             ;   in Loop: Header=BB32_2182 Depth=3
	s_andn2_saveexec_b64 s[40:41], s[40:41]
; %bb.2313:                             ;   in Loop: Header=BB32_2182 Depth=3
	v_or_b32_e32 v0, 0x10000, v52
	v_cmp_eq_u32_sdwa vcc, v52, v3 src0_sel:WORD_0 src1_sel:DWORD
	s_nop 1
	v_cndmask_b32_e32 v0, v0, v52, vcc
; %bb.2314:                             ;   in Loop: Header=BB32_2182 Depth=3
	s_or_b64 exec, exec, s[40:41]
	v_and_b32_e32 v36, 0xffff0000, v36
	v_and_b32_e32 v48, 0xffff0000, v48
	v_max_f32_e32 v48, v48, v48
	v_max_f32_e32 v36, v36, v36
	v_min_f32_e32 v52, v36, v48
	v_max_f32_e32 v36, v36, v48
	v_cndmask_b32_e64 v48, v36, v52, s[24:25]
	v_and_b32_e32 v36, 0x7f800000, v48
	v_cmp_ne_u32_e32 vcc, s85, v36
                                        ; implicit-def: $vgpr36
	s_and_saveexec_b64 s[40:41], vcc
	s_xor_b64 s[40:41], exec, s[40:41]
; %bb.2315:                             ;   in Loop: Header=BB32_2182 Depth=3
	v_bfe_u32 v36, v48, 16, 1
	v_add3_u32 v36, v48, v36, s86
                                        ; implicit-def: $vgpr48
; %bb.2316:                             ;   in Loop: Header=BB32_2182 Depth=3
	s_andn2_saveexec_b64 s[40:41], s[40:41]
; %bb.2317:                             ;   in Loop: Header=BB32_2182 Depth=3
	v_or_b32_e32 v36, 0x10000, v48
	v_cmp_eq_u32_sdwa vcc, v48, v3 src0_sel:WORD_0 src1_sel:DWORD
	s_nop 1
	v_cndmask_b32_e32 v36, v36, v48, vcc
; %bb.2318:                             ;   in Loop: Header=BB32_2182 Depth=3
	s_or_b64 exec, exec, s[40:41]
	v_lshlrev_b32_e32 v48, 16, v37
	v_lshlrev_b32_e32 v52, 16, v49
	v_max_f32_e32 v52, v52, v52
	v_max_f32_e32 v48, v48, v48
	v_min_f32_e32 v53, v48, v52
	v_max_f32_e32 v48, v48, v52
	v_cndmask_b32_e64 v52, v48, v53, s[24:25]
	v_and_b32_e32 v48, 0x7f800000, v52
	v_cmp_ne_u32_e32 vcc, s85, v48
                                        ; implicit-def: $vgpr48
	s_and_saveexec_b64 s[40:41], vcc
	s_xor_b64 s[40:41], exec, s[40:41]
; %bb.2319:                             ;   in Loop: Header=BB32_2182 Depth=3
	v_bfe_u32 v48, v52, 16, 1
	v_add3_u32 v48, v52, v48, s86
                                        ; implicit-def: $vgpr52
; %bb.2320:                             ;   in Loop: Header=BB32_2182 Depth=3
	s_andn2_saveexec_b64 s[40:41], s[40:41]
; %bb.2321:                             ;   in Loop: Header=BB32_2182 Depth=3
	v_or_b32_e32 v48, 0x10000, v52
	v_cmp_eq_u32_sdwa vcc, v52, v3 src0_sel:WORD_0 src1_sel:DWORD
	s_nop 1
	v_cndmask_b32_e32 v48, v48, v52, vcc
; %bb.2322:                             ;   in Loop: Header=BB32_2182 Depth=3
	s_or_b64 exec, exec, s[40:41]
	v_and_b32_e32 v37, 0xffff0000, v37
	v_and_b32_e32 v49, 0xffff0000, v49
	v_max_f32_e32 v49, v49, v49
	v_max_f32_e32 v37, v37, v37
	v_min_f32_e32 v52, v37, v49
	v_max_f32_e32 v37, v37, v49
	v_cndmask_b32_e64 v49, v37, v52, s[24:25]
	v_and_b32_e32 v37, 0x7f800000, v49
	v_cmp_ne_u32_e32 vcc, s85, v37
                                        ; implicit-def: $vgpr37
	s_and_saveexec_b64 s[40:41], vcc
	s_xor_b64 s[40:41], exec, s[40:41]
; %bb.2323:                             ;   in Loop: Header=BB32_2182 Depth=3
	v_bfe_u32 v37, v49, 16, 1
	v_add3_u32 v37, v49, v37, s86
                                        ; implicit-def: $vgpr49
; %bb.2324:                             ;   in Loop: Header=BB32_2182 Depth=3
	s_andn2_saveexec_b64 s[40:41], s[40:41]
; %bb.2325:                             ;   in Loop: Header=BB32_2182 Depth=3
	v_or_b32_e32 v37, 0x10000, v49
	v_cmp_eq_u32_sdwa vcc, v49, v3 src0_sel:WORD_0 src1_sel:DWORD
	s_nop 1
	v_cndmask_b32_e32 v37, v37, v49, vcc
; %bb.2326:                             ;   in Loop: Header=BB32_2182 Depth=3
	s_or_b64 exec, exec, s[40:41]
	v_lshlrev_b32_e32 v49, 16, v38
	v_lshlrev_b32_e32 v52, 16, v50
	v_max_f32_e32 v52, v52, v52
	v_max_f32_e32 v49, v49, v49
	v_min_f32_e32 v53, v49, v52
	v_max_f32_e32 v49, v49, v52
	v_cndmask_b32_e64 v52, v49, v53, s[24:25]
	v_and_b32_e32 v49, 0x7f800000, v52
	v_cmp_ne_u32_e32 vcc, s85, v49
                                        ; implicit-def: $vgpr49
	s_and_saveexec_b64 s[40:41], vcc
	s_xor_b64 s[40:41], exec, s[40:41]
; %bb.2327:                             ;   in Loop: Header=BB32_2182 Depth=3
	v_bfe_u32 v49, v52, 16, 1
	v_add3_u32 v49, v52, v49, s86
                                        ; implicit-def: $vgpr52
; %bb.2328:                             ;   in Loop: Header=BB32_2182 Depth=3
	s_andn2_saveexec_b64 s[40:41], s[40:41]
; %bb.2329:                             ;   in Loop: Header=BB32_2182 Depth=3
	v_or_b32_e32 v49, 0x10000, v52
	v_cmp_eq_u32_sdwa vcc, v52, v3 src0_sel:WORD_0 src1_sel:DWORD
	s_nop 1
	v_cndmask_b32_e32 v49, v49, v52, vcc
; %bb.2330:                             ;   in Loop: Header=BB32_2182 Depth=3
	s_or_b64 exec, exec, s[40:41]
	v_and_b32_e32 v38, 0xffff0000, v38
	v_and_b32_e32 v50, 0xffff0000, v50
	v_max_f32_e32 v50, v50, v50
	v_max_f32_e32 v38, v38, v38
	v_min_f32_e32 v52, v38, v50
	v_max_f32_e32 v38, v38, v50
	v_cndmask_b32_e64 v50, v38, v52, s[24:25]
	v_and_b32_e32 v38, 0x7f800000, v50
	v_cmp_ne_u32_e32 vcc, s85, v38
                                        ; implicit-def: $vgpr38
	s_and_saveexec_b64 s[40:41], vcc
	s_xor_b64 s[40:41], exec, s[40:41]
; %bb.2331:                             ;   in Loop: Header=BB32_2182 Depth=3
	v_bfe_u32 v38, v50, 16, 1
	v_add3_u32 v38, v50, v38, s86
                                        ; implicit-def: $vgpr50
; %bb.2332:                             ;   in Loop: Header=BB32_2182 Depth=3
	s_andn2_saveexec_b64 s[40:41], s[40:41]
; %bb.2333:                             ;   in Loop: Header=BB32_2182 Depth=3
	v_or_b32_e32 v38, 0x10000, v50
	v_cmp_eq_u32_sdwa vcc, v50, v3 src0_sel:WORD_0 src1_sel:DWORD
	s_nop 1
	v_cndmask_b32_e32 v38, v38, v50, vcc
; %bb.2334:                             ;   in Loop: Header=BB32_2182 Depth=3
	s_or_b64 exec, exec, s[40:41]
	v_lshlrev_b32_e32 v50, 16, v39
	v_lshlrev_b32_e32 v52, 16, v51
	v_max_f32_e32 v52, v52, v52
	v_max_f32_e32 v50, v50, v50
	v_min_f32_e32 v53, v50, v52
	v_max_f32_e32 v50, v50, v52
	v_cndmask_b32_e64 v52, v50, v53, s[24:25]
	v_and_b32_e32 v50, 0x7f800000, v52
	v_cmp_ne_u32_e32 vcc, s85, v50
                                        ; implicit-def: $vgpr50
	s_and_saveexec_b64 s[40:41], vcc
	s_xor_b64 s[40:41], exec, s[40:41]
; %bb.2335:                             ;   in Loop: Header=BB32_2182 Depth=3
	v_bfe_u32 v50, v52, 16, 1
	v_add3_u32 v50, v52, v50, s86
                                        ; implicit-def: $vgpr52
; %bb.2336:                             ;   in Loop: Header=BB32_2182 Depth=3
	s_andn2_saveexec_b64 s[40:41], s[40:41]
; %bb.2337:                             ;   in Loop: Header=BB32_2182 Depth=3
	v_or_b32_e32 v50, 0x10000, v52
	v_cmp_eq_u32_sdwa vcc, v52, v3 src0_sel:WORD_0 src1_sel:DWORD
	s_nop 1
	v_cndmask_b32_e32 v50, v50, v52, vcc
; %bb.2338:                             ;   in Loop: Header=BB32_2182 Depth=3
	s_or_b64 exec, exec, s[40:41]
	v_and_b32_e32 v39, 0xffff0000, v39
	v_and_b32_e32 v51, 0xffff0000, v51
	v_max_f32_e32 v51, v51, v51
	v_max_f32_e32 v39, v39, v39
	v_min_f32_e32 v52, v39, v51
	v_max_f32_e32 v39, v39, v51
	v_cndmask_b32_e64 v51, v39, v52, s[24:25]
	v_and_b32_e32 v39, 0x7f800000, v51
	v_cmp_ne_u32_e32 vcc, s85, v39
                                        ; implicit-def: $vgpr39
	s_and_saveexec_b64 s[40:41], vcc
	s_xor_b64 s[40:41], exec, s[40:41]
; %bb.2339:                             ;   in Loop: Header=BB32_2182 Depth=3
	v_bfe_u32 v39, v51, 16, 1
	v_add3_u32 v39, v51, v39, s86
                                        ; implicit-def: $vgpr51
; %bb.2340:                             ;   in Loop: Header=BB32_2182 Depth=3
	s_andn2_saveexec_b64 s[40:41], s[40:41]
; %bb.2341:                             ;   in Loop: Header=BB32_2182 Depth=3
	v_or_b32_e32 v39, 0x10000, v51
	v_cmp_eq_u32_sdwa vcc, v51, v3 src0_sel:WORD_0 src1_sel:DWORD
	s_nop 1
	v_cndmask_b32_e32 v39, v39, v51, vcc
; %bb.2342:                             ;   in Loop: Header=BB32_2182 Depth=3
	s_or_b64 exec, exec, s[40:41]
	v_lshrrev_b32_e32 v0, 16, v0
	v_and_or_b32 v36, v36, s87, v0
	v_lshrrev_b32_e32 v0, 16, v49
	v_lshrrev_b32_e32 v48, 16, v48
	v_and_or_b32 v38, v38, s87, v0
	v_lshrrev_b32_e32 v0, 16, v50
	v_and_or_b32 v37, v37, s87, v48
	v_and_or_b32 v39, v39, s87, v0
	global_store_dwordx4 v[100:101], v[36:39], off offset:-3072
	s_waitcnt vmcnt(10)
	v_lshlrev_b32_e32 v0, 16, v24
	v_max_f32_e32 v0, v0, v0
	s_waitcnt vmcnt(9)
	v_lshlrev_b32_e32 v36, 16, v32
	v_max_f32_e32 v36, v36, v36
	v_min_f32_e32 v37, v0, v36
	v_max_f32_e32 v0, v0, v36
	v_cndmask_b32_e64 v36, v0, v37, s[24:25]
	v_and_b32_e32 v0, 0x7f800000, v36
	v_cmp_ne_u32_e32 vcc, s85, v0
                                        ; implicit-def: $vgpr0
	s_and_saveexec_b64 s[40:41], vcc
	s_xor_b64 s[40:41], exec, s[40:41]
; %bb.2343:                             ;   in Loop: Header=BB32_2182 Depth=3
	v_bfe_u32 v0, v36, 16, 1
	v_add3_u32 v0, v36, v0, s86
                                        ; implicit-def: $vgpr36
; %bb.2344:                             ;   in Loop: Header=BB32_2182 Depth=3
	s_andn2_saveexec_b64 s[40:41], s[40:41]
; %bb.2345:                             ;   in Loop: Header=BB32_2182 Depth=3
	v_or_b32_e32 v0, 0x10000, v36
	v_cmp_eq_u32_sdwa vcc, v36, v3 src0_sel:WORD_0 src1_sel:DWORD
	s_nop 1
	v_cndmask_b32_e32 v0, v0, v36, vcc
; %bb.2346:                             ;   in Loop: Header=BB32_2182 Depth=3
	s_or_b64 exec, exec, s[40:41]
	v_and_b32_e32 v24, 0xffff0000, v24
	v_and_b32_e32 v32, 0xffff0000, v32
	v_max_f32_e32 v32, v32, v32
	v_max_f32_e32 v24, v24, v24
	v_min_f32_e32 v36, v24, v32
	v_max_f32_e32 v24, v24, v32
	v_cndmask_b32_e64 v32, v24, v36, s[24:25]
	v_and_b32_e32 v24, 0x7f800000, v32
	v_cmp_ne_u32_e32 vcc, s85, v24
                                        ; implicit-def: $vgpr24
	s_and_saveexec_b64 s[40:41], vcc
	s_xor_b64 s[40:41], exec, s[40:41]
; %bb.2347:                             ;   in Loop: Header=BB32_2182 Depth=3
	v_bfe_u32 v24, v32, 16, 1
	v_add3_u32 v24, v32, v24, s86
                                        ; implicit-def: $vgpr32
; %bb.2348:                             ;   in Loop: Header=BB32_2182 Depth=3
	s_andn2_saveexec_b64 s[40:41], s[40:41]
; %bb.2349:                             ;   in Loop: Header=BB32_2182 Depth=3
	v_or_b32_e32 v24, 0x10000, v32
	v_cmp_eq_u32_sdwa vcc, v32, v3 src0_sel:WORD_0 src1_sel:DWORD
	s_nop 1
	v_cndmask_b32_e32 v24, v24, v32, vcc
; %bb.2350:                             ;   in Loop: Header=BB32_2182 Depth=3
	s_or_b64 exec, exec, s[40:41]
	v_lshlrev_b32_e32 v32, 16, v25
	v_lshlrev_b32_e32 v36, 16, v33
	v_max_f32_e32 v36, v36, v36
	v_max_f32_e32 v32, v32, v32
	v_min_f32_e32 v37, v32, v36
	v_max_f32_e32 v32, v32, v36
	v_cndmask_b32_e64 v36, v32, v37, s[24:25]
	v_and_b32_e32 v32, 0x7f800000, v36
	v_cmp_ne_u32_e32 vcc, s85, v32
                                        ; implicit-def: $vgpr32
	s_and_saveexec_b64 s[40:41], vcc
	s_xor_b64 s[40:41], exec, s[40:41]
; %bb.2351:                             ;   in Loop: Header=BB32_2182 Depth=3
	v_bfe_u32 v32, v36, 16, 1
	v_add3_u32 v32, v36, v32, s86
                                        ; implicit-def: $vgpr36
; %bb.2352:                             ;   in Loop: Header=BB32_2182 Depth=3
	s_andn2_saveexec_b64 s[40:41], s[40:41]
; %bb.2353:                             ;   in Loop: Header=BB32_2182 Depth=3
	v_or_b32_e32 v32, 0x10000, v36
	v_cmp_eq_u32_sdwa vcc, v36, v3 src0_sel:WORD_0 src1_sel:DWORD
	s_nop 1
	v_cndmask_b32_e32 v32, v32, v36, vcc
; %bb.2354:                             ;   in Loop: Header=BB32_2182 Depth=3
	s_or_b64 exec, exec, s[40:41]
	v_and_b32_e32 v25, 0xffff0000, v25
	v_and_b32_e32 v33, 0xffff0000, v33
	v_max_f32_e32 v33, v33, v33
	v_max_f32_e32 v25, v25, v25
	v_min_f32_e32 v36, v25, v33
	v_max_f32_e32 v25, v25, v33
	v_cndmask_b32_e64 v33, v25, v36, s[24:25]
	v_and_b32_e32 v25, 0x7f800000, v33
	v_cmp_ne_u32_e32 vcc, s85, v25
                                        ; implicit-def: $vgpr25
	s_and_saveexec_b64 s[40:41], vcc
	s_xor_b64 s[40:41], exec, s[40:41]
; %bb.2355:                             ;   in Loop: Header=BB32_2182 Depth=3
	v_bfe_u32 v25, v33, 16, 1
	v_add3_u32 v25, v33, v25, s86
                                        ; implicit-def: $vgpr33
; %bb.2356:                             ;   in Loop: Header=BB32_2182 Depth=3
	s_andn2_saveexec_b64 s[40:41], s[40:41]
; %bb.2357:                             ;   in Loop: Header=BB32_2182 Depth=3
	v_or_b32_e32 v25, 0x10000, v33
	v_cmp_eq_u32_sdwa vcc, v33, v3 src0_sel:WORD_0 src1_sel:DWORD
	s_nop 1
	v_cndmask_b32_e32 v25, v25, v33, vcc
; %bb.2358:                             ;   in Loop: Header=BB32_2182 Depth=3
	s_or_b64 exec, exec, s[40:41]
	v_lshlrev_b32_e32 v33, 16, v26
	v_lshlrev_b32_e32 v36, 16, v34
	v_max_f32_e32 v36, v36, v36
	v_max_f32_e32 v33, v33, v33
	v_min_f32_e32 v37, v33, v36
	v_max_f32_e32 v33, v33, v36
	v_cndmask_b32_e64 v36, v33, v37, s[24:25]
	v_and_b32_e32 v33, 0x7f800000, v36
	v_cmp_ne_u32_e32 vcc, s85, v33
                                        ; implicit-def: $vgpr33
	s_and_saveexec_b64 s[40:41], vcc
	s_xor_b64 s[40:41], exec, s[40:41]
; %bb.2359:                             ;   in Loop: Header=BB32_2182 Depth=3
	v_bfe_u32 v33, v36, 16, 1
	v_add3_u32 v33, v36, v33, s86
                                        ; implicit-def: $vgpr36
; %bb.2360:                             ;   in Loop: Header=BB32_2182 Depth=3
	s_andn2_saveexec_b64 s[40:41], s[40:41]
; %bb.2361:                             ;   in Loop: Header=BB32_2182 Depth=3
	v_or_b32_e32 v33, 0x10000, v36
	v_cmp_eq_u32_sdwa vcc, v36, v3 src0_sel:WORD_0 src1_sel:DWORD
	s_nop 1
	v_cndmask_b32_e32 v33, v33, v36, vcc
; %bb.2362:                             ;   in Loop: Header=BB32_2182 Depth=3
	s_or_b64 exec, exec, s[40:41]
	v_and_b32_e32 v26, 0xffff0000, v26
	v_and_b32_e32 v34, 0xffff0000, v34
	v_max_f32_e32 v34, v34, v34
	v_max_f32_e32 v26, v26, v26
	v_min_f32_e32 v36, v26, v34
	v_max_f32_e32 v26, v26, v34
	v_cndmask_b32_e64 v34, v26, v36, s[24:25]
	v_and_b32_e32 v26, 0x7f800000, v34
	v_cmp_ne_u32_e32 vcc, s85, v26
                                        ; implicit-def: $vgpr26
	s_and_saveexec_b64 s[40:41], vcc
	s_xor_b64 s[40:41], exec, s[40:41]
; %bb.2363:                             ;   in Loop: Header=BB32_2182 Depth=3
	v_bfe_u32 v26, v34, 16, 1
	v_add3_u32 v26, v34, v26, s86
                                        ; implicit-def: $vgpr34
; %bb.2364:                             ;   in Loop: Header=BB32_2182 Depth=3
	s_andn2_saveexec_b64 s[40:41], s[40:41]
; %bb.2365:                             ;   in Loop: Header=BB32_2182 Depth=3
	v_or_b32_e32 v26, 0x10000, v34
	v_cmp_eq_u32_sdwa vcc, v34, v3 src0_sel:WORD_0 src1_sel:DWORD
	s_nop 1
	v_cndmask_b32_e32 v26, v26, v34, vcc
; %bb.2366:                             ;   in Loop: Header=BB32_2182 Depth=3
	s_or_b64 exec, exec, s[40:41]
	v_lshlrev_b32_e32 v34, 16, v27
	v_lshlrev_b32_e32 v36, 16, v35
	v_max_f32_e32 v36, v36, v36
	v_max_f32_e32 v34, v34, v34
	v_min_f32_e32 v37, v34, v36
	v_max_f32_e32 v34, v34, v36
	v_cndmask_b32_e64 v36, v34, v37, s[24:25]
	v_and_b32_e32 v34, 0x7f800000, v36
	v_cmp_ne_u32_e32 vcc, s85, v34
                                        ; implicit-def: $vgpr34
	s_and_saveexec_b64 s[40:41], vcc
	s_xor_b64 s[40:41], exec, s[40:41]
; %bb.2367:                             ;   in Loop: Header=BB32_2182 Depth=3
	v_bfe_u32 v34, v36, 16, 1
	v_add3_u32 v34, v36, v34, s86
                                        ; implicit-def: $vgpr36
; %bb.2368:                             ;   in Loop: Header=BB32_2182 Depth=3
	s_andn2_saveexec_b64 s[40:41], s[40:41]
; %bb.2369:                             ;   in Loop: Header=BB32_2182 Depth=3
	v_or_b32_e32 v34, 0x10000, v36
	v_cmp_eq_u32_sdwa vcc, v36, v3 src0_sel:WORD_0 src1_sel:DWORD
	s_nop 1
	v_cndmask_b32_e32 v34, v34, v36, vcc
; %bb.2370:                             ;   in Loop: Header=BB32_2182 Depth=3
	s_or_b64 exec, exec, s[40:41]
	v_and_b32_e32 v27, 0xffff0000, v27
	v_and_b32_e32 v35, 0xffff0000, v35
	v_max_f32_e32 v35, v35, v35
	v_max_f32_e32 v27, v27, v27
	v_min_f32_e32 v36, v27, v35
	v_max_f32_e32 v27, v27, v35
	v_cndmask_b32_e64 v35, v27, v36, s[24:25]
	v_and_b32_e32 v27, 0x7f800000, v35
	v_cmp_ne_u32_e32 vcc, s85, v27
                                        ; implicit-def: $vgpr27
	s_and_saveexec_b64 s[40:41], vcc
	s_xor_b64 s[40:41], exec, s[40:41]
; %bb.2371:                             ;   in Loop: Header=BB32_2182 Depth=3
	v_bfe_u32 v27, v35, 16, 1
	v_add3_u32 v27, v35, v27, s86
                                        ; implicit-def: $vgpr35
; %bb.2372:                             ;   in Loop: Header=BB32_2182 Depth=3
	s_andn2_saveexec_b64 s[40:41], s[40:41]
; %bb.2373:                             ;   in Loop: Header=BB32_2182 Depth=3
	v_or_b32_e32 v27, 0x10000, v35
	v_cmp_eq_u32_sdwa vcc, v35, v3 src0_sel:WORD_0 src1_sel:DWORD
	s_nop 1
	v_cndmask_b32_e32 v27, v27, v35, vcc
; %bb.2374:                             ;   in Loop: Header=BB32_2182 Depth=3
	s_or_b64 exec, exec, s[40:41]
	v_lshrrev_b32_e32 v0, 16, v0
	v_and_or_b32 v24, v24, s87, v0
	v_lshrrev_b32_e32 v0, 16, v33
	v_lshrrev_b32_e32 v32, 16, v32
	v_and_or_b32 v26, v26, s87, v0
	v_lshrrev_b32_e32 v0, 16, v34
	v_and_or_b32 v25, v25, s87, v32
	v_and_or_b32 v27, v27, s87, v0
	global_store_dwordx4 v[100:101], v[24:27], off offset:-2048
	s_waitcnt vmcnt(9)
	v_lshlrev_b32_e32 v0, 16, v16
	v_max_f32_e32 v0, v0, v0
	s_waitcnt vmcnt(8)
	v_lshlrev_b32_e32 v24, 16, v20
	v_max_f32_e32 v24, v24, v24
	v_min_f32_e32 v25, v0, v24
	v_max_f32_e32 v0, v0, v24
	v_cndmask_b32_e64 v24, v0, v25, s[24:25]
	v_and_b32_e32 v0, 0x7f800000, v24
	v_cmp_ne_u32_e32 vcc, s85, v0
                                        ; implicit-def: $vgpr0
	s_and_saveexec_b64 s[40:41], vcc
	s_xor_b64 s[40:41], exec, s[40:41]
; %bb.2375:                             ;   in Loop: Header=BB32_2182 Depth=3
	v_bfe_u32 v0, v24, 16, 1
	v_add3_u32 v0, v24, v0, s86
                                        ; implicit-def: $vgpr24
; %bb.2376:                             ;   in Loop: Header=BB32_2182 Depth=3
	s_andn2_saveexec_b64 s[40:41], s[40:41]
; %bb.2377:                             ;   in Loop: Header=BB32_2182 Depth=3
	v_or_b32_e32 v0, 0x10000, v24
	v_cmp_eq_u32_sdwa vcc, v24, v3 src0_sel:WORD_0 src1_sel:DWORD
	s_nop 1
	v_cndmask_b32_e32 v0, v0, v24, vcc
; %bb.2378:                             ;   in Loop: Header=BB32_2182 Depth=3
	s_or_b64 exec, exec, s[40:41]
	v_and_b32_e32 v16, 0xffff0000, v16
	v_and_b32_e32 v20, 0xffff0000, v20
	v_max_f32_e32 v20, v20, v20
	v_max_f32_e32 v16, v16, v16
	v_min_f32_e32 v24, v16, v20
	v_max_f32_e32 v16, v16, v20
	v_cndmask_b32_e64 v20, v16, v24, s[24:25]
	v_and_b32_e32 v16, 0x7f800000, v20
	v_cmp_ne_u32_e32 vcc, s85, v16
                                        ; implicit-def: $vgpr16
	s_and_saveexec_b64 s[40:41], vcc
	s_xor_b64 s[40:41], exec, s[40:41]
; %bb.2379:                             ;   in Loop: Header=BB32_2182 Depth=3
	v_bfe_u32 v16, v20, 16, 1
	v_add3_u32 v16, v20, v16, s86
                                        ; implicit-def: $vgpr20
; %bb.2380:                             ;   in Loop: Header=BB32_2182 Depth=3
	s_andn2_saveexec_b64 s[40:41], s[40:41]
; %bb.2381:                             ;   in Loop: Header=BB32_2182 Depth=3
	v_or_b32_e32 v16, 0x10000, v20
	v_cmp_eq_u32_sdwa vcc, v20, v3 src0_sel:WORD_0 src1_sel:DWORD
	s_nop 1
	v_cndmask_b32_e32 v16, v16, v20, vcc
; %bb.2382:                             ;   in Loop: Header=BB32_2182 Depth=3
	s_or_b64 exec, exec, s[40:41]
	v_lshlrev_b32_e32 v20, 16, v17
	v_lshlrev_b32_e32 v24, 16, v21
	v_max_f32_e32 v24, v24, v24
	v_max_f32_e32 v20, v20, v20
	v_min_f32_e32 v25, v20, v24
	v_max_f32_e32 v20, v20, v24
	v_cndmask_b32_e64 v24, v20, v25, s[24:25]
	v_and_b32_e32 v20, 0x7f800000, v24
	v_cmp_ne_u32_e32 vcc, s85, v20
                                        ; implicit-def: $vgpr20
	s_and_saveexec_b64 s[40:41], vcc
	s_xor_b64 s[40:41], exec, s[40:41]
; %bb.2383:                             ;   in Loop: Header=BB32_2182 Depth=3
	v_bfe_u32 v20, v24, 16, 1
	v_add3_u32 v20, v24, v20, s86
                                        ; implicit-def: $vgpr24
; %bb.2384:                             ;   in Loop: Header=BB32_2182 Depth=3
	s_andn2_saveexec_b64 s[40:41], s[40:41]
; %bb.2385:                             ;   in Loop: Header=BB32_2182 Depth=3
	v_or_b32_e32 v20, 0x10000, v24
	v_cmp_eq_u32_sdwa vcc, v24, v3 src0_sel:WORD_0 src1_sel:DWORD
	s_nop 1
	v_cndmask_b32_e32 v20, v20, v24, vcc
; %bb.2386:                             ;   in Loop: Header=BB32_2182 Depth=3
	s_or_b64 exec, exec, s[40:41]
	v_and_b32_e32 v17, 0xffff0000, v17
	v_and_b32_e32 v21, 0xffff0000, v21
	v_max_f32_e32 v21, v21, v21
	v_max_f32_e32 v17, v17, v17
	v_min_f32_e32 v24, v17, v21
	v_max_f32_e32 v17, v17, v21
	v_cndmask_b32_e64 v21, v17, v24, s[24:25]
	v_and_b32_e32 v17, 0x7f800000, v21
	v_cmp_ne_u32_e32 vcc, s85, v17
                                        ; implicit-def: $vgpr17
	s_and_saveexec_b64 s[40:41], vcc
	s_xor_b64 s[40:41], exec, s[40:41]
; %bb.2387:                             ;   in Loop: Header=BB32_2182 Depth=3
	v_bfe_u32 v17, v21, 16, 1
	v_add3_u32 v17, v21, v17, s86
                                        ; implicit-def: $vgpr21
; %bb.2388:                             ;   in Loop: Header=BB32_2182 Depth=3
	s_andn2_saveexec_b64 s[40:41], s[40:41]
; %bb.2389:                             ;   in Loop: Header=BB32_2182 Depth=3
	v_or_b32_e32 v17, 0x10000, v21
	v_cmp_eq_u32_sdwa vcc, v21, v3 src0_sel:WORD_0 src1_sel:DWORD
	s_nop 1
	v_cndmask_b32_e32 v17, v17, v21, vcc
; %bb.2390:                             ;   in Loop: Header=BB32_2182 Depth=3
	s_or_b64 exec, exec, s[40:41]
	v_lshlrev_b32_e32 v21, 16, v18
	v_lshlrev_b32_e32 v24, 16, v22
	v_max_f32_e32 v24, v24, v24
	v_max_f32_e32 v21, v21, v21
	v_min_f32_e32 v25, v21, v24
	v_max_f32_e32 v21, v21, v24
	v_cndmask_b32_e64 v24, v21, v25, s[24:25]
	v_and_b32_e32 v21, 0x7f800000, v24
	v_cmp_ne_u32_e32 vcc, s85, v21
                                        ; implicit-def: $vgpr21
	s_and_saveexec_b64 s[40:41], vcc
	s_xor_b64 s[40:41], exec, s[40:41]
; %bb.2391:                             ;   in Loop: Header=BB32_2182 Depth=3
	v_bfe_u32 v21, v24, 16, 1
	v_add3_u32 v21, v24, v21, s86
                                        ; implicit-def: $vgpr24
; %bb.2392:                             ;   in Loop: Header=BB32_2182 Depth=3
	s_andn2_saveexec_b64 s[40:41], s[40:41]
; %bb.2393:                             ;   in Loop: Header=BB32_2182 Depth=3
	v_or_b32_e32 v21, 0x10000, v24
	v_cmp_eq_u32_sdwa vcc, v24, v3 src0_sel:WORD_0 src1_sel:DWORD
	s_nop 1
	v_cndmask_b32_e32 v21, v21, v24, vcc
; %bb.2394:                             ;   in Loop: Header=BB32_2182 Depth=3
	s_or_b64 exec, exec, s[40:41]
	v_and_b32_e32 v18, 0xffff0000, v18
	v_and_b32_e32 v22, 0xffff0000, v22
	v_max_f32_e32 v22, v22, v22
	v_max_f32_e32 v18, v18, v18
	v_min_f32_e32 v24, v18, v22
	v_max_f32_e32 v18, v18, v22
	v_cndmask_b32_e64 v22, v18, v24, s[24:25]
	v_and_b32_e32 v18, 0x7f800000, v22
	v_cmp_ne_u32_e32 vcc, s85, v18
                                        ; implicit-def: $vgpr18
	s_and_saveexec_b64 s[40:41], vcc
	s_xor_b64 s[40:41], exec, s[40:41]
; %bb.2395:                             ;   in Loop: Header=BB32_2182 Depth=3
	v_bfe_u32 v18, v22, 16, 1
	v_add3_u32 v18, v22, v18, s86
                                        ; implicit-def: $vgpr22
; %bb.2396:                             ;   in Loop: Header=BB32_2182 Depth=3
	s_andn2_saveexec_b64 s[40:41], s[40:41]
; %bb.2397:                             ;   in Loop: Header=BB32_2182 Depth=3
	v_or_b32_e32 v18, 0x10000, v22
	v_cmp_eq_u32_sdwa vcc, v22, v3 src0_sel:WORD_0 src1_sel:DWORD
	s_nop 1
	v_cndmask_b32_e32 v18, v18, v22, vcc
; %bb.2398:                             ;   in Loop: Header=BB32_2182 Depth=3
	s_or_b64 exec, exec, s[40:41]
	v_lshlrev_b32_e32 v22, 16, v19
	v_lshlrev_b32_e32 v24, 16, v23
	v_max_f32_e32 v24, v24, v24
	v_max_f32_e32 v22, v22, v22
	v_min_f32_e32 v25, v22, v24
	v_max_f32_e32 v22, v22, v24
	v_cndmask_b32_e64 v24, v22, v25, s[24:25]
	v_and_b32_e32 v22, 0x7f800000, v24
	v_cmp_ne_u32_e32 vcc, s85, v22
                                        ; implicit-def: $vgpr22
	s_and_saveexec_b64 s[40:41], vcc
	s_xor_b64 s[40:41], exec, s[40:41]
; %bb.2399:                             ;   in Loop: Header=BB32_2182 Depth=3
	v_bfe_u32 v22, v24, 16, 1
	v_add3_u32 v22, v24, v22, s86
                                        ; implicit-def: $vgpr24
; %bb.2400:                             ;   in Loop: Header=BB32_2182 Depth=3
	s_andn2_saveexec_b64 s[40:41], s[40:41]
; %bb.2401:                             ;   in Loop: Header=BB32_2182 Depth=3
	v_or_b32_e32 v22, 0x10000, v24
	v_cmp_eq_u32_sdwa vcc, v24, v3 src0_sel:WORD_0 src1_sel:DWORD
	s_nop 1
	v_cndmask_b32_e32 v22, v22, v24, vcc
; %bb.2402:                             ;   in Loop: Header=BB32_2182 Depth=3
	s_or_b64 exec, exec, s[40:41]
	v_and_b32_e32 v19, 0xffff0000, v19
	v_and_b32_e32 v23, 0xffff0000, v23
	v_max_f32_e32 v23, v23, v23
	v_max_f32_e32 v19, v19, v19
	v_min_f32_e32 v24, v19, v23
	v_max_f32_e32 v19, v19, v23
	v_cndmask_b32_e64 v23, v19, v24, s[24:25]
	v_and_b32_e32 v19, 0x7f800000, v23
	v_cmp_ne_u32_e32 vcc, s85, v19
                                        ; implicit-def: $vgpr19
	s_and_saveexec_b64 s[40:41], vcc
	s_xor_b64 s[40:41], exec, s[40:41]
; %bb.2403:                             ;   in Loop: Header=BB32_2182 Depth=3
	v_bfe_u32 v19, v23, 16, 1
	v_add3_u32 v19, v23, v19, s86
                                        ; implicit-def: $vgpr23
; %bb.2404:                             ;   in Loop: Header=BB32_2182 Depth=3
	s_andn2_saveexec_b64 s[40:41], s[40:41]
; %bb.2405:                             ;   in Loop: Header=BB32_2182 Depth=3
	v_or_b32_e32 v19, 0x10000, v23
	v_cmp_eq_u32_sdwa vcc, v23, v3 src0_sel:WORD_0 src1_sel:DWORD
	s_nop 1
	v_cndmask_b32_e32 v19, v19, v23, vcc
; %bb.2406:                             ;   in Loop: Header=BB32_2182 Depth=3
	s_or_b64 exec, exec, s[40:41]
	v_lshrrev_b32_e32 v0, 16, v0
	v_and_or_b32 v16, v16, s87, v0
	v_lshrrev_b32_e32 v0, 16, v21
	v_lshrrev_b32_e32 v20, 16, v20
	v_and_or_b32 v18, v18, s87, v0
	v_lshrrev_b32_e32 v0, 16, v22
	v_and_or_b32 v17, v17, s87, v20
	v_and_or_b32 v19, v19, s87, v0
	global_store_dwordx4 v[100:101], v[16:19], off offset:-1024
	s_waitcnt vmcnt(8)
	v_lshlrev_b32_e32 v0, 16, v8
	v_max_f32_e32 v0, v0, v0
	s_waitcnt vmcnt(7)
	v_lshlrev_b32_e32 v16, 16, v12
	v_max_f32_e32 v16, v16, v16
	v_min_f32_e32 v17, v0, v16
	v_max_f32_e32 v0, v0, v16
	v_cndmask_b32_e64 v16, v0, v17, s[24:25]
	v_and_b32_e32 v0, 0x7f800000, v16
	v_cmp_ne_u32_e32 vcc, s85, v0
                                        ; implicit-def: $vgpr0
	s_and_saveexec_b64 s[40:41], vcc
	s_xor_b64 s[40:41], exec, s[40:41]
; %bb.2407:                             ;   in Loop: Header=BB32_2182 Depth=3
	v_bfe_u32 v0, v16, 16, 1
	v_add3_u32 v0, v16, v0, s86
                                        ; implicit-def: $vgpr16
; %bb.2408:                             ;   in Loop: Header=BB32_2182 Depth=3
	s_andn2_saveexec_b64 s[40:41], s[40:41]
; %bb.2409:                             ;   in Loop: Header=BB32_2182 Depth=3
	v_or_b32_e32 v0, 0x10000, v16
	v_cmp_eq_u32_sdwa vcc, v16, v3 src0_sel:WORD_0 src1_sel:DWORD
	s_nop 1
	v_cndmask_b32_e32 v0, v0, v16, vcc
; %bb.2410:                             ;   in Loop: Header=BB32_2182 Depth=3
	s_or_b64 exec, exec, s[40:41]
	v_and_b32_e32 v8, 0xffff0000, v8
	v_and_b32_e32 v12, 0xffff0000, v12
	v_max_f32_e32 v12, v12, v12
	v_max_f32_e32 v8, v8, v8
	v_min_f32_e32 v16, v8, v12
	v_max_f32_e32 v8, v8, v12
	v_cndmask_b32_e64 v12, v8, v16, s[24:25]
	v_and_b32_e32 v8, 0x7f800000, v12
	v_cmp_ne_u32_e32 vcc, s85, v8
                                        ; implicit-def: $vgpr8
	s_and_saveexec_b64 s[40:41], vcc
	s_xor_b64 s[40:41], exec, s[40:41]
; %bb.2411:                             ;   in Loop: Header=BB32_2182 Depth=3
	v_bfe_u32 v8, v12, 16, 1
	v_add3_u32 v8, v12, v8, s86
                                        ; implicit-def: $vgpr12
; %bb.2412:                             ;   in Loop: Header=BB32_2182 Depth=3
	s_andn2_saveexec_b64 s[40:41], s[40:41]
; %bb.2413:                             ;   in Loop: Header=BB32_2182 Depth=3
	v_or_b32_e32 v8, 0x10000, v12
	v_cmp_eq_u32_sdwa vcc, v12, v3 src0_sel:WORD_0 src1_sel:DWORD
	s_nop 1
	v_cndmask_b32_e32 v8, v8, v12, vcc
; %bb.2414:                             ;   in Loop: Header=BB32_2182 Depth=3
	s_or_b64 exec, exec, s[40:41]
	v_lshlrev_b32_e32 v12, 16, v9
	v_lshlrev_b32_e32 v16, 16, v13
	v_max_f32_e32 v16, v16, v16
	v_max_f32_e32 v12, v12, v12
	v_min_f32_e32 v17, v12, v16
	v_max_f32_e32 v12, v12, v16
	v_cndmask_b32_e64 v16, v12, v17, s[24:25]
	v_and_b32_e32 v12, 0x7f800000, v16
	v_cmp_ne_u32_e32 vcc, s85, v12
                                        ; implicit-def: $vgpr12
	s_and_saveexec_b64 s[40:41], vcc
	s_xor_b64 s[40:41], exec, s[40:41]
; %bb.2415:                             ;   in Loop: Header=BB32_2182 Depth=3
	v_bfe_u32 v12, v16, 16, 1
	v_add3_u32 v12, v16, v12, s86
                                        ; implicit-def: $vgpr16
; %bb.2416:                             ;   in Loop: Header=BB32_2182 Depth=3
	s_andn2_saveexec_b64 s[40:41], s[40:41]
; %bb.2417:                             ;   in Loop: Header=BB32_2182 Depth=3
	v_or_b32_e32 v12, 0x10000, v16
	v_cmp_eq_u32_sdwa vcc, v16, v3 src0_sel:WORD_0 src1_sel:DWORD
	s_nop 1
	v_cndmask_b32_e32 v12, v12, v16, vcc
; %bb.2418:                             ;   in Loop: Header=BB32_2182 Depth=3
	s_or_b64 exec, exec, s[40:41]
	v_and_b32_e32 v9, 0xffff0000, v9
	v_and_b32_e32 v13, 0xffff0000, v13
	v_max_f32_e32 v13, v13, v13
	v_max_f32_e32 v9, v9, v9
	v_min_f32_e32 v16, v9, v13
	v_max_f32_e32 v9, v9, v13
	v_cndmask_b32_e64 v13, v9, v16, s[24:25]
	v_and_b32_e32 v9, 0x7f800000, v13
	v_cmp_ne_u32_e32 vcc, s85, v9
                                        ; implicit-def: $vgpr9
	s_and_saveexec_b64 s[40:41], vcc
	s_xor_b64 s[40:41], exec, s[40:41]
; %bb.2419:                             ;   in Loop: Header=BB32_2182 Depth=3
	v_bfe_u32 v9, v13, 16, 1
	v_add3_u32 v9, v13, v9, s86
                                        ; implicit-def: $vgpr13
; %bb.2420:                             ;   in Loop: Header=BB32_2182 Depth=3
	s_andn2_saveexec_b64 s[40:41], s[40:41]
; %bb.2421:                             ;   in Loop: Header=BB32_2182 Depth=3
	v_or_b32_e32 v9, 0x10000, v13
	v_cmp_eq_u32_sdwa vcc, v13, v3 src0_sel:WORD_0 src1_sel:DWORD
	s_nop 1
	v_cndmask_b32_e32 v9, v9, v13, vcc
; %bb.2422:                             ;   in Loop: Header=BB32_2182 Depth=3
	s_or_b64 exec, exec, s[40:41]
	v_lshlrev_b32_e32 v13, 16, v10
	v_lshlrev_b32_e32 v16, 16, v14
	v_max_f32_e32 v16, v16, v16
	v_max_f32_e32 v13, v13, v13
	v_min_f32_e32 v17, v13, v16
	v_max_f32_e32 v13, v13, v16
	v_cndmask_b32_e64 v16, v13, v17, s[24:25]
	v_and_b32_e32 v13, 0x7f800000, v16
	v_cmp_ne_u32_e32 vcc, s85, v13
                                        ; implicit-def: $vgpr13
	s_and_saveexec_b64 s[40:41], vcc
	s_xor_b64 s[40:41], exec, s[40:41]
; %bb.2423:                             ;   in Loop: Header=BB32_2182 Depth=3
	v_bfe_u32 v13, v16, 16, 1
	v_add3_u32 v13, v16, v13, s86
                                        ; implicit-def: $vgpr16
; %bb.2424:                             ;   in Loop: Header=BB32_2182 Depth=3
	s_andn2_saveexec_b64 s[40:41], s[40:41]
; %bb.2425:                             ;   in Loop: Header=BB32_2182 Depth=3
	v_or_b32_e32 v13, 0x10000, v16
	v_cmp_eq_u32_sdwa vcc, v16, v3 src0_sel:WORD_0 src1_sel:DWORD
	s_nop 1
	v_cndmask_b32_e32 v13, v13, v16, vcc
; %bb.2426:                             ;   in Loop: Header=BB32_2182 Depth=3
	s_or_b64 exec, exec, s[40:41]
	v_and_b32_e32 v10, 0xffff0000, v10
	v_and_b32_e32 v14, 0xffff0000, v14
	v_max_f32_e32 v14, v14, v14
	v_max_f32_e32 v10, v10, v10
	v_min_f32_e32 v16, v10, v14
	v_max_f32_e32 v10, v10, v14
	v_cndmask_b32_e64 v14, v10, v16, s[24:25]
	v_and_b32_e32 v10, 0x7f800000, v14
	v_cmp_ne_u32_e32 vcc, s85, v10
                                        ; implicit-def: $vgpr10
	s_and_saveexec_b64 s[40:41], vcc
	s_xor_b64 s[40:41], exec, s[40:41]
; %bb.2427:                             ;   in Loop: Header=BB32_2182 Depth=3
	v_bfe_u32 v10, v14, 16, 1
	v_add3_u32 v10, v14, v10, s86
                                        ; implicit-def: $vgpr14
; %bb.2428:                             ;   in Loop: Header=BB32_2182 Depth=3
	s_andn2_saveexec_b64 s[40:41], s[40:41]
; %bb.2429:                             ;   in Loop: Header=BB32_2182 Depth=3
	v_or_b32_e32 v10, 0x10000, v14
	v_cmp_eq_u32_sdwa vcc, v14, v3 src0_sel:WORD_0 src1_sel:DWORD
	s_nop 1
	v_cndmask_b32_e32 v10, v10, v14, vcc
; %bb.2430:                             ;   in Loop: Header=BB32_2182 Depth=3
	s_or_b64 exec, exec, s[40:41]
	v_lshlrev_b32_e32 v14, 16, v11
	v_lshlrev_b32_e32 v16, 16, v15
	v_max_f32_e32 v16, v16, v16
	v_max_f32_e32 v14, v14, v14
	v_min_f32_e32 v17, v14, v16
	v_max_f32_e32 v14, v14, v16
	v_cndmask_b32_e64 v16, v14, v17, s[24:25]
	v_and_b32_e32 v14, 0x7f800000, v16
	v_cmp_ne_u32_e32 vcc, s85, v14
                                        ; implicit-def: $vgpr14
	s_and_saveexec_b64 s[40:41], vcc
	s_xor_b64 s[40:41], exec, s[40:41]
; %bb.2431:                             ;   in Loop: Header=BB32_2182 Depth=3
	v_bfe_u32 v14, v16, 16, 1
	v_add3_u32 v14, v16, v14, s86
                                        ; implicit-def: $vgpr16
; %bb.2432:                             ;   in Loop: Header=BB32_2182 Depth=3
	s_andn2_saveexec_b64 s[40:41], s[40:41]
; %bb.2433:                             ;   in Loop: Header=BB32_2182 Depth=3
	v_or_b32_e32 v14, 0x10000, v16
	v_cmp_eq_u32_sdwa vcc, v16, v3 src0_sel:WORD_0 src1_sel:DWORD
	s_nop 1
	v_cndmask_b32_e32 v14, v14, v16, vcc
; %bb.2434:                             ;   in Loop: Header=BB32_2182 Depth=3
	s_or_b64 exec, exec, s[40:41]
	v_and_b32_e32 v11, 0xffff0000, v11
	v_and_b32_e32 v15, 0xffff0000, v15
	v_max_f32_e32 v15, v15, v15
	v_max_f32_e32 v11, v11, v11
	v_min_f32_e32 v16, v11, v15
	v_max_f32_e32 v11, v11, v15
	v_cndmask_b32_e64 v15, v11, v16, s[24:25]
	v_and_b32_e32 v11, 0x7f800000, v15
	v_cmp_ne_u32_e32 vcc, s85, v11
                                        ; implicit-def: $vgpr11
	s_and_saveexec_b64 s[40:41], vcc
	s_xor_b64 s[40:41], exec, s[40:41]
; %bb.2435:                             ;   in Loop: Header=BB32_2182 Depth=3
	v_bfe_u32 v11, v15, 16, 1
	v_add3_u32 v11, v15, v11, s86
                                        ; implicit-def: $vgpr15
; %bb.2436:                             ;   in Loop: Header=BB32_2182 Depth=3
	s_andn2_saveexec_b64 s[40:41], s[40:41]
	s_cbranch_execz .LBB32_2181
; %bb.2437:                             ;   in Loop: Header=BB32_2182 Depth=3
	v_or_b32_e32 v11, 0x10000, v15
	v_cmp_eq_u32_sdwa vcc, v15, v3 src0_sel:WORD_0 src1_sel:DWORD
	s_nop 1
	v_cndmask_b32_e32 v11, v11, v15, vcc
	s_branch .LBB32_2181
.LBB32_2438:                            ;   in Loop: Header=BB32_1800 Depth=2
	s_or_b64 exec, exec, s[28:29]
	scratch_load_dwordx2 v[112:113], off, s33 offset:256 ; 8-byte Folded Reload
	scratch_load_dwordx4 v[8:11], off, s33 offset:236 ; 16-byte Folded Reload
	scratch_load_dword v100, off, s33 offset:252 ; 4-byte Folded Reload
	scratch_load_dwordx2 v[98:99], off, s33 offset:228 ; 8-byte Folded Reload
	scratch_load_dwordx2 v[86:87], off, s33 offset:212 ; 8-byte Folded Reload
	;; [unrolled: 1-line block ×3, first 2 shown]
	v_ashrrev_i32_e32 v119, 31, v30
	v_mov_b64_e32 v[102:103], v[108:109]
	v_mov_b32_e32 v80, 0xc8
	s_waitcnt vmcnt(4)
	v_mov_b64_e32 v[114:115], v[8:9]
.LBB32_2439:                            ;   in Loop: Header=BB32_1800 Depth=2
	s_or_b64 exec, exec, s[26:27]
	s_waitcnt vmcnt(0)
	v_lshlrev_b32_e32 v16, 13, v58
	v_cmp_ne_u32_e32 vcc, v2, v16
	s_mov_b64 s[24:25], 0
	v_mov_b32_e32 v0, 0
                                        ; implicit-def: $vgpr10
	s_and_saveexec_b64 s[60:61], vcc
	s_cbranch_execz .LBB32_2445
; %bb.2440:                             ;   in Loop: Header=BB32_1800 Depth=2
	v_lshlrev_b32_e32 v0, 6, v1
	scratch_load_dword v1, off, s33 offset:208 ; 4-byte Folded Reload
	v_sub_u32_e32 v5, v2, v16
	s_waitcnt vmcnt(0)
	v_sub_u32_e32 v0, v1, v0
	v_ashrrev_i32_e32 v1, 31, v0
	v_lshrrev_b32_e32 v1, 26, v1
	v_add_u32_e32 v1, v0, v1
	v_ashrrev_i32_e32 v8, 6, v1
	v_and_b32_e32 v1, 0xffffffc0, v1
	v_sub_u32_e32 v1, v0, v1
	v_lshlrev_b32_e32 v0, 4, v1
	v_lshl_add_u32 v4, v8, 10, v0
	v_ashrrev_i32_e32 v0, 31, v5
	v_lshrrev_b32_e32 v0, 22, v0
	v_add_u32_e32 v0, v5, v0
	v_ashrrev_i32_e32 v9, 10, v0
	v_and_b32_e32 v0, 0xfffffc00, v0
	v_sub_u32_e32 v17, v5, v0
	v_cmp_lt_i32_e32 vcc, 15, v17
	v_sub_u32_e32 v19, v5, v4
	s_nop 0
	v_addc_co_u32_e64 v5, s[24:25], 0, v9, vcc
	v_sub_u32_e32 v18, v5, v8
	v_cmp_lt_i32_e64 s[24:25], 15, v19
	s_and_saveexec_b64 s[48:49], s[24:25]
	s_cbranch_execz .LBB32_2444
; %bb.2441:                             ;   in Loop: Header=BB32_1800 Depth=2
	s_and_b32 s76, s55, 1
	v_add_u32_e32 v4, v4, v16
	s_cmp_eq_u64 s[76:77], 0
	v_ashrrev_i32_e32 v5, 31, v4
	s_mov_b64 s[50:51], 0
	s_cselect_b64 s[24:25], -1, 0
.LBB32_2442:                            ;   Parent Loop BB32_47 Depth=1
                                        ;     Parent Loop BB32_1800 Depth=2
                                        ; =>    This Inner Loop Header: Depth=3
	v_lshl_add_u64 v[14:15], v[28:29], 0, v[4:5]
	global_load_dwordx4 v[8:11], v[4:5], off nt
	global_load_dwordx4 v[20:23], v[14:15], off nt
	v_sub_u32_e32 v19, v19, v76
	v_cmp_gt_i32_e64 s[26:27], 16, v19
	s_or_b64 s[50:51], s[26:27], s[50:51]
	v_lshl_add_u64 v[12:13], v[72:73], 0, v[4:5]
	v_lshl_add_u64 v[4:5], v[4:5], 0, v[76:77]
	v_sub_u32_e32 v18, v18, v60
	s_waitcnt vmcnt(0)
	v_and_b32_e32 v14, 0xffff0000, v8
	v_lshlrev_b32_e32 v8, 16, v8
	v_and_b32_e32 v15, 0xffff0000, v9
	v_lshlrev_b32_e32 v9, 16, v9
	;; [unrolled: 2-line block ×8, first 2 shown]
	v_max_f32_e32 v8, v8, v8
	v_max_f32_e32 v14, v14, v14
	;; [unrolled: 1-line block ×16, first 2 shown]
	v_min_f32_e32 v34, v20, v8
	v_max_f32_e32 v8, v20, v8
	v_min_f32_e32 v20, v26, v14
	v_max_f32_e32 v14, v26, v14
	;; [unrolled: 2-line block ×8, first 2 shown]
	v_cndmask_b32_e64 v8, v8, v34, s[24:25]
	v_cndmask_b32_e64 v14, v14, v20, s[24:25]
	v_cndmask_b32_e64 v9, v9, v26, s[24:25]
	v_cndmask_b32_e64 v15, v15, v21, s[24:25]
	v_cndmask_b32_e64 v10, v10, v27, s[24:25]
	v_cndmask_b32_e64 v20, v24, v22, s[24:25]
	v_cndmask_b32_e64 v11, v11, v32, s[24:25]
	v_cndmask_b32_e64 v21, v25, v23, s[24:25]
	v_and_b32_e32 v22, 0x7f800000, v8
	v_bfe_u32 v23, v8, 16, 1
	v_or_b32_e32 v24, 0x10000, v8
	v_cmp_eq_u32_sdwa s[26:27], v8, v3 src0_sel:WORD_0 src1_sel:DWORD
	v_and_b32_e32 v25, 0x7f800000, v14
	v_bfe_u32 v26, v14, 16, 1
	v_or_b32_e32 v27, 0x10000, v14
	v_cmp_eq_u32_sdwa s[28:29], v14, v3 src0_sel:WORD_0 src1_sel:DWORD
	;; [unrolled: 4-line block ×3, first 2 shown]
	v_bfe_u32 v36, v15, 16, 1
	v_or_b32_e32 v37, 0x10000, v15
	v_cmp_eq_u32_sdwa s[42:43], v15, v3 src0_sel:WORD_0 src1_sel:DWORD
	v_and_b32_e32 v38, 0x7f800000, v10
	v_bfe_u32 v39, v10, 16, 1
	v_or_b32_e32 v48, 0x10000, v10
	v_cmp_eq_u32_sdwa s[44:45], v10, v3 src0_sel:WORD_0 src1_sel:DWORD
	v_bfe_u32 v50, v20, 16, 1
	v_or_b32_e32 v51, 0x10000, v20
	v_cmp_eq_u32_sdwa s[46:47], v20, v3 src0_sel:WORD_0 src1_sel:DWORD
	v_and_b32_e32 v52, 0x7f800000, v11
	v_bfe_u32 v53, v11, 16, 1
	s_waitcnt lgkmcnt(0)
	v_or_b32_e32 v54, 0x10000, v11
	v_cmp_eq_u32_sdwa s[56:57], v11, v3 src0_sel:WORD_0 src1_sel:DWORD
	v_bfe_u32 v64, v21, 16, 1
	v_or_b32_e32 v65, 0x10000, v21
	v_cmp_eq_u32_sdwa s[58:59], v21, v3 src0_sel:WORD_0 src1_sel:DWORD
	v_and_b32_e32 v35, 0x7f800000, v15
	v_and_b32_e32 v49, 0x7f800000, v20
	;; [unrolled: 1-line block ×3, first 2 shown]
	v_add3_u32 v23, v8, v23, s86
	v_cndmask_b32_e64 v8, v24, v8, s[26:27]
	v_add3_u32 v24, v14, v26, s86
	v_cndmask_b32_e64 v14, v27, v14, s[28:29]
	v_cmp_eq_u32_e64 s[26:27], s85, v25
	v_add3_u32 v25, v9, v33, s86
	v_cndmask_b32_e64 v9, v34, v9, s[40:41]
	v_cmp_eq_u32_e64 s[28:29], s85, v32
	v_add3_u32 v26, v15, v36, s86
	v_cndmask_b32_e64 v15, v37, v15, s[42:43]
	v_add3_u32 v27, v10, v39, s86
	v_cndmask_b32_e64 v10, v48, v10, s[44:45]
	v_cmp_eq_u32_e64 s[42:43], s85, v38
	v_add3_u32 v32, v20, v50, s86
	v_cndmask_b32_e64 v20, v51, v20, s[46:47]
	;; [unrolled: 5-line block ×3, first 2 shown]
	v_cmp_eq_u32_e64 s[58:59], s85, v22
	v_cmp_eq_u32_e64 s[40:41], s85, v35
	;; [unrolled: 1-line block ×4, first 2 shown]
	v_cndmask_b32_e64 v8, v23, v8, s[58:59]
	v_cndmask_b32_e64 v9, v25, v9, s[28:29]
	;; [unrolled: 1-line block ×8, first 2 shown]
	v_lshrrev_b32_e32 v9, 16, v9
	v_lshrrev_b32_e32 v8, 16, v8
	;; [unrolled: 1-line block ×4, first 2 shown]
	v_and_or_b32 v9, v15, s87, v9
	v_and_or_b32 v8, v14, s87, v8
	;; [unrolled: 1-line block ×4, first 2 shown]
	global_store_dwordx4 v[12:13], v[8:11], off
	s_andn2_b64 exec, exec, s[50:51]
	s_cbranch_execnz .LBB32_2442
; %bb.2443:                             ;   in Loop: Header=BB32_1800 Depth=2
	s_or_b64 exec, exec, s[50:51]
.LBB32_2444:                            ;   in Loop: Header=BB32_1800 Depth=2
	s_or_b64 exec, exec, s[48:49]
	v_and_b32_e32 v2, 14, v2
	v_sub_u32_e32 v4, v17, v2
	v_cndmask_b32_e32 v4, 0, v4, vcc
	v_cndmask_b32_e32 v2, v17, v2, vcc
	v_cmp_lt_i32_e32 vcc, 0, v18
	v_add3_u32 v0, v0, v16, v4
	s_nop 0
	v_cndmask_b32_e32 v4, 0, v60, vcc
	v_sub_u32_e32 v4, v4, v18
	v_cmp_ne_u32_e32 vcc, 0, v2
	v_lshl_add_u32 v10, v4, 6, v1
	s_and_b64 s[24:25], vcc, exec
.LBB32_2445:                            ;   in Loop: Header=BB32_1800 Depth=2
	s_or_b64 exec, exec, s[60:61]
	s_and_saveexec_b64 s[40:41], s[24:25]
	s_cbranch_execz .LBB32_2518
.LBB32_2446:                            ;   in Loop: Header=BB32_1800 Depth=2
	s_waitcnt vmcnt(0)
	v_ashrrev_i32_e32 v1, 31, v10
	v_ashrrev_i32_e32 v5, 31, v2
	v_lshrrev_b32_e32 v1, 26, v1
	v_lshrrev_b32_e32 v5, 21, v5
	v_add_u32_e32 v4, v10, v1
	v_add_u32_e32 v5, v2, v5
	v_ashrrev_i32_e32 v1, 6, v4
	v_ashrrev_i32_e32 v12, 11, v5
	v_sub_u32_e32 v11, v12, v1
	v_cmp_lt_i32_e32 vcc, 0, v11
	s_and_saveexec_b64 s[42:43], vcc
	s_cbranch_execz .LBB32_2514
; %bb.2447:                             ;   in Loop: Header=BB32_1800 Depth=2
	v_and_b32_e32 v4, 0x7fffffc0, v4
	v_sub_u32_e32 v4, v10, v4
	v_lshlrev_b32_e32 v4, 1, v4
	v_lshlrev_b32_e32 v5, 11, v1
	v_add3_u32 v4, v4, v0, v5
	s_and_b32 s76, s55, 1
	v_ashrrev_i32_e32 v5, 31, v4
	s_cmp_eq_u64 s[76:77], 0
	s_mov_b64 s[44:45], 0
	s_cselect_b64 s[24:25], -1, 0
	v_lshl_add_u64 v[4:5], v[4:5], 0, s[36:37]
	s_branch .LBB32_2449
.LBB32_2448:                            ;   in Loop: Header=BB32_2449 Depth=3
	s_or_b64 exec, exec, s[26:27]
	v_sub_u32_e32 v11, v11, v60
	v_cmp_gt_i32_e32 vcc, 1, v11
	s_or_b64 s[44:45], vcc, s[44:45]
	v_lshl_add_u64 v[4:5], v[4:5], 0, v[78:79]
	flat_store_short_d16_hi v[8:9], v14 nt
	s_andn2_b64 exec, exec, s[44:45]
	s_cbranch_execz .LBB32_2513
.LBB32_2449:                            ;   Parent Loop BB32_47 Depth=1
                                        ;     Parent Loop BB32_1800 Depth=2
                                        ; =>    This Inner Loop Header: Depth=3
	v_lshl_add_u64 v[8:9], v[28:29], 0, v[4:5]
	v_add_co_u32_e32 v14, vcc, 0xfffff900, v8
	s_nop 1
	v_addc_co_u32_e32 v15, vcc, -1, v9, vcc
	flat_load_ushort v53, v[14:15] nt
	v_add_co_u32_e32 v14, vcc, 0xfffff900, v4
	s_nop 1
	v_addc_co_u32_e32 v15, vcc, -1, v5, vcc
	s_waitcnt lgkmcnt(0)
	flat_load_ushort v54, v[14:15] nt
	v_add_co_u32_e32 v14, vcc, 0xfffff980, v8
	s_nop 1
	v_addc_co_u32_e32 v15, vcc, -1, v9, vcc
	flat_load_ushort v51, v[14:15] nt
	v_add_co_u32_e32 v14, vcc, 0xfffff980, v4
	s_nop 1
	v_addc_co_u32_e32 v15, vcc, -1, v5, vcc
	;; [unrolled: 4-line block ×10, first 2 shown]
	v_add_co_u32_e32 v64, vcc, s96, v8
	flat_load_ushort v35, v[14:15] nt
	s_nop 0
	v_addc_co_u32_e32 v65, vcc, -1, v9, vcc
	v_add_co_u32_e32 v14, vcc, s66, v4
	s_nop 1
	v_addc_co_u32_e32 v15, vcc, -1, v5, vcc
	flat_load_ushort v33, v[14:15] nt
	v_add_co_u32_e32 v14, vcc, 0xfffffc80, v8
	s_nop 1
	v_addc_co_u32_e32 v15, vcc, -1, v9, vcc
	flat_load_ushort v27, v[14:15] nt
	;; [unrolled: 4-line block ×11, first 2 shown]
	v_add_co_u32_e32 v14, vcc, 0xffffff00, v8
	s_nop 1
	v_addc_co_u32_e32 v15, vcc, -1, v9, vcc
	v_add_co_u32_e32 v66, vcc, 0xffffff00, v4
	s_mov_b64 s[26:27], vcc
	v_add_co_u32_e32 v68, vcc, s67, v4
	flat_load_ushort v17, v[14:15] nt
	s_mov_b64 s[28:29], vcc
	flat_load_ushort v38, v[64:65] offset:896 nt
	flat_load_ushort v15, v[64:65] offset:1792 nt
	flat_load_ushort v55, v[64:65] nt
	v_add_co_u32_e32 v64, vcc, 0xfffff880, v4
	s_nop 1
	v_addc_co_u32_e32 v65, vcc, -1, v5, vcc
	flat_load_ushort v64, v[64:65] nt
	v_addc_co_u32_e64 v67, vcc, -1, v5, s[26:27]
	v_addc_co_u32_e64 v69, vcc, -1, v5, s[28:29]
	flat_load_ushort v18, v[66:67] nt
	flat_load_ushort v16, v[68:69] nt
	;; [unrolled: 1-line block ×4, first 2 shown]
	s_waitcnt vmcnt(0) lgkmcnt(0)
	v_lshlrev_b32_e32 v8, 16, v55
	v_max_f32_e32 v8, v8, v8
	v_lshlrev_b32_e32 v9, 16, v64
	v_max_f32_e32 v9, v9, v9
	v_min_f32_e32 v55, v8, v9
	v_max_f32_e32 v8, v8, v9
	v_cndmask_b32_e64 v8, v8, v55, s[24:25]
	v_and_b32_e32 v9, 0x7f800000, v8
	v_cmp_ne_u32_e32 vcc, s85, v9
                                        ; implicit-def: $vgpr55
	s_and_saveexec_b64 s[26:27], vcc
	s_xor_b64 s[26:27], exec, s[26:27]
; %bb.2450:                             ;   in Loop: Header=BB32_2449 Depth=3
	v_bfe_u32 v9, v8, 16, 1
	v_add3_u32 v55, v8, v9, s86
                                        ; implicit-def: $vgpr8
; %bb.2451:                             ;   in Loop: Header=BB32_2449 Depth=3
	s_andn2_saveexec_b64 s[26:27], s[26:27]
; %bb.2452:                             ;   in Loop: Header=BB32_2449 Depth=3
	v_or_b32_e32 v9, 0x10000, v8
	v_cmp_eq_u32_sdwa vcc, v8, v3 src0_sel:WORD_0 src1_sel:DWORD
	s_nop 1
	v_cndmask_b32_e32 v55, v9, v8, vcc
; %bb.2453:                             ;   in Loop: Header=BB32_2449 Depth=3
	s_or_b64 exec, exec, s[26:27]
	v_lshl_add_u64 v[8:9], v[72:73], 0, v[4:5]
	v_add_co_u32_e32 v64, vcc, 0xfffff880, v8
	v_lshlrev_b32_e32 v53, 16, v53
	v_lshlrev_b32_e32 v54, 16, v54
	v_addc_co_u32_e32 v65, vcc, -1, v9, vcc
	v_max_f32_e32 v54, v54, v54
	v_max_f32_e32 v53, v53, v53
	flat_store_short_d16_hi v[64:65], v55 nt
	v_min_f32_e32 v55, v53, v54
	v_max_f32_e32 v53, v53, v54
	v_cndmask_b32_e64 v54, v53, v55, s[24:25]
	v_and_b32_e32 v53, 0x7f800000, v54
	v_cmp_ne_u32_e32 vcc, s85, v53
                                        ; implicit-def: $vgpr53
	s_and_saveexec_b64 s[26:27], vcc
	s_xor_b64 s[26:27], exec, s[26:27]
; %bb.2454:                             ;   in Loop: Header=BB32_2449 Depth=3
	v_bfe_u32 v53, v54, 16, 1
	v_add3_u32 v53, v54, v53, s86
                                        ; implicit-def: $vgpr54
; %bb.2455:                             ;   in Loop: Header=BB32_2449 Depth=3
	s_andn2_saveexec_b64 s[26:27], s[26:27]
; %bb.2456:                             ;   in Loop: Header=BB32_2449 Depth=3
	v_or_b32_e32 v53, 0x10000, v54
	v_cmp_eq_u32_sdwa vcc, v54, v3 src0_sel:WORD_0 src1_sel:DWORD
	s_nop 1
	v_cndmask_b32_e32 v53, v53, v54, vcc
; %bb.2457:                             ;   in Loop: Header=BB32_2449 Depth=3
	s_or_b64 exec, exec, s[26:27]
	v_add_co_u32_e32 v54, vcc, 0xfffff900, v8
	v_lshlrev_b32_e32 v51, 16, v51
	v_lshlrev_b32_e32 v52, 16, v52
	v_addc_co_u32_e32 v55, vcc, -1, v9, vcc
	v_max_f32_e32 v52, v52, v52
	v_max_f32_e32 v51, v51, v51
	flat_store_short_d16_hi v[54:55], v53 nt
	v_min_f32_e32 v53, v51, v52
	v_max_f32_e32 v51, v51, v52
	v_cndmask_b32_e64 v52, v51, v53, s[24:25]
	v_and_b32_e32 v51, 0x7f800000, v52
	v_cmp_ne_u32_e32 vcc, s85, v51
                                        ; implicit-def: $vgpr51
	s_and_saveexec_b64 s[26:27], vcc
	s_xor_b64 s[26:27], exec, s[26:27]
; %bb.2458:                             ;   in Loop: Header=BB32_2449 Depth=3
	v_bfe_u32 v51, v52, 16, 1
	v_add3_u32 v51, v52, v51, s86
                                        ; implicit-def: $vgpr52
; %bb.2459:                             ;   in Loop: Header=BB32_2449 Depth=3
	s_andn2_saveexec_b64 s[26:27], s[26:27]
; %bb.2460:                             ;   in Loop: Header=BB32_2449 Depth=3
	v_or_b32_e32 v51, 0x10000, v52
	v_cmp_eq_u32_sdwa vcc, v52, v3 src0_sel:WORD_0 src1_sel:DWORD
	s_nop 1
	v_cndmask_b32_e32 v51, v51, v52, vcc
; %bb.2461:                             ;   in Loop: Header=BB32_2449 Depth=3
	s_or_b64 exec, exec, s[26:27]
	v_add_co_u32_e32 v52, vcc, 0xfffff980, v8
	v_lshlrev_b32_e32 v49, 16, v49
	v_lshlrev_b32_e32 v50, 16, v50
	v_addc_co_u32_e32 v53, vcc, -1, v9, vcc
	v_max_f32_e32 v50, v50, v50
	v_max_f32_e32 v49, v49, v49
	flat_store_short_d16_hi v[52:53], v51 nt
	v_min_f32_e32 v51, v49, v50
	v_max_f32_e32 v49, v49, v50
	v_cndmask_b32_e64 v50, v49, v51, s[24:25]
	v_and_b32_e32 v49, 0x7f800000, v50
	v_cmp_ne_u32_e32 vcc, s85, v49
                                        ; implicit-def: $vgpr49
	s_and_saveexec_b64 s[26:27], vcc
	s_xor_b64 s[26:27], exec, s[26:27]
; %bb.2462:                             ;   in Loop: Header=BB32_2449 Depth=3
	v_bfe_u32 v49, v50, 16, 1
	v_add3_u32 v49, v50, v49, s86
                                        ; implicit-def: $vgpr50
; %bb.2463:                             ;   in Loop: Header=BB32_2449 Depth=3
	s_andn2_saveexec_b64 s[26:27], s[26:27]
; %bb.2464:                             ;   in Loop: Header=BB32_2449 Depth=3
	v_or_b32_e32 v49, 0x10000, v50
	v_cmp_eq_u32_sdwa vcc, v50, v3 src0_sel:WORD_0 src1_sel:DWORD
	s_nop 1
	v_cndmask_b32_e32 v49, v49, v50, vcc
; %bb.2465:                             ;   in Loop: Header=BB32_2449 Depth=3
	s_or_b64 exec, exec, s[26:27]
	v_add_co_u32_e32 v50, vcc, 0xfffffa00, v8
	v_lshlrev_b32_e32 v39, 16, v39
	v_lshlrev_b32_e32 v48, 16, v48
	v_addc_co_u32_e32 v51, vcc, -1, v9, vcc
	v_max_f32_e32 v48, v48, v48
	v_max_f32_e32 v39, v39, v39
	flat_store_short_d16_hi v[50:51], v49 nt
	v_min_f32_e32 v49, v39, v48
	v_max_f32_e32 v39, v39, v48
	v_cndmask_b32_e64 v48, v39, v49, s[24:25]
	v_and_b32_e32 v39, 0x7f800000, v48
	v_cmp_ne_u32_e32 vcc, s85, v39
                                        ; implicit-def: $vgpr39
	s_and_saveexec_b64 s[26:27], vcc
	s_xor_b64 s[26:27], exec, s[26:27]
; %bb.2466:                             ;   in Loop: Header=BB32_2449 Depth=3
	v_bfe_u32 v39, v48, 16, 1
	v_add3_u32 v39, v48, v39, s86
                                        ; implicit-def: $vgpr48
; %bb.2467:                             ;   in Loop: Header=BB32_2449 Depth=3
	s_andn2_saveexec_b64 s[26:27], s[26:27]
; %bb.2468:                             ;   in Loop: Header=BB32_2449 Depth=3
	v_or_b32_e32 v39, 0x10000, v48
	v_cmp_eq_u32_sdwa vcc, v48, v3 src0_sel:WORD_0 src1_sel:DWORD
	s_nop 1
	v_cndmask_b32_e32 v39, v39, v48, vcc
; %bb.2469:                             ;   in Loop: Header=BB32_2449 Depth=3
	s_or_b64 exec, exec, s[26:27]
	v_add_co_u32_e32 v48, vcc, 0xfffffa80, v8
	v_lshlrev_b32_e32 v36, 16, v36
	v_lshlrev_b32_e32 v37, 16, v37
	v_addc_co_u32_e32 v49, vcc, -1, v9, vcc
	v_max_f32_e32 v37, v37, v37
	v_max_f32_e32 v36, v36, v36
	flat_store_short_d16_hi v[48:49], v39 nt
	v_min_f32_e32 v39, v36, v37
	v_max_f32_e32 v36, v36, v37
	v_cndmask_b32_e64 v37, v36, v39, s[24:25]
	v_and_b32_e32 v36, 0x7f800000, v37
	v_cmp_ne_u32_e32 vcc, s85, v36
                                        ; implicit-def: $vgpr36
	s_and_saveexec_b64 s[26:27], vcc
	s_xor_b64 s[26:27], exec, s[26:27]
; %bb.2470:                             ;   in Loop: Header=BB32_2449 Depth=3
	v_bfe_u32 v36, v37, 16, 1
	v_add3_u32 v36, v37, v36, s86
                                        ; implicit-def: $vgpr37
; %bb.2471:                             ;   in Loop: Header=BB32_2449 Depth=3
	s_andn2_saveexec_b64 s[26:27], s[26:27]
; %bb.2472:                             ;   in Loop: Header=BB32_2449 Depth=3
	v_or_b32_e32 v36, 0x10000, v37
	v_cmp_eq_u32_sdwa vcc, v37, v3 src0_sel:WORD_0 src1_sel:DWORD
	s_nop 1
	v_cndmask_b32_e32 v36, v36, v37, vcc
; %bb.2473:                             ;   in Loop: Header=BB32_2449 Depth=3
	s_or_b64 exec, exec, s[26:27]
	v_add_co_u32_e32 v48, vcc, 0xfffffb00, v8
	v_lshlrev_b32_e32 v34, 16, v34
	v_lshlrev_b32_e32 v35, 16, v35
	v_addc_co_u32_e32 v49, vcc, -1, v9, vcc
	v_max_f32_e32 v35, v35, v35
	v_max_f32_e32 v34, v34, v34
	flat_store_short_d16_hi v[48:49], v36 nt
	v_min_f32_e32 v36, v34, v35
	v_max_f32_e32 v34, v34, v35
	v_cndmask_b32_e64 v35, v34, v36, s[24:25]
	v_and_b32_e32 v34, 0x7f800000, v35
	v_cmp_ne_u32_e32 vcc, s85, v34
                                        ; implicit-def: $vgpr34
	s_and_saveexec_b64 s[26:27], vcc
	s_xor_b64 s[26:27], exec, s[26:27]
; %bb.2474:                             ;   in Loop: Header=BB32_2449 Depth=3
	v_bfe_u32 v34, v35, 16, 1
	v_add3_u32 v34, v35, v34, s86
                                        ; implicit-def: $vgpr35
; %bb.2475:                             ;   in Loop: Header=BB32_2449 Depth=3
	s_andn2_saveexec_b64 s[26:27], s[26:27]
; %bb.2476:                             ;   in Loop: Header=BB32_2449 Depth=3
	v_or_b32_e32 v34, 0x10000, v35
	v_cmp_eq_u32_sdwa vcc, v35, v3 src0_sel:WORD_0 src1_sel:DWORD
	s_nop 1
	v_cndmask_b32_e32 v34, v34, v35, vcc
; %bb.2477:                             ;   in Loop: Header=BB32_2449 Depth=3
	s_or_b64 exec, exec, s[26:27]
	v_add_co_u32_e32 v36, vcc, 0xfffffb80, v8
	v_lshlrev_b32_e32 v33, 16, v33
	s_nop 0
	v_addc_co_u32_e32 v37, vcc, -1, v9, vcc
	flat_store_short_d16_hi v[36:37], v34 nt
	v_lshlrev_b32_e32 v34, 16, v38
	v_max_f32_e32 v33, v33, v33
	v_max_f32_e32 v34, v34, v34
	v_min_f32_e32 v35, v34, v33
	v_max_f32_e32 v33, v34, v33
	v_cndmask_b32_e64 v34, v33, v35, s[24:25]
	v_and_b32_e32 v33, 0x7f800000, v34
	v_cmp_ne_u32_e32 vcc, s85, v33
                                        ; implicit-def: $vgpr33
	s_and_saveexec_b64 s[26:27], vcc
	s_xor_b64 s[26:27], exec, s[26:27]
; %bb.2478:                             ;   in Loop: Header=BB32_2449 Depth=3
	v_bfe_u32 v33, v34, 16, 1
	v_add3_u32 v33, v34, v33, s86
                                        ; implicit-def: $vgpr34
; %bb.2479:                             ;   in Loop: Header=BB32_2449 Depth=3
	s_andn2_saveexec_b64 s[26:27], s[26:27]
; %bb.2480:                             ;   in Loop: Header=BB32_2449 Depth=3
	v_or_b32_e32 v33, 0x10000, v34
	v_cmp_eq_u32_sdwa vcc, v34, v3 src0_sel:WORD_0 src1_sel:DWORD
	s_nop 1
	v_cndmask_b32_e32 v33, v33, v34, vcc
; %bb.2481:                             ;   in Loop: Header=BB32_2449 Depth=3
	s_or_b64 exec, exec, s[26:27]
	v_add_co_u32_e32 v34, vcc, 0xfffffc00, v8
	v_lshlrev_b32_e32 v27, 16, v27
	v_lshlrev_b32_e32 v32, 16, v32
	v_addc_co_u32_e32 v35, vcc, -1, v9, vcc
	v_max_f32_e32 v32, v32, v32
	v_max_f32_e32 v27, v27, v27
	flat_store_short_d16_hi v[34:35], v33 nt
	v_min_f32_e32 v33, v27, v32
	v_max_f32_e32 v27, v27, v32
	v_cndmask_b32_e64 v32, v27, v33, s[24:25]
	v_and_b32_e32 v27, 0x7f800000, v32
	v_cmp_ne_u32_e32 vcc, s85, v27
                                        ; implicit-def: $vgpr27
	s_and_saveexec_b64 s[26:27], vcc
	s_xor_b64 s[26:27], exec, s[26:27]
; %bb.2482:                             ;   in Loop: Header=BB32_2449 Depth=3
	v_bfe_u32 v27, v32, 16, 1
	v_add3_u32 v27, v32, v27, s86
                                        ; implicit-def: $vgpr32
; %bb.2483:                             ;   in Loop: Header=BB32_2449 Depth=3
	s_andn2_saveexec_b64 s[26:27], s[26:27]
; %bb.2484:                             ;   in Loop: Header=BB32_2449 Depth=3
	v_or_b32_e32 v27, 0x10000, v32
	v_cmp_eq_u32_sdwa vcc, v32, v3 src0_sel:WORD_0 src1_sel:DWORD
	s_nop 1
	v_cndmask_b32_e32 v27, v27, v32, vcc
; %bb.2485:                             ;   in Loop: Header=BB32_2449 Depth=3
	s_or_b64 exec, exec, s[26:27]
	v_add_co_u32_e32 v32, vcc, 0xfffffc80, v8
	v_lshlrev_b32_e32 v25, 16, v25
	v_lshlrev_b32_e32 v26, 16, v26
	v_addc_co_u32_e32 v33, vcc, -1, v9, vcc
	v_max_f32_e32 v26, v26, v26
	v_max_f32_e32 v25, v25, v25
	flat_store_short_d16_hi v[32:33], v27 nt
	v_min_f32_e32 v27, v25, v26
	v_max_f32_e32 v25, v25, v26
	v_cndmask_b32_e64 v26, v25, v27, s[24:25]
	v_and_b32_e32 v25, 0x7f800000, v26
	v_cmp_ne_u32_e32 vcc, s85, v25
                                        ; implicit-def: $vgpr25
	s_and_saveexec_b64 s[26:27], vcc
	s_xor_b64 s[26:27], exec, s[26:27]
; %bb.2486:                             ;   in Loop: Header=BB32_2449 Depth=3
	v_bfe_u32 v25, v26, 16, 1
	v_add3_u32 v25, v26, v25, s86
                                        ; implicit-def: $vgpr26
; %bb.2487:                             ;   in Loop: Header=BB32_2449 Depth=3
	s_andn2_saveexec_b64 s[26:27], s[26:27]
; %bb.2488:                             ;   in Loop: Header=BB32_2449 Depth=3
	v_or_b32_e32 v25, 0x10000, v26
	v_cmp_eq_u32_sdwa vcc, v26, v3 src0_sel:WORD_0 src1_sel:DWORD
	s_nop 1
	v_cndmask_b32_e32 v25, v25, v26, vcc
; %bb.2489:                             ;   in Loop: Header=BB32_2449 Depth=3
	s_or_b64 exec, exec, s[26:27]
	v_add_co_u32_e32 v26, vcc, 0xfffffd00, v8
	v_lshlrev_b32_e32 v23, 16, v23
	v_lshlrev_b32_e32 v24, 16, v24
	v_addc_co_u32_e32 v27, vcc, -1, v9, vcc
	v_max_f32_e32 v24, v24, v24
	v_max_f32_e32 v23, v23, v23
	flat_store_short_d16_hi v[26:27], v25 nt
	v_min_f32_e32 v25, v23, v24
	v_max_f32_e32 v23, v23, v24
	v_cndmask_b32_e64 v24, v23, v25, s[24:25]
	v_and_b32_e32 v23, 0x7f800000, v24
	v_cmp_ne_u32_e32 vcc, s85, v23
                                        ; implicit-def: $vgpr23
	s_and_saveexec_b64 s[26:27], vcc
	s_xor_b64 s[26:27], exec, s[26:27]
; %bb.2490:                             ;   in Loop: Header=BB32_2449 Depth=3
	v_bfe_u32 v23, v24, 16, 1
	v_add3_u32 v23, v24, v23, s86
                                        ; implicit-def: $vgpr24
; %bb.2491:                             ;   in Loop: Header=BB32_2449 Depth=3
	s_andn2_saveexec_b64 s[26:27], s[26:27]
; %bb.2492:                             ;   in Loop: Header=BB32_2449 Depth=3
	v_or_b32_e32 v23, 0x10000, v24
	v_cmp_eq_u32_sdwa vcc, v24, v3 src0_sel:WORD_0 src1_sel:DWORD
	s_nop 1
	v_cndmask_b32_e32 v23, v23, v24, vcc
; %bb.2493:                             ;   in Loop: Header=BB32_2449 Depth=3
	s_or_b64 exec, exec, s[26:27]
	v_add_co_u32_e32 v24, vcc, 0xfffffd80, v8
	v_lshlrev_b32_e32 v21, 16, v21
	v_lshlrev_b32_e32 v22, 16, v22
	v_addc_co_u32_e32 v25, vcc, -1, v9, vcc
	v_max_f32_e32 v22, v22, v22
	v_max_f32_e32 v21, v21, v21
	flat_store_short_d16_hi v[24:25], v23 nt
	v_min_f32_e32 v23, v21, v22
	v_max_f32_e32 v21, v21, v22
	v_cndmask_b32_e64 v22, v21, v23, s[24:25]
	v_and_b32_e32 v21, 0x7f800000, v22
	v_cmp_ne_u32_e32 vcc, s85, v21
                                        ; implicit-def: $vgpr21
	s_and_saveexec_b64 s[26:27], vcc
	s_xor_b64 s[26:27], exec, s[26:27]
; %bb.2494:                             ;   in Loop: Header=BB32_2449 Depth=3
	v_bfe_u32 v21, v22, 16, 1
	v_add3_u32 v21, v22, v21, s86
                                        ; implicit-def: $vgpr22
; %bb.2495:                             ;   in Loop: Header=BB32_2449 Depth=3
	s_andn2_saveexec_b64 s[26:27], s[26:27]
; %bb.2496:                             ;   in Loop: Header=BB32_2449 Depth=3
	v_or_b32_e32 v21, 0x10000, v22
	v_cmp_eq_u32_sdwa vcc, v22, v3 src0_sel:WORD_0 src1_sel:DWORD
	s_nop 1
	v_cndmask_b32_e32 v21, v21, v22, vcc
; %bb.2497:                             ;   in Loop: Header=BB32_2449 Depth=3
	s_or_b64 exec, exec, s[26:27]
	v_add_co_u32_e32 v22, vcc, 0xfffffe00, v8
	v_lshlrev_b32_e32 v19, 16, v19
	v_lshlrev_b32_e32 v20, 16, v20
	v_addc_co_u32_e32 v23, vcc, -1, v9, vcc
	v_max_f32_e32 v20, v20, v20
	v_max_f32_e32 v19, v19, v19
	flat_store_short_d16_hi v[22:23], v21 nt
	v_min_f32_e32 v21, v19, v20
	v_max_f32_e32 v19, v19, v20
	v_cndmask_b32_e64 v20, v19, v21, s[24:25]
	v_and_b32_e32 v19, 0x7f800000, v20
	v_cmp_ne_u32_e32 vcc, s85, v19
                                        ; implicit-def: $vgpr19
	s_and_saveexec_b64 s[26:27], vcc
	s_xor_b64 s[26:27], exec, s[26:27]
; %bb.2498:                             ;   in Loop: Header=BB32_2449 Depth=3
	v_bfe_u32 v19, v20, 16, 1
	v_add3_u32 v19, v20, v19, s86
                                        ; implicit-def: $vgpr20
; %bb.2499:                             ;   in Loop: Header=BB32_2449 Depth=3
	s_andn2_saveexec_b64 s[26:27], s[26:27]
; %bb.2500:                             ;   in Loop: Header=BB32_2449 Depth=3
	v_or_b32_e32 v19, 0x10000, v20
	v_cmp_eq_u32_sdwa vcc, v20, v3 src0_sel:WORD_0 src1_sel:DWORD
	s_nop 1
	v_cndmask_b32_e32 v19, v19, v20, vcc
; %bb.2501:                             ;   in Loop: Header=BB32_2449 Depth=3
	s_or_b64 exec, exec, s[26:27]
	v_add_co_u32_e32 v20, vcc, 0xfffffe80, v8
	v_lshlrev_b32_e32 v17, 16, v17
	v_lshlrev_b32_e32 v18, 16, v18
	v_addc_co_u32_e32 v21, vcc, -1, v9, vcc
	v_max_f32_e32 v18, v18, v18
	v_max_f32_e32 v17, v17, v17
	flat_store_short_d16_hi v[20:21], v19 nt
	v_min_f32_e32 v19, v17, v18
	v_max_f32_e32 v17, v17, v18
	v_cndmask_b32_e64 v18, v17, v19, s[24:25]
	v_and_b32_e32 v17, 0x7f800000, v18
	v_cmp_ne_u32_e32 vcc, s85, v17
                                        ; implicit-def: $vgpr17
	s_and_saveexec_b64 s[26:27], vcc
	s_xor_b64 s[26:27], exec, s[26:27]
; %bb.2502:                             ;   in Loop: Header=BB32_2449 Depth=3
	v_bfe_u32 v17, v18, 16, 1
	v_add3_u32 v17, v18, v17, s86
                                        ; implicit-def: $vgpr18
; %bb.2503:                             ;   in Loop: Header=BB32_2449 Depth=3
	s_andn2_saveexec_b64 s[26:27], s[26:27]
; %bb.2504:                             ;   in Loop: Header=BB32_2449 Depth=3
	v_or_b32_e32 v17, 0x10000, v18
	v_cmp_eq_u32_sdwa vcc, v18, v3 src0_sel:WORD_0 src1_sel:DWORD
	s_nop 1
	v_cndmask_b32_e32 v17, v17, v18, vcc
; %bb.2505:                             ;   in Loop: Header=BB32_2449 Depth=3
	s_or_b64 exec, exec, s[26:27]
	v_add_co_u32_e32 v18, vcc, 0xffffff00, v8
	v_lshlrev_b32_e32 v15, 16, v15
	v_lshlrev_b32_e32 v16, 16, v16
	v_addc_co_u32_e32 v19, vcc, -1, v9, vcc
	v_max_f32_e32 v16, v16, v16
	v_max_f32_e32 v15, v15, v15
	flat_store_short_d16_hi v[18:19], v17 nt
	v_min_f32_e32 v17, v15, v16
	v_max_f32_e32 v15, v15, v16
	v_cndmask_b32_e64 v16, v15, v17, s[24:25]
	v_and_b32_e32 v15, 0x7f800000, v16
	v_cmp_ne_u32_e32 vcc, s85, v15
                                        ; implicit-def: $vgpr15
	s_and_saveexec_b64 s[26:27], vcc
	s_xor_b64 s[26:27], exec, s[26:27]
; %bb.2506:                             ;   in Loop: Header=BB32_2449 Depth=3
	v_bfe_u32 v15, v16, 16, 1
	v_add3_u32 v15, v16, v15, s86
                                        ; implicit-def: $vgpr16
; %bb.2507:                             ;   in Loop: Header=BB32_2449 Depth=3
	s_andn2_saveexec_b64 s[26:27], s[26:27]
; %bb.2508:                             ;   in Loop: Header=BB32_2449 Depth=3
	v_or_b32_e32 v15, 0x10000, v16
	v_cmp_eq_u32_sdwa vcc, v16, v3 src0_sel:WORD_0 src1_sel:DWORD
	s_nop 1
	v_cndmask_b32_e32 v15, v15, v16, vcc
; %bb.2509:                             ;   in Loop: Header=BB32_2449 Depth=3
	s_or_b64 exec, exec, s[26:27]
	v_add_co_u32_e32 v16, vcc, 0xffffff80, v8
	v_lshlrev_b32_e32 v13, 16, v13
	v_lshlrev_b32_e32 v14, 16, v14
	v_addc_co_u32_e32 v17, vcc, -1, v9, vcc
	v_max_f32_e32 v14, v14, v14
	v_max_f32_e32 v13, v13, v13
	flat_store_short_d16_hi v[16:17], v15 nt
	v_min_f32_e32 v15, v13, v14
	v_max_f32_e32 v13, v13, v14
	v_cndmask_b32_e64 v13, v13, v15, s[24:25]
	v_and_b32_e32 v14, 0x7f800000, v13
	v_cmp_ne_u32_e32 vcc, s85, v14
                                        ; implicit-def: $vgpr14
	s_and_saveexec_b64 s[26:27], vcc
	s_xor_b64 s[26:27], exec, s[26:27]
; %bb.2510:                             ;   in Loop: Header=BB32_2449 Depth=3
	v_bfe_u32 v14, v13, 16, 1
	v_add3_u32 v14, v13, v14, s86
                                        ; implicit-def: $vgpr13
; %bb.2511:                             ;   in Loop: Header=BB32_2449 Depth=3
	s_andn2_saveexec_b64 s[26:27], s[26:27]
	s_cbranch_execz .LBB32_2448
; %bb.2512:                             ;   in Loop: Header=BB32_2449 Depth=3
	v_or_b32_e32 v14, 0x10000, v13
	v_cmp_eq_u32_sdwa vcc, v13, v3 src0_sel:WORD_0 src1_sel:DWORD
	s_nop 1
	v_cndmask_b32_e32 v14, v14, v13, vcc
	s_branch .LBB32_2448
.LBB32_2513:                            ;   in Loop: Header=BB32_1800 Depth=2
	s_or_b64 exec, exec, s[44:45]
.LBB32_2514:                            ;   in Loop: Header=BB32_1800 Depth=2
	s_or_b64 exec, exec, s[42:43]
	v_lshlrev_b32_e32 v4, 11, v12
	v_cmp_ne_u32_e32 vcc, v2, v4
	s_and_b64 exec, exec, vcc
	s_cbranch_execz .LBB32_2518
; %bb.2515:                             ;   in Loop: Header=BB32_1800 Depth=2
	v_lshlrev_b32_e32 v1, 6, v1
	v_sub_u32_e32 v1, v10, v1
	v_lshlrev_b32_e32 v5, 6, v11
	v_sub_u32_e32 v1, v1, v5
	v_ashrrev_i32_e32 v5, 31, v1
	v_lshrrev_b32_e32 v5, 26, v5
	v_add_u32_e32 v5, v1, v5
	v_and_b32_e32 v8, 0x7fffffc0, v5
	v_sub_u32_e32 v1, v1, v8
	v_lshlrev_b32_e32 v5, 1, v5
	v_and_b32_e32 v5, 0xffffff80, v5
	v_lshlrev_b32_e32 v1, 1, v1
	v_add3_u32 v4, v5, v1, v4
	v_sub_u32_e32 v1, v2, v4
	v_cmp_lt_i32_e32 vcc, 1, v1
	s_and_b64 exec, exec, vcc
	s_cbranch_execz .LBB32_2518
; %bb.2516:                             ;   in Loop: Header=BB32_1800 Depth=2
	s_and_b32 s76, s55, 1
	v_add_u32_e32 v4, v4, v0
	s_cmp_eq_u64 s[76:77], 0
	v_ashrrev_i32_e32 v5, 31, v4
	s_mov_b64 s[26:27], 0
	s_cselect_b64 vcc, -1, 0
.LBB32_2517:                            ;   Parent Loop BB32_47 Depth=1
                                        ;     Parent Loop BB32_1800 Depth=2
                                        ; =>    This Inner Loop Header: Depth=3
	v_lshl_add_u64 v[8:9], v[28:29], 0, v[4:5]
	flat_load_ushort v0, v[4:5] nt
	flat_load_ushort v2, v[8:9] nt
	v_sub_u32_e32 v1, v1, v88
	v_cmp_gt_i32_e64 s[24:25], 2, v1
	s_or_b64 s[26:27], s[24:25], s[26:27]
	v_lshl_add_u64 v[8:9], v[72:73], 0, v[4:5]
	v_lshl_add_u64 v[4:5], v[4:5], 0, v[88:89]
	s_waitcnt vmcnt(0) lgkmcnt(0)
	v_lshlrev_b32_e32 v0, 16, v0
	v_lshlrev_b32_e32 v2, 16, v2
	v_max_f32_e32 v0, v0, v0
	v_max_f32_e32 v2, v2, v2
	v_min_f32_e32 v10, v2, v0
	v_max_f32_e32 v0, v2, v0
	v_cndmask_b32_e32 v0, v0, v10, vcc
	v_and_b32_e32 v2, 0x7f800000, v0
	v_bfe_u32 v10, v0, 16, 1
	v_or_b32_e32 v11, 0x10000, v0
	v_cmp_eq_u32_sdwa s[24:25], v0, v3 src0_sel:WORD_0 src1_sel:DWORD
	v_add3_u32 v10, v0, v10, s86
	s_nop 0
	v_cndmask_b32_e64 v0, v11, v0, s[24:25]
	v_cmp_eq_u32_e64 s[24:25], s85, v2
	s_nop 1
	v_cndmask_b32_e64 v0, v10, v0, s[24:25]
	flat_store_short_d16_hi v[8:9], v0 nt
	s_andn2_b64 exec, exec, s[26:27]
	s_cbranch_execnz .LBB32_2517
.LBB32_2518:                            ;   in Loop: Header=BB32_1800 Depth=2
	s_or_b64 exec, exec, s[40:41]
	v_cmp_lt_i32_e64 s[24:25], 0, v107
	s_and_saveexec_b64 s[26:27], s[6:7]
	s_cbranch_execz .LBB32_1939
.LBB32_2519:                            ;   in Loop: Header=BB32_1800 Depth=2
	s_and_saveexec_b64 s[28:29], s[78:79]
	s_xor_b64 s[28:29], exec, s[28:29]
	s_cbranch_execz .LBB32_2534
; %bb.2520:                             ;   in Loop: Header=BB32_1800 Depth=2
	s_and_saveexec_b64 s[40:41], s[14:15]
	s_cbranch_execz .LBB32_2533
; %bb.2521:                             ;   in Loop: Header=BB32_1800 Depth=2
	s_mov_b64 s[44:45], exec
	v_mbcnt_lo_u32_b32 v0, s44, 0
	v_mbcnt_hi_u32_b32 v0, s45, v0
	v_cmp_eq_u32_e32 vcc, 0, v0
	s_waitcnt lgkmcnt(0)
	s_and_saveexec_b64 s[42:43], vcc
	s_cbranch_execz .LBB32_2523
; %bb.2522:                             ;   in Loop: Header=BB32_1800 Depth=2
	s_bcnt1_i32_b64 s44, s[44:45]
	v_mov_b32_e32 v2, s44
	ds_add_u64 v0, v[2:3]
	s_trap 2
.LBB32_2523:                            ;   in Loop: Header=BB32_1800 Depth=2
	s_or_b64 exec, exec, s[42:43]
	s_trap 2
	ds_read_b64 v[0:1], v0
	s_waitcnt lgkmcnt(0)
	v_lshl_add_u64 v[46:47], v[46:47], 0, v[60:61]
	v_cmp_lt_u64_e32 vcc, v[0:1], v[46:47]
	s_and_saveexec_b64 s[42:43], vcc
	s_cbranch_execz .LBB32_2532
; %bb.2524:                             ;   in Loop: Header=BB32_1800 Depth=2
	s_mov_b32 s76, 0
	s_mov_b64 s[44:45], 0
                                        ; implicit-def: $sgpr46_sgpr47
                                        ; implicit-def: $sgpr56_sgpr57
	s_branch .LBB32_2526
.LBB32_2525:                            ;   in Loop: Header=BB32_2526 Depth=3
	s_or_b64 exec, exec, s[60:61]
	s_and_b64 s[58:59], exec, vcc
	s_or_b64 s[44:45], s[58:59], s[44:45]
	s_andn2_b64 s[46:47], s[46:47], exec
	s_and_b64 s[58:59], s[56:57], exec
	s_or_b64 s[46:47], s[46:47], s[58:59]
	s_andn2_b64 exec, exec, s[44:45]
	s_cbranch_execz .LBB32_2530
.LBB32_2526:                            ;   Parent Loop BB32_47 Depth=1
                                        ;     Parent Loop BB32_1800 Depth=2
                                        ; =>    This Inner Loop Header: Depth=3
	s_add_i32 s76, s76, 1
	s_cmpk_lg_i32 s76, 0x2710
	s_cselect_b64 s[58:59], -1, 0
	s_and_b64 vcc, exec, s[58:59]
	s_cbranch_vccz .LBB32_2528
; %bb.2527:                             ;   in Loop: Header=BB32_2526 Depth=3
	s_mov_b64 vcc, -1
	s_or_b64 s[56:57], s[56:57], exec
	s_and_saveexec_b64 s[60:61], s[58:59]
	s_cbranch_execz .LBB32_2525
	s_branch .LBB32_2529
.LBB32_2528:                            ;   in Loop: Header=BB32_2526 Depth=3
	s_trap 2
	ds_read_b64 v[0:1], v0
	s_andn2_b64 s[58:59], s[58:59], exec
	s_mov_b32 s76, 0
	s_waitcnt vmcnt(0) lgkmcnt(0)
	flat_load_dword v0, v[0:1] sc0 sc1
	s_waitcnt vmcnt(0) lgkmcnt(0)
	buffer_inv sc0 sc1
	v_cmp_eq_u32_e32 vcc, 0, v0
	s_and_b64 s[60:61], vcc, exec
	s_or_b64 s[58:59], s[58:59], s[60:61]
	s_mov_b64 vcc, -1
	s_or_b64 s[56:57], s[56:57], exec
	s_and_saveexec_b64 s[60:61], s[58:59]
	s_cbranch_execz .LBB32_2525
.LBB32_2529:                            ;   in Loop: Header=BB32_2526 Depth=3
	s_sleep 1
	s_trap 2
	ds_read_b64 v[0:1], v0
	s_waitcnt lgkmcnt(0)
	s_andn2_b64 s[56:57], s[56:57], exec
	v_cmp_ge_u64_e32 vcc, v[0:1], v[46:47]
	s_orn2_b64 vcc, vcc, exec
	s_branch .LBB32_2525
.LBB32_2530:                            ;   in Loop: Header=BB32_1800 Depth=2
	s_or_b64 exec, exec, s[44:45]
	s_and_saveexec_b64 s[44:45], s[46:47]
	s_xor_b64 s[44:45], exec, s[44:45]
	s_cbranch_execz .LBB32_2532
; %bb.2531:                             ;   in Loop: Header=BB32_1800 Depth=2
	ds_write_b32 v0, v31
	s_trap 2
.LBB32_2532:                            ;   in Loop: Header=BB32_1800 Depth=2
	s_or_b64 exec, exec, s[42:43]
	;;#ASMSTART
	s_wakeup
	;;#ASMEND
.LBB32_2533:                            ;   in Loop: Header=BB32_1800 Depth=2
	s_or_b64 exec, exec, s[40:41]
.LBB32_2534:                            ;   in Loop: Header=BB32_1800 Depth=2
	s_andn2_saveexec_b64 s[28:29], s[28:29]
	s_cbranch_execz .LBB32_2536
; %bb.2535:                             ;   in Loop: Header=BB32_1800 Depth=2
	s_waitcnt lgkmcnt(0)
	s_barrier
.LBB32_2536:                            ;   in Loop: Header=BB32_1800 Depth=2
	s_or_b64 exec, exec, s[28:29]
	s_or_b64 exec, exec, s[26:27]
                                        ; implicit-def: $vgpr0
	s_and_saveexec_b64 s[26:27], s[22:23]
	s_xor_b64 s[26:27], exec, s[26:27]
	s_cbranch_execnz .LBB32_1940
.LBB32_2537:                            ;   in Loop: Header=BB32_1800 Depth=2
	s_andn2_saveexec_b64 s[24:25], s[26:27]
	s_cbranch_execz .LBB32_2556
.LBB32_2538:                            ;   in Loop: Header=BB32_1800 Depth=2
	s_and_saveexec_b64 s[26:27], s[78:79]
	s_xor_b64 s[26:27], exec, s[26:27]
	s_cbranch_execz .LBB32_2553
; %bb.2539:                             ;   in Loop: Header=BB32_1800 Depth=2
	s_and_saveexec_b64 s[28:29], s[14:15]
	s_cbranch_execz .LBB32_2552
; %bb.2540:                             ;   in Loop: Header=BB32_1800 Depth=2
	s_mov_b64 s[42:43], exec
	v_mbcnt_lo_u32_b32 v0, s42, 0
	v_mbcnt_hi_u32_b32 v0, s43, v0
	v_cmp_eq_u32_e32 vcc, 0, v0
	;;#ASMSTART
	s_waitcnt lgkmcnt(0) vmcnt(0)
	;;#ASMEND
	s_and_saveexec_b64 s[40:41], vcc
	s_cbranch_execz .LBB32_2542
; %bb.2541:                             ;   in Loop: Header=BB32_1800 Depth=2
	s_bcnt1_i32_b64 s42, s[42:43]
	v_mov_b32_e32 v2, s42
	s_waitcnt lgkmcnt(0)
	ds_add_u64 v0, v[2:3]
	s_trap 2
.LBB32_2542:                            ;   in Loop: Header=BB32_1800 Depth=2
	s_or_b64 exec, exec, s[40:41]
	s_trap 2
	ds_read_b64 v[0:1], v0
	s_waitcnt lgkmcnt(0)
	v_lshl_add_u64 v[46:47], v[46:47], 0, v[60:61]
	v_cmp_lt_u64_e32 vcc, v[0:1], v[46:47]
	s_and_saveexec_b64 s[40:41], vcc
	s_cbranch_execz .LBB32_2551
; %bb.2543:                             ;   in Loop: Header=BB32_1800 Depth=2
	s_mov_b32 s76, 0
	s_mov_b64 s[42:43], 0
                                        ; implicit-def: $sgpr44_sgpr45
                                        ; implicit-def: $sgpr46_sgpr47
	s_branch .LBB32_2545
.LBB32_2544:                            ;   in Loop: Header=BB32_2545 Depth=3
	s_or_b64 exec, exec, s[58:59]
	s_and_b64 s[56:57], exec, s[60:61]
	s_or_b64 s[42:43], s[56:57], s[42:43]
	s_andn2_b64 s[44:45], s[44:45], exec
	s_and_b64 s[56:57], s[46:47], exec
	s_or_b64 s[44:45], s[44:45], s[56:57]
	s_andn2_b64 exec, exec, s[42:43]
	s_cbranch_execz .LBB32_2549
.LBB32_2545:                            ;   Parent Loop BB32_47 Depth=1
                                        ;     Parent Loop BB32_1800 Depth=2
                                        ; =>    This Inner Loop Header: Depth=3
	s_add_i32 s76, s76, 1
	s_cmpk_lg_i32 s76, 0x2710
	s_cselect_b64 s[56:57], -1, 0
	s_and_b64 vcc, exec, s[56:57]
	s_cbranch_vccz .LBB32_2547
; %bb.2546:                             ;   in Loop: Header=BB32_2545 Depth=3
	s_mov_b64 s[60:61], -1
	s_or_b64 s[46:47], s[46:47], exec
	s_and_saveexec_b64 s[58:59], s[56:57]
	s_cbranch_execz .LBB32_2544
	s_branch .LBB32_2548
.LBB32_2547:                            ;   in Loop: Header=BB32_2545 Depth=3
	s_trap 2
	ds_read_b64 v[0:1], v0
	s_andn2_b64 s[56:57], s[56:57], exec
	s_mov_b32 s76, 0
	s_waitcnt vmcnt(0) lgkmcnt(0)
	flat_load_dword v0, v[0:1] sc0 sc1
	s_waitcnt vmcnt(0) lgkmcnt(0)
	buffer_inv sc0 sc1
	v_cmp_eq_u32_e32 vcc, 0, v0
	s_and_b64 s[58:59], vcc, exec
	s_or_b64 s[56:57], s[56:57], s[58:59]
	s_mov_b64 s[60:61], -1
	s_or_b64 s[46:47], s[46:47], exec
	s_and_saveexec_b64 s[58:59], s[56:57]
	s_cbranch_execz .LBB32_2544
.LBB32_2548:                            ;   in Loop: Header=BB32_2545 Depth=3
	s_sleep 1
	s_trap 2
	ds_read_b64 v[0:1], v0
	s_waitcnt lgkmcnt(0)
	s_andn2_b64 s[46:47], s[46:47], exec
	v_cmp_ge_u64_e32 vcc, v[0:1], v[46:47]
	s_orn2_b64 s[60:61], vcc, exec
	s_branch .LBB32_2544
.LBB32_2549:                            ;   in Loop: Header=BB32_1800 Depth=2
	s_or_b64 exec, exec, s[42:43]
	s_and_saveexec_b64 s[42:43], s[44:45]
	s_xor_b64 s[42:43], exec, s[42:43]
	s_cbranch_execz .LBB32_2551
; %bb.2550:                             ;   in Loop: Header=BB32_1800 Depth=2
	ds_write_b32 v0, v31
	s_trap 2
.LBB32_2551:                            ;   in Loop: Header=BB32_1800 Depth=2
	s_or_b64 exec, exec, s[40:41]
	;;#ASMSTART
	s_wakeup
	;;#ASMEND
.LBB32_2552:                            ;   in Loop: Header=BB32_1800 Depth=2
	s_or_b64 exec, exec, s[28:29]
.LBB32_2553:                            ;   in Loop: Header=BB32_1800 Depth=2
	s_andn2_saveexec_b64 s[26:27], s[26:27]
	s_cbranch_execz .LBB32_2555
; %bb.2554:                             ;   in Loop: Header=BB32_1800 Depth=2
	;;#ASMSTART
	s_waitcnt lgkmcnt(0) vmcnt(0)
	;;#ASMEND
	s_barrier
.LBB32_2555:                            ;   in Loop: Header=BB32_1800 Depth=2
	s_or_b64 exec, exec, s[26:27]
	v_and_b32_e32 v0, 16, v126
.LBB32_2556:                            ;   in Loop: Header=BB32_1800 Depth=2
	s_or_b64 exec, exec, s[24:25]
	v_cmp_ne_u32_e32 vcc, 0, v0
	s_xor_b64 s[24:25], s[10:11], -1
	s_and_b64 s[26:27], vcc, s[24:25]
	s_and_saveexec_b64 s[24:25], s[26:27]
	s_cbranch_execz .LBB32_2558
; %bb.2557:                             ;   in Loop: Header=BB32_1800 Depth=2
	flat_store_dword v[44:45], v31 sc0 sc1
.LBB32_2558:                            ;   in Loop: Header=BB32_1800 Depth=2
	s_or_b64 exec, exec, s[24:25]
	v_and_b32_e32 v0, 48, v126
	v_cmp_ne_u32_e32 vcc, 0, v0
	s_and_saveexec_b64 s[24:25], vcc
	s_cbranch_execz .LBB32_2560
; %bb.2559:                             ;   in Loop: Header=BB32_1800 Depth=2
	v_lshl_add_u64 v[116:117], v[116:117], 0, 4
	flat_store_dwordx2 v[40:41], v[116:117] sc0 sc1
.LBB32_2560:                            ;   in Loop: Header=BB32_1800 Depth=2
	s_or_b64 exec, exec, s[24:25]
	v_mov_b32_e32 v0, v106
	s_or_b64 exec, exec, s[38:39]
	s_and_saveexec_b64 s[26:27], s[62:63]
	s_cbranch_execnz .LBB32_1807
.LBB32_2561:                            ;   in Loop: Header=BB32_1800 Depth=2
	s_or_b64 exec, exec, s[26:27]
	s_add_i32 s24, s54, 1
	s_cmp_eq_u32 s54, s80
	s_cbranch_scc1 .LBB32_2563
.LBB32_2562:                            ;   in Loop: Header=BB32_1800 Depth=2
	s_mov_b32 s54, s24
	s_branch .LBB32_1800
.LBB32_2563:                            ;   in Loop: Header=BB32_47 Depth=1
	v_mul_lo_u32 v0, v125, s81
	v_mul_lo_u32 v1, v124, s82
	v_mad_u64_u32 v[4:5], s[24:25], v124, s81, 0
	v_add3_u32 v5, v5, v1, v0
	v_sub_co_u32_e32 v0, vcc, v104, v4
	s_nop 1
	v_subb_co_u32_e32 v1, vcc, v105, v5, vcc
	v_cmp_lt_i64_e32 vcc, v[124:125], v[0:1]
	s_nop 1
	v_cndmask_b32_e32 v1, v0, v124, vcc
	v_max_i32_e32 v59, 0, v1
	s_waitcnt vmcnt(0)
	v_add_u32_e32 v2, 15, v59
	v_ashrrev_i32_e32 v8, 31, v2
	v_lshrrev_b32_e32 v8, 28, v8
	v_add_u32_e32 v2, v2, v8
	v_cmp_gt_i32_e32 vcc, 1, v1
	v_and_b32_e32 v2, -16, v2
	s_or_b64 s[60:61], s[2:3], vcc
	v_mov_b32_e32 v0, 0
	v_max_i32_e32 v58, s71, v2
	s_xor_b64 s[24:25], s[60:61], -1
	s_and_saveexec_b64 s[62:63], s[24:25]
	s_cbranch_execz .LBB32_3021
; %bb.2564:                             ;   in Loop: Header=BB32_47 Depth=1
	s_and_saveexec_b64 s[24:25], s[0:1]
	s_cbranch_execz .LBB32_2566
; %bb.2565:                             ;   in Loop: Header=BB32_47 Depth=1
	s_trap 2
	ds_read_b128 v[8:11], v0
	v_lshl_add_u64 v[0:1], v[4:5], 0, v[74:75]
	v_lshlrev_b64 v[0:1], 1, v[0:1]
	s_waitcnt lgkmcnt(0)
	v_lshl_add_u64 v[4:5], v[8:9], 0, v[0:1]
	v_lshl_add_u64 v[0:1], v[10:11], 0, v[0:1]
	v_cmp_ne_u64_e32 vcc, 0, v[10:11]
	ds_write_b64 v0, v[4:5]
	s_nop 0
	v_cndmask_b32_e32 v1, 0, v1, vcc
	v_cndmask_b32_e32 v0, 0, v0, vcc
	ds_write_b64 v0, v[0:1]
.LBB32_2566:                            ;   in Loop: Header=BB32_47 Depth=1
	s_or_b64 exec, exec, s[24:25]
	v_and_b32_e32 v0, 4, v126
	v_cmp_ne_u32_e32 vcc, 0, v0
	s_mov_b64 s[26:27], exec
	scratch_load_dwordx2 v[74:75], off, s33 offset:192 ; 8-byte Folded Reload
	s_and_b64 s[24:25], s[26:27], vcc
	s_mov_b64 exec, s[24:25]
	s_cbranch_execz .LBB32_2588
; %bb.2567:                             ;   in Loop: Header=BB32_47 Depth=1
	v_lshl_add_u64 v[4:5], v[116:117], 0, 4
	s_waitcnt lgkmcnt(0)
	v_cmp_lt_u64_e32 vcc, v[56:57], v[4:5]
	s_and_saveexec_b64 s[28:29], vcc
	s_cbranch_execz .LBB32_2579
; %bb.2568:                             ;   in Loop: Header=BB32_47 Depth=1
	v_and_b32_e32 v0, 64, v126
	s_mov_b32 s76, 0
	v_cmp_eq_u32_e32 vcc, 0, v0
	s_mov_b64 s[40:41], 0
                                        ; implicit-def: $sgpr42_sgpr43
                                        ; implicit-def: $sgpr44_sgpr45
                                        ; implicit-def: $sgpr46_sgpr47
	s_branch .LBB32_2572
.LBB32_2569:                            ;   in Loop: Header=BB32_2572 Depth=2
	s_waitcnt vmcnt(0) lgkmcnt(0)
	v_cmp_ge_u64_e64 s[24:25], v[56:57], v[4:5]
	s_or_b64 s[38:39], s[38:39], exec
	s_orn2_b64 s[58:59], s[24:25], exec
.LBB32_2570:                            ;   in Loop: Header=BB32_2572 Depth=2
	s_or_b64 exec, exec, s[50:51]
	s_andn2_b64 s[24:25], s[46:47], exec
	s_and_b64 s[46:47], s[38:39], exec
	s_or_b64 s[46:47], s[24:25], s[46:47]
	s_andn2_b64 s[24:25], s[44:45], exec
	s_and_b64 s[44:45], s[58:59], exec
	s_or_b64 s[44:45], s[24:25], s[44:45]
.LBB32_2571:                            ;   in Loop: Header=BB32_2572 Depth=2
	s_or_b64 exec, exec, s[56:57]
	s_and_b64 s[24:25], exec, s[44:45]
	s_or_b64 s[40:41], s[24:25], s[40:41]
	s_andn2_b64 s[24:25], s[42:43], exec
	s_and_b64 s[42:43], s[46:47], exec
	s_or_b64 s[42:43], s[24:25], s[42:43]
	s_andn2_b64 exec, exec, s[40:41]
	s_cbranch_execz .LBB32_2576
.LBB32_2572:                            ;   Parent Loop BB32_47 Depth=1
                                        ; =>  This Inner Loop Header: Depth=2
	s_sleep 1
	s_waitcnt vmcnt(0) lgkmcnt(0)
	flat_load_dwordx2 v[56:57], v[40:41] sc0 sc1
	s_or_b64 s[46:47], s[46:47], exec
	s_or_b64 s[44:45], s[44:45], exec
                                        ; implicit-def: $vgpr0
	s_and_saveexec_b64 s[56:57], vcc
	s_cbranch_execz .LBB32_2571
; %bb.2573:                             ;   in Loop: Header=BB32_2572 Depth=2
	s_cmpk_lt_i32 s76, 0x270f
	s_cselect_b64 s[48:49], -1, 0
	s_cmpk_gt_i32 s76, 0x270e
	s_mov_b64 s[58:59], -1
	s_cbranch_scc0 .LBB32_2575
; %bb.2574:                             ;   in Loop: Header=BB32_2572 Depth=2
	s_trap 2
	ds_read_b64 v[0:1], v0
	s_andn2_b64 s[48:49], s[48:49], exec
	s_mov_b32 s76, 0
	s_mov_b64 s[38:39], 0
	s_waitcnt vmcnt(0) lgkmcnt(0)
	flat_load_dword v0, v[0:1] sc0 sc1
	s_waitcnt vmcnt(0) lgkmcnt(0)
	buffer_inv sc0 sc1
	v_cmp_eq_u32_e64 s[24:25], 0, v0
	s_and_b64 s[24:25], s[24:25], exec
	s_or_b64 s[48:49], s[48:49], s[24:25]
	s_and_saveexec_b64 s[50:51], s[48:49]
	s_cbranch_execz .LBB32_2570
	s_branch .LBB32_2569
.LBB32_2575:                            ;   in Loop: Header=BB32_2572 Depth=2
	s_add_i32 s76, s76, 1
	s_mov_b64 s[38:39], -1
                                        ; implicit-def: $vgpr0
	s_and_saveexec_b64 s[50:51], s[48:49]
	s_cbranch_execz .LBB32_2570
	s_branch .LBB32_2569
.LBB32_2576:                            ;   in Loop: Header=BB32_47 Depth=1
	s_or_b64 exec, exec, s[40:41]
	s_xor_b64 s[24:25], s[42:43], -1
	s_and_saveexec_b64 s[40:41], s[24:25]
	s_xor_b64 s[24:25], exec, s[40:41]
	s_cbranch_execz .LBB32_2578
; %bb.2577:                             ;   in Loop: Header=BB32_47 Depth=1
	v_or_b32_e32 v126, 64, v126
	s_waitcnt lgkmcnt(0)
	ds_write_b32 v0, v0
	s_trap 2
.LBB32_2578:                            ;   in Loop: Header=BB32_47 Depth=1
	s_or_b64 exec, exec, s[24:25]
.LBB32_2579:                            ;   in Loop: Header=BB32_47 Depth=1
	s_or_b64 exec, exec, s[28:29]
	v_and_b32_e32 v0, 0x100, v126
	v_cmp_ne_u32_e32 vcc, 0, v0
	v_and_b32_e32 v0, 7, v116
	s_mov_b64 s[24:25], -1
	;;#ASMSTART
	s_wakeup
	;;#ASMEND
                                        ; implicit-def: $vgpr8_vgpr9
	s_and_saveexec_b64 s[28:29], vcc
	s_cbranch_execz .LBB32_2583
; %bb.2580:                             ;   in Loop: Header=BB32_47 Depth=1
	v_mad_u64_u32 v[10:11], s[24:25], v0, 24, v[6:7]
	flat_load_dword v1, v[10:11]
                                        ; implicit-def: $vgpr8_vgpr9
	s_waitcnt vmcnt(0) lgkmcnt(0)
	v_cmp_ne_u32_e32 vcc, 1, v1
	v_cmp_eq_u32_e64 s[24:25], 1, v1
	s_and_saveexec_b64 s[40:41], s[24:25]
	s_cbranch_execz .LBB32_2582
; %bb.2581:                             ;   in Loop: Header=BB32_47 Depth=1
	flat_load_dword v8, v[10:11] offset:4 sc0 sc1
	s_waitcnt vmcnt(0) lgkmcnt(0)
	v_ashrrev_i32_e32 v9, 31, v8
	v_lshrrev_b64 v[8:9], 1, v[8:9]
.LBB32_2582:                            ;   in Loop: Header=BB32_47 Depth=1
	s_or_b64 exec, exec, s[40:41]
	s_orn2_b64 s[24:25], vcc, exec
.LBB32_2583:                            ;   in Loop: Header=BB32_47 Depth=1
	s_or_b64 exec, exec, s[28:29]
	s_and_saveexec_b64 s[28:29], s[24:25]
; %bb.2584:                             ;   in Loop: Header=BB32_47 Depth=1
	v_mad_i64_i32 v[8:9], s[24:25], v0, v30, 0
; %bb.2585:                             ;   in Loop: Header=BB32_47 Depth=1
	s_or_b64 exec, exec, s[28:29]
	v_lshl_add_u64 v[0:1], v[8:9], 1, v[42:43]
	ds_write_b64 v0, v[0:1] offset:720
	v_and_b32_e32 v0, 0x2000, v126
	v_cmp_ne_u32_e32 vcc, 0, v0
	s_and_saveexec_b64 s[24:25], vcc
	s_cbranch_execz .LBB32_2587
; %bb.2586:                             ;   in Loop: Header=BB32_47 Depth=1
	ds_read_b64 v[0:1], v0 offset:872
	s_waitcnt lgkmcnt(0)
	v_lshl_add_u64 v[0:1], v[0:1], 0, 1
	ds_write_b64 v0, v[0:1] offset:872
.LBB32_2587:                            ;   in Loop: Header=BB32_47 Depth=1
	s_or_b64 exec, exec, s[24:25]
	v_mov_b64_e32 v[116:117], v[4:5]
.LBB32_2588:                            ;   in Loop: Header=BB32_47 Depth=1
	s_or_b64 exec, exec, s[26:27]
	s_and_saveexec_b64 s[24:25], s[6:7]
	s_cbranch_execz .LBB32_2607
; %bb.2589:                             ;   in Loop: Header=BB32_47 Depth=1
	s_and_saveexec_b64 s[26:27], s[78:79]
	s_xor_b64 s[26:27], exec, s[26:27]
	s_cbranch_execz .LBB32_2604
; %bb.2590:                             ;   in Loop: Header=BB32_47 Depth=1
	s_and_saveexec_b64 s[28:29], s[14:15]
	s_cbranch_execz .LBB32_2603
; %bb.2591:                             ;   in Loop: Header=BB32_47 Depth=1
	s_mov_b64 s[42:43], exec
	v_mbcnt_lo_u32_b32 v0, s42, 0
	v_mbcnt_hi_u32_b32 v0, s43, v0
	v_cmp_eq_u32_e32 vcc, 0, v0
	s_waitcnt lgkmcnt(0)
	s_and_saveexec_b64 s[40:41], vcc
	s_cbranch_execz .LBB32_2593
; %bb.2592:                             ;   in Loop: Header=BB32_47 Depth=1
	s_bcnt1_i32_b64 s42, s[42:43]
	v_mov_b32_e32 v2, s42
	ds_add_u64 v0, v[2:3]
	s_trap 2
.LBB32_2593:                            ;   in Loop: Header=BB32_47 Depth=1
	s_or_b64 exec, exec, s[40:41]
	s_trap 2
	ds_read_b64 v[0:1], v0
	s_waitcnt lgkmcnt(0)
	v_lshl_add_u64 v[46:47], v[46:47], 0, v[60:61]
	v_cmp_lt_u64_e32 vcc, v[0:1], v[46:47]
	s_and_saveexec_b64 s[40:41], vcc
	s_cbranch_execz .LBB32_2602
; %bb.2594:                             ;   in Loop: Header=BB32_47 Depth=1
	s_mov_b32 s76, 0
	s_mov_b64 s[42:43], 0
                                        ; implicit-def: $sgpr44_sgpr45
                                        ; implicit-def: $sgpr46_sgpr47
	s_branch .LBB32_2596
.LBB32_2595:                            ;   in Loop: Header=BB32_2596 Depth=2
	s_or_b64 exec, exec, s[58:59]
	s_and_b64 s[56:57], exec, vcc
	s_or_b64 s[42:43], s[56:57], s[42:43]
	s_andn2_b64 s[44:45], s[44:45], exec
	s_and_b64 s[56:57], s[46:47], exec
	s_or_b64 s[44:45], s[44:45], s[56:57]
	s_andn2_b64 exec, exec, s[42:43]
	s_cbranch_execz .LBB32_2600
.LBB32_2596:                            ;   Parent Loop BB32_47 Depth=1
                                        ; =>  This Inner Loop Header: Depth=2
	s_add_i32 s76, s76, 1
	s_cmpk_lg_i32 s76, 0x2710
	s_cselect_b64 s[56:57], -1, 0
	s_and_b64 vcc, exec, s[56:57]
	s_cbranch_vccz .LBB32_2598
; %bb.2597:                             ;   in Loop: Header=BB32_2596 Depth=2
	s_mov_b64 vcc, -1
	s_or_b64 s[46:47], s[46:47], exec
	s_and_saveexec_b64 s[58:59], s[56:57]
	s_cbranch_execz .LBB32_2595
	s_branch .LBB32_2599
.LBB32_2598:                            ;   in Loop: Header=BB32_2596 Depth=2
	s_trap 2
	ds_read_b64 v[0:1], v0
	s_andn2_b64 s[56:57], s[56:57], exec
	s_mov_b32 s76, 0
	s_waitcnt vmcnt(0) lgkmcnt(0)
	flat_load_dword v0, v[0:1] sc0 sc1
	s_waitcnt vmcnt(0) lgkmcnt(0)
	buffer_inv sc0 sc1
	v_cmp_eq_u32_e32 vcc, 0, v0
	s_and_b64 s[58:59], vcc, exec
	s_or_b64 s[56:57], s[56:57], s[58:59]
	s_mov_b64 vcc, -1
	s_or_b64 s[46:47], s[46:47], exec
	s_and_saveexec_b64 s[58:59], s[56:57]
	s_cbranch_execz .LBB32_2595
.LBB32_2599:                            ;   in Loop: Header=BB32_2596 Depth=2
	s_sleep 1
	s_trap 2
	ds_read_b64 v[0:1], v0
	s_waitcnt lgkmcnt(0)
	s_andn2_b64 s[46:47], s[46:47], exec
	v_cmp_ge_u64_e32 vcc, v[0:1], v[46:47]
	s_orn2_b64 vcc, vcc, exec
	s_branch .LBB32_2595
.LBB32_2600:                            ;   in Loop: Header=BB32_47 Depth=1
	s_or_b64 exec, exec, s[42:43]
	s_and_saveexec_b64 s[42:43], s[44:45]
	s_xor_b64 s[42:43], exec, s[42:43]
	s_cbranch_execz .LBB32_2602
; %bb.2601:                             ;   in Loop: Header=BB32_47 Depth=1
	ds_write_b32 v0, v31
	s_trap 2
.LBB32_2602:                            ;   in Loop: Header=BB32_47 Depth=1
	s_or_b64 exec, exec, s[40:41]
	;;#ASMSTART
	s_wakeup
	;;#ASMEND
.LBB32_2603:                            ;   in Loop: Header=BB32_47 Depth=1
	s_or_b64 exec, exec, s[28:29]
.LBB32_2604:                            ;   in Loop: Header=BB32_47 Depth=1
	s_andn2_saveexec_b64 s[26:27], s[26:27]
	s_cbranch_execz .LBB32_2606
; %bb.2605:                             ;   in Loop: Header=BB32_47 Depth=1
	s_waitcnt lgkmcnt(0)
	s_barrier
.LBB32_2606:                            ;   in Loop: Header=BB32_47 Depth=1
	s_or_b64 exec, exec, s[26:27]
.LBB32_2607:                            ;   in Loop: Header=BB32_47 Depth=1
	s_or_b64 exec, exec, s[24:25]
	s_trap 2
	ds_read_b32 v0, v0
	v_and_b32_e32 v1, 0x4000, v126
	v_cmp_ne_u32_e32 vcc, 0, v1
	s_xor_b64 s[24:25], s[4:5], -1
	s_and_b64 s[26:27], s[24:25], vcc
	s_and_saveexec_b64 s[24:25], s[26:27]
	s_cbranch_execz .LBB32_2626
; %bb.2608:                             ;   in Loop: Header=BB32_47 Depth=1
	s_and_saveexec_b64 s[26:27], s[78:79]
	s_xor_b64 s[26:27], exec, s[26:27]
	s_cbranch_execz .LBB32_2623
; %bb.2609:                             ;   in Loop: Header=BB32_47 Depth=1
	s_and_saveexec_b64 s[28:29], s[14:15]
	s_cbranch_execz .LBB32_2622
; %bb.2610:                             ;   in Loop: Header=BB32_47 Depth=1
	s_mov_b64 s[42:43], exec
	v_mbcnt_lo_u32_b32 v1, s42, 0
	v_mbcnt_hi_u32_b32 v1, s43, v1
	v_cmp_eq_u32_e32 vcc, 0, v1
	s_waitcnt lgkmcnt(0)
	s_and_saveexec_b64 s[40:41], vcc
	s_cbranch_execz .LBB32_2612
; %bb.2611:                             ;   in Loop: Header=BB32_47 Depth=1
	s_bcnt1_i32_b64 s42, s[42:43]
	v_mov_b32_e32 v2, s42
	ds_add_u64 v0, v[2:3]
	s_trap 2
.LBB32_2612:                            ;   in Loop: Header=BB32_47 Depth=1
	s_or_b64 exec, exec, s[40:41]
	s_trap 2
	ds_read_b64 v[4:5], v0
	s_waitcnt lgkmcnt(0)
	v_lshl_add_u64 v[46:47], v[46:47], 0, v[60:61]
	v_cmp_lt_u64_e32 vcc, v[4:5], v[46:47]
	s_and_saveexec_b64 s[40:41], vcc
	s_cbranch_execz .LBB32_2621
; %bb.2613:                             ;   in Loop: Header=BB32_47 Depth=1
	s_mov_b32 s76, 0
	s_mov_b64 s[42:43], 0
                                        ; implicit-def: $sgpr44_sgpr45
                                        ; implicit-def: $sgpr46_sgpr47
	s_branch .LBB32_2615
.LBB32_2614:                            ;   in Loop: Header=BB32_2615 Depth=2
	s_or_b64 exec, exec, s[58:59]
	s_and_b64 s[56:57], exec, vcc
	s_or_b64 s[42:43], s[56:57], s[42:43]
	s_andn2_b64 s[44:45], s[44:45], exec
	s_and_b64 s[56:57], s[46:47], exec
	s_or_b64 s[44:45], s[44:45], s[56:57]
	s_andn2_b64 exec, exec, s[42:43]
	s_cbranch_execz .LBB32_2619
.LBB32_2615:                            ;   Parent Loop BB32_47 Depth=1
                                        ; =>  This Inner Loop Header: Depth=2
	s_add_i32 s76, s76, 1
	s_cmpk_lg_i32 s76, 0x2710
	s_cselect_b64 s[56:57], -1, 0
	s_and_b64 vcc, exec, s[56:57]
	s_cbranch_vccz .LBB32_2617
; %bb.2616:                             ;   in Loop: Header=BB32_2615 Depth=2
	s_mov_b64 vcc, -1
	s_or_b64 s[46:47], s[46:47], exec
	s_and_saveexec_b64 s[58:59], s[56:57]
	s_cbranch_execz .LBB32_2614
	s_branch .LBB32_2618
.LBB32_2617:                            ;   in Loop: Header=BB32_2615 Depth=2
	s_trap 2
	ds_read_b64 v[4:5], v0
	s_andn2_b64 s[56:57], s[56:57], exec
	s_mov_b32 s76, 0
	s_waitcnt vmcnt(0) lgkmcnt(0)
	flat_load_dword v1, v[4:5] sc0 sc1
	s_waitcnt vmcnt(0) lgkmcnt(0)
	buffer_inv sc0 sc1
	v_cmp_eq_u32_e32 vcc, 0, v1
	s_and_b64 s[58:59], vcc, exec
	s_or_b64 s[56:57], s[56:57], s[58:59]
	s_mov_b64 vcc, -1
	s_or_b64 s[46:47], s[46:47], exec
	s_and_saveexec_b64 s[58:59], s[56:57]
	s_cbranch_execz .LBB32_2614
.LBB32_2618:                            ;   in Loop: Header=BB32_2615 Depth=2
	s_sleep 1
	s_trap 2
	ds_read_b64 v[4:5], v0
	s_waitcnt lgkmcnt(0)
	s_andn2_b64 s[46:47], s[46:47], exec
	v_cmp_ge_u64_e32 vcc, v[4:5], v[46:47]
	s_orn2_b64 vcc, vcc, exec
	s_branch .LBB32_2614
.LBB32_2619:                            ;   in Loop: Header=BB32_47 Depth=1
	s_or_b64 exec, exec, s[42:43]
	s_and_saveexec_b64 s[42:43], s[44:45]
	s_xor_b64 s[42:43], exec, s[42:43]
	s_cbranch_execz .LBB32_2621
; %bb.2620:                             ;   in Loop: Header=BB32_47 Depth=1
	ds_write_b32 v0, v31
	s_trap 2
.LBB32_2621:                            ;   in Loop: Header=BB32_47 Depth=1
	s_or_b64 exec, exec, s[40:41]
	;;#ASMSTART
	s_wakeup
	;;#ASMEND
.LBB32_2622:                            ;   in Loop: Header=BB32_47 Depth=1
	s_or_b64 exec, exec, s[28:29]
.LBB32_2623:                            ;   in Loop: Header=BB32_47 Depth=1
	s_andn2_saveexec_b64 s[26:27], s[26:27]
	s_cbranch_execz .LBB32_2625
; %bb.2624:                             ;   in Loop: Header=BB32_47 Depth=1
	s_waitcnt lgkmcnt(0)
	s_barrier
.LBB32_2625:                            ;   in Loop: Header=BB32_47 Depth=1
	s_or_b64 exec, exec, s[26:27]
.LBB32_2626:                            ;   in Loop: Header=BB32_47 Depth=1
	s_or_b64 exec, exec, s[24:25]
	s_trap 2
	s_waitcnt lgkmcnt(0)
	ds_read_b64 v[28:29], v0
	v_min_i32_e32 v58, v58, v59
	s_waitcnt lgkmcnt(0)
	v_cmp_eq_u64_e32 vcc, 0, v[28:29]
	s_cbranch_vccnz .LBB32_2634
; %bb.2627:                             ;   in Loop: Header=BB32_47 Depth=1
	s_trap 2
	ds_read_b64 v[118:119], v0
	s_waitcnt lgkmcnt(0)
	v_cmp_eq_u64_e32 vcc, 0, v[118:119]
	s_cbranch_vccnz .LBB32_2639
; %bb.2628:                             ;   in Loop: Header=BB32_47 Depth=1
	scratch_load_dword v120, off, s33 offset:208 ; 4-byte Folded Reload
	scratch_load_dword v17, off, s33 offset:188 ; 4-byte Folded Reload
	s_trap 2
	ds_read_b64 v[108:109], v0
	s_mov_b64 s[26:27], -1
	s_waitcnt lgkmcnt(0)
	v_readfirstlane_b32 s52, v108
	s_and_saveexec_b64 s[24:25], s[18:19]
	s_cbranch_execz .LBB32_2630
; %bb.2629:                             ;   in Loop: Header=BB32_47 Depth=1
	ds_read_b32 v1, v0 offset:720
	s_waitcnt lgkmcnt(0)
	v_and_b32_e32 v1, 15, v1
	v_cmp_eq_u32_e32 vcc, 0, v1
	s_orn2_b64 s[26:27], vcc, exec
.LBB32_2630:                            ;   in Loop: Header=BB32_47 Depth=1
	s_or_b64 exec, exec, s[24:25]
	s_and_saveexec_b64 s[24:25], s[16:17]
	s_cbranch_execz .LBB32_2632
; %bb.2631:                             ;   in Loop: Header=BB32_47 Depth=1
	ds_read_b32 v1, v0 offset:784
	s_waitcnt lgkmcnt(0)
	v_and_b32_e32 v1, 15, v1
	v_cmp_eq_u32_e32 vcc, 0, v1
	s_and_b64 s[28:29], s[26:27], vcc
	s_andn2_b64 s[26:27], s[26:27], exec
	s_and_b64 s[28:29], s[28:29], exec
	s_or_b64 s[26:27], s[26:27], s[28:29]
.LBB32_2632:                            ;   in Loop: Header=BB32_47 Depth=1
	s_or_b64 exec, exec, s[24:25]
	v_cmp_eq_u32_e32 vcc, 0, v0
	s_xor_b64 s[26:27], s[26:27], -1
	v_cndmask_b32_e64 v0, 0, 1, s[26:27]
	v_cndmask_b32_e32 v121, 0, v58, vcc
	v_lshlrev_b32_e32 v1, 1, v121
	s_mov_b64 s[24:25], -1
	v_cmp_ne_u32_e32 vcc, 0, v0
	v_mov_b32_e32 v16, 0
	s_cbranch_vccz .LBB32_2640
; %bb.2633:                             ;   in Loop: Header=BB32_47 Depth=1
	s_and_saveexec_b64 s[26:27], s[24:25]
	s_cbranch_execnz .LBB32_2907
	s_branch .LBB32_2979
.LBB32_2634:                            ;   in Loop: Header=BB32_47 Depth=1
	s_mov_b64 s[24:25], 0
	s_and_saveexec_b64 s[26:27], s[6:7]
	s_cbranch_execnz .LBB32_2981
.LBB32_2635:                            ;   in Loop: Header=BB32_47 Depth=1
	s_or_b64 exec, exec, s[26:27]
	s_and_saveexec_b64 s[26:27], s[22:23]
	s_xor_b64 s[26:27], exec, s[26:27]
	s_cbranch_execz .LBB32_2999
.LBB32_2636:                            ;   in Loop: Header=BB32_47 Depth=1
	v_and_b32_e32 v0, 16, v126
	v_cmp_ne_u32_e32 vcc, 0, v0
	s_and_b64 s[28:29], vcc, s[24:25]
	s_and_saveexec_b64 s[24:25], s[28:29]
	s_cbranch_execz .LBB32_2638
; %bb.2637:                             ;   in Loop: Header=BB32_47 Depth=1
	buffer_wbl2 sc1
	s_waitcnt vmcnt(0) lgkmcnt(0)
	buffer_inv sc1
.LBB32_2638:                            ;   in Loop: Header=BB32_47 Depth=1
	s_or_b64 exec, exec, s[24:25]
	s_andn2_saveexec_b64 s[24:25], s[26:27]
	s_cbranch_execz .LBB32_3018
	s_branch .LBB32_3000
.LBB32_2639:                            ;   in Loop: Header=BB32_47 Depth=1
	s_mov_b64 s[24:25], 0
	s_branch .LBB32_2980
.LBB32_2640:                            ;   in Loop: Header=BB32_47 Depth=1
	v_ashrrev_i32_e32 v0, 31, v1
	v_lshrrev_b32_e32 v0, 19, v0
	v_add_u32_e32 v0, v1, v0
	v_ashrrev_i32_e32 v0, 13, v0
	v_sub_u32_e32 v2, v0, v100
	v_cmp_lt_i32_e32 vcc, 0, v2
	s_and_saveexec_b64 s[26:27], vcc
	s_cbranch_execz .LBB32_2900
; %bb.2641:                             ;   in Loop: Header=BB32_47 Depth=1
	s_and_b32 s76, s52, 1
	s_cmp_eq_u64 s[76:77], 0
	s_mov_b64 s[28:29], 0
	s_cselect_b64 s[24:25], -1, 0
	v_mov_b64_e32 v[4:5], v[118:119]
	v_mov_b64_e32 v[104:105], v[28:29]
	;; [unrolled: 1-line block ×3, first 2 shown]
	scratch_store_dword off, v0, s33 offset:280 ; 4-byte Folded Spill
	scratch_store_dwordx2 off, v[102:103], s33 offset:272 ; 8-byte Folded Spill
	s_branch .LBB32_2643
.LBB32_2642:                            ;   in Loop: Header=BB32_2643 Depth=2
	s_or_b64 exec, exec, s[40:41]
	v_lshrrev_b32_e32 v12, 16, v12
	v_and_or_b32 v9, v9, s87, v12
	v_lshrrev_b32_e32 v0, 16, v0
	v_add_co_u32_e32 v12, vcc, 0x1000, v100
	v_and_or_b32 v8, v8, s87, v0
	v_lshrrev_b32_e32 v0, 16, v13
	v_addc_co_u32_e32 v13, vcc, 0, v101, vcc
	v_sub_u32_e32 v2, v2, v60
	v_and_or_b32 v10, v10, s87, v0
	v_lshrrev_b32_e32 v0, 16, v14
	v_cmp_gt_i32_e32 vcc, 1, v2
	v_and_or_b32 v11, v11, s87, v0
	v_lshl_add_u64 v[106:107], v[106:107], 0, v[62:63]
	v_lshl_add_u64 v[104:105], v[104:105], 0, v[62:63]
	s_or_b64 s[28:29], vcc, s[28:29]
	v_lshl_add_u64 v[4:5], v[4:5], 0, v[62:63]
	global_store_dwordx4 v[12:13], v[8:11], off offset:3072
	s_andn2_b64 exec, exec, s[28:29]
	s_cbranch_execz .LBB32_2899
.LBB32_2643:                            ;   Parent Loop BB32_47 Depth=1
                                        ; =>  This Inner Loop Header: Depth=2
	s_waitcnt vmcnt(0)
	v_lshl_add_u64 v[10:11], v[74:75], 0, v[104:105]
	v_lshl_add_u64 v[8:9], v[74:75], 0, v[106:107]
	global_load_dwordx4 v[100:103], v[10:11], off nt
	global_load_dwordx4 v[84:87], v[10:11], off offset:1024 nt
	global_load_dwordx4 v[112:115], v[8:9], off nt
	global_load_dwordx4 v[96:99], v[8:9], off offset:1024 nt
	global_load_dwordx4 v[68:71], v[10:11], off offset:2048 nt
	;; [unrolled: 1-line block ×5, first 2 shown]
	v_add_co_u32_e32 v10, vcc, s83, v10
	s_waitcnt vmcnt(7)
	v_lshlrev_b32_e32 v0, 16, v100
	v_addc_co_u32_e32 v11, vcc, 0, v11, vcc
	v_add_co_u32_e32 v12, vcc, s83, v8
	s_waitcnt vmcnt(5)
	v_lshlrev_b32_e32 v72, 16, v112
	v_addc_co_u32_e32 v13, vcc, 0, v9, vcc
	global_load_dwordx4 v[36:39], v[10:11], off nt
	global_load_dwordx4 v[24:27], v[10:11], off offset:1024 nt
	global_load_dwordx4 v[48:51], v[12:13], off nt
	global_load_dwordx4 v[32:35], v[12:13], off offset:1024 nt
	global_load_dwordx4 v[16:19], v[10:11], off offset:2048 nt
	s_nop 0
	global_load_dwordx4 v[8:11], v[10:11], off offset:3072 nt
	s_nop 0
	;; [unrolled: 2-line block ×3, first 2 shown]
	global_load_dwordx4 v[12:15], v[12:13], off offset:3072 nt
	v_max_f32_e32 v72, v72, v72
	v_max_f32_e32 v0, v0, v0
	v_min_f32_e32 v73, v0, v72
	v_max_f32_e32 v0, v0, v72
	v_cndmask_b32_e64 v94, v0, v73, s[24:25]
	v_and_b32_e32 v0, 0x7f800000, v94
	v_cmp_ne_u32_e32 vcc, s85, v0
                                        ; implicit-def: $vgpr0
	s_and_saveexec_b64 s[40:41], vcc
	s_xor_b64 s[40:41], exec, s[40:41]
; %bb.2644:                             ;   in Loop: Header=BB32_2643 Depth=2
	v_bfe_u32 v0, v94, 16, 1
	v_add3_u32 v0, v94, v0, s86
                                        ; implicit-def: $vgpr94
; %bb.2645:                             ;   in Loop: Header=BB32_2643 Depth=2
	s_andn2_saveexec_b64 s[40:41], s[40:41]
; %bb.2646:                             ;   in Loop: Header=BB32_2643 Depth=2
	v_or_b32_e32 v0, 0x10000, v94
	v_cmp_eq_u32_sdwa vcc, v94, v3 src0_sel:WORD_0 src1_sel:DWORD
	s_nop 1
	v_cndmask_b32_e32 v0, v0, v94, vcc
; %bb.2647:                             ;   in Loop: Header=BB32_2643 Depth=2
	s_or_b64 exec, exec, s[40:41]
	v_and_b32_e32 v100, 0xffff0000, v100
	v_and_b32_e32 v112, 0xffff0000, v112
	v_max_f32_e32 v112, v112, v112
	v_max_f32_e32 v100, v100, v100
	v_min_f32_e32 v72, v100, v112
	v_max_f32_e32 v100, v100, v112
	v_cndmask_b32_e64 v100, v100, v72, s[24:25]
	v_and_b32_e32 v112, 0x7f800000, v100
	v_cmp_ne_u32_e32 vcc, s85, v112
                                        ; implicit-def: $vgpr112
	s_and_saveexec_b64 s[40:41], vcc
	s_xor_b64 s[40:41], exec, s[40:41]
; %bb.2648:                             ;   in Loop: Header=BB32_2643 Depth=2
	v_bfe_u32 v112, v100, 16, 1
	v_add3_u32 v112, v100, v112, s86
                                        ; implicit-def: $vgpr100
; %bb.2649:                             ;   in Loop: Header=BB32_2643 Depth=2
	s_andn2_saveexec_b64 s[40:41], s[40:41]
; %bb.2650:                             ;   in Loop: Header=BB32_2643 Depth=2
	v_or_b32_e32 v112, 0x10000, v100
	v_cmp_eq_u32_sdwa vcc, v100, v3 src0_sel:WORD_0 src1_sel:DWORD
	s_nop 1
	v_cndmask_b32_e32 v112, v112, v100, vcc
; %bb.2651:                             ;   in Loop: Header=BB32_2643 Depth=2
	s_or_b64 exec, exec, s[40:41]
	v_lshlrev_b32_e32 v100, 16, v101
	v_lshlrev_b32_e32 v72, 16, v113
	v_max_f32_e32 v72, v72, v72
	v_max_f32_e32 v100, v100, v100
	v_min_f32_e32 v73, v100, v72
	v_max_f32_e32 v100, v100, v72
	v_cndmask_b32_e64 v100, v100, v73, s[24:25]
	v_and_b32_e32 v72, 0x7f800000, v100
	v_cmp_ne_u32_e32 vcc, s85, v72
                                        ; implicit-def: $vgpr94
	s_and_saveexec_b64 s[40:41], vcc
	s_xor_b64 s[40:41], exec, s[40:41]
; %bb.2652:                             ;   in Loop: Header=BB32_2643 Depth=2
	v_bfe_u32 v72, v100, 16, 1
	v_add3_u32 v94, v100, v72, s86
                                        ; implicit-def: $vgpr100
; %bb.2653:                             ;   in Loop: Header=BB32_2643 Depth=2
	s_andn2_saveexec_b64 s[40:41], s[40:41]
; %bb.2654:                             ;   in Loop: Header=BB32_2643 Depth=2
	v_or_b32_e32 v72, 0x10000, v100
	v_cmp_eq_u32_sdwa vcc, v100, v3 src0_sel:WORD_0 src1_sel:DWORD
	s_nop 1
	v_cndmask_b32_e32 v94, v72, v100, vcc
; %bb.2655:                             ;   in Loop: Header=BB32_2643 Depth=2
	s_or_b64 exec, exec, s[40:41]
	v_and_b32_e32 v100, 0xffff0000, v101
	v_and_b32_e32 v101, 0xffff0000, v113
	v_max_f32_e32 v101, v101, v101
	v_max_f32_e32 v100, v100, v100
	v_min_f32_e32 v113, v100, v101
	v_max_f32_e32 v100, v100, v101
	v_cndmask_b32_e64 v100, v100, v113, s[24:25]
	v_and_b32_e32 v101, 0x7f800000, v100
	v_cmp_ne_u32_e32 vcc, s85, v101
                                        ; implicit-def: $vgpr113
	s_and_saveexec_b64 s[40:41], vcc
	s_xor_b64 s[40:41], exec, s[40:41]
; %bb.2656:                             ;   in Loop: Header=BB32_2643 Depth=2
	v_bfe_u32 v101, v100, 16, 1
	v_add3_u32 v113, v100, v101, s86
                                        ; implicit-def: $vgpr100
; %bb.2657:                             ;   in Loop: Header=BB32_2643 Depth=2
	s_andn2_saveexec_b64 s[40:41], s[40:41]
; %bb.2658:                             ;   in Loop: Header=BB32_2643 Depth=2
	v_or_b32_e32 v101, 0x10000, v100
	v_cmp_eq_u32_sdwa vcc, v100, v3 src0_sel:WORD_0 src1_sel:DWORD
	s_nop 1
	v_cndmask_b32_e32 v113, v101, v100, vcc
; %bb.2659:                             ;   in Loop: Header=BB32_2643 Depth=2
	s_or_b64 exec, exec, s[40:41]
	v_lshlrev_b32_e32 v100, 16, v102
	v_lshlrev_b32_e32 v101, 16, v114
	v_max_f32_e32 v101, v101, v101
	v_max_f32_e32 v100, v100, v100
	v_min_f32_e32 v72, v100, v101
	v_max_f32_e32 v100, v100, v101
	v_cndmask_b32_e64 v100, v100, v72, s[24:25]
	v_and_b32_e32 v101, 0x7f800000, v100
	v_cmp_ne_u32_e32 vcc, s85, v101
                                        ; implicit-def: $vgpr95
	s_and_saveexec_b64 s[40:41], vcc
	s_xor_b64 s[40:41], exec, s[40:41]
; %bb.2660:                             ;   in Loop: Header=BB32_2643 Depth=2
	v_bfe_u32 v101, v100, 16, 1
	v_add3_u32 v95, v100, v101, s86
                                        ; implicit-def: $vgpr100
; %bb.2661:                             ;   in Loop: Header=BB32_2643 Depth=2
	s_andn2_saveexec_b64 s[40:41], s[40:41]
; %bb.2662:                             ;   in Loop: Header=BB32_2643 Depth=2
	v_or_b32_e32 v101, 0x10000, v100
	v_cmp_eq_u32_sdwa vcc, v100, v3 src0_sel:WORD_0 src1_sel:DWORD
	s_nop 1
	v_cndmask_b32_e32 v95, v101, v100, vcc
; %bb.2663:                             ;   in Loop: Header=BB32_2643 Depth=2
	s_or_b64 exec, exec, s[40:41]
	v_and_b32_e32 v100, 0xffff0000, v102
	v_and_b32_e32 v101, 0xffff0000, v114
	v_max_f32_e32 v101, v101, v101
	v_max_f32_e32 v100, v100, v100
	v_min_f32_e32 v102, v100, v101
	v_max_f32_e32 v100, v100, v101
	v_cndmask_b32_e64 v100, v100, v102, s[24:25]
	v_and_b32_e32 v101, 0x7f800000, v100
	v_cmp_ne_u32_e32 vcc, s85, v101
                                        ; implicit-def: $vgpr102
	s_and_saveexec_b64 s[40:41], vcc
	s_xor_b64 s[40:41], exec, s[40:41]
; %bb.2664:                             ;   in Loop: Header=BB32_2643 Depth=2
	v_bfe_u32 v101, v100, 16, 1
	v_add3_u32 v102, v100, v101, s86
                                        ; implicit-def: $vgpr100
; %bb.2665:                             ;   in Loop: Header=BB32_2643 Depth=2
	s_andn2_saveexec_b64 s[40:41], s[40:41]
; %bb.2666:                             ;   in Loop: Header=BB32_2643 Depth=2
	v_or_b32_e32 v101, 0x10000, v100
	v_cmp_eq_u32_sdwa vcc, v100, v3 src0_sel:WORD_0 src1_sel:DWORD
	s_nop 1
	v_cndmask_b32_e32 v102, v101, v100, vcc
; %bb.2667:                             ;   in Loop: Header=BB32_2643 Depth=2
	s_or_b64 exec, exec, s[40:41]
	v_lshlrev_b32_e32 v100, 16, v103
	v_lshlrev_b32_e32 v101, 16, v115
	v_max_f32_e32 v101, v101, v101
	v_max_f32_e32 v100, v100, v100
	v_min_f32_e32 v114, v100, v101
	v_max_f32_e32 v100, v100, v101
	v_cndmask_b32_e64 v100, v100, v114, s[24:25]
	v_and_b32_e32 v101, 0x7f800000, v100
	v_cmp_ne_u32_e32 vcc, s85, v101
                                        ; implicit-def: $vgpr114
	s_and_saveexec_b64 s[40:41], vcc
	s_xor_b64 s[40:41], exec, s[40:41]
; %bb.2668:                             ;   in Loop: Header=BB32_2643 Depth=2
	v_bfe_u32 v101, v100, 16, 1
	v_add3_u32 v114, v100, v101, s86
                                        ; implicit-def: $vgpr100
; %bb.2669:                             ;   in Loop: Header=BB32_2643 Depth=2
	s_andn2_saveexec_b64 s[40:41], s[40:41]
; %bb.2670:                             ;   in Loop: Header=BB32_2643 Depth=2
	v_or_b32_e32 v101, 0x10000, v100
	v_cmp_eq_u32_sdwa vcc, v100, v3 src0_sel:WORD_0 src1_sel:DWORD
	s_nop 1
	v_cndmask_b32_e32 v114, v101, v100, vcc
; %bb.2671:                             ;   in Loop: Header=BB32_2643 Depth=2
	s_or_b64 exec, exec, s[40:41]
	v_and_b32_e32 v100, 0xffff0000, v103
	v_and_b32_e32 v101, 0xffff0000, v115
	v_max_f32_e32 v101, v101, v101
	v_max_f32_e32 v100, v100, v100
	v_min_f32_e32 v103, v100, v101
	v_max_f32_e32 v100, v100, v101
	v_cndmask_b32_e64 v100, v100, v103, s[24:25]
	v_and_b32_e32 v101, 0x7f800000, v100
	v_cmp_ne_u32_e32 vcc, s85, v101
                                        ; implicit-def: $vgpr103
	s_and_saveexec_b64 s[40:41], vcc
	s_xor_b64 s[40:41], exec, s[40:41]
; %bb.2672:                             ;   in Loop: Header=BB32_2643 Depth=2
	v_bfe_u32 v101, v100, 16, 1
	v_add3_u32 v103, v100, v101, s86
                                        ; implicit-def: $vgpr100
; %bb.2673:                             ;   in Loop: Header=BB32_2643 Depth=2
	s_andn2_saveexec_b64 s[40:41], s[40:41]
; %bb.2674:                             ;   in Loop: Header=BB32_2643 Depth=2
	v_or_b32_e32 v101, 0x10000, v100
	v_cmp_eq_u32_sdwa vcc, v100, v3 src0_sel:WORD_0 src1_sel:DWORD
	s_nop 1
	v_cndmask_b32_e32 v103, v101, v100, vcc
; %bb.2675:                             ;   in Loop: Header=BB32_2643 Depth=2
	s_or_b64 exec, exec, s[40:41]
	v_lshrrev_b32_e32 v0, 16, v0
	v_and_or_b32 v72, v112, s87, v0
	v_lshrrev_b32_e32 v0, 16, v95
	v_lshl_add_u64 v[100:101], v[74:75], 0, v[4:5]
	v_and_or_b32 v74, v102, s87, v0
	v_lshrrev_b32_e32 v0, 16, v114
	v_and_or_b32 v75, v103, s87, v0
	v_lshlrev_b32_e32 v0, 16, v84
	s_waitcnt vmcnt(12)
	v_lshlrev_b32_e32 v102, 16, v96
	v_max_f32_e32 v102, v102, v102
	v_max_f32_e32 v0, v0, v0
	v_min_f32_e32 v103, v0, v102
	v_max_f32_e32 v0, v0, v102
	v_cndmask_b32_e64 v102, v0, v103, s[24:25]
	v_lshrrev_b32_e32 v115, 16, v94
	v_and_b32_e32 v0, 0x7f800000, v102
	v_and_or_b32 v73, v113, s87, v115
	v_cmp_ne_u32_e32 vcc, s85, v0
	global_store_dwordx4 v[100:101], v[72:75], off
                                        ; implicit-def: $vgpr0
	s_and_saveexec_b64 s[40:41], vcc
	s_xor_b64 s[40:41], exec, s[40:41]
; %bb.2676:                             ;   in Loop: Header=BB32_2643 Depth=2
	v_bfe_u32 v0, v102, 16, 1
	v_add3_u32 v0, v102, v0, s86
                                        ; implicit-def: $vgpr102
; %bb.2677:                             ;   in Loop: Header=BB32_2643 Depth=2
	s_andn2_saveexec_b64 s[40:41], s[40:41]
; %bb.2678:                             ;   in Loop: Header=BB32_2643 Depth=2
	v_or_b32_e32 v0, 0x10000, v102
	v_cmp_eq_u32_sdwa vcc, v102, v3 src0_sel:WORD_0 src1_sel:DWORD
	s_nop 1
	v_cndmask_b32_e32 v0, v0, v102, vcc
; %bb.2679:                             ;   in Loop: Header=BB32_2643 Depth=2
	s_or_b64 exec, exec, s[40:41]
	v_and_b32_e32 v84, 0xffff0000, v84
	v_and_b32_e32 v96, 0xffff0000, v96
	v_max_f32_e32 v96, v96, v96
	v_max_f32_e32 v84, v84, v84
	v_min_f32_e32 v102, v84, v96
	v_max_f32_e32 v84, v84, v96
	v_cndmask_b32_e64 v96, v84, v102, s[24:25]
	v_and_b32_e32 v84, 0x7f800000, v96
	v_cmp_ne_u32_e32 vcc, s85, v84
                                        ; implicit-def: $vgpr84
	s_mov_b64 s[40:41], exec
	scratch_load_dwordx2 v[74:75], off, s33 offset:192 ; 8-byte Folded Reload
	s_and_b64 s[42:43], s[40:41], vcc
	s_xor_b64 s[40:41], s[42:43], s[40:41]
	s_mov_b64 exec, s[42:43]
; %bb.2680:                             ;   in Loop: Header=BB32_2643 Depth=2
	v_bfe_u32 v84, v96, 16, 1
	v_add3_u32 v84, v96, v84, s86
                                        ; implicit-def: $vgpr96
; %bb.2681:                             ;   in Loop: Header=BB32_2643 Depth=2
	s_andn2_saveexec_b64 s[40:41], s[40:41]
; %bb.2682:                             ;   in Loop: Header=BB32_2643 Depth=2
	v_or_b32_e32 v84, 0x10000, v96
	v_cmp_eq_u32_sdwa vcc, v96, v3 src0_sel:WORD_0 src1_sel:DWORD
	s_nop 1
	v_cndmask_b32_e32 v84, v84, v96, vcc
; %bb.2683:                             ;   in Loop: Header=BB32_2643 Depth=2
	s_or_b64 exec, exec, s[40:41]
	v_lshlrev_b32_e32 v96, 16, v85
	v_lshlrev_b32_e32 v102, 16, v97
	v_max_f32_e32 v102, v102, v102
	v_max_f32_e32 v96, v96, v96
	v_min_f32_e32 v103, v96, v102
	v_max_f32_e32 v96, v96, v102
	v_cndmask_b32_e64 v102, v96, v103, s[24:25]
	v_and_b32_e32 v96, 0x7f800000, v102
	v_cmp_ne_u32_e32 vcc, s85, v96
                                        ; implicit-def: $vgpr96
	s_and_saveexec_b64 s[40:41], vcc
	s_xor_b64 s[40:41], exec, s[40:41]
; %bb.2684:                             ;   in Loop: Header=BB32_2643 Depth=2
	v_bfe_u32 v96, v102, 16, 1
	v_add3_u32 v96, v102, v96, s86
                                        ; implicit-def: $vgpr102
; %bb.2685:                             ;   in Loop: Header=BB32_2643 Depth=2
	s_andn2_saveexec_b64 s[40:41], s[40:41]
; %bb.2686:                             ;   in Loop: Header=BB32_2643 Depth=2
	v_or_b32_e32 v96, 0x10000, v102
	v_cmp_eq_u32_sdwa vcc, v102, v3 src0_sel:WORD_0 src1_sel:DWORD
	s_nop 1
	v_cndmask_b32_e32 v96, v96, v102, vcc
; %bb.2687:                             ;   in Loop: Header=BB32_2643 Depth=2
	s_or_b64 exec, exec, s[40:41]
	v_and_b32_e32 v85, 0xffff0000, v85
	v_and_b32_e32 v97, 0xffff0000, v97
	v_max_f32_e32 v97, v97, v97
	v_max_f32_e32 v85, v85, v85
	v_min_f32_e32 v102, v85, v97
	v_max_f32_e32 v85, v85, v97
	v_cndmask_b32_e64 v97, v85, v102, s[24:25]
	v_and_b32_e32 v85, 0x7f800000, v97
	v_cmp_ne_u32_e32 vcc, s85, v85
                                        ; implicit-def: $vgpr85
	s_and_saveexec_b64 s[40:41], vcc
	s_xor_b64 s[40:41], exec, s[40:41]
; %bb.2688:                             ;   in Loop: Header=BB32_2643 Depth=2
	v_bfe_u32 v85, v97, 16, 1
	v_add3_u32 v85, v97, v85, s86
                                        ; implicit-def: $vgpr97
; %bb.2689:                             ;   in Loop: Header=BB32_2643 Depth=2
	s_andn2_saveexec_b64 s[40:41], s[40:41]
; %bb.2690:                             ;   in Loop: Header=BB32_2643 Depth=2
	v_or_b32_e32 v85, 0x10000, v97
	v_cmp_eq_u32_sdwa vcc, v97, v3 src0_sel:WORD_0 src1_sel:DWORD
	s_nop 1
	v_cndmask_b32_e32 v85, v85, v97, vcc
; %bb.2691:                             ;   in Loop: Header=BB32_2643 Depth=2
	s_or_b64 exec, exec, s[40:41]
	v_lshlrev_b32_e32 v97, 16, v86
	v_lshlrev_b32_e32 v102, 16, v98
	v_max_f32_e32 v102, v102, v102
	v_max_f32_e32 v97, v97, v97
	v_min_f32_e32 v103, v97, v102
	v_max_f32_e32 v97, v97, v102
	v_cndmask_b32_e64 v102, v97, v103, s[24:25]
	v_and_b32_e32 v97, 0x7f800000, v102
	v_cmp_ne_u32_e32 vcc, s85, v97
                                        ; implicit-def: $vgpr97
	s_and_saveexec_b64 s[40:41], vcc
	s_xor_b64 s[40:41], exec, s[40:41]
; %bb.2692:                             ;   in Loop: Header=BB32_2643 Depth=2
	v_bfe_u32 v97, v102, 16, 1
	v_add3_u32 v97, v102, v97, s86
                                        ; implicit-def: $vgpr102
; %bb.2693:                             ;   in Loop: Header=BB32_2643 Depth=2
	s_andn2_saveexec_b64 s[40:41], s[40:41]
; %bb.2694:                             ;   in Loop: Header=BB32_2643 Depth=2
	v_or_b32_e32 v97, 0x10000, v102
	v_cmp_eq_u32_sdwa vcc, v102, v3 src0_sel:WORD_0 src1_sel:DWORD
	s_nop 1
	v_cndmask_b32_e32 v97, v97, v102, vcc
; %bb.2695:                             ;   in Loop: Header=BB32_2643 Depth=2
	s_or_b64 exec, exec, s[40:41]
	v_and_b32_e32 v86, 0xffff0000, v86
	v_and_b32_e32 v98, 0xffff0000, v98
	v_max_f32_e32 v98, v98, v98
	v_max_f32_e32 v86, v86, v86
	v_min_f32_e32 v102, v86, v98
	v_max_f32_e32 v86, v86, v98
	v_cndmask_b32_e64 v98, v86, v102, s[24:25]
	v_and_b32_e32 v86, 0x7f800000, v98
	v_cmp_ne_u32_e32 vcc, s85, v86
                                        ; implicit-def: $vgpr86
	s_and_saveexec_b64 s[40:41], vcc
	s_xor_b64 s[40:41], exec, s[40:41]
; %bb.2696:                             ;   in Loop: Header=BB32_2643 Depth=2
	v_bfe_u32 v86, v98, 16, 1
	v_add3_u32 v86, v98, v86, s86
                                        ; implicit-def: $vgpr98
; %bb.2697:                             ;   in Loop: Header=BB32_2643 Depth=2
	s_andn2_saveexec_b64 s[40:41], s[40:41]
; %bb.2698:                             ;   in Loop: Header=BB32_2643 Depth=2
	v_or_b32_e32 v86, 0x10000, v98
	v_cmp_eq_u32_sdwa vcc, v98, v3 src0_sel:WORD_0 src1_sel:DWORD
	s_nop 1
	v_cndmask_b32_e32 v86, v86, v98, vcc
; %bb.2699:                             ;   in Loop: Header=BB32_2643 Depth=2
	s_or_b64 exec, exec, s[40:41]
	v_lshlrev_b32_e32 v98, 16, v87
	v_lshlrev_b32_e32 v102, 16, v99
	v_max_f32_e32 v102, v102, v102
	v_max_f32_e32 v98, v98, v98
	v_min_f32_e32 v103, v98, v102
	v_max_f32_e32 v98, v98, v102
	v_cndmask_b32_e64 v102, v98, v103, s[24:25]
	v_and_b32_e32 v98, 0x7f800000, v102
	v_cmp_ne_u32_e32 vcc, s85, v98
                                        ; implicit-def: $vgpr98
	s_and_saveexec_b64 s[40:41], vcc
	s_xor_b64 s[40:41], exec, s[40:41]
; %bb.2700:                             ;   in Loop: Header=BB32_2643 Depth=2
	v_bfe_u32 v98, v102, 16, 1
	v_add3_u32 v98, v102, v98, s86
                                        ; implicit-def: $vgpr102
; %bb.2701:                             ;   in Loop: Header=BB32_2643 Depth=2
	s_andn2_saveexec_b64 s[40:41], s[40:41]
; %bb.2702:                             ;   in Loop: Header=BB32_2643 Depth=2
	v_or_b32_e32 v98, 0x10000, v102
	v_cmp_eq_u32_sdwa vcc, v102, v3 src0_sel:WORD_0 src1_sel:DWORD
	s_nop 1
	v_cndmask_b32_e32 v98, v98, v102, vcc
; %bb.2703:                             ;   in Loop: Header=BB32_2643 Depth=2
	s_or_b64 exec, exec, s[40:41]
	v_and_b32_e32 v87, 0xffff0000, v87
	v_and_b32_e32 v99, 0xffff0000, v99
	v_max_f32_e32 v99, v99, v99
	v_max_f32_e32 v87, v87, v87
	v_min_f32_e32 v102, v87, v99
	v_max_f32_e32 v87, v87, v99
	v_cndmask_b32_e64 v99, v87, v102, s[24:25]
	v_and_b32_e32 v87, 0x7f800000, v99
	v_cmp_ne_u32_e32 vcc, s85, v87
                                        ; implicit-def: $vgpr87
	s_and_saveexec_b64 s[40:41], vcc
	s_xor_b64 s[40:41], exec, s[40:41]
; %bb.2704:                             ;   in Loop: Header=BB32_2643 Depth=2
	v_bfe_u32 v87, v99, 16, 1
	v_add3_u32 v87, v99, v87, s86
                                        ; implicit-def: $vgpr99
; %bb.2705:                             ;   in Loop: Header=BB32_2643 Depth=2
	s_andn2_saveexec_b64 s[40:41], s[40:41]
; %bb.2706:                             ;   in Loop: Header=BB32_2643 Depth=2
	v_or_b32_e32 v87, 0x10000, v99
	v_cmp_eq_u32_sdwa vcc, v99, v3 src0_sel:WORD_0 src1_sel:DWORD
	s_nop 1
	v_cndmask_b32_e32 v87, v87, v99, vcc
; %bb.2707:                             ;   in Loop: Header=BB32_2643 Depth=2
	s_or_b64 exec, exec, s[40:41]
	v_lshrrev_b32_e32 v0, 16, v0
	v_and_or_b32 v84, v84, s87, v0
	v_lshrrev_b32_e32 v0, 16, v97
	v_lshrrev_b32_e32 v96, 16, v96
	v_and_or_b32 v86, v86, s87, v0
	v_lshrrev_b32_e32 v0, 16, v98
	v_and_or_b32 v85, v85, s87, v96
	v_and_or_b32 v87, v87, s87, v0
	global_store_dwordx4 v[100:101], v[84:87], off offset:1024
	s_waitcnt vmcnt(14)
	v_lshlrev_b32_e32 v0, 16, v68
	v_max_f32_e32 v0, v0, v0
	s_waitcnt vmcnt(12)
	v_lshlrev_b32_e32 v84, 16, v80
	v_max_f32_e32 v84, v84, v84
	v_min_f32_e32 v85, v0, v84
	v_max_f32_e32 v0, v0, v84
	v_cndmask_b32_e64 v84, v0, v85, s[24:25]
	v_and_b32_e32 v0, 0x7f800000, v84
	v_cmp_ne_u32_e32 vcc, s85, v0
                                        ; implicit-def: $vgpr0
	s_and_saveexec_b64 s[40:41], vcc
	s_xor_b64 s[40:41], exec, s[40:41]
; %bb.2708:                             ;   in Loop: Header=BB32_2643 Depth=2
	v_bfe_u32 v0, v84, 16, 1
	v_add3_u32 v0, v84, v0, s86
                                        ; implicit-def: $vgpr84
; %bb.2709:                             ;   in Loop: Header=BB32_2643 Depth=2
	s_andn2_saveexec_b64 s[40:41], s[40:41]
; %bb.2710:                             ;   in Loop: Header=BB32_2643 Depth=2
	v_or_b32_e32 v0, 0x10000, v84
	v_cmp_eq_u32_sdwa vcc, v84, v3 src0_sel:WORD_0 src1_sel:DWORD
	s_nop 1
	v_cndmask_b32_e32 v0, v0, v84, vcc
; %bb.2711:                             ;   in Loop: Header=BB32_2643 Depth=2
	s_or_b64 exec, exec, s[40:41]
	v_and_b32_e32 v68, 0xffff0000, v68
	v_and_b32_e32 v80, 0xffff0000, v80
	v_max_f32_e32 v80, v80, v80
	v_max_f32_e32 v68, v68, v68
	v_min_f32_e32 v84, v68, v80
	v_max_f32_e32 v68, v68, v80
	v_cndmask_b32_e64 v80, v68, v84, s[24:25]
	v_and_b32_e32 v68, 0x7f800000, v80
	v_cmp_ne_u32_e32 vcc, s85, v68
                                        ; implicit-def: $vgpr68
	s_and_saveexec_b64 s[40:41], vcc
	s_xor_b64 s[40:41], exec, s[40:41]
; %bb.2712:                             ;   in Loop: Header=BB32_2643 Depth=2
	v_bfe_u32 v68, v80, 16, 1
	v_add3_u32 v68, v80, v68, s86
                                        ; implicit-def: $vgpr80
; %bb.2713:                             ;   in Loop: Header=BB32_2643 Depth=2
	s_andn2_saveexec_b64 s[40:41], s[40:41]
; %bb.2714:                             ;   in Loop: Header=BB32_2643 Depth=2
	v_or_b32_e32 v68, 0x10000, v80
	v_cmp_eq_u32_sdwa vcc, v80, v3 src0_sel:WORD_0 src1_sel:DWORD
	s_nop 1
	v_cndmask_b32_e32 v68, v68, v80, vcc
; %bb.2715:                             ;   in Loop: Header=BB32_2643 Depth=2
	s_or_b64 exec, exec, s[40:41]
	v_lshlrev_b32_e32 v80, 16, v69
	v_lshlrev_b32_e32 v84, 16, v81
	v_max_f32_e32 v84, v84, v84
	v_max_f32_e32 v80, v80, v80
	v_min_f32_e32 v85, v80, v84
	v_max_f32_e32 v80, v80, v84
	v_cndmask_b32_e64 v84, v80, v85, s[24:25]
	v_and_b32_e32 v80, 0x7f800000, v84
	v_cmp_ne_u32_e32 vcc, s85, v80
                                        ; implicit-def: $vgpr80
	s_and_saveexec_b64 s[40:41], vcc
	s_xor_b64 s[40:41], exec, s[40:41]
; %bb.2716:                             ;   in Loop: Header=BB32_2643 Depth=2
	v_bfe_u32 v80, v84, 16, 1
	v_add3_u32 v80, v84, v80, s86
                                        ; implicit-def: $vgpr84
; %bb.2717:                             ;   in Loop: Header=BB32_2643 Depth=2
	s_andn2_saveexec_b64 s[40:41], s[40:41]
; %bb.2718:                             ;   in Loop: Header=BB32_2643 Depth=2
	v_or_b32_e32 v80, 0x10000, v84
	v_cmp_eq_u32_sdwa vcc, v84, v3 src0_sel:WORD_0 src1_sel:DWORD
	s_nop 1
	v_cndmask_b32_e32 v80, v80, v84, vcc
; %bb.2719:                             ;   in Loop: Header=BB32_2643 Depth=2
	s_or_b64 exec, exec, s[40:41]
	v_and_b32_e32 v69, 0xffff0000, v69
	v_and_b32_e32 v81, 0xffff0000, v81
	v_max_f32_e32 v81, v81, v81
	v_max_f32_e32 v69, v69, v69
	v_min_f32_e32 v84, v69, v81
	v_max_f32_e32 v69, v69, v81
	v_cndmask_b32_e64 v81, v69, v84, s[24:25]
	v_and_b32_e32 v69, 0x7f800000, v81
	v_cmp_ne_u32_e32 vcc, s85, v69
                                        ; implicit-def: $vgpr69
	s_and_saveexec_b64 s[40:41], vcc
	s_xor_b64 s[40:41], exec, s[40:41]
; %bb.2720:                             ;   in Loop: Header=BB32_2643 Depth=2
	v_bfe_u32 v69, v81, 16, 1
	v_add3_u32 v69, v81, v69, s86
                                        ; implicit-def: $vgpr81
; %bb.2721:                             ;   in Loop: Header=BB32_2643 Depth=2
	s_andn2_saveexec_b64 s[40:41], s[40:41]
; %bb.2722:                             ;   in Loop: Header=BB32_2643 Depth=2
	v_or_b32_e32 v69, 0x10000, v81
	v_cmp_eq_u32_sdwa vcc, v81, v3 src0_sel:WORD_0 src1_sel:DWORD
	s_nop 1
	v_cndmask_b32_e32 v69, v69, v81, vcc
; %bb.2723:                             ;   in Loop: Header=BB32_2643 Depth=2
	s_or_b64 exec, exec, s[40:41]
	v_lshlrev_b32_e32 v81, 16, v70
	v_lshlrev_b32_e32 v84, 16, v82
	v_max_f32_e32 v84, v84, v84
	v_max_f32_e32 v81, v81, v81
	v_min_f32_e32 v85, v81, v84
	v_max_f32_e32 v81, v81, v84
	v_cndmask_b32_e64 v84, v81, v85, s[24:25]
	v_and_b32_e32 v81, 0x7f800000, v84
	v_cmp_ne_u32_e32 vcc, s85, v81
                                        ; implicit-def: $vgpr81
	s_and_saveexec_b64 s[40:41], vcc
	s_xor_b64 s[40:41], exec, s[40:41]
; %bb.2724:                             ;   in Loop: Header=BB32_2643 Depth=2
	v_bfe_u32 v81, v84, 16, 1
	v_add3_u32 v81, v84, v81, s86
                                        ; implicit-def: $vgpr84
; %bb.2725:                             ;   in Loop: Header=BB32_2643 Depth=2
	s_andn2_saveexec_b64 s[40:41], s[40:41]
; %bb.2726:                             ;   in Loop: Header=BB32_2643 Depth=2
	v_or_b32_e32 v81, 0x10000, v84
	v_cmp_eq_u32_sdwa vcc, v84, v3 src0_sel:WORD_0 src1_sel:DWORD
	s_nop 1
	v_cndmask_b32_e32 v81, v81, v84, vcc
; %bb.2727:                             ;   in Loop: Header=BB32_2643 Depth=2
	s_or_b64 exec, exec, s[40:41]
	v_and_b32_e32 v70, 0xffff0000, v70
	v_and_b32_e32 v82, 0xffff0000, v82
	v_max_f32_e32 v82, v82, v82
	v_max_f32_e32 v70, v70, v70
	v_min_f32_e32 v84, v70, v82
	v_max_f32_e32 v70, v70, v82
	v_cndmask_b32_e64 v82, v70, v84, s[24:25]
	v_and_b32_e32 v70, 0x7f800000, v82
	v_cmp_ne_u32_e32 vcc, s85, v70
                                        ; implicit-def: $vgpr70
	s_and_saveexec_b64 s[40:41], vcc
	s_xor_b64 s[40:41], exec, s[40:41]
; %bb.2728:                             ;   in Loop: Header=BB32_2643 Depth=2
	v_bfe_u32 v70, v82, 16, 1
	v_add3_u32 v70, v82, v70, s86
                                        ; implicit-def: $vgpr82
; %bb.2729:                             ;   in Loop: Header=BB32_2643 Depth=2
	s_andn2_saveexec_b64 s[40:41], s[40:41]
; %bb.2730:                             ;   in Loop: Header=BB32_2643 Depth=2
	v_or_b32_e32 v70, 0x10000, v82
	v_cmp_eq_u32_sdwa vcc, v82, v3 src0_sel:WORD_0 src1_sel:DWORD
	s_nop 1
	v_cndmask_b32_e32 v70, v70, v82, vcc
; %bb.2731:                             ;   in Loop: Header=BB32_2643 Depth=2
	s_or_b64 exec, exec, s[40:41]
	v_lshlrev_b32_e32 v82, 16, v71
	v_lshlrev_b32_e32 v84, 16, v83
	v_max_f32_e32 v84, v84, v84
	v_max_f32_e32 v82, v82, v82
	v_min_f32_e32 v85, v82, v84
	v_max_f32_e32 v82, v82, v84
	v_cndmask_b32_e64 v84, v82, v85, s[24:25]
	v_and_b32_e32 v82, 0x7f800000, v84
	v_cmp_ne_u32_e32 vcc, s85, v82
                                        ; implicit-def: $vgpr82
	s_and_saveexec_b64 s[40:41], vcc
	s_xor_b64 s[40:41], exec, s[40:41]
; %bb.2732:                             ;   in Loop: Header=BB32_2643 Depth=2
	v_bfe_u32 v82, v84, 16, 1
	v_add3_u32 v82, v84, v82, s86
                                        ; implicit-def: $vgpr84
; %bb.2733:                             ;   in Loop: Header=BB32_2643 Depth=2
	s_andn2_saveexec_b64 s[40:41], s[40:41]
; %bb.2734:                             ;   in Loop: Header=BB32_2643 Depth=2
	v_or_b32_e32 v82, 0x10000, v84
	v_cmp_eq_u32_sdwa vcc, v84, v3 src0_sel:WORD_0 src1_sel:DWORD
	s_nop 1
	v_cndmask_b32_e32 v82, v82, v84, vcc
; %bb.2735:                             ;   in Loop: Header=BB32_2643 Depth=2
	s_or_b64 exec, exec, s[40:41]
	v_and_b32_e32 v71, 0xffff0000, v71
	v_and_b32_e32 v83, 0xffff0000, v83
	v_max_f32_e32 v83, v83, v83
	v_max_f32_e32 v71, v71, v71
	v_min_f32_e32 v84, v71, v83
	v_max_f32_e32 v71, v71, v83
	v_cndmask_b32_e64 v83, v71, v84, s[24:25]
	v_and_b32_e32 v71, 0x7f800000, v83
	v_cmp_ne_u32_e32 vcc, s85, v71
                                        ; implicit-def: $vgpr71
	s_and_saveexec_b64 s[40:41], vcc
	s_xor_b64 s[40:41], exec, s[40:41]
; %bb.2736:                             ;   in Loop: Header=BB32_2643 Depth=2
	v_bfe_u32 v71, v83, 16, 1
	v_add3_u32 v71, v83, v71, s86
                                        ; implicit-def: $vgpr83
; %bb.2737:                             ;   in Loop: Header=BB32_2643 Depth=2
	s_andn2_saveexec_b64 s[40:41], s[40:41]
; %bb.2738:                             ;   in Loop: Header=BB32_2643 Depth=2
	v_or_b32_e32 v71, 0x10000, v83
	v_cmp_eq_u32_sdwa vcc, v83, v3 src0_sel:WORD_0 src1_sel:DWORD
	s_nop 1
	v_cndmask_b32_e32 v71, v71, v83, vcc
; %bb.2739:                             ;   in Loop: Header=BB32_2643 Depth=2
	s_or_b64 exec, exec, s[40:41]
	v_lshrrev_b32_e32 v0, 16, v0
	v_and_or_b32 v68, v68, s87, v0
	v_lshrrev_b32_e32 v0, 16, v81
	v_lshrrev_b32_e32 v80, 16, v80
	v_and_or_b32 v70, v70, s87, v0
	v_lshrrev_b32_e32 v0, 16, v82
	v_and_or_b32 v69, v69, s87, v80
	v_and_or_b32 v71, v71, s87, v0
	global_store_dwordx4 v[100:101], v[68:71], off offset:2048
	v_lshlrev_b32_e32 v0, 16, v52
	v_max_f32_e32 v0, v0, v0
	s_waitcnt vmcnt(12)
	v_lshlrev_b32_e32 v68, 16, v64
	v_max_f32_e32 v68, v68, v68
	v_min_f32_e32 v69, v0, v68
	v_max_f32_e32 v0, v0, v68
	v_cndmask_b32_e64 v68, v0, v69, s[24:25]
	v_and_b32_e32 v0, 0x7f800000, v68
	v_cmp_ne_u32_e32 vcc, s85, v0
                                        ; implicit-def: $vgpr0
	s_and_saveexec_b64 s[40:41], vcc
	s_xor_b64 s[40:41], exec, s[40:41]
; %bb.2740:                             ;   in Loop: Header=BB32_2643 Depth=2
	v_bfe_u32 v0, v68, 16, 1
	v_add3_u32 v0, v68, v0, s86
                                        ; implicit-def: $vgpr68
; %bb.2741:                             ;   in Loop: Header=BB32_2643 Depth=2
	s_andn2_saveexec_b64 s[40:41], s[40:41]
; %bb.2742:                             ;   in Loop: Header=BB32_2643 Depth=2
	v_or_b32_e32 v0, 0x10000, v68
	v_cmp_eq_u32_sdwa vcc, v68, v3 src0_sel:WORD_0 src1_sel:DWORD
	s_nop 1
	v_cndmask_b32_e32 v0, v0, v68, vcc
; %bb.2743:                             ;   in Loop: Header=BB32_2643 Depth=2
	s_or_b64 exec, exec, s[40:41]
	v_and_b32_e32 v52, 0xffff0000, v52
	v_and_b32_e32 v64, 0xffff0000, v64
	v_max_f32_e32 v64, v64, v64
	v_max_f32_e32 v52, v52, v52
	v_min_f32_e32 v68, v52, v64
	v_max_f32_e32 v52, v52, v64
	v_cndmask_b32_e64 v64, v52, v68, s[24:25]
	v_and_b32_e32 v52, 0x7f800000, v64
	v_cmp_ne_u32_e32 vcc, s85, v52
                                        ; implicit-def: $vgpr52
	s_and_saveexec_b64 s[40:41], vcc
	s_xor_b64 s[40:41], exec, s[40:41]
; %bb.2744:                             ;   in Loop: Header=BB32_2643 Depth=2
	v_bfe_u32 v52, v64, 16, 1
	v_add3_u32 v52, v64, v52, s86
                                        ; implicit-def: $vgpr64
; %bb.2745:                             ;   in Loop: Header=BB32_2643 Depth=2
	s_andn2_saveexec_b64 s[40:41], s[40:41]
; %bb.2746:                             ;   in Loop: Header=BB32_2643 Depth=2
	v_or_b32_e32 v52, 0x10000, v64
	v_cmp_eq_u32_sdwa vcc, v64, v3 src0_sel:WORD_0 src1_sel:DWORD
	s_nop 1
	v_cndmask_b32_e32 v52, v52, v64, vcc
; %bb.2747:                             ;   in Loop: Header=BB32_2643 Depth=2
	s_or_b64 exec, exec, s[40:41]
	v_lshlrev_b32_e32 v64, 16, v53
	v_lshlrev_b32_e32 v68, 16, v65
	v_max_f32_e32 v68, v68, v68
	v_max_f32_e32 v64, v64, v64
	v_min_f32_e32 v69, v64, v68
	v_max_f32_e32 v64, v64, v68
	v_cndmask_b32_e64 v68, v64, v69, s[24:25]
	v_and_b32_e32 v64, 0x7f800000, v68
	v_cmp_ne_u32_e32 vcc, s85, v64
                                        ; implicit-def: $vgpr64
	s_and_saveexec_b64 s[40:41], vcc
	s_xor_b64 s[40:41], exec, s[40:41]
; %bb.2748:                             ;   in Loop: Header=BB32_2643 Depth=2
	v_bfe_u32 v64, v68, 16, 1
	v_add3_u32 v64, v68, v64, s86
                                        ; implicit-def: $vgpr68
; %bb.2749:                             ;   in Loop: Header=BB32_2643 Depth=2
	s_andn2_saveexec_b64 s[40:41], s[40:41]
; %bb.2750:                             ;   in Loop: Header=BB32_2643 Depth=2
	v_or_b32_e32 v64, 0x10000, v68
	v_cmp_eq_u32_sdwa vcc, v68, v3 src0_sel:WORD_0 src1_sel:DWORD
	s_nop 1
	v_cndmask_b32_e32 v64, v64, v68, vcc
; %bb.2751:                             ;   in Loop: Header=BB32_2643 Depth=2
	s_or_b64 exec, exec, s[40:41]
	v_and_b32_e32 v53, 0xffff0000, v53
	v_and_b32_e32 v65, 0xffff0000, v65
	v_max_f32_e32 v65, v65, v65
	v_max_f32_e32 v53, v53, v53
	v_min_f32_e32 v68, v53, v65
	v_max_f32_e32 v53, v53, v65
	v_cndmask_b32_e64 v65, v53, v68, s[24:25]
	v_and_b32_e32 v53, 0x7f800000, v65
	v_cmp_ne_u32_e32 vcc, s85, v53
                                        ; implicit-def: $vgpr53
	s_and_saveexec_b64 s[40:41], vcc
	s_xor_b64 s[40:41], exec, s[40:41]
; %bb.2752:                             ;   in Loop: Header=BB32_2643 Depth=2
	v_bfe_u32 v53, v65, 16, 1
	v_add3_u32 v53, v65, v53, s86
                                        ; implicit-def: $vgpr65
; %bb.2753:                             ;   in Loop: Header=BB32_2643 Depth=2
	s_andn2_saveexec_b64 s[40:41], s[40:41]
; %bb.2754:                             ;   in Loop: Header=BB32_2643 Depth=2
	v_or_b32_e32 v53, 0x10000, v65
	v_cmp_eq_u32_sdwa vcc, v65, v3 src0_sel:WORD_0 src1_sel:DWORD
	s_nop 1
	v_cndmask_b32_e32 v53, v53, v65, vcc
; %bb.2755:                             ;   in Loop: Header=BB32_2643 Depth=2
	s_or_b64 exec, exec, s[40:41]
	v_lshlrev_b32_e32 v65, 16, v54
	v_lshlrev_b32_e32 v68, 16, v66
	v_max_f32_e32 v68, v68, v68
	v_max_f32_e32 v65, v65, v65
	v_min_f32_e32 v69, v65, v68
	v_max_f32_e32 v65, v65, v68
	v_cndmask_b32_e64 v68, v65, v69, s[24:25]
	v_and_b32_e32 v65, 0x7f800000, v68
	v_cmp_ne_u32_e32 vcc, s85, v65
                                        ; implicit-def: $vgpr65
	s_and_saveexec_b64 s[40:41], vcc
	s_xor_b64 s[40:41], exec, s[40:41]
; %bb.2756:                             ;   in Loop: Header=BB32_2643 Depth=2
	v_bfe_u32 v65, v68, 16, 1
	v_add3_u32 v65, v68, v65, s86
                                        ; implicit-def: $vgpr68
; %bb.2757:                             ;   in Loop: Header=BB32_2643 Depth=2
	s_andn2_saveexec_b64 s[40:41], s[40:41]
; %bb.2758:                             ;   in Loop: Header=BB32_2643 Depth=2
	v_or_b32_e32 v65, 0x10000, v68
	v_cmp_eq_u32_sdwa vcc, v68, v3 src0_sel:WORD_0 src1_sel:DWORD
	s_nop 1
	v_cndmask_b32_e32 v65, v65, v68, vcc
; %bb.2759:                             ;   in Loop: Header=BB32_2643 Depth=2
	s_or_b64 exec, exec, s[40:41]
	v_and_b32_e32 v54, 0xffff0000, v54
	v_and_b32_e32 v66, 0xffff0000, v66
	v_max_f32_e32 v66, v66, v66
	v_max_f32_e32 v54, v54, v54
	v_min_f32_e32 v68, v54, v66
	v_max_f32_e32 v54, v54, v66
	v_cndmask_b32_e64 v66, v54, v68, s[24:25]
	v_and_b32_e32 v54, 0x7f800000, v66
	v_cmp_ne_u32_e32 vcc, s85, v54
                                        ; implicit-def: $vgpr54
	s_and_saveexec_b64 s[40:41], vcc
	s_xor_b64 s[40:41], exec, s[40:41]
; %bb.2760:                             ;   in Loop: Header=BB32_2643 Depth=2
	v_bfe_u32 v54, v66, 16, 1
	v_add3_u32 v54, v66, v54, s86
                                        ; implicit-def: $vgpr66
; %bb.2761:                             ;   in Loop: Header=BB32_2643 Depth=2
	s_andn2_saveexec_b64 s[40:41], s[40:41]
; %bb.2762:                             ;   in Loop: Header=BB32_2643 Depth=2
	v_or_b32_e32 v54, 0x10000, v66
	v_cmp_eq_u32_sdwa vcc, v66, v3 src0_sel:WORD_0 src1_sel:DWORD
	s_nop 1
	v_cndmask_b32_e32 v54, v54, v66, vcc
; %bb.2763:                             ;   in Loop: Header=BB32_2643 Depth=2
	s_or_b64 exec, exec, s[40:41]
	v_lshlrev_b32_e32 v66, 16, v55
	v_lshlrev_b32_e32 v68, 16, v67
	v_max_f32_e32 v68, v68, v68
	v_max_f32_e32 v66, v66, v66
	v_min_f32_e32 v69, v66, v68
	v_max_f32_e32 v66, v66, v68
	v_cndmask_b32_e64 v68, v66, v69, s[24:25]
	v_and_b32_e32 v66, 0x7f800000, v68
	v_cmp_ne_u32_e32 vcc, s85, v66
                                        ; implicit-def: $vgpr66
	s_and_saveexec_b64 s[40:41], vcc
	s_xor_b64 s[40:41], exec, s[40:41]
; %bb.2764:                             ;   in Loop: Header=BB32_2643 Depth=2
	v_bfe_u32 v66, v68, 16, 1
	v_add3_u32 v66, v68, v66, s86
                                        ; implicit-def: $vgpr68
; %bb.2765:                             ;   in Loop: Header=BB32_2643 Depth=2
	s_andn2_saveexec_b64 s[40:41], s[40:41]
; %bb.2766:                             ;   in Loop: Header=BB32_2643 Depth=2
	v_or_b32_e32 v66, 0x10000, v68
	v_cmp_eq_u32_sdwa vcc, v68, v3 src0_sel:WORD_0 src1_sel:DWORD
	s_nop 1
	v_cndmask_b32_e32 v66, v66, v68, vcc
; %bb.2767:                             ;   in Loop: Header=BB32_2643 Depth=2
	s_or_b64 exec, exec, s[40:41]
	v_and_b32_e32 v55, 0xffff0000, v55
	v_and_b32_e32 v67, 0xffff0000, v67
	v_max_f32_e32 v67, v67, v67
	v_max_f32_e32 v55, v55, v55
	v_min_f32_e32 v68, v55, v67
	v_max_f32_e32 v55, v55, v67
	v_cndmask_b32_e64 v67, v55, v68, s[24:25]
	v_and_b32_e32 v55, 0x7f800000, v67
	v_cmp_ne_u32_e32 vcc, s85, v55
                                        ; implicit-def: $vgpr55
	s_and_saveexec_b64 s[40:41], vcc
	s_xor_b64 s[40:41], exec, s[40:41]
; %bb.2768:                             ;   in Loop: Header=BB32_2643 Depth=2
	v_bfe_u32 v55, v67, 16, 1
	v_add3_u32 v55, v67, v55, s86
                                        ; implicit-def: $vgpr67
; %bb.2769:                             ;   in Loop: Header=BB32_2643 Depth=2
	s_andn2_saveexec_b64 s[40:41], s[40:41]
; %bb.2770:                             ;   in Loop: Header=BB32_2643 Depth=2
	v_or_b32_e32 v55, 0x10000, v67
	v_cmp_eq_u32_sdwa vcc, v67, v3 src0_sel:WORD_0 src1_sel:DWORD
	s_nop 1
	v_cndmask_b32_e32 v55, v55, v67, vcc
; %bb.2771:                             ;   in Loop: Header=BB32_2643 Depth=2
	s_or_b64 exec, exec, s[40:41]
	v_lshrrev_b32_e32 v0, 16, v0
	v_and_or_b32 v52, v52, s87, v0
	v_lshrrev_b32_e32 v0, 16, v65
	v_lshrrev_b32_e32 v64, 16, v64
	v_and_or_b32 v54, v54, s87, v0
	v_lshrrev_b32_e32 v0, 16, v66
	v_and_or_b32 v53, v53, s87, v64
	v_and_or_b32 v55, v55, s87, v0
	global_store_dwordx4 v[100:101], v[52:55], off offset:3072
	s_waitcnt vmcnt(12)
	v_lshlrev_b32_e32 v0, 16, v36
	v_max_f32_e32 v0, v0, v0
	s_waitcnt vmcnt(10)
	v_lshlrev_b32_e32 v52, 16, v48
	v_max_f32_e32 v52, v52, v52
	v_min_f32_e32 v53, v0, v52
	v_max_f32_e32 v0, v0, v52
	v_cndmask_b32_e64 v52, v0, v53, s[24:25]
	v_and_b32_e32 v0, 0x7f800000, v52
	v_cmp_ne_u32_e32 vcc, s85, v0
                                        ; implicit-def: $vgpr0
	s_and_saveexec_b64 s[40:41], vcc
	s_xor_b64 s[40:41], exec, s[40:41]
; %bb.2772:                             ;   in Loop: Header=BB32_2643 Depth=2
	v_bfe_u32 v0, v52, 16, 1
	v_add3_u32 v0, v52, v0, s86
                                        ; implicit-def: $vgpr52
; %bb.2773:                             ;   in Loop: Header=BB32_2643 Depth=2
	s_andn2_saveexec_b64 s[40:41], s[40:41]
; %bb.2774:                             ;   in Loop: Header=BB32_2643 Depth=2
	v_or_b32_e32 v0, 0x10000, v52
	v_cmp_eq_u32_sdwa vcc, v52, v3 src0_sel:WORD_0 src1_sel:DWORD
	s_nop 1
	v_cndmask_b32_e32 v0, v0, v52, vcc
; %bb.2775:                             ;   in Loop: Header=BB32_2643 Depth=2
	s_or_b64 exec, exec, s[40:41]
	v_and_b32_e32 v36, 0xffff0000, v36
	v_and_b32_e32 v48, 0xffff0000, v48
	v_max_f32_e32 v48, v48, v48
	v_max_f32_e32 v36, v36, v36
	v_min_f32_e32 v52, v36, v48
	v_max_f32_e32 v36, v36, v48
	v_cndmask_b32_e64 v48, v36, v52, s[24:25]
	v_and_b32_e32 v36, 0x7f800000, v48
	v_cmp_ne_u32_e32 vcc, s85, v36
                                        ; implicit-def: $vgpr36
	s_and_saveexec_b64 s[40:41], vcc
	s_xor_b64 s[40:41], exec, s[40:41]
; %bb.2776:                             ;   in Loop: Header=BB32_2643 Depth=2
	v_bfe_u32 v36, v48, 16, 1
	v_add3_u32 v36, v48, v36, s86
                                        ; implicit-def: $vgpr48
; %bb.2777:                             ;   in Loop: Header=BB32_2643 Depth=2
	s_andn2_saveexec_b64 s[40:41], s[40:41]
; %bb.2778:                             ;   in Loop: Header=BB32_2643 Depth=2
	v_or_b32_e32 v36, 0x10000, v48
	v_cmp_eq_u32_sdwa vcc, v48, v3 src0_sel:WORD_0 src1_sel:DWORD
	s_nop 1
	v_cndmask_b32_e32 v36, v36, v48, vcc
; %bb.2779:                             ;   in Loop: Header=BB32_2643 Depth=2
	s_or_b64 exec, exec, s[40:41]
	v_lshlrev_b32_e32 v48, 16, v37
	v_lshlrev_b32_e32 v52, 16, v49
	v_max_f32_e32 v52, v52, v52
	v_max_f32_e32 v48, v48, v48
	v_min_f32_e32 v53, v48, v52
	v_max_f32_e32 v48, v48, v52
	v_cndmask_b32_e64 v52, v48, v53, s[24:25]
	v_and_b32_e32 v48, 0x7f800000, v52
	v_cmp_ne_u32_e32 vcc, s85, v48
                                        ; implicit-def: $vgpr48
	s_and_saveexec_b64 s[40:41], vcc
	s_xor_b64 s[40:41], exec, s[40:41]
; %bb.2780:                             ;   in Loop: Header=BB32_2643 Depth=2
	v_bfe_u32 v48, v52, 16, 1
	v_add3_u32 v48, v52, v48, s86
                                        ; implicit-def: $vgpr52
; %bb.2781:                             ;   in Loop: Header=BB32_2643 Depth=2
	s_andn2_saveexec_b64 s[40:41], s[40:41]
; %bb.2782:                             ;   in Loop: Header=BB32_2643 Depth=2
	v_or_b32_e32 v48, 0x10000, v52
	v_cmp_eq_u32_sdwa vcc, v52, v3 src0_sel:WORD_0 src1_sel:DWORD
	s_nop 1
	v_cndmask_b32_e32 v48, v48, v52, vcc
; %bb.2783:                             ;   in Loop: Header=BB32_2643 Depth=2
	s_or_b64 exec, exec, s[40:41]
	v_and_b32_e32 v37, 0xffff0000, v37
	v_and_b32_e32 v49, 0xffff0000, v49
	v_max_f32_e32 v49, v49, v49
	v_max_f32_e32 v37, v37, v37
	v_min_f32_e32 v52, v37, v49
	v_max_f32_e32 v37, v37, v49
	v_cndmask_b32_e64 v49, v37, v52, s[24:25]
	v_and_b32_e32 v37, 0x7f800000, v49
	v_cmp_ne_u32_e32 vcc, s85, v37
                                        ; implicit-def: $vgpr37
	s_and_saveexec_b64 s[40:41], vcc
	s_xor_b64 s[40:41], exec, s[40:41]
; %bb.2784:                             ;   in Loop: Header=BB32_2643 Depth=2
	v_bfe_u32 v37, v49, 16, 1
	v_add3_u32 v37, v49, v37, s86
                                        ; implicit-def: $vgpr49
; %bb.2785:                             ;   in Loop: Header=BB32_2643 Depth=2
	s_andn2_saveexec_b64 s[40:41], s[40:41]
; %bb.2786:                             ;   in Loop: Header=BB32_2643 Depth=2
	v_or_b32_e32 v37, 0x10000, v49
	v_cmp_eq_u32_sdwa vcc, v49, v3 src0_sel:WORD_0 src1_sel:DWORD
	s_nop 1
	v_cndmask_b32_e32 v37, v37, v49, vcc
; %bb.2787:                             ;   in Loop: Header=BB32_2643 Depth=2
	s_or_b64 exec, exec, s[40:41]
	v_lshlrev_b32_e32 v49, 16, v38
	v_lshlrev_b32_e32 v52, 16, v50
	v_max_f32_e32 v52, v52, v52
	v_max_f32_e32 v49, v49, v49
	v_min_f32_e32 v53, v49, v52
	v_max_f32_e32 v49, v49, v52
	v_cndmask_b32_e64 v52, v49, v53, s[24:25]
	v_and_b32_e32 v49, 0x7f800000, v52
	v_cmp_ne_u32_e32 vcc, s85, v49
                                        ; implicit-def: $vgpr49
	s_and_saveexec_b64 s[40:41], vcc
	s_xor_b64 s[40:41], exec, s[40:41]
; %bb.2788:                             ;   in Loop: Header=BB32_2643 Depth=2
	v_bfe_u32 v49, v52, 16, 1
	v_add3_u32 v49, v52, v49, s86
                                        ; implicit-def: $vgpr52
; %bb.2789:                             ;   in Loop: Header=BB32_2643 Depth=2
	s_andn2_saveexec_b64 s[40:41], s[40:41]
; %bb.2790:                             ;   in Loop: Header=BB32_2643 Depth=2
	v_or_b32_e32 v49, 0x10000, v52
	v_cmp_eq_u32_sdwa vcc, v52, v3 src0_sel:WORD_0 src1_sel:DWORD
	s_nop 1
	v_cndmask_b32_e32 v49, v49, v52, vcc
; %bb.2791:                             ;   in Loop: Header=BB32_2643 Depth=2
	s_or_b64 exec, exec, s[40:41]
	v_and_b32_e32 v38, 0xffff0000, v38
	v_and_b32_e32 v50, 0xffff0000, v50
	v_max_f32_e32 v50, v50, v50
	v_max_f32_e32 v38, v38, v38
	v_min_f32_e32 v52, v38, v50
	v_max_f32_e32 v38, v38, v50
	v_cndmask_b32_e64 v50, v38, v52, s[24:25]
	v_and_b32_e32 v38, 0x7f800000, v50
	v_cmp_ne_u32_e32 vcc, s85, v38
                                        ; implicit-def: $vgpr38
	s_and_saveexec_b64 s[40:41], vcc
	s_xor_b64 s[40:41], exec, s[40:41]
; %bb.2792:                             ;   in Loop: Header=BB32_2643 Depth=2
	v_bfe_u32 v38, v50, 16, 1
	v_add3_u32 v38, v50, v38, s86
                                        ; implicit-def: $vgpr50
; %bb.2793:                             ;   in Loop: Header=BB32_2643 Depth=2
	s_andn2_saveexec_b64 s[40:41], s[40:41]
; %bb.2794:                             ;   in Loop: Header=BB32_2643 Depth=2
	v_or_b32_e32 v38, 0x10000, v50
	v_cmp_eq_u32_sdwa vcc, v50, v3 src0_sel:WORD_0 src1_sel:DWORD
	s_nop 1
	v_cndmask_b32_e32 v38, v38, v50, vcc
; %bb.2795:                             ;   in Loop: Header=BB32_2643 Depth=2
	s_or_b64 exec, exec, s[40:41]
	v_lshlrev_b32_e32 v50, 16, v39
	v_lshlrev_b32_e32 v52, 16, v51
	v_max_f32_e32 v52, v52, v52
	v_max_f32_e32 v50, v50, v50
	v_min_f32_e32 v53, v50, v52
	v_max_f32_e32 v50, v50, v52
	v_cndmask_b32_e64 v52, v50, v53, s[24:25]
	v_and_b32_e32 v50, 0x7f800000, v52
	v_cmp_ne_u32_e32 vcc, s85, v50
                                        ; implicit-def: $vgpr50
	s_and_saveexec_b64 s[40:41], vcc
	s_xor_b64 s[40:41], exec, s[40:41]
; %bb.2796:                             ;   in Loop: Header=BB32_2643 Depth=2
	v_bfe_u32 v50, v52, 16, 1
	v_add3_u32 v50, v52, v50, s86
                                        ; implicit-def: $vgpr52
; %bb.2797:                             ;   in Loop: Header=BB32_2643 Depth=2
	s_andn2_saveexec_b64 s[40:41], s[40:41]
; %bb.2798:                             ;   in Loop: Header=BB32_2643 Depth=2
	v_or_b32_e32 v50, 0x10000, v52
	v_cmp_eq_u32_sdwa vcc, v52, v3 src0_sel:WORD_0 src1_sel:DWORD
	s_nop 1
	v_cndmask_b32_e32 v50, v50, v52, vcc
; %bb.2799:                             ;   in Loop: Header=BB32_2643 Depth=2
	s_or_b64 exec, exec, s[40:41]
	v_and_b32_e32 v39, 0xffff0000, v39
	v_and_b32_e32 v51, 0xffff0000, v51
	v_max_f32_e32 v51, v51, v51
	v_max_f32_e32 v39, v39, v39
	v_min_f32_e32 v52, v39, v51
	v_max_f32_e32 v39, v39, v51
	v_cndmask_b32_e64 v51, v39, v52, s[24:25]
	v_and_b32_e32 v39, 0x7f800000, v51
	v_cmp_ne_u32_e32 vcc, s85, v39
                                        ; implicit-def: $vgpr39
	s_and_saveexec_b64 s[40:41], vcc
	s_xor_b64 s[40:41], exec, s[40:41]
; %bb.2800:                             ;   in Loop: Header=BB32_2643 Depth=2
	v_bfe_u32 v39, v51, 16, 1
	v_add3_u32 v39, v51, v39, s86
                                        ; implicit-def: $vgpr51
; %bb.2801:                             ;   in Loop: Header=BB32_2643 Depth=2
	s_andn2_saveexec_b64 s[40:41], s[40:41]
; %bb.2802:                             ;   in Loop: Header=BB32_2643 Depth=2
	v_or_b32_e32 v39, 0x10000, v51
	v_cmp_eq_u32_sdwa vcc, v51, v3 src0_sel:WORD_0 src1_sel:DWORD
	s_nop 1
	v_cndmask_b32_e32 v39, v39, v51, vcc
; %bb.2803:                             ;   in Loop: Header=BB32_2643 Depth=2
	s_or_b64 exec, exec, s[40:41]
	v_lshrrev_b32_e32 v0, 16, v0
	v_lshrrev_b32_e32 v48, 16, v48
	v_and_or_b32 v36, v36, s87, v0
	v_lshrrev_b32_e32 v0, 16, v49
	v_and_or_b32 v37, v37, s87, v48
	v_and_or_b32 v38, v38, s87, v0
	v_lshrrev_b32_e32 v0, 16, v50
	v_add_co_u32_e32 v48, vcc, 0x1000, v100
	v_and_or_b32 v39, v39, s87, v0
	s_nop 0
	v_addc_co_u32_e32 v49, vcc, 0, v101, vcc
	global_store_dwordx4 v[48:49], v[36:39], off
	v_lshlrev_b32_e32 v0, 16, v24
	v_max_f32_e32 v0, v0, v0
	s_waitcnt vmcnt(10)
	v_lshlrev_b32_e32 v36, 16, v32
	v_max_f32_e32 v36, v36, v36
	v_min_f32_e32 v37, v0, v36
	v_max_f32_e32 v0, v0, v36
	v_cndmask_b32_e64 v36, v0, v37, s[24:25]
	v_and_b32_e32 v0, 0x7f800000, v36
	v_cmp_ne_u32_e32 vcc, s85, v0
                                        ; implicit-def: $vgpr0
	s_and_saveexec_b64 s[40:41], vcc
	s_xor_b64 s[40:41], exec, s[40:41]
; %bb.2804:                             ;   in Loop: Header=BB32_2643 Depth=2
	v_bfe_u32 v0, v36, 16, 1
	v_add3_u32 v0, v36, v0, s86
                                        ; implicit-def: $vgpr36
; %bb.2805:                             ;   in Loop: Header=BB32_2643 Depth=2
	s_andn2_saveexec_b64 s[40:41], s[40:41]
; %bb.2806:                             ;   in Loop: Header=BB32_2643 Depth=2
	v_or_b32_e32 v0, 0x10000, v36
	v_cmp_eq_u32_sdwa vcc, v36, v3 src0_sel:WORD_0 src1_sel:DWORD
	s_nop 1
	v_cndmask_b32_e32 v0, v0, v36, vcc
; %bb.2807:                             ;   in Loop: Header=BB32_2643 Depth=2
	s_or_b64 exec, exec, s[40:41]
	v_and_b32_e32 v24, 0xffff0000, v24
	v_and_b32_e32 v32, 0xffff0000, v32
	v_max_f32_e32 v32, v32, v32
	v_max_f32_e32 v24, v24, v24
	v_min_f32_e32 v36, v24, v32
	v_max_f32_e32 v24, v24, v32
	v_cndmask_b32_e64 v32, v24, v36, s[24:25]
	v_and_b32_e32 v24, 0x7f800000, v32
	v_cmp_ne_u32_e32 vcc, s85, v24
                                        ; implicit-def: $vgpr24
	s_and_saveexec_b64 s[40:41], vcc
	s_xor_b64 s[40:41], exec, s[40:41]
; %bb.2808:                             ;   in Loop: Header=BB32_2643 Depth=2
	v_bfe_u32 v24, v32, 16, 1
	v_add3_u32 v24, v32, v24, s86
                                        ; implicit-def: $vgpr32
; %bb.2809:                             ;   in Loop: Header=BB32_2643 Depth=2
	s_andn2_saveexec_b64 s[40:41], s[40:41]
; %bb.2810:                             ;   in Loop: Header=BB32_2643 Depth=2
	v_or_b32_e32 v24, 0x10000, v32
	v_cmp_eq_u32_sdwa vcc, v32, v3 src0_sel:WORD_0 src1_sel:DWORD
	s_nop 1
	v_cndmask_b32_e32 v24, v24, v32, vcc
; %bb.2811:                             ;   in Loop: Header=BB32_2643 Depth=2
	s_or_b64 exec, exec, s[40:41]
	v_lshlrev_b32_e32 v32, 16, v25
	v_lshlrev_b32_e32 v36, 16, v33
	v_max_f32_e32 v36, v36, v36
	v_max_f32_e32 v32, v32, v32
	v_min_f32_e32 v37, v32, v36
	v_max_f32_e32 v32, v32, v36
	v_cndmask_b32_e64 v36, v32, v37, s[24:25]
	v_and_b32_e32 v32, 0x7f800000, v36
	v_cmp_ne_u32_e32 vcc, s85, v32
                                        ; implicit-def: $vgpr32
	s_and_saveexec_b64 s[40:41], vcc
	s_xor_b64 s[40:41], exec, s[40:41]
; %bb.2812:                             ;   in Loop: Header=BB32_2643 Depth=2
	v_bfe_u32 v32, v36, 16, 1
	v_add3_u32 v32, v36, v32, s86
                                        ; implicit-def: $vgpr36
; %bb.2813:                             ;   in Loop: Header=BB32_2643 Depth=2
	s_andn2_saveexec_b64 s[40:41], s[40:41]
; %bb.2814:                             ;   in Loop: Header=BB32_2643 Depth=2
	v_or_b32_e32 v32, 0x10000, v36
	v_cmp_eq_u32_sdwa vcc, v36, v3 src0_sel:WORD_0 src1_sel:DWORD
	s_nop 1
	v_cndmask_b32_e32 v32, v32, v36, vcc
; %bb.2815:                             ;   in Loop: Header=BB32_2643 Depth=2
	s_or_b64 exec, exec, s[40:41]
	v_and_b32_e32 v25, 0xffff0000, v25
	v_and_b32_e32 v33, 0xffff0000, v33
	v_max_f32_e32 v33, v33, v33
	v_max_f32_e32 v25, v25, v25
	v_min_f32_e32 v36, v25, v33
	v_max_f32_e32 v25, v25, v33
	v_cndmask_b32_e64 v33, v25, v36, s[24:25]
	v_and_b32_e32 v25, 0x7f800000, v33
	v_cmp_ne_u32_e32 vcc, s85, v25
                                        ; implicit-def: $vgpr25
	s_and_saveexec_b64 s[40:41], vcc
	s_xor_b64 s[40:41], exec, s[40:41]
; %bb.2816:                             ;   in Loop: Header=BB32_2643 Depth=2
	v_bfe_u32 v25, v33, 16, 1
	v_add3_u32 v25, v33, v25, s86
                                        ; implicit-def: $vgpr33
; %bb.2817:                             ;   in Loop: Header=BB32_2643 Depth=2
	s_andn2_saveexec_b64 s[40:41], s[40:41]
; %bb.2818:                             ;   in Loop: Header=BB32_2643 Depth=2
	v_or_b32_e32 v25, 0x10000, v33
	v_cmp_eq_u32_sdwa vcc, v33, v3 src0_sel:WORD_0 src1_sel:DWORD
	s_nop 1
	v_cndmask_b32_e32 v25, v25, v33, vcc
; %bb.2819:                             ;   in Loop: Header=BB32_2643 Depth=2
	s_or_b64 exec, exec, s[40:41]
	v_lshlrev_b32_e32 v33, 16, v26
	v_lshlrev_b32_e32 v36, 16, v34
	v_max_f32_e32 v36, v36, v36
	v_max_f32_e32 v33, v33, v33
	v_min_f32_e32 v37, v33, v36
	v_max_f32_e32 v33, v33, v36
	v_cndmask_b32_e64 v36, v33, v37, s[24:25]
	v_and_b32_e32 v33, 0x7f800000, v36
	v_cmp_ne_u32_e32 vcc, s85, v33
                                        ; implicit-def: $vgpr33
	s_and_saveexec_b64 s[40:41], vcc
	s_xor_b64 s[40:41], exec, s[40:41]
; %bb.2820:                             ;   in Loop: Header=BB32_2643 Depth=2
	v_bfe_u32 v33, v36, 16, 1
	v_add3_u32 v33, v36, v33, s86
                                        ; implicit-def: $vgpr36
; %bb.2821:                             ;   in Loop: Header=BB32_2643 Depth=2
	s_andn2_saveexec_b64 s[40:41], s[40:41]
; %bb.2822:                             ;   in Loop: Header=BB32_2643 Depth=2
	v_or_b32_e32 v33, 0x10000, v36
	v_cmp_eq_u32_sdwa vcc, v36, v3 src0_sel:WORD_0 src1_sel:DWORD
	s_nop 1
	v_cndmask_b32_e32 v33, v33, v36, vcc
; %bb.2823:                             ;   in Loop: Header=BB32_2643 Depth=2
	s_or_b64 exec, exec, s[40:41]
	v_and_b32_e32 v26, 0xffff0000, v26
	v_and_b32_e32 v34, 0xffff0000, v34
	v_max_f32_e32 v34, v34, v34
	v_max_f32_e32 v26, v26, v26
	v_min_f32_e32 v36, v26, v34
	v_max_f32_e32 v26, v26, v34
	v_cndmask_b32_e64 v34, v26, v36, s[24:25]
	v_and_b32_e32 v26, 0x7f800000, v34
	v_cmp_ne_u32_e32 vcc, s85, v26
                                        ; implicit-def: $vgpr26
	s_and_saveexec_b64 s[40:41], vcc
	s_xor_b64 s[40:41], exec, s[40:41]
; %bb.2824:                             ;   in Loop: Header=BB32_2643 Depth=2
	v_bfe_u32 v26, v34, 16, 1
	v_add3_u32 v26, v34, v26, s86
                                        ; implicit-def: $vgpr34
; %bb.2825:                             ;   in Loop: Header=BB32_2643 Depth=2
	s_andn2_saveexec_b64 s[40:41], s[40:41]
; %bb.2826:                             ;   in Loop: Header=BB32_2643 Depth=2
	v_or_b32_e32 v26, 0x10000, v34
	v_cmp_eq_u32_sdwa vcc, v34, v3 src0_sel:WORD_0 src1_sel:DWORD
	s_nop 1
	v_cndmask_b32_e32 v26, v26, v34, vcc
; %bb.2827:                             ;   in Loop: Header=BB32_2643 Depth=2
	s_or_b64 exec, exec, s[40:41]
	v_lshlrev_b32_e32 v34, 16, v27
	v_lshlrev_b32_e32 v36, 16, v35
	v_max_f32_e32 v36, v36, v36
	v_max_f32_e32 v34, v34, v34
	v_min_f32_e32 v37, v34, v36
	v_max_f32_e32 v34, v34, v36
	v_cndmask_b32_e64 v36, v34, v37, s[24:25]
	v_and_b32_e32 v34, 0x7f800000, v36
	v_cmp_ne_u32_e32 vcc, s85, v34
                                        ; implicit-def: $vgpr34
	s_and_saveexec_b64 s[40:41], vcc
	s_xor_b64 s[40:41], exec, s[40:41]
; %bb.2828:                             ;   in Loop: Header=BB32_2643 Depth=2
	v_bfe_u32 v34, v36, 16, 1
	v_add3_u32 v34, v36, v34, s86
                                        ; implicit-def: $vgpr36
; %bb.2829:                             ;   in Loop: Header=BB32_2643 Depth=2
	s_andn2_saveexec_b64 s[40:41], s[40:41]
; %bb.2830:                             ;   in Loop: Header=BB32_2643 Depth=2
	v_or_b32_e32 v34, 0x10000, v36
	v_cmp_eq_u32_sdwa vcc, v36, v3 src0_sel:WORD_0 src1_sel:DWORD
	s_nop 1
	v_cndmask_b32_e32 v34, v34, v36, vcc
; %bb.2831:                             ;   in Loop: Header=BB32_2643 Depth=2
	s_or_b64 exec, exec, s[40:41]
	v_and_b32_e32 v27, 0xffff0000, v27
	v_and_b32_e32 v35, 0xffff0000, v35
	v_max_f32_e32 v35, v35, v35
	v_max_f32_e32 v27, v27, v27
	v_min_f32_e32 v36, v27, v35
	v_max_f32_e32 v27, v27, v35
	v_cndmask_b32_e64 v35, v27, v36, s[24:25]
	v_and_b32_e32 v27, 0x7f800000, v35
	v_cmp_ne_u32_e32 vcc, s85, v27
                                        ; implicit-def: $vgpr27
	s_and_saveexec_b64 s[40:41], vcc
	s_xor_b64 s[40:41], exec, s[40:41]
; %bb.2832:                             ;   in Loop: Header=BB32_2643 Depth=2
	v_bfe_u32 v27, v35, 16, 1
	v_add3_u32 v27, v35, v27, s86
                                        ; implicit-def: $vgpr35
; %bb.2833:                             ;   in Loop: Header=BB32_2643 Depth=2
	s_andn2_saveexec_b64 s[40:41], s[40:41]
; %bb.2834:                             ;   in Loop: Header=BB32_2643 Depth=2
	v_or_b32_e32 v27, 0x10000, v35
	v_cmp_eq_u32_sdwa vcc, v35, v3 src0_sel:WORD_0 src1_sel:DWORD
	s_nop 1
	v_cndmask_b32_e32 v27, v27, v35, vcc
; %bb.2835:                             ;   in Loop: Header=BB32_2643 Depth=2
	s_or_b64 exec, exec, s[40:41]
	v_lshrrev_b32_e32 v0, 16, v0
	v_lshrrev_b32_e32 v32, 16, v32
	v_and_or_b32 v24, v24, s87, v0
	v_lshrrev_b32_e32 v0, 16, v33
	v_and_or_b32 v25, v25, s87, v32
	v_and_or_b32 v26, v26, s87, v0
	v_lshrrev_b32_e32 v0, 16, v34
	v_add_co_u32_e32 v32, vcc, 0x1000, v100
	v_and_or_b32 v27, v27, s87, v0
	s_nop 0
	v_addc_co_u32_e32 v33, vcc, 0, v101, vcc
	global_store_dwordx4 v[32:33], v[24:27], off offset:1024
	s_waitcnt vmcnt(10)
	v_lshlrev_b32_e32 v0, 16, v16
	v_max_f32_e32 v0, v0, v0
	s_waitcnt vmcnt(8)
	v_lshlrev_b32_e32 v24, 16, v20
	v_max_f32_e32 v24, v24, v24
	v_min_f32_e32 v25, v0, v24
	v_max_f32_e32 v0, v0, v24
	v_cndmask_b32_e64 v24, v0, v25, s[24:25]
	v_and_b32_e32 v0, 0x7f800000, v24
	v_cmp_ne_u32_e32 vcc, s85, v0
                                        ; implicit-def: $vgpr0
	s_and_saveexec_b64 s[40:41], vcc
	s_xor_b64 s[40:41], exec, s[40:41]
; %bb.2836:                             ;   in Loop: Header=BB32_2643 Depth=2
	v_bfe_u32 v0, v24, 16, 1
	v_add3_u32 v0, v24, v0, s86
                                        ; implicit-def: $vgpr24
; %bb.2837:                             ;   in Loop: Header=BB32_2643 Depth=2
	s_andn2_saveexec_b64 s[40:41], s[40:41]
; %bb.2838:                             ;   in Loop: Header=BB32_2643 Depth=2
	v_or_b32_e32 v0, 0x10000, v24
	v_cmp_eq_u32_sdwa vcc, v24, v3 src0_sel:WORD_0 src1_sel:DWORD
	s_nop 1
	v_cndmask_b32_e32 v0, v0, v24, vcc
; %bb.2839:                             ;   in Loop: Header=BB32_2643 Depth=2
	s_or_b64 exec, exec, s[40:41]
	v_and_b32_e32 v16, 0xffff0000, v16
	v_and_b32_e32 v20, 0xffff0000, v20
	v_max_f32_e32 v20, v20, v20
	v_max_f32_e32 v16, v16, v16
	v_min_f32_e32 v24, v16, v20
	v_max_f32_e32 v16, v16, v20
	v_cndmask_b32_e64 v20, v16, v24, s[24:25]
	v_and_b32_e32 v16, 0x7f800000, v20
	v_cmp_ne_u32_e32 vcc, s85, v16
                                        ; implicit-def: $vgpr16
	s_and_saveexec_b64 s[40:41], vcc
	s_xor_b64 s[40:41], exec, s[40:41]
; %bb.2840:                             ;   in Loop: Header=BB32_2643 Depth=2
	v_bfe_u32 v16, v20, 16, 1
	v_add3_u32 v16, v20, v16, s86
                                        ; implicit-def: $vgpr20
; %bb.2841:                             ;   in Loop: Header=BB32_2643 Depth=2
	s_andn2_saveexec_b64 s[40:41], s[40:41]
; %bb.2842:                             ;   in Loop: Header=BB32_2643 Depth=2
	v_or_b32_e32 v16, 0x10000, v20
	v_cmp_eq_u32_sdwa vcc, v20, v3 src0_sel:WORD_0 src1_sel:DWORD
	s_nop 1
	v_cndmask_b32_e32 v16, v16, v20, vcc
; %bb.2843:                             ;   in Loop: Header=BB32_2643 Depth=2
	s_or_b64 exec, exec, s[40:41]
	v_lshlrev_b32_e32 v20, 16, v17
	v_lshlrev_b32_e32 v24, 16, v21
	v_max_f32_e32 v24, v24, v24
	v_max_f32_e32 v20, v20, v20
	v_min_f32_e32 v25, v20, v24
	v_max_f32_e32 v20, v20, v24
	v_cndmask_b32_e64 v24, v20, v25, s[24:25]
	v_and_b32_e32 v20, 0x7f800000, v24
	v_cmp_ne_u32_e32 vcc, s85, v20
                                        ; implicit-def: $vgpr20
	s_and_saveexec_b64 s[40:41], vcc
	s_xor_b64 s[40:41], exec, s[40:41]
; %bb.2844:                             ;   in Loop: Header=BB32_2643 Depth=2
	v_bfe_u32 v20, v24, 16, 1
	v_add3_u32 v20, v24, v20, s86
                                        ; implicit-def: $vgpr24
; %bb.2845:                             ;   in Loop: Header=BB32_2643 Depth=2
	s_andn2_saveexec_b64 s[40:41], s[40:41]
; %bb.2846:                             ;   in Loop: Header=BB32_2643 Depth=2
	v_or_b32_e32 v20, 0x10000, v24
	v_cmp_eq_u32_sdwa vcc, v24, v3 src0_sel:WORD_0 src1_sel:DWORD
	s_nop 1
	v_cndmask_b32_e32 v20, v20, v24, vcc
; %bb.2847:                             ;   in Loop: Header=BB32_2643 Depth=2
	s_or_b64 exec, exec, s[40:41]
	v_and_b32_e32 v17, 0xffff0000, v17
	v_and_b32_e32 v21, 0xffff0000, v21
	v_max_f32_e32 v21, v21, v21
	v_max_f32_e32 v17, v17, v17
	v_min_f32_e32 v24, v17, v21
	v_max_f32_e32 v17, v17, v21
	v_cndmask_b32_e64 v21, v17, v24, s[24:25]
	v_and_b32_e32 v17, 0x7f800000, v21
	v_cmp_ne_u32_e32 vcc, s85, v17
                                        ; implicit-def: $vgpr17
	s_and_saveexec_b64 s[40:41], vcc
	s_xor_b64 s[40:41], exec, s[40:41]
; %bb.2848:                             ;   in Loop: Header=BB32_2643 Depth=2
	v_bfe_u32 v17, v21, 16, 1
	v_add3_u32 v17, v21, v17, s86
                                        ; implicit-def: $vgpr21
; %bb.2849:                             ;   in Loop: Header=BB32_2643 Depth=2
	s_andn2_saveexec_b64 s[40:41], s[40:41]
; %bb.2850:                             ;   in Loop: Header=BB32_2643 Depth=2
	v_or_b32_e32 v17, 0x10000, v21
	v_cmp_eq_u32_sdwa vcc, v21, v3 src0_sel:WORD_0 src1_sel:DWORD
	s_nop 1
	v_cndmask_b32_e32 v17, v17, v21, vcc
; %bb.2851:                             ;   in Loop: Header=BB32_2643 Depth=2
	s_or_b64 exec, exec, s[40:41]
	v_lshlrev_b32_e32 v21, 16, v18
	v_lshlrev_b32_e32 v24, 16, v22
	v_max_f32_e32 v24, v24, v24
	v_max_f32_e32 v21, v21, v21
	v_min_f32_e32 v25, v21, v24
	v_max_f32_e32 v21, v21, v24
	v_cndmask_b32_e64 v24, v21, v25, s[24:25]
	v_and_b32_e32 v21, 0x7f800000, v24
	v_cmp_ne_u32_e32 vcc, s85, v21
                                        ; implicit-def: $vgpr21
	s_and_saveexec_b64 s[40:41], vcc
	s_xor_b64 s[40:41], exec, s[40:41]
; %bb.2852:                             ;   in Loop: Header=BB32_2643 Depth=2
	v_bfe_u32 v21, v24, 16, 1
	v_add3_u32 v21, v24, v21, s86
                                        ; implicit-def: $vgpr24
; %bb.2853:                             ;   in Loop: Header=BB32_2643 Depth=2
	s_andn2_saveexec_b64 s[40:41], s[40:41]
; %bb.2854:                             ;   in Loop: Header=BB32_2643 Depth=2
	v_or_b32_e32 v21, 0x10000, v24
	v_cmp_eq_u32_sdwa vcc, v24, v3 src0_sel:WORD_0 src1_sel:DWORD
	s_nop 1
	v_cndmask_b32_e32 v21, v21, v24, vcc
; %bb.2855:                             ;   in Loop: Header=BB32_2643 Depth=2
	s_or_b64 exec, exec, s[40:41]
	v_and_b32_e32 v18, 0xffff0000, v18
	v_and_b32_e32 v22, 0xffff0000, v22
	v_max_f32_e32 v22, v22, v22
	v_max_f32_e32 v18, v18, v18
	v_min_f32_e32 v24, v18, v22
	v_max_f32_e32 v18, v18, v22
	v_cndmask_b32_e64 v22, v18, v24, s[24:25]
	v_and_b32_e32 v18, 0x7f800000, v22
	v_cmp_ne_u32_e32 vcc, s85, v18
                                        ; implicit-def: $vgpr18
	s_and_saveexec_b64 s[40:41], vcc
	s_xor_b64 s[40:41], exec, s[40:41]
; %bb.2856:                             ;   in Loop: Header=BB32_2643 Depth=2
	v_bfe_u32 v18, v22, 16, 1
	v_add3_u32 v18, v22, v18, s86
                                        ; implicit-def: $vgpr22
; %bb.2857:                             ;   in Loop: Header=BB32_2643 Depth=2
	s_andn2_saveexec_b64 s[40:41], s[40:41]
; %bb.2858:                             ;   in Loop: Header=BB32_2643 Depth=2
	v_or_b32_e32 v18, 0x10000, v22
	v_cmp_eq_u32_sdwa vcc, v22, v3 src0_sel:WORD_0 src1_sel:DWORD
	s_nop 1
	v_cndmask_b32_e32 v18, v18, v22, vcc
; %bb.2859:                             ;   in Loop: Header=BB32_2643 Depth=2
	s_or_b64 exec, exec, s[40:41]
	v_lshlrev_b32_e32 v22, 16, v19
	v_lshlrev_b32_e32 v24, 16, v23
	v_max_f32_e32 v24, v24, v24
	v_max_f32_e32 v22, v22, v22
	v_min_f32_e32 v25, v22, v24
	v_max_f32_e32 v22, v22, v24
	v_cndmask_b32_e64 v24, v22, v25, s[24:25]
	v_and_b32_e32 v22, 0x7f800000, v24
	v_cmp_ne_u32_e32 vcc, s85, v22
                                        ; implicit-def: $vgpr22
	s_and_saveexec_b64 s[40:41], vcc
	s_xor_b64 s[40:41], exec, s[40:41]
; %bb.2860:                             ;   in Loop: Header=BB32_2643 Depth=2
	v_bfe_u32 v22, v24, 16, 1
	v_add3_u32 v22, v24, v22, s86
                                        ; implicit-def: $vgpr24
; %bb.2861:                             ;   in Loop: Header=BB32_2643 Depth=2
	s_andn2_saveexec_b64 s[40:41], s[40:41]
; %bb.2862:                             ;   in Loop: Header=BB32_2643 Depth=2
	v_or_b32_e32 v22, 0x10000, v24
	v_cmp_eq_u32_sdwa vcc, v24, v3 src0_sel:WORD_0 src1_sel:DWORD
	s_nop 1
	v_cndmask_b32_e32 v22, v22, v24, vcc
; %bb.2863:                             ;   in Loop: Header=BB32_2643 Depth=2
	s_or_b64 exec, exec, s[40:41]
	v_and_b32_e32 v19, 0xffff0000, v19
	v_and_b32_e32 v23, 0xffff0000, v23
	v_max_f32_e32 v23, v23, v23
	v_max_f32_e32 v19, v19, v19
	v_min_f32_e32 v24, v19, v23
	v_max_f32_e32 v19, v19, v23
	v_cndmask_b32_e64 v23, v19, v24, s[24:25]
	v_and_b32_e32 v19, 0x7f800000, v23
	v_cmp_ne_u32_e32 vcc, s85, v19
                                        ; implicit-def: $vgpr19
	s_and_saveexec_b64 s[40:41], vcc
	s_xor_b64 s[40:41], exec, s[40:41]
; %bb.2864:                             ;   in Loop: Header=BB32_2643 Depth=2
	v_bfe_u32 v19, v23, 16, 1
	v_add3_u32 v19, v23, v19, s86
                                        ; implicit-def: $vgpr23
; %bb.2865:                             ;   in Loop: Header=BB32_2643 Depth=2
	s_andn2_saveexec_b64 s[40:41], s[40:41]
; %bb.2866:                             ;   in Loop: Header=BB32_2643 Depth=2
	v_or_b32_e32 v19, 0x10000, v23
	v_cmp_eq_u32_sdwa vcc, v23, v3 src0_sel:WORD_0 src1_sel:DWORD
	s_nop 1
	v_cndmask_b32_e32 v19, v19, v23, vcc
; %bb.2867:                             ;   in Loop: Header=BB32_2643 Depth=2
	s_or_b64 exec, exec, s[40:41]
	v_lshrrev_b32_e32 v0, 16, v0
	v_lshrrev_b32_e32 v20, 16, v20
	v_and_or_b32 v16, v16, s87, v0
	v_lshrrev_b32_e32 v0, 16, v21
	v_and_or_b32 v17, v17, s87, v20
	v_and_or_b32 v18, v18, s87, v0
	v_lshrrev_b32_e32 v0, 16, v22
	v_add_co_u32_e32 v20, vcc, 0x1000, v100
	v_and_or_b32 v19, v19, s87, v0
	s_nop 0
	v_addc_co_u32_e32 v21, vcc, 0, v101, vcc
	global_store_dwordx4 v[20:21], v[16:19], off offset:2048
	v_lshlrev_b32_e32 v0, 16, v8
	v_max_f32_e32 v0, v0, v0
	s_waitcnt vmcnt(8)
	v_lshlrev_b32_e32 v16, 16, v12
	v_max_f32_e32 v16, v16, v16
	v_min_f32_e32 v17, v0, v16
	v_max_f32_e32 v0, v0, v16
	v_cndmask_b32_e64 v16, v0, v17, s[24:25]
	v_and_b32_e32 v0, 0x7f800000, v16
	v_cmp_ne_u32_e32 vcc, s85, v0
                                        ; implicit-def: $vgpr0
	s_and_saveexec_b64 s[40:41], vcc
	s_xor_b64 s[40:41], exec, s[40:41]
; %bb.2868:                             ;   in Loop: Header=BB32_2643 Depth=2
	v_bfe_u32 v0, v16, 16, 1
	v_add3_u32 v0, v16, v0, s86
                                        ; implicit-def: $vgpr16
; %bb.2869:                             ;   in Loop: Header=BB32_2643 Depth=2
	s_andn2_saveexec_b64 s[40:41], s[40:41]
; %bb.2870:                             ;   in Loop: Header=BB32_2643 Depth=2
	v_or_b32_e32 v0, 0x10000, v16
	v_cmp_eq_u32_sdwa vcc, v16, v3 src0_sel:WORD_0 src1_sel:DWORD
	s_nop 1
	v_cndmask_b32_e32 v0, v0, v16, vcc
; %bb.2871:                             ;   in Loop: Header=BB32_2643 Depth=2
	s_or_b64 exec, exec, s[40:41]
	v_and_b32_e32 v8, 0xffff0000, v8
	v_and_b32_e32 v12, 0xffff0000, v12
	v_max_f32_e32 v12, v12, v12
	v_max_f32_e32 v8, v8, v8
	v_min_f32_e32 v16, v8, v12
	v_max_f32_e32 v8, v8, v12
	v_cndmask_b32_e64 v12, v8, v16, s[24:25]
	v_and_b32_e32 v8, 0x7f800000, v12
	v_cmp_ne_u32_e32 vcc, s85, v8
                                        ; implicit-def: $vgpr8
	s_and_saveexec_b64 s[40:41], vcc
	s_xor_b64 s[40:41], exec, s[40:41]
; %bb.2872:                             ;   in Loop: Header=BB32_2643 Depth=2
	v_bfe_u32 v8, v12, 16, 1
	v_add3_u32 v8, v12, v8, s86
                                        ; implicit-def: $vgpr12
; %bb.2873:                             ;   in Loop: Header=BB32_2643 Depth=2
	s_andn2_saveexec_b64 s[40:41], s[40:41]
; %bb.2874:                             ;   in Loop: Header=BB32_2643 Depth=2
	v_or_b32_e32 v8, 0x10000, v12
	v_cmp_eq_u32_sdwa vcc, v12, v3 src0_sel:WORD_0 src1_sel:DWORD
	s_nop 1
	v_cndmask_b32_e32 v8, v8, v12, vcc
; %bb.2875:                             ;   in Loop: Header=BB32_2643 Depth=2
	s_or_b64 exec, exec, s[40:41]
	v_lshlrev_b32_e32 v12, 16, v9
	v_lshlrev_b32_e32 v16, 16, v13
	v_max_f32_e32 v16, v16, v16
	v_max_f32_e32 v12, v12, v12
	v_min_f32_e32 v17, v12, v16
	v_max_f32_e32 v12, v12, v16
	v_cndmask_b32_e64 v16, v12, v17, s[24:25]
	v_and_b32_e32 v12, 0x7f800000, v16
	v_cmp_ne_u32_e32 vcc, s85, v12
                                        ; implicit-def: $vgpr12
	s_and_saveexec_b64 s[40:41], vcc
	s_xor_b64 s[40:41], exec, s[40:41]
; %bb.2876:                             ;   in Loop: Header=BB32_2643 Depth=2
	v_bfe_u32 v12, v16, 16, 1
	v_add3_u32 v12, v16, v12, s86
                                        ; implicit-def: $vgpr16
; %bb.2877:                             ;   in Loop: Header=BB32_2643 Depth=2
	s_andn2_saveexec_b64 s[40:41], s[40:41]
; %bb.2878:                             ;   in Loop: Header=BB32_2643 Depth=2
	v_or_b32_e32 v12, 0x10000, v16
	v_cmp_eq_u32_sdwa vcc, v16, v3 src0_sel:WORD_0 src1_sel:DWORD
	s_nop 1
	v_cndmask_b32_e32 v12, v12, v16, vcc
; %bb.2879:                             ;   in Loop: Header=BB32_2643 Depth=2
	s_or_b64 exec, exec, s[40:41]
	v_and_b32_e32 v9, 0xffff0000, v9
	v_and_b32_e32 v13, 0xffff0000, v13
	v_max_f32_e32 v13, v13, v13
	v_max_f32_e32 v9, v9, v9
	v_min_f32_e32 v16, v9, v13
	v_max_f32_e32 v9, v9, v13
	v_cndmask_b32_e64 v13, v9, v16, s[24:25]
	v_and_b32_e32 v9, 0x7f800000, v13
	v_cmp_ne_u32_e32 vcc, s85, v9
                                        ; implicit-def: $vgpr9
	s_and_saveexec_b64 s[40:41], vcc
	s_xor_b64 s[40:41], exec, s[40:41]
; %bb.2880:                             ;   in Loop: Header=BB32_2643 Depth=2
	v_bfe_u32 v9, v13, 16, 1
	v_add3_u32 v9, v13, v9, s86
                                        ; implicit-def: $vgpr13
; %bb.2881:                             ;   in Loop: Header=BB32_2643 Depth=2
	s_andn2_saveexec_b64 s[40:41], s[40:41]
; %bb.2882:                             ;   in Loop: Header=BB32_2643 Depth=2
	v_or_b32_e32 v9, 0x10000, v13
	v_cmp_eq_u32_sdwa vcc, v13, v3 src0_sel:WORD_0 src1_sel:DWORD
	s_nop 1
	v_cndmask_b32_e32 v9, v9, v13, vcc
; %bb.2883:                             ;   in Loop: Header=BB32_2643 Depth=2
	s_or_b64 exec, exec, s[40:41]
	v_lshlrev_b32_e32 v13, 16, v10
	v_lshlrev_b32_e32 v16, 16, v14
	v_max_f32_e32 v16, v16, v16
	v_max_f32_e32 v13, v13, v13
	v_min_f32_e32 v17, v13, v16
	v_max_f32_e32 v13, v13, v16
	v_cndmask_b32_e64 v16, v13, v17, s[24:25]
	v_and_b32_e32 v13, 0x7f800000, v16
	v_cmp_ne_u32_e32 vcc, s85, v13
                                        ; implicit-def: $vgpr13
	s_and_saveexec_b64 s[40:41], vcc
	s_xor_b64 s[40:41], exec, s[40:41]
; %bb.2884:                             ;   in Loop: Header=BB32_2643 Depth=2
	v_bfe_u32 v13, v16, 16, 1
	v_add3_u32 v13, v16, v13, s86
                                        ; implicit-def: $vgpr16
; %bb.2885:                             ;   in Loop: Header=BB32_2643 Depth=2
	s_andn2_saveexec_b64 s[40:41], s[40:41]
; %bb.2886:                             ;   in Loop: Header=BB32_2643 Depth=2
	v_or_b32_e32 v13, 0x10000, v16
	v_cmp_eq_u32_sdwa vcc, v16, v3 src0_sel:WORD_0 src1_sel:DWORD
	s_nop 1
	v_cndmask_b32_e32 v13, v13, v16, vcc
; %bb.2887:                             ;   in Loop: Header=BB32_2643 Depth=2
	s_or_b64 exec, exec, s[40:41]
	v_and_b32_e32 v10, 0xffff0000, v10
	v_and_b32_e32 v14, 0xffff0000, v14
	v_max_f32_e32 v14, v14, v14
	v_max_f32_e32 v10, v10, v10
	v_min_f32_e32 v16, v10, v14
	v_max_f32_e32 v10, v10, v14
	v_cndmask_b32_e64 v14, v10, v16, s[24:25]
	v_and_b32_e32 v10, 0x7f800000, v14
	v_cmp_ne_u32_e32 vcc, s85, v10
                                        ; implicit-def: $vgpr10
	s_and_saveexec_b64 s[40:41], vcc
	s_xor_b64 s[40:41], exec, s[40:41]
; %bb.2888:                             ;   in Loop: Header=BB32_2643 Depth=2
	v_bfe_u32 v10, v14, 16, 1
	v_add3_u32 v10, v14, v10, s86
                                        ; implicit-def: $vgpr14
; %bb.2889:                             ;   in Loop: Header=BB32_2643 Depth=2
	s_andn2_saveexec_b64 s[40:41], s[40:41]
; %bb.2890:                             ;   in Loop: Header=BB32_2643 Depth=2
	v_or_b32_e32 v10, 0x10000, v14
	v_cmp_eq_u32_sdwa vcc, v14, v3 src0_sel:WORD_0 src1_sel:DWORD
	s_nop 1
	v_cndmask_b32_e32 v10, v10, v14, vcc
; %bb.2891:                             ;   in Loop: Header=BB32_2643 Depth=2
	s_or_b64 exec, exec, s[40:41]
	v_lshlrev_b32_e32 v14, 16, v11
	v_lshlrev_b32_e32 v16, 16, v15
	v_max_f32_e32 v16, v16, v16
	v_max_f32_e32 v14, v14, v14
	v_min_f32_e32 v17, v14, v16
	v_max_f32_e32 v14, v14, v16
	v_cndmask_b32_e64 v16, v14, v17, s[24:25]
	v_and_b32_e32 v14, 0x7f800000, v16
	v_cmp_ne_u32_e32 vcc, s85, v14
                                        ; implicit-def: $vgpr14
	s_and_saveexec_b64 s[40:41], vcc
	s_xor_b64 s[40:41], exec, s[40:41]
; %bb.2892:                             ;   in Loop: Header=BB32_2643 Depth=2
	v_bfe_u32 v14, v16, 16, 1
	v_add3_u32 v14, v16, v14, s86
                                        ; implicit-def: $vgpr16
; %bb.2893:                             ;   in Loop: Header=BB32_2643 Depth=2
	s_andn2_saveexec_b64 s[40:41], s[40:41]
; %bb.2894:                             ;   in Loop: Header=BB32_2643 Depth=2
	v_or_b32_e32 v14, 0x10000, v16
	v_cmp_eq_u32_sdwa vcc, v16, v3 src0_sel:WORD_0 src1_sel:DWORD
	s_nop 1
	v_cndmask_b32_e32 v14, v14, v16, vcc
; %bb.2895:                             ;   in Loop: Header=BB32_2643 Depth=2
	s_or_b64 exec, exec, s[40:41]
	v_and_b32_e32 v11, 0xffff0000, v11
	v_and_b32_e32 v15, 0xffff0000, v15
	v_max_f32_e32 v15, v15, v15
	v_max_f32_e32 v11, v11, v11
	v_min_f32_e32 v16, v11, v15
	v_max_f32_e32 v11, v11, v15
	v_cndmask_b32_e64 v15, v11, v16, s[24:25]
	v_and_b32_e32 v11, 0x7f800000, v15
	v_cmp_ne_u32_e32 vcc, s85, v11
                                        ; implicit-def: $vgpr11
	s_and_saveexec_b64 s[40:41], vcc
	s_xor_b64 s[40:41], exec, s[40:41]
; %bb.2896:                             ;   in Loop: Header=BB32_2643 Depth=2
	v_bfe_u32 v11, v15, 16, 1
	v_add3_u32 v11, v15, v11, s86
                                        ; implicit-def: $vgpr15
; %bb.2897:                             ;   in Loop: Header=BB32_2643 Depth=2
	s_andn2_saveexec_b64 s[40:41], s[40:41]
	s_cbranch_execz .LBB32_2642
; %bb.2898:                             ;   in Loop: Header=BB32_2643 Depth=2
	v_or_b32_e32 v11, 0x10000, v15
	v_cmp_eq_u32_sdwa vcc, v15, v3 src0_sel:WORD_0 src1_sel:DWORD
	s_nop 1
	v_cndmask_b32_e32 v11, v11, v15, vcc
	s_branch .LBB32_2642
.LBB32_2899:                            ;   in Loop: Header=BB32_47 Depth=1
	s_or_b64 exec, exec, s[28:29]
	scratch_load_dwordx2 v[112:113], off, s33 offset:256 ; 8-byte Folded Reload
	scratch_load_dword v100, off, s33 offset:252 ; 4-byte Folded Reload
	scratch_load_dwordx2 v[102:103], off, s33 offset:272 ; 8-byte Folded Reload
	scratch_load_dwordx2 v[98:99], off, s33 offset:228 ; 8-byte Folded Reload
	;; [unrolled: 1-line block ×4, first 2 shown]
	scratch_load_dword v0, off, s33 offset:280 ; 4-byte Folded Reload
	v_mov_b32_e32 v80, 0xc8
.LBB32_2900:                            ;   in Loop: Header=BB32_47 Depth=1
	s_or_b64 exec, exec, s[26:27]
	s_waitcnt vmcnt(0)
	v_lshlrev_b32_e32 v14, 13, v0
	v_cmp_ne_u32_e32 vcc, v1, v14
	s_mov_b64 s[24:25], 0
	v_mov_b32_e32 v16, 0
                                        ; implicit-def: $vgpr17
	s_and_saveexec_b64 s[38:39], vcc
	s_cbranch_execz .LBB32_2906
; %bb.2901:                             ;   in Loop: Header=BB32_47 Depth=1
	v_lshlrev_b32_e32 v0, 6, v2
	v_sub_u32_e32 v0, v120, v0
	v_sub_u32_e32 v4, v1, v14
	v_ashrrev_i32_e32 v2, 31, v0
	v_lshrrev_b32_e32 v2, 26, v2
	v_ashrrev_i32_e32 v8, 31, v4
	v_add_u32_e32 v2, v0, v2
	v_lshrrev_b32_e32 v8, 22, v8
	v_ashrrev_i32_e32 v5, 6, v2
	v_and_b32_e32 v2, 0xffffffc0, v2
	v_add_u32_e32 v8, v4, v8
	v_sub_u32_e32 v2, v0, v2
	v_and_b32_e32 v15, 0xfffffc00, v8
	v_lshlrev_b32_e32 v0, 4, v2
	v_sub_u32_e32 v17, v4, v15
	v_lshl_add_u32 v0, v5, 10, v0
	v_ashrrev_i32_e32 v9, 10, v8
	v_cmp_lt_i32_e32 vcc, 15, v17
	v_sub_u32_e32 v16, v4, v0
	s_nop 0
	v_addc_co_u32_e64 v4, s[24:25], 0, v9, vcc
	v_sub_u32_e32 v18, v4, v5
	v_cmp_lt_i32_e64 s[24:25], 15, v16
	s_and_saveexec_b64 s[48:49], s[24:25]
	s_cbranch_execz .LBB32_2905
; %bb.2902:                             ;   in Loop: Header=BB32_47 Depth=1
	s_and_b32 s76, s52, 1
	v_add_u32_e32 v4, v0, v14
	s_cmp_eq_u64 s[76:77], 0
	v_ashrrev_i32_e32 v5, 31, v4
	s_mov_b64 s[50:51], 0
	s_cselect_b64 s[24:25], -1, 0
.LBB32_2903:                            ;   Parent Loop BB32_47 Depth=1
                                        ; =>  This Inner Loop Header: Depth=2
	v_lshl_add_u64 v[10:11], v[108:109], 0, v[4:5]
	v_lshl_add_u64 v[12:13], v[28:29], 0, v[4:5]
	global_load_dwordx4 v[20:23], v[12:13], off nt
	s_nop 0
	global_load_dwordx4 v[10:13], v[10:11], off nt
	v_sub_u32_e32 v16, v16, v76
	v_cmp_gt_i32_e64 s[26:27], 16, v16
	s_or_b64 s[50:51], s[26:27], s[50:51]
	v_lshl_add_u64 v[8:9], v[118:119], 0, v[4:5]
	v_sub_u32_e32 v18, v18, v60
	v_lshl_add_u64 v[4:5], v[4:5], 0, v[76:77]
	s_waitcnt vmcnt(1)
	v_and_b32_e32 v0, 0xffff0000, v20
	s_waitcnt vmcnt(0)
	v_and_b32_e32 v19, 0xffff0000, v10
	v_lshlrev_b32_e32 v20, 16, v20
	v_lshlrev_b32_e32 v10, 16, v10
	v_and_b32_e32 v24, 0xffff0000, v21
	v_and_b32_e32 v25, 0xffff0000, v11
	v_lshlrev_b32_e32 v21, 16, v21
	v_lshlrev_b32_e32 v11, 16, v11
	v_and_b32_e32 v26, 0xffff0000, v22
	;; [unrolled: 4-line block ×3, first 2 shown]
	v_and_b32_e32 v33, 0xffff0000, v13
	v_lshlrev_b32_e32 v23, 16, v23
	v_lshlrev_b32_e32 v13, 16, v13
	v_max_f32_e32 v10, v10, v10
	v_max_f32_e32 v20, v20, v20
	;; [unrolled: 1-line block ×16, first 2 shown]
	v_min_f32_e32 v34, v20, v10
	v_max_f32_e32 v10, v20, v10
	v_min_f32_e32 v20, v0, v19
	v_max_f32_e32 v0, v0, v19
	;; [unrolled: 2-line block ×8, first 2 shown]
	v_cndmask_b32_e64 v10, v10, v34, s[24:25]
	v_cndmask_b32_e64 v0, v0, v20, s[24:25]
	v_cndmask_b32_e64 v11, v11, v19, s[24:25]
	v_cndmask_b32_e64 v19, v24, v21, s[24:25]
	v_cndmask_b32_e64 v12, v12, v25, s[24:25]
	v_cndmask_b32_e64 v20, v26, v22, s[24:25]
	v_cndmask_b32_e64 v13, v13, v27, s[24:25]
	v_cndmask_b32_e64 v21, v32, v23, s[24:25]
	v_and_b32_e32 v22, 0x7f800000, v10
	v_bfe_u32 v23, v10, 16, 1
	v_or_b32_e32 v24, 0x10000, v10
	v_cmp_eq_u32_sdwa s[26:27], v10, v3 src0_sel:WORD_0 src1_sel:DWORD
	v_and_b32_e32 v25, 0x7f800000, v0
	v_bfe_u32 v26, v0, 16, 1
	v_or_b32_e32 v27, 0x10000, v0
	v_cmp_eq_u32_sdwa s[28:29], v0, v3 src0_sel:WORD_0 src1_sel:DWORD
	v_and_b32_e32 v32, 0x7f800000, v11
	v_bfe_u32 v33, v11, 16, 1
	v_or_b32_e32 v34, 0x10000, v11
	v_cmp_eq_u32_sdwa s[40:41], v11, v3 src0_sel:WORD_0 src1_sel:DWORD
	v_bfe_u32 v36, v19, 16, 1
	v_or_b32_e32 v37, 0x10000, v19
	v_cmp_eq_u32_sdwa s[42:43], v19, v3 src0_sel:WORD_0 src1_sel:DWORD
	v_and_b32_e32 v38, 0x7f800000, v12
	v_bfe_u32 v39, v12, 16, 1
	v_or_b32_e32 v48, 0x10000, v12
	v_cmp_eq_u32_sdwa s[44:45], v12, v3 src0_sel:WORD_0 src1_sel:DWORD
	v_bfe_u32 v50, v20, 16, 1
	v_or_b32_e32 v51, 0x10000, v20
	v_cmp_eq_u32_sdwa s[46:47], v20, v3 src0_sel:WORD_0 src1_sel:DWORD
	v_and_b32_e32 v52, 0x7f800000, v13
	v_bfe_u32 v53, v13, 16, 1
	v_or_b32_e32 v54, 0x10000, v13
	v_cmp_eq_u32_sdwa s[56:57], v13, v3 src0_sel:WORD_0 src1_sel:DWORD
	v_bfe_u32 v64, v21, 16, 1
	v_or_b32_e32 v65, 0x10000, v21
	v_cmp_eq_u32_sdwa s[58:59], v21, v3 src0_sel:WORD_0 src1_sel:DWORD
	v_and_b32_e32 v35, 0x7f800000, v19
	v_and_b32_e32 v49, 0x7f800000, v20
	;; [unrolled: 1-line block ×3, first 2 shown]
	v_add3_u32 v23, v10, v23, s86
	v_cndmask_b32_e64 v10, v24, v10, s[26:27]
	v_add3_u32 v24, v0, v26, s86
	v_cndmask_b32_e64 v0, v27, v0, s[28:29]
	v_cmp_eq_u32_e64 s[26:27], s85, v25
	v_add3_u32 v25, v11, v33, s86
	v_cndmask_b32_e64 v11, v34, v11, s[40:41]
	v_cmp_eq_u32_e64 s[28:29], s85, v32
	v_add3_u32 v26, v19, v36, s86
	v_cndmask_b32_e64 v19, v37, v19, s[42:43]
	v_add3_u32 v27, v12, v39, s86
	v_cndmask_b32_e64 v12, v48, v12, s[44:45]
	v_cmp_eq_u32_e64 s[42:43], s85, v38
	v_add3_u32 v32, v20, v50, s86
	v_cndmask_b32_e64 v20, v51, v20, s[46:47]
	;; [unrolled: 5-line block ×3, first 2 shown]
	v_cmp_eq_u32_e64 s[58:59], s85, v22
	v_cmp_eq_u32_e64 s[40:41], s85, v35
	;; [unrolled: 1-line block ×4, first 2 shown]
	v_cndmask_b32_e64 v10, v23, v10, s[58:59]
	v_cndmask_b32_e64 v11, v25, v11, s[28:29]
	;; [unrolled: 1-line block ×8, first 2 shown]
	v_lshrrev_b32_e32 v11, 16, v11
	v_lshrrev_b32_e32 v10, 16, v10
	;; [unrolled: 1-line block ×4, first 2 shown]
	v_and_or_b32 v11, v19, s87, v11
	v_and_or_b32 v10, v0, s87, v10
	;; [unrolled: 1-line block ×4, first 2 shown]
	global_store_dwordx4 v[8:9], v[10:13], off
	s_andn2_b64 exec, exec, s[50:51]
	s_cbranch_execnz .LBB32_2903
; %bb.2904:                             ;   in Loop: Header=BB32_47 Depth=1
	s_or_b64 exec, exec, s[50:51]
.LBB32_2905:                            ;   in Loop: Header=BB32_47 Depth=1
	s_or_b64 exec, exec, s[48:49]
	v_and_b32_e32 v0, 14, v1
	v_sub_u32_e32 v1, v17, v0
	v_cndmask_b32_e32 v1, 0, v1, vcc
	v_add3_u32 v16, v15, v14, v1
	v_cndmask_b32_e32 v1, v17, v0, vcc
	v_cmp_lt_i32_e32 vcc, 0, v18
	s_nop 1
	v_cndmask_b32_e32 v0, 0, v60, vcc
	v_sub_u32_e32 v0, v0, v18
	v_cmp_ne_u32_e32 vcc, 0, v1
	v_lshl_add_u32 v17, v0, 6, v2
	s_and_b64 s[24:25], vcc, exec
.LBB32_2906:                            ;   in Loop: Header=BB32_47 Depth=1
	s_or_b64 exec, exec, s[38:39]
	s_and_saveexec_b64 s[26:27], s[24:25]
	s_cbranch_execz .LBB32_2979
.LBB32_2907:                            ;   in Loop: Header=BB32_47 Depth=1
	s_waitcnt vmcnt(0)
	v_ashrrev_i32_e32 v0, 31, v17
	v_ashrrev_i32_e32 v4, 31, v1
	v_lshrrev_b32_e32 v0, 26, v0
	v_lshrrev_b32_e32 v4, 21, v4
	v_add_u32_e32 v0, v17, v0
	v_add_u32_e32 v4, v1, v4
	v_ashrrev_i32_e32 v2, 6, v0
	v_ashrrev_i32_e32 v19, 11, v4
	v_sub_u32_e32 v18, v19, v2
	v_cmp_lt_i32_e32 vcc, 0, v18
	s_and_saveexec_b64 s[28:29], vcc
	s_cbranch_execz .LBB32_2975
; %bb.2908:                             ;   in Loop: Header=BB32_47 Depth=1
	v_and_b32_e32 v0, 0x7fffffc0, v0
	v_sub_u32_e32 v0, v17, v0
	v_lshlrev_b32_e32 v0, 1, v0
	v_lshlrev_b32_e32 v4, 11, v2
	s_and_b32 s76, s52, 1
	v_add3_u32 v4, v0, v16, v4
	s_cmp_eq_u64 s[76:77], 0
	v_ashrrev_i32_e32 v5, 31, v4
	s_mov_b64 s[40:41], 0
	s_cselect_b64 vcc, -1, 0
	v_mov_b64_e32 v[8:9], v[118:119]
	v_mov_b64_e32 v[10:11], v[28:29]
	;; [unrolled: 1-line block ×3, first 2 shown]
	s_branch .LBB32_2910
.LBB32_2909:                            ;   in Loop: Header=BB32_2910 Depth=2
	s_or_b64 exec, exec, s[42:43]
	v_sub_u32_e32 v18, v18, v60
	v_cmp_gt_i32_e64 s[24:25], 1, v18
	v_lshl_add_u64 v[12:13], v[12:13], 0, v[78:79]
	v_lshl_add_u64 v[10:11], v[10:11], 0, v[78:79]
	s_or_b64 s[40:41], s[24:25], s[40:41]
	v_lshl_add_u64 v[8:9], v[8:9], 0, v[78:79]
	flat_store_short_d16_hi v[14:15], v20 offset:1920 nt
	s_andn2_b64 exec, exec, s[40:41]
	s_cbranch_execz .LBB32_2974
.LBB32_2910:                            ;   Parent Loop BB32_47 Depth=1
                                        ; =>  This Inner Loop Header: Depth=2
	v_lshl_add_u64 v[68:69], v[4:5], 0, v[10:11]
	v_lshl_add_u64 v[14:15], v[4:5], 0, v[12:13]
	flat_load_ushort v38, v[68:69] offset:1024 nt
	flat_load_ushort v36, v[68:69] offset:1152 nt
	;; [unrolled: 1-line block ×15, first 2 shown]
	s_nop 0
	flat_load_ushort v69, v[68:69] nt
	s_nop 0
	flat_load_ushort v68, v[14:15] offset:128 nt
	flat_load_ushort v66, v[14:15] offset:256 nt
	;; [unrolled: 1-line block ×7, first 2 shown]
	flat_load_ushort v70, v[14:15] nt
	flat_load_ushort v39, v[14:15] offset:1024 nt
	flat_load_ushort v37, v[14:15] offset:1152 nt
	;; [unrolled: 1-line block ×8, first 2 shown]
	s_waitcnt vmcnt(0) lgkmcnt(0)
	v_lshlrev_b32_e32 v14, 16, v69
	v_max_f32_e32 v14, v14, v14
	v_lshlrev_b32_e32 v15, 16, v70
	v_max_f32_e32 v15, v15, v15
	v_min_f32_e32 v69, v14, v15
	v_max_f32_e32 v14, v14, v15
	v_cndmask_b32_e32 v14, v14, v69, vcc
	v_and_b32_e32 v15, 0x7f800000, v14
	v_cmp_ne_u32_e64 s[24:25], s85, v15
                                        ; implicit-def: $vgpr69
	s_and_saveexec_b64 s[42:43], s[24:25]
	s_xor_b64 s[24:25], exec, s[42:43]
; %bb.2911:                             ;   in Loop: Header=BB32_2910 Depth=2
	v_bfe_u32 v15, v14, 16, 1
	v_add3_u32 v69, v14, v15, s86
                                        ; implicit-def: $vgpr14
; %bb.2912:                             ;   in Loop: Header=BB32_2910 Depth=2
	s_andn2_saveexec_b64 s[42:43], s[24:25]
; %bb.2913:                             ;   in Loop: Header=BB32_2910 Depth=2
	v_or_b32_e32 v15, 0x10000, v14
	v_cmp_eq_u32_sdwa s[24:25], v14, v3 src0_sel:WORD_0 src1_sel:DWORD
	s_nop 1
	v_cndmask_b32_e64 v69, v15, v14, s[24:25]
; %bb.2914:                             ;   in Loop: Header=BB32_2910 Depth=2
	s_or_b64 exec, exec, s[42:43]
	v_lshlrev_b32_e32 v67, 16, v67
	v_lshlrev_b32_e32 v68, 16, v68
	v_lshl_add_u64 v[14:15], v[4:5], 0, v[8:9]
	v_max_f32_e32 v68, v68, v68
	v_max_f32_e32 v67, v67, v67
	flat_store_short_d16_hi v[14:15], v69 nt
	v_min_f32_e32 v69, v67, v68
	v_max_f32_e32 v67, v67, v68
	v_cndmask_b32_e32 v67, v67, v69, vcc
	v_and_b32_e32 v68, 0x7f800000, v67
	v_cmp_ne_u32_e64 s[24:25], s85, v68
                                        ; implicit-def: $vgpr68
	s_and_saveexec_b64 s[42:43], s[24:25]
	s_xor_b64 s[24:25], exec, s[42:43]
; %bb.2915:                             ;   in Loop: Header=BB32_2910 Depth=2
	v_bfe_u32 v68, v67, 16, 1
	v_add3_u32 v68, v67, v68, s86
                                        ; implicit-def: $vgpr67
; %bb.2916:                             ;   in Loop: Header=BB32_2910 Depth=2
	s_andn2_saveexec_b64 s[42:43], s[24:25]
; %bb.2917:                             ;   in Loop: Header=BB32_2910 Depth=2
	v_or_b32_e32 v68, 0x10000, v67
	v_cmp_eq_u32_sdwa s[24:25], v67, v3 src0_sel:WORD_0 src1_sel:DWORD
	s_nop 1
	v_cndmask_b32_e64 v68, v68, v67, s[24:25]
; %bb.2918:                             ;   in Loop: Header=BB32_2910 Depth=2
	s_or_b64 exec, exec, s[42:43]
	v_lshlrev_b32_e32 v65, 16, v65
	v_lshlrev_b32_e32 v66, 16, v66
	v_max_f32_e32 v66, v66, v66
	v_max_f32_e32 v65, v65, v65
	v_min_f32_e32 v67, v65, v66
	v_max_f32_e32 v65, v65, v66
	v_cndmask_b32_e32 v65, v65, v67, vcc
	v_and_b32_e32 v66, 0x7f800000, v65
	v_cmp_ne_u32_e64 s[24:25], s85, v66
	flat_store_short_d16_hi v[14:15], v68 offset:128 nt
                                        ; implicit-def: $vgpr66
	s_and_saveexec_b64 s[42:43], s[24:25]
	s_xor_b64 s[24:25], exec, s[42:43]
; %bb.2919:                             ;   in Loop: Header=BB32_2910 Depth=2
	v_bfe_u32 v66, v65, 16, 1
	v_add3_u32 v66, v65, v66, s86
                                        ; implicit-def: $vgpr65
; %bb.2920:                             ;   in Loop: Header=BB32_2910 Depth=2
	s_andn2_saveexec_b64 s[42:43], s[24:25]
; %bb.2921:                             ;   in Loop: Header=BB32_2910 Depth=2
	v_or_b32_e32 v66, 0x10000, v65
	v_cmp_eq_u32_sdwa s[24:25], v65, v3 src0_sel:WORD_0 src1_sel:DWORD
	s_nop 1
	v_cndmask_b32_e64 v66, v66, v65, s[24:25]
; %bb.2922:                             ;   in Loop: Header=BB32_2910 Depth=2
	s_or_b64 exec, exec, s[42:43]
	v_lshlrev_b32_e32 v55, 16, v55
	v_lshlrev_b32_e32 v64, 16, v64
	v_max_f32_e32 v64, v64, v64
	v_max_f32_e32 v55, v55, v55
	v_min_f32_e32 v65, v55, v64
	v_max_f32_e32 v55, v55, v64
	v_cndmask_b32_e32 v55, v55, v65, vcc
	v_and_b32_e32 v64, 0x7f800000, v55
	v_cmp_ne_u32_e64 s[24:25], s85, v64
	flat_store_short_d16_hi v[14:15], v66 offset:256 nt
                                        ; implicit-def: $vgpr64
	s_and_saveexec_b64 s[42:43], s[24:25]
	s_xor_b64 s[24:25], exec, s[42:43]
; %bb.2923:                             ;   in Loop: Header=BB32_2910 Depth=2
	v_bfe_u32 v64, v55, 16, 1
	v_add3_u32 v64, v55, v64, s86
                                        ; implicit-def: $vgpr55
; %bb.2924:                             ;   in Loop: Header=BB32_2910 Depth=2
	s_andn2_saveexec_b64 s[42:43], s[24:25]
; %bb.2925:                             ;   in Loop: Header=BB32_2910 Depth=2
	v_or_b32_e32 v64, 0x10000, v55
	v_cmp_eq_u32_sdwa s[24:25], v55, v3 src0_sel:WORD_0 src1_sel:DWORD
	s_nop 1
	v_cndmask_b32_e64 v64, v64, v55, s[24:25]
; %bb.2926:                             ;   in Loop: Header=BB32_2910 Depth=2
	s_or_b64 exec, exec, s[42:43]
	v_lshlrev_b32_e32 v53, 16, v53
	v_lshlrev_b32_e32 v54, 16, v54
	v_max_f32_e32 v54, v54, v54
	v_max_f32_e32 v53, v53, v53
	v_min_f32_e32 v55, v53, v54
	v_max_f32_e32 v53, v53, v54
	v_cndmask_b32_e32 v53, v53, v55, vcc
	v_and_b32_e32 v54, 0x7f800000, v53
	v_cmp_ne_u32_e64 s[24:25], s85, v54
	flat_store_short_d16_hi v[14:15], v64 offset:384 nt
                                        ; implicit-def: $vgpr54
	s_and_saveexec_b64 s[42:43], s[24:25]
	s_xor_b64 s[24:25], exec, s[42:43]
; %bb.2927:                             ;   in Loop: Header=BB32_2910 Depth=2
	v_bfe_u32 v54, v53, 16, 1
	v_add3_u32 v54, v53, v54, s86
                                        ; implicit-def: $vgpr53
; %bb.2928:                             ;   in Loop: Header=BB32_2910 Depth=2
	s_andn2_saveexec_b64 s[42:43], s[24:25]
; %bb.2929:                             ;   in Loop: Header=BB32_2910 Depth=2
	v_or_b32_e32 v54, 0x10000, v53
	v_cmp_eq_u32_sdwa s[24:25], v53, v3 src0_sel:WORD_0 src1_sel:DWORD
	s_nop 1
	v_cndmask_b32_e64 v54, v54, v53, s[24:25]
; %bb.2930:                             ;   in Loop: Header=BB32_2910 Depth=2
	s_or_b64 exec, exec, s[42:43]
	v_lshlrev_b32_e32 v51, 16, v51
	v_lshlrev_b32_e32 v52, 16, v52
	v_max_f32_e32 v52, v52, v52
	v_max_f32_e32 v51, v51, v51
	v_min_f32_e32 v53, v51, v52
	v_max_f32_e32 v51, v51, v52
	v_cndmask_b32_e32 v51, v51, v53, vcc
	v_and_b32_e32 v52, 0x7f800000, v51
	v_cmp_ne_u32_e64 s[24:25], s85, v52
	flat_store_short_d16_hi v[14:15], v54 offset:512 nt
                                        ; implicit-def: $vgpr52
	s_and_saveexec_b64 s[42:43], s[24:25]
	s_xor_b64 s[24:25], exec, s[42:43]
; %bb.2931:                             ;   in Loop: Header=BB32_2910 Depth=2
	v_bfe_u32 v52, v51, 16, 1
	v_add3_u32 v52, v51, v52, s86
                                        ; implicit-def: $vgpr51
; %bb.2932:                             ;   in Loop: Header=BB32_2910 Depth=2
	s_andn2_saveexec_b64 s[42:43], s[24:25]
; %bb.2933:                             ;   in Loop: Header=BB32_2910 Depth=2
	v_or_b32_e32 v52, 0x10000, v51
	v_cmp_eq_u32_sdwa s[24:25], v51, v3 src0_sel:WORD_0 src1_sel:DWORD
	s_nop 1
	v_cndmask_b32_e64 v52, v52, v51, s[24:25]
; %bb.2934:                             ;   in Loop: Header=BB32_2910 Depth=2
	s_or_b64 exec, exec, s[42:43]
	v_lshlrev_b32_e32 v49, 16, v49
	v_lshlrev_b32_e32 v50, 16, v50
	v_max_f32_e32 v50, v50, v50
	v_max_f32_e32 v49, v49, v49
	v_min_f32_e32 v51, v49, v50
	v_max_f32_e32 v49, v49, v50
	v_cndmask_b32_e32 v49, v49, v51, vcc
	v_and_b32_e32 v50, 0x7f800000, v49
	v_cmp_ne_u32_e64 s[24:25], s85, v50
	flat_store_short_d16_hi v[14:15], v52 offset:640 nt
                                        ; implicit-def: $vgpr50
	s_and_saveexec_b64 s[42:43], s[24:25]
	s_xor_b64 s[24:25], exec, s[42:43]
; %bb.2935:                             ;   in Loop: Header=BB32_2910 Depth=2
	v_bfe_u32 v50, v49, 16, 1
	v_add3_u32 v50, v49, v50, s86
                                        ; implicit-def: $vgpr49
; %bb.2936:                             ;   in Loop: Header=BB32_2910 Depth=2
	s_andn2_saveexec_b64 s[42:43], s[24:25]
; %bb.2937:                             ;   in Loop: Header=BB32_2910 Depth=2
	v_or_b32_e32 v50, 0x10000, v49
	v_cmp_eq_u32_sdwa s[24:25], v49, v3 src0_sel:WORD_0 src1_sel:DWORD
	s_nop 1
	v_cndmask_b32_e64 v50, v50, v49, s[24:25]
; %bb.2938:                             ;   in Loop: Header=BB32_2910 Depth=2
	s_or_b64 exec, exec, s[42:43]
	v_lshlrev_b32_e32 v48, 16, v48
	v_lshlrev_b32_e32 v0, 16, v0
	v_max_f32_e32 v0, v0, v0
	v_max_f32_e32 v48, v48, v48
	v_min_f32_e32 v49, v48, v0
	v_max_f32_e32 v0, v48, v0
	v_cndmask_b32_e32 v0, v0, v49, vcc
	v_and_b32_e32 v48, 0x7f800000, v0
	v_cmp_ne_u32_e64 s[24:25], s85, v48
	flat_store_short_d16_hi v[14:15], v50 offset:768 nt
                                        ; implicit-def: $vgpr48
	s_and_saveexec_b64 s[42:43], s[24:25]
	s_xor_b64 s[24:25], exec, s[42:43]
; %bb.2939:                             ;   in Loop: Header=BB32_2910 Depth=2
	v_bfe_u32 v48, v0, 16, 1
	v_add3_u32 v48, v0, v48, s86
                                        ; implicit-def: $vgpr0
; %bb.2940:                             ;   in Loop: Header=BB32_2910 Depth=2
	s_andn2_saveexec_b64 s[42:43], s[24:25]
; %bb.2941:                             ;   in Loop: Header=BB32_2910 Depth=2
	v_or_b32_e32 v48, 0x10000, v0
	v_cmp_eq_u32_sdwa s[24:25], v0, v3 src0_sel:WORD_0 src1_sel:DWORD
	s_nop 1
	v_cndmask_b32_e64 v48, v48, v0, s[24:25]
; %bb.2942:                             ;   in Loop: Header=BB32_2910 Depth=2
	s_or_b64 exec, exec, s[42:43]
	v_lshlrev_b32_e32 v0, 16, v38
	v_lshlrev_b32_e32 v38, 16, v39
	v_max_f32_e32 v38, v38, v38
	v_max_f32_e32 v0, v0, v0
	v_min_f32_e32 v39, v0, v38
	v_max_f32_e32 v0, v0, v38
	v_cndmask_b32_e32 v0, v0, v39, vcc
	v_and_b32_e32 v38, 0x7f800000, v0
	v_cmp_ne_u32_e64 s[24:25], s85, v38
	flat_store_short_d16_hi v[14:15], v48 offset:896 nt
                                        ; implicit-def: $vgpr38
	s_and_saveexec_b64 s[42:43], s[24:25]
	s_xor_b64 s[24:25], exec, s[42:43]
; %bb.2943:                             ;   in Loop: Header=BB32_2910 Depth=2
	v_bfe_u32 v38, v0, 16, 1
	v_add3_u32 v38, v0, v38, s86
                                        ; implicit-def: $vgpr0
; %bb.2944:                             ;   in Loop: Header=BB32_2910 Depth=2
	s_andn2_saveexec_b64 s[42:43], s[24:25]
; %bb.2945:                             ;   in Loop: Header=BB32_2910 Depth=2
	v_or_b32_e32 v38, 0x10000, v0
	v_cmp_eq_u32_sdwa s[24:25], v0, v3 src0_sel:WORD_0 src1_sel:DWORD
	s_nop 1
	v_cndmask_b32_e64 v38, v38, v0, s[24:25]
; %bb.2946:                             ;   in Loop: Header=BB32_2910 Depth=2
	s_or_b64 exec, exec, s[42:43]
	v_lshlrev_b32_e32 v0, 16, v36
	v_lshlrev_b32_e32 v36, 16, v37
	v_max_f32_e32 v36, v36, v36
	v_max_f32_e32 v0, v0, v0
	v_min_f32_e32 v37, v0, v36
	v_max_f32_e32 v0, v0, v36
	v_cndmask_b32_e32 v0, v0, v37, vcc
	v_and_b32_e32 v36, 0x7f800000, v0
	v_cmp_ne_u32_e64 s[24:25], s85, v36
	flat_store_short_d16_hi v[14:15], v38 offset:1024 nt
                                        ; implicit-def: $vgpr36
	s_and_saveexec_b64 s[42:43], s[24:25]
	s_xor_b64 s[24:25], exec, s[42:43]
; %bb.2947:                             ;   in Loop: Header=BB32_2910 Depth=2
	v_bfe_u32 v36, v0, 16, 1
	v_add3_u32 v36, v0, v36, s86
                                        ; implicit-def: $vgpr0
; %bb.2948:                             ;   in Loop: Header=BB32_2910 Depth=2
	s_andn2_saveexec_b64 s[42:43], s[24:25]
; %bb.2949:                             ;   in Loop: Header=BB32_2910 Depth=2
	v_or_b32_e32 v36, 0x10000, v0
	v_cmp_eq_u32_sdwa s[24:25], v0, v3 src0_sel:WORD_0 src1_sel:DWORD
	s_nop 1
	v_cndmask_b32_e64 v36, v36, v0, s[24:25]
; %bb.2950:                             ;   in Loop: Header=BB32_2910 Depth=2
	s_or_b64 exec, exec, s[42:43]
	v_lshlrev_b32_e32 v0, 16, v34
	v_lshlrev_b32_e32 v34, 16, v35
	v_max_f32_e32 v34, v34, v34
	v_max_f32_e32 v0, v0, v0
	v_min_f32_e32 v35, v0, v34
	v_max_f32_e32 v0, v0, v34
	v_cndmask_b32_e32 v0, v0, v35, vcc
	v_and_b32_e32 v34, 0x7f800000, v0
	v_cmp_ne_u32_e64 s[24:25], s85, v34
	flat_store_short_d16_hi v[14:15], v36 offset:1152 nt
                                        ; implicit-def: $vgpr34
	s_and_saveexec_b64 s[42:43], s[24:25]
	s_xor_b64 s[24:25], exec, s[42:43]
; %bb.2951:                             ;   in Loop: Header=BB32_2910 Depth=2
	v_bfe_u32 v34, v0, 16, 1
	v_add3_u32 v34, v0, v34, s86
                                        ; implicit-def: $vgpr0
; %bb.2952:                             ;   in Loop: Header=BB32_2910 Depth=2
	s_andn2_saveexec_b64 s[42:43], s[24:25]
; %bb.2953:                             ;   in Loop: Header=BB32_2910 Depth=2
	v_or_b32_e32 v34, 0x10000, v0
	v_cmp_eq_u32_sdwa s[24:25], v0, v3 src0_sel:WORD_0 src1_sel:DWORD
	s_nop 1
	v_cndmask_b32_e64 v34, v34, v0, s[24:25]
; %bb.2954:                             ;   in Loop: Header=BB32_2910 Depth=2
	s_or_b64 exec, exec, s[42:43]
	v_lshlrev_b32_e32 v0, 16, v32
	v_lshlrev_b32_e32 v32, 16, v33
	v_max_f32_e32 v32, v32, v32
	v_max_f32_e32 v0, v0, v0
	v_min_f32_e32 v33, v0, v32
	v_max_f32_e32 v0, v0, v32
	v_cndmask_b32_e32 v0, v0, v33, vcc
	v_and_b32_e32 v32, 0x7f800000, v0
	v_cmp_ne_u32_e64 s[24:25], s85, v32
	flat_store_short_d16_hi v[14:15], v34 offset:1280 nt
                                        ; implicit-def: $vgpr32
	s_and_saveexec_b64 s[42:43], s[24:25]
	s_xor_b64 s[24:25], exec, s[42:43]
; %bb.2955:                             ;   in Loop: Header=BB32_2910 Depth=2
	v_bfe_u32 v32, v0, 16, 1
	v_add3_u32 v32, v0, v32, s86
                                        ; implicit-def: $vgpr0
; %bb.2956:                             ;   in Loop: Header=BB32_2910 Depth=2
	s_andn2_saveexec_b64 s[42:43], s[24:25]
; %bb.2957:                             ;   in Loop: Header=BB32_2910 Depth=2
	v_or_b32_e32 v32, 0x10000, v0
	v_cmp_eq_u32_sdwa s[24:25], v0, v3 src0_sel:WORD_0 src1_sel:DWORD
	s_nop 1
	v_cndmask_b32_e64 v32, v32, v0, s[24:25]
; %bb.2958:                             ;   in Loop: Header=BB32_2910 Depth=2
	s_or_b64 exec, exec, s[42:43]
	v_lshlrev_b32_e32 v0, 16, v26
	v_lshlrev_b32_e32 v26, 16, v27
	v_max_f32_e32 v26, v26, v26
	v_max_f32_e32 v0, v0, v0
	v_min_f32_e32 v27, v0, v26
	v_max_f32_e32 v0, v0, v26
	v_cndmask_b32_e32 v0, v0, v27, vcc
	v_and_b32_e32 v26, 0x7f800000, v0
	v_cmp_ne_u32_e64 s[24:25], s85, v26
	flat_store_short_d16_hi v[14:15], v32 offset:1408 nt
                                        ; implicit-def: $vgpr26
	s_and_saveexec_b64 s[42:43], s[24:25]
	s_xor_b64 s[24:25], exec, s[42:43]
; %bb.2959:                             ;   in Loop: Header=BB32_2910 Depth=2
	v_bfe_u32 v26, v0, 16, 1
	v_add3_u32 v26, v0, v26, s86
                                        ; implicit-def: $vgpr0
; %bb.2960:                             ;   in Loop: Header=BB32_2910 Depth=2
	s_andn2_saveexec_b64 s[42:43], s[24:25]
; %bb.2961:                             ;   in Loop: Header=BB32_2910 Depth=2
	v_or_b32_e32 v26, 0x10000, v0
	v_cmp_eq_u32_sdwa s[24:25], v0, v3 src0_sel:WORD_0 src1_sel:DWORD
	s_nop 1
	v_cndmask_b32_e64 v26, v26, v0, s[24:25]
; %bb.2962:                             ;   in Loop: Header=BB32_2910 Depth=2
	s_or_b64 exec, exec, s[42:43]
	v_lshlrev_b32_e32 v0, 16, v24
	v_lshlrev_b32_e32 v24, 16, v25
	v_max_f32_e32 v24, v24, v24
	v_max_f32_e32 v0, v0, v0
	v_min_f32_e32 v25, v0, v24
	v_max_f32_e32 v0, v0, v24
	v_cndmask_b32_e32 v0, v0, v25, vcc
	v_and_b32_e32 v24, 0x7f800000, v0
	v_cmp_ne_u32_e64 s[24:25], s85, v24
	flat_store_short_d16_hi v[14:15], v26 offset:1536 nt
                                        ; implicit-def: $vgpr24
	s_and_saveexec_b64 s[42:43], s[24:25]
	s_xor_b64 s[24:25], exec, s[42:43]
; %bb.2963:                             ;   in Loop: Header=BB32_2910 Depth=2
	v_bfe_u32 v24, v0, 16, 1
	v_add3_u32 v24, v0, v24, s86
                                        ; implicit-def: $vgpr0
; %bb.2964:                             ;   in Loop: Header=BB32_2910 Depth=2
	s_andn2_saveexec_b64 s[42:43], s[24:25]
; %bb.2965:                             ;   in Loop: Header=BB32_2910 Depth=2
	v_or_b32_e32 v24, 0x10000, v0
	v_cmp_eq_u32_sdwa s[24:25], v0, v3 src0_sel:WORD_0 src1_sel:DWORD
	s_nop 1
	v_cndmask_b32_e64 v24, v24, v0, s[24:25]
; %bb.2966:                             ;   in Loop: Header=BB32_2910 Depth=2
	s_or_b64 exec, exec, s[42:43]
	v_lshlrev_b32_e32 v0, 16, v22
	v_lshlrev_b32_e32 v22, 16, v23
	v_max_f32_e32 v22, v22, v22
	v_max_f32_e32 v0, v0, v0
	v_min_f32_e32 v23, v0, v22
	v_max_f32_e32 v0, v0, v22
	v_cndmask_b32_e32 v0, v0, v23, vcc
	v_and_b32_e32 v22, 0x7f800000, v0
	v_cmp_ne_u32_e64 s[24:25], s85, v22
	flat_store_short_d16_hi v[14:15], v24 offset:1664 nt
                                        ; implicit-def: $vgpr22
	s_and_saveexec_b64 s[42:43], s[24:25]
	s_xor_b64 s[24:25], exec, s[42:43]
; %bb.2967:                             ;   in Loop: Header=BB32_2910 Depth=2
	v_bfe_u32 v22, v0, 16, 1
	v_add3_u32 v22, v0, v22, s86
                                        ; implicit-def: $vgpr0
; %bb.2968:                             ;   in Loop: Header=BB32_2910 Depth=2
	s_andn2_saveexec_b64 s[42:43], s[24:25]
; %bb.2969:                             ;   in Loop: Header=BB32_2910 Depth=2
	v_or_b32_e32 v22, 0x10000, v0
	v_cmp_eq_u32_sdwa s[24:25], v0, v3 src0_sel:WORD_0 src1_sel:DWORD
	s_nop 1
	v_cndmask_b32_e64 v22, v22, v0, s[24:25]
; %bb.2970:                             ;   in Loop: Header=BB32_2910 Depth=2
	s_or_b64 exec, exec, s[42:43]
	v_lshlrev_b32_e32 v0, 16, v20
	v_lshlrev_b32_e32 v20, 16, v21
	v_max_f32_e32 v20, v20, v20
	v_max_f32_e32 v0, v0, v0
	v_min_f32_e32 v21, v0, v20
	v_max_f32_e32 v0, v0, v20
	v_cndmask_b32_e32 v0, v0, v21, vcc
	v_and_b32_e32 v20, 0x7f800000, v0
	v_cmp_ne_u32_e64 s[24:25], s85, v20
	flat_store_short_d16_hi v[14:15], v22 offset:1792 nt
                                        ; implicit-def: $vgpr20
	s_and_saveexec_b64 s[42:43], s[24:25]
	s_xor_b64 s[24:25], exec, s[42:43]
; %bb.2971:                             ;   in Loop: Header=BB32_2910 Depth=2
	v_bfe_u32 v20, v0, 16, 1
	v_add3_u32 v20, v0, v20, s86
                                        ; implicit-def: $vgpr0
; %bb.2972:                             ;   in Loop: Header=BB32_2910 Depth=2
	s_andn2_saveexec_b64 s[42:43], s[24:25]
	s_cbranch_execz .LBB32_2909
; %bb.2973:                             ;   in Loop: Header=BB32_2910 Depth=2
	v_or_b32_e32 v20, 0x10000, v0
	v_cmp_eq_u32_sdwa s[24:25], v0, v3 src0_sel:WORD_0 src1_sel:DWORD
	s_nop 1
	v_cndmask_b32_e64 v20, v20, v0, s[24:25]
	s_branch .LBB32_2909
.LBB32_2974:                            ;   in Loop: Header=BB32_47 Depth=1
	s_or_b64 exec, exec, s[40:41]
.LBB32_2975:                            ;   in Loop: Header=BB32_47 Depth=1
	s_or_b64 exec, exec, s[28:29]
	v_lshlrev_b32_e32 v0, 11, v19
	v_cmp_ne_u32_e32 vcc, v1, v0
	s_and_b64 exec, exec, vcc
	s_cbranch_execz .LBB32_2979
; %bb.2976:                             ;   in Loop: Header=BB32_47 Depth=1
	v_lshlrev_b32_e32 v2, 6, v2
	v_sub_u32_e32 v2, v17, v2
	v_lshlrev_b32_e32 v4, 6, v18
	v_sub_u32_e32 v2, v2, v4
	v_ashrrev_i32_e32 v4, 31, v2
	v_lshrrev_b32_e32 v4, 26, v4
	v_add_u32_e32 v4, v2, v4
	v_and_b32_e32 v5, 0x7fffffc0, v4
	v_sub_u32_e32 v2, v2, v5
	v_lshlrev_b32_e32 v4, 1, v4
	v_and_b32_e32 v4, 0xffffff80, v4
	v_lshlrev_b32_e32 v2, 1, v2
	v_add3_u32 v2, v4, v2, v0
	v_sub_u32_e32 v0, v1, v2
	v_cmp_lt_i32_e32 vcc, 1, v0
	s_and_b64 exec, exec, vcc
	s_cbranch_execz .LBB32_2979
; %bb.2977:                             ;   in Loop: Header=BB32_47 Depth=1
	s_and_b32 s76, s52, 1
	v_add_u32_e32 v4, v2, v16
	s_cmp_eq_u64 s[76:77], 0
	v_ashrrev_i32_e32 v5, 31, v4
	s_mov_b64 s[28:29], 0
	s_cselect_b64 vcc, -1, 0
.LBB32_2978:                            ;   Parent Loop BB32_47 Depth=1
                                        ; =>  This Inner Loop Header: Depth=2
	v_lshl_add_u64 v[10:11], v[28:29], 0, v[4:5]
	v_lshl_add_u64 v[8:9], v[108:109], 0, v[4:5]
	flat_load_ushort v1, v[10:11] nt
	flat_load_ushort v2, v[8:9] nt
	v_sub_u32_e32 v0, v0, v88
	v_cmp_gt_i32_e64 s[24:25], 2, v0
	s_or_b64 s[28:29], s[24:25], s[28:29]
	v_lshl_add_u64 v[8:9], v[118:119], 0, v[4:5]
	v_lshl_add_u64 v[4:5], v[4:5], 0, v[88:89]
	s_waitcnt vmcnt(0) lgkmcnt(0)
	v_lshlrev_b32_e32 v1, 16, v1
	v_lshlrev_b32_e32 v2, 16, v2
	v_max_f32_e32 v2, v2, v2
	v_max_f32_e32 v1, v1, v1
	v_min_f32_e32 v10, v1, v2
	v_max_f32_e32 v1, v1, v2
	v_cndmask_b32_e32 v1, v1, v10, vcc
	v_and_b32_e32 v2, 0x7f800000, v1
	v_bfe_u32 v10, v1, 16, 1
	v_or_b32_e32 v11, 0x10000, v1
	v_cmp_eq_u32_sdwa s[24:25], v1, v3 src0_sel:WORD_0 src1_sel:DWORD
	v_add3_u32 v10, v1, v10, s86
	s_nop 0
	v_cndmask_b32_e64 v1, v11, v1, s[24:25]
	v_cmp_eq_u32_e64 s[24:25], s85, v2
	s_nop 1
	v_cndmask_b32_e64 v1, v10, v1, s[24:25]
	flat_store_short_d16_hi v[8:9], v1 nt
	s_andn2_b64 exec, exec, s[28:29]
	s_cbranch_execnz .LBB32_2978
.LBB32_2979:                            ;   in Loop: Header=BB32_47 Depth=1
	s_or_b64 exec, exec, s[26:27]
	v_cmp_lt_i32_e64 s[24:25], 0, v121
.LBB32_2980:                            ;   in Loop: Header=BB32_47 Depth=1
	scratch_load_dwordx4 v[8:11], off, s33 offset:236 ; 16-byte Folded Reload
	v_ashrrev_i32_e32 v119, 31, v30
	s_waitcnt vmcnt(0)
	v_mov_b64_e32 v[114:115], v[8:9]
	s_and_saveexec_b64 s[26:27], s[6:7]
	s_cbranch_execz .LBB32_2635
.LBB32_2981:                            ;   in Loop: Header=BB32_47 Depth=1
	s_and_saveexec_b64 s[28:29], s[78:79]
	s_xor_b64 s[28:29], exec, s[28:29]
	s_cbranch_execz .LBB32_2996
; %bb.2982:                             ;   in Loop: Header=BB32_47 Depth=1
	s_and_saveexec_b64 s[40:41], s[14:15]
	s_cbranch_execz .LBB32_2995
; %bb.2983:                             ;   in Loop: Header=BB32_47 Depth=1
	s_mov_b64 s[44:45], exec
	v_mbcnt_lo_u32_b32 v0, s44, 0
	v_mbcnt_hi_u32_b32 v0, s45, v0
	v_cmp_eq_u32_e32 vcc, 0, v0
	s_waitcnt lgkmcnt(0)
	s_and_saveexec_b64 s[42:43], vcc
	s_cbranch_execz .LBB32_2985
; %bb.2984:                             ;   in Loop: Header=BB32_47 Depth=1
	s_bcnt1_i32_b64 s44, s[44:45]
	v_mov_b32_e32 v2, s44
	ds_add_u64 v0, v[2:3]
	s_trap 2
.LBB32_2985:                            ;   in Loop: Header=BB32_47 Depth=1
	s_or_b64 exec, exec, s[42:43]
	s_trap 2
	ds_read_b64 v[0:1], v0
	s_waitcnt lgkmcnt(0)
	v_lshl_add_u64 v[46:47], v[46:47], 0, v[60:61]
	v_cmp_lt_u64_e32 vcc, v[0:1], v[46:47]
	s_and_saveexec_b64 s[42:43], vcc
	s_cbranch_execz .LBB32_2994
; %bb.2986:                             ;   in Loop: Header=BB32_47 Depth=1
	s_mov_b32 s76, 0
	s_mov_b64 s[44:45], 0
                                        ; implicit-def: $sgpr46_sgpr47
                                        ; implicit-def: $sgpr56_sgpr57
	s_branch .LBB32_2988
.LBB32_2987:                            ;   in Loop: Header=BB32_2988 Depth=2
	s_or_b64 exec, exec, s[38:39]
	s_and_b64 s[58:59], exec, vcc
	s_or_b64 s[44:45], s[58:59], s[44:45]
	s_andn2_b64 s[46:47], s[46:47], exec
	s_and_b64 s[58:59], s[56:57], exec
	s_or_b64 s[46:47], s[46:47], s[58:59]
	s_andn2_b64 exec, exec, s[44:45]
	s_cbranch_execz .LBB32_2992
.LBB32_2988:                            ;   Parent Loop BB32_47 Depth=1
                                        ; =>  This Inner Loop Header: Depth=2
	s_add_i32 s76, s76, 1
	s_cmpk_lg_i32 s76, 0x2710
	s_cselect_b64 s[58:59], -1, 0
	s_and_b64 vcc, exec, s[58:59]
	s_cbranch_vccz .LBB32_2990
; %bb.2989:                             ;   in Loop: Header=BB32_2988 Depth=2
	s_mov_b64 vcc, -1
	s_or_b64 s[56:57], s[56:57], exec
	s_and_saveexec_b64 s[38:39], s[58:59]
	s_cbranch_execz .LBB32_2987
	s_branch .LBB32_2991
.LBB32_2990:                            ;   in Loop: Header=BB32_2988 Depth=2
	s_trap 2
	ds_read_b64 v[0:1], v0
	s_andn2_b64 s[58:59], s[58:59], exec
	s_mov_b32 s76, 0
	s_waitcnt vmcnt(0) lgkmcnt(0)
	flat_load_dword v0, v[0:1] sc0 sc1
	s_waitcnt vmcnt(0) lgkmcnt(0)
	buffer_inv sc0 sc1
	v_cmp_eq_u32_e32 vcc, 0, v0
	s_and_b64 vcc, vcc, exec
	s_or_b64 s[58:59], s[58:59], vcc
	s_mov_b64 vcc, -1
	s_or_b64 s[56:57], s[56:57], exec
	s_and_saveexec_b64 s[38:39], s[58:59]
	s_cbranch_execz .LBB32_2987
.LBB32_2991:                            ;   in Loop: Header=BB32_2988 Depth=2
	s_sleep 1
	s_trap 2
	ds_read_b64 v[0:1], v0
	s_waitcnt lgkmcnt(0)
	s_andn2_b64 s[56:57], s[56:57], exec
	v_cmp_ge_u64_e32 vcc, v[0:1], v[46:47]
	s_orn2_b64 vcc, vcc, exec
	s_branch .LBB32_2987
.LBB32_2992:                            ;   in Loop: Header=BB32_47 Depth=1
	s_or_b64 exec, exec, s[44:45]
	s_and_saveexec_b64 s[44:45], s[46:47]
	s_xor_b64 s[44:45], exec, s[44:45]
	s_cbranch_execz .LBB32_2994
; %bb.2993:                             ;   in Loop: Header=BB32_47 Depth=1
	ds_write_b32 v0, v31
	s_trap 2
.LBB32_2994:                            ;   in Loop: Header=BB32_47 Depth=1
	s_or_b64 exec, exec, s[42:43]
	;;#ASMSTART
	s_wakeup
	;;#ASMEND
.LBB32_2995:                            ;   in Loop: Header=BB32_47 Depth=1
	s_or_b64 exec, exec, s[40:41]
.LBB32_2996:                            ;   in Loop: Header=BB32_47 Depth=1
	s_andn2_saveexec_b64 s[28:29], s[28:29]
	s_cbranch_execz .LBB32_2998
; %bb.2997:                             ;   in Loop: Header=BB32_47 Depth=1
	s_waitcnt lgkmcnt(0)
	s_barrier
.LBB32_2998:                            ;   in Loop: Header=BB32_47 Depth=1
	s_or_b64 exec, exec, s[28:29]
	s_or_b64 exec, exec, s[26:27]
	s_and_saveexec_b64 s[26:27], s[22:23]
	s_xor_b64 s[26:27], exec, s[26:27]
	s_cbranch_execnz .LBB32_2636
.LBB32_2999:                            ;   in Loop: Header=BB32_47 Depth=1
	s_andn2_saveexec_b64 s[24:25], s[26:27]
	s_cbranch_execz .LBB32_3018
.LBB32_3000:                            ;   in Loop: Header=BB32_47 Depth=1
	s_and_saveexec_b64 s[26:27], s[78:79]
	s_xor_b64 s[26:27], exec, s[26:27]
	s_cbranch_execz .LBB32_3015
; %bb.3001:                             ;   in Loop: Header=BB32_47 Depth=1
	s_and_saveexec_b64 s[28:29], s[14:15]
	s_cbranch_execz .LBB32_3014
; %bb.3002:                             ;   in Loop: Header=BB32_47 Depth=1
	s_mov_b64 s[42:43], exec
	v_mbcnt_lo_u32_b32 v0, s42, 0
	v_mbcnt_hi_u32_b32 v0, s43, v0
	v_cmp_eq_u32_e32 vcc, 0, v0
	;;#ASMSTART
	s_waitcnt lgkmcnt(0) vmcnt(0)
	;;#ASMEND
	s_and_saveexec_b64 s[40:41], vcc
	s_cbranch_execz .LBB32_3004
; %bb.3003:                             ;   in Loop: Header=BB32_47 Depth=1
	s_bcnt1_i32_b64 s42, s[42:43]
	v_mov_b32_e32 v2, s42
	s_waitcnt lgkmcnt(0)
	ds_add_u64 v0, v[2:3]
	s_trap 2
.LBB32_3004:                            ;   in Loop: Header=BB32_47 Depth=1
	s_or_b64 exec, exec, s[40:41]
	s_trap 2
	ds_read_b64 v[0:1], v0
	s_waitcnt lgkmcnt(0)
	v_lshl_add_u64 v[46:47], v[46:47], 0, v[60:61]
	v_cmp_lt_u64_e32 vcc, v[0:1], v[46:47]
	s_and_saveexec_b64 s[40:41], vcc
	s_cbranch_execz .LBB32_3013
; %bb.3005:                             ;   in Loop: Header=BB32_47 Depth=1
	s_mov_b32 s76, 0
	s_mov_b64 s[42:43], 0
                                        ; implicit-def: $sgpr44_sgpr45
                                        ; implicit-def: $sgpr46_sgpr47
	s_branch .LBB32_3007
.LBB32_3006:                            ;   in Loop: Header=BB32_3007 Depth=2
	s_or_b64 exec, exec, s[58:59]
	s_and_b64 s[56:57], exec, vcc
	s_or_b64 s[42:43], s[56:57], s[42:43]
	s_andn2_b64 s[44:45], s[44:45], exec
	s_and_b64 s[56:57], s[46:47], exec
	s_or_b64 s[44:45], s[44:45], s[56:57]
	s_andn2_b64 exec, exec, s[42:43]
	s_cbranch_execz .LBB32_3011
.LBB32_3007:                            ;   Parent Loop BB32_47 Depth=1
                                        ; =>  This Inner Loop Header: Depth=2
	s_add_i32 s76, s76, 1
	s_cmpk_lg_i32 s76, 0x2710
	s_cselect_b64 s[56:57], -1, 0
	s_and_b64 vcc, exec, s[56:57]
	s_cbranch_vccz .LBB32_3009
; %bb.3008:                             ;   in Loop: Header=BB32_3007 Depth=2
	s_mov_b64 vcc, -1
	s_or_b64 s[46:47], s[46:47], exec
	s_and_saveexec_b64 s[58:59], s[56:57]
	s_cbranch_execz .LBB32_3006
	s_branch .LBB32_3010
.LBB32_3009:                            ;   in Loop: Header=BB32_3007 Depth=2
	s_trap 2
	ds_read_b64 v[0:1], v0
	s_andn2_b64 s[56:57], s[56:57], exec
	s_mov_b32 s76, 0
	s_waitcnt vmcnt(0) lgkmcnt(0)
	flat_load_dword v0, v[0:1] sc0 sc1
	s_waitcnt vmcnt(0) lgkmcnt(0)
	buffer_inv sc0 sc1
	v_cmp_eq_u32_e32 vcc, 0, v0
	s_and_b64 s[58:59], vcc, exec
	s_or_b64 s[56:57], s[56:57], s[58:59]
	s_mov_b64 vcc, -1
	s_or_b64 s[46:47], s[46:47], exec
	s_and_saveexec_b64 s[58:59], s[56:57]
	s_cbranch_execz .LBB32_3006
.LBB32_3010:                            ;   in Loop: Header=BB32_3007 Depth=2
	s_sleep 1
	s_trap 2
	ds_read_b64 v[0:1], v0
	s_waitcnt lgkmcnt(0)
	s_andn2_b64 s[46:47], s[46:47], exec
	v_cmp_ge_u64_e32 vcc, v[0:1], v[46:47]
	s_orn2_b64 vcc, vcc, exec
	s_branch .LBB32_3006
.LBB32_3011:                            ;   in Loop: Header=BB32_47 Depth=1
	s_or_b64 exec, exec, s[42:43]
	s_and_saveexec_b64 s[42:43], s[44:45]
	s_xor_b64 s[42:43], exec, s[42:43]
	s_cbranch_execz .LBB32_3013
; %bb.3012:                             ;   in Loop: Header=BB32_47 Depth=1
	ds_write_b32 v0, v31
	s_trap 2
.LBB32_3013:                            ;   in Loop: Header=BB32_47 Depth=1
	s_or_b64 exec, exec, s[40:41]
	;;#ASMSTART
	s_wakeup
	;;#ASMEND
.LBB32_3014:                            ;   in Loop: Header=BB32_47 Depth=1
	s_or_b64 exec, exec, s[28:29]
.LBB32_3015:                            ;   in Loop: Header=BB32_47 Depth=1
	s_andn2_saveexec_b64 s[26:27], s[26:27]
	s_cbranch_execz .LBB32_3017
; %bb.3016:                             ;   in Loop: Header=BB32_47 Depth=1
	;;#ASMSTART
	s_waitcnt lgkmcnt(0) vmcnt(0)
	;;#ASMEND
	s_barrier
.LBB32_3017:                            ;   in Loop: Header=BB32_47 Depth=1
	s_or_b64 exec, exec, s[26:27]
.LBB32_3018:                            ;   in Loop: Header=BB32_47 Depth=1
	s_or_b64 exec, exec, s[24:25]
	v_and_b32_e32 v0, 32, v126
	v_cmp_ne_u32_e32 vcc, 0, v0
	s_and_saveexec_b64 s[24:25], vcc
	s_cbranch_execz .LBB32_3020
; %bb.3019:                             ;   in Loop: Header=BB32_47 Depth=1
	v_lshl_add_u64 v[116:117], v[116:117], 0, 4
	flat_store_dwordx2 v[40:41], v[116:117] sc0 sc1
.LBB32_3020:                            ;   in Loop: Header=BB32_47 Depth=1
	s_or_b64 exec, exec, s[24:25]
	v_mov_b32_e32 v0, v58
.LBB32_3021:                            ;   in Loop: Header=BB32_47 Depth=1
	s_or_b64 exec, exec, s[62:63]
	s_mov_b64 s[26:27], exec
	scratch_load_dwordx2 v[14:15], off, s33 offset:220 ; 8-byte Folded Reload
	scratch_load_dwordx2 v[16:17], off, s33 offset:192 ; 8-byte Folded Reload
	s_and_b64 s[24:25], s[26:27], s[60:61]
	s_mov_b64 exec, s[24:25]
	s_cbranch_execz .LBB32_46
; %bb.3022:                             ;   in Loop: Header=BB32_47 Depth=1
	v_and_b32_e32 v1, 4, v126
	v_cmp_ne_u32_e32 vcc, 0, v1
	s_and_saveexec_b64 s[28:29], vcc
	s_cbranch_execz .LBB32_3032
; %bb.3023:                             ;   in Loop: Header=BB32_47 Depth=1
	v_lshl_add_u64 v[4:5], v[116:117], 0, 4
	s_waitcnt vmcnt(0) lgkmcnt(0)
	v_cmp_lt_u64_e32 vcc, v[56:57], v[4:5]
	s_and_saveexec_b64 s[40:41], vcc
	s_cbranch_execz .LBB32_3047
; %bb.3024:                             ;   in Loop: Header=BB32_47 Depth=1
	v_and_b32_e32 v1, 64, v126
	s_mov_b32 s76, 0
	v_cmp_eq_u32_e32 vcc, 0, v1
	s_mov_b64 s[42:43], 0
                                        ; implicit-def: $sgpr44_sgpr45
                                        ; implicit-def: $sgpr46_sgpr47
                                        ; implicit-def: $sgpr56_sgpr57
	s_branch .LBB32_3028
.LBB32_3025:                            ;   in Loop: Header=BB32_3028 Depth=2
	s_waitcnt vmcnt(0) lgkmcnt(0)
	v_cmp_ge_u64_e64 s[24:25], v[56:57], v[4:5]
	s_or_b64 s[62:63], s[62:63], exec
	s_orn2_b64 s[60:61], s[24:25], exec
.LBB32_3026:                            ;   in Loop: Header=BB32_3028 Depth=2
	s_or_b64 exec, exec, s[48:49]
	s_andn2_b64 s[24:25], s[56:57], exec
	s_and_b64 s[56:57], s[62:63], exec
	s_or_b64 s[56:57], s[24:25], s[56:57]
	s_andn2_b64 s[24:25], s[46:47], exec
	s_and_b64 s[46:47], s[60:61], exec
	s_or_b64 s[46:47], s[24:25], s[46:47]
.LBB32_3027:                            ;   in Loop: Header=BB32_3028 Depth=2
	s_or_b64 exec, exec, s[58:59]
	s_and_b64 s[24:25], exec, s[46:47]
	s_or_b64 s[42:43], s[24:25], s[42:43]
	s_andn2_b64 s[24:25], s[44:45], exec
	s_and_b64 s[44:45], s[56:57], exec
	s_or_b64 s[44:45], s[24:25], s[44:45]
	s_andn2_b64 exec, exec, s[42:43]
	s_cbranch_execz .LBB32_3044
.LBB32_3028:                            ;   Parent Loop BB32_47 Depth=1
                                        ; =>  This Inner Loop Header: Depth=2
	s_sleep 1
	s_waitcnt vmcnt(0) lgkmcnt(0)
	flat_load_dwordx2 v[56:57], v[40:41] sc0 sc1
	s_or_b64 s[56:57], s[56:57], exec
	s_or_b64 s[46:47], s[46:47], exec
                                        ; implicit-def: $vgpr1
	s_and_saveexec_b64 s[58:59], vcc
	s_cbranch_execz .LBB32_3027
; %bb.3029:                             ;   in Loop: Header=BB32_3028 Depth=2
	s_cmpk_lt_i32 s76, 0x270f
	s_cselect_b64 s[38:39], -1, 0
	s_cmpk_gt_i32 s76, 0x270e
	s_mov_b64 s[60:61], -1
	s_cbranch_scc0 .LBB32_3031
; %bb.3030:                             ;   in Loop: Header=BB32_3028 Depth=2
	s_trap 2
	ds_read_b64 v[8:9], v0
	s_andn2_b64 s[38:39], s[38:39], exec
	s_mov_b32 s76, 0
	s_mov_b64 s[62:63], 0
	s_waitcnt vmcnt(0) lgkmcnt(0)
	flat_load_dword v1, v[8:9] sc0 sc1
	s_waitcnt vmcnt(0) lgkmcnt(0)
	buffer_inv sc0 sc1
	v_cmp_eq_u32_e64 s[24:25], 0, v1
	s_and_b64 s[24:25], s[24:25], exec
	s_or_b64 s[38:39], s[38:39], s[24:25]
	s_and_saveexec_b64 s[48:49], s[38:39]
	s_cbranch_execz .LBB32_3026
	s_branch .LBB32_3025
.LBB32_3031:                            ;   in Loop: Header=BB32_3028 Depth=2
	s_add_i32 s76, s76, 1
	s_mov_b64 s[62:63], -1
                                        ; implicit-def: $vgpr1
	s_and_saveexec_b64 s[48:49], s[38:39]
	s_cbranch_execz .LBB32_3026
	s_branch .LBB32_3025
.LBB32_3032:                            ;   in Loop: Header=BB32_47 Depth=1
	s_or_b64 exec, exec, s[28:29]
	s_and_saveexec_b64 s[24:25], s[6:7]
	s_cbranch_execz .LBB32_3056
.LBB32_3033:                            ;   in Loop: Header=BB32_47 Depth=1
	s_and_saveexec_b64 s[28:29], s[78:79]
	s_xor_b64 s[28:29], exec, s[28:29]
	s_cbranch_execz .LBB32_3064
; %bb.3034:                             ;   in Loop: Header=BB32_47 Depth=1
	s_and_saveexec_b64 s[40:41], s[14:15]
	s_cbranch_execz .LBB32_3063
; %bb.3035:                             ;   in Loop: Header=BB32_47 Depth=1
	s_mov_b64 s[44:45], exec
	v_mbcnt_lo_u32_b32 v1, s44, 0
	v_mbcnt_hi_u32_b32 v1, s45, v1
	v_cmp_eq_u32_e32 vcc, 0, v1
	s_waitcnt lgkmcnt(0)
	s_and_saveexec_b64 s[42:43], vcc
	s_cbranch_execz .LBB32_3037
; %bb.3036:                             ;   in Loop: Header=BB32_47 Depth=1
	s_bcnt1_i32_b64 s44, s[44:45]
	v_mov_b32_e32 v2, s44
	ds_add_u64 v0, v[2:3]
	s_trap 2
.LBB32_3037:                            ;   in Loop: Header=BB32_47 Depth=1
	s_or_b64 exec, exec, s[42:43]
	s_trap 2
	ds_read_b64 v[4:5], v0
	s_waitcnt lgkmcnt(0)
	v_lshl_add_u64 v[46:47], v[46:47], 0, v[60:61]
	v_cmp_lt_u64_e32 vcc, v[4:5], v[46:47]
	s_and_saveexec_b64 s[42:43], vcc
	s_cbranch_execz .LBB32_3062
; %bb.3038:                             ;   in Loop: Header=BB32_47 Depth=1
	s_mov_b32 s76, 0
	s_mov_b64 s[44:45], 0
                                        ; implicit-def: $sgpr46_sgpr47
                                        ; implicit-def: $sgpr56_sgpr57
	s_branch .LBB32_3040
.LBB32_3039:                            ;   in Loop: Header=BB32_3040 Depth=2
	s_or_b64 exec, exec, s[60:61]
	s_and_b64 s[58:59], exec, s[62:63]
	s_or_b64 s[44:45], s[58:59], s[44:45]
	s_andn2_b64 s[46:47], s[46:47], exec
	s_and_b64 s[58:59], s[56:57], exec
	s_or_b64 s[46:47], s[46:47], s[58:59]
	s_andn2_b64 exec, exec, s[44:45]
	s_cbranch_execz .LBB32_3060
.LBB32_3040:                            ;   Parent Loop BB32_47 Depth=1
                                        ; =>  This Inner Loop Header: Depth=2
	s_add_i32 s76, s76, 1
	s_cmpk_lg_i32 s76, 0x2710
	s_cselect_b64 s[58:59], -1, 0
	s_and_b64 vcc, exec, s[58:59]
	s_cbranch_vccz .LBB32_3042
; %bb.3041:                             ;   in Loop: Header=BB32_3040 Depth=2
	s_mov_b64 s[62:63], -1
	s_or_b64 s[56:57], s[56:57], exec
	s_and_saveexec_b64 s[60:61], s[58:59]
	s_cbranch_execz .LBB32_3039
	s_branch .LBB32_3043
.LBB32_3042:                            ;   in Loop: Header=BB32_3040 Depth=2
	s_trap 2
	ds_read_b64 v[4:5], v0
	s_andn2_b64 s[58:59], s[58:59], exec
	s_mov_b32 s76, 0
	s_waitcnt vmcnt(0) lgkmcnt(0)
	flat_load_dword v1, v[4:5] sc0 sc1
	s_waitcnt vmcnt(0) lgkmcnt(0)
	buffer_inv sc0 sc1
	v_cmp_eq_u32_e32 vcc, 0, v1
	s_and_b64 s[60:61], vcc, exec
	s_or_b64 s[58:59], s[58:59], s[60:61]
	s_mov_b64 s[62:63], -1
	s_or_b64 s[56:57], s[56:57], exec
	s_and_saveexec_b64 s[60:61], s[58:59]
	s_cbranch_execz .LBB32_3039
.LBB32_3043:                            ;   in Loop: Header=BB32_3040 Depth=2
	s_sleep 1
	s_trap 2
	ds_read_b64 v[4:5], v0
	s_waitcnt lgkmcnt(0)
	s_andn2_b64 s[56:57], s[56:57], exec
	v_cmp_ge_u64_e32 vcc, v[4:5], v[46:47]
	s_orn2_b64 s[62:63], vcc, exec
	s_branch .LBB32_3039
.LBB32_3044:                            ;   in Loop: Header=BB32_47 Depth=1
	s_or_b64 exec, exec, s[42:43]
	s_xor_b64 s[24:25], s[44:45], -1
	s_and_saveexec_b64 s[42:43], s[24:25]
	s_xor_b64 s[24:25], exec, s[42:43]
	s_cbranch_execz .LBB32_3046
; %bb.3045:                             ;   in Loop: Header=BB32_47 Depth=1
	v_or_b32_e32 v126, 64, v126
	s_waitcnt lgkmcnt(0)
	ds_write_b32 v0, v1
	s_trap 2
.LBB32_3046:                            ;   in Loop: Header=BB32_47 Depth=1
	s_or_b64 exec, exec, s[24:25]
.LBB32_3047:                            ;   in Loop: Header=BB32_47 Depth=1
	s_or_b64 exec, exec, s[40:41]
	v_and_b32_e32 v1, 0x100, v126
	v_cmp_ne_u32_e32 vcc, 0, v1
	v_and_b32_e32 v1, 7, v116
	s_mov_b64 s[24:25], -1
	;;#ASMSTART
	s_wakeup
	;;#ASMEND
                                        ; implicit-def: $vgpr8_vgpr9
	s_and_saveexec_b64 s[40:41], vcc
	s_cbranch_execz .LBB32_3051
; %bb.3048:                             ;   in Loop: Header=BB32_47 Depth=1
	v_mad_u64_u32 v[10:11], s[24:25], v1, 24, v[6:7]
	flat_load_dword v2, v[10:11]
                                        ; implicit-def: $vgpr8_vgpr9
	s_waitcnt vmcnt(0) lgkmcnt(0)
	v_cmp_ne_u32_e32 vcc, 1, v2
	v_cmp_eq_u32_e64 s[24:25], 1, v2
	s_and_saveexec_b64 s[42:43], s[24:25]
	s_cbranch_execz .LBB32_3050
; %bb.3049:                             ;   in Loop: Header=BB32_47 Depth=1
	flat_load_dword v8, v[10:11] offset:4 sc0 sc1
	s_waitcnt vmcnt(0) lgkmcnt(0)
	v_ashrrev_i32_e32 v9, 31, v8
	v_lshrrev_b64 v[8:9], 1, v[8:9]
.LBB32_3050:                            ;   in Loop: Header=BB32_47 Depth=1
	s_or_b64 exec, exec, s[42:43]
	s_orn2_b64 s[24:25], vcc, exec
.LBB32_3051:                            ;   in Loop: Header=BB32_47 Depth=1
	s_or_b64 exec, exec, s[40:41]
	s_and_saveexec_b64 s[40:41], s[24:25]
; %bb.3052:                             ;   in Loop: Header=BB32_47 Depth=1
	v_mad_i64_i32 v[8:9], s[24:25], v1, v30, 0
; %bb.3053:                             ;   in Loop: Header=BB32_47 Depth=1
	s_or_b64 exec, exec, s[40:41]
	v_and_b32_e32 v1, 0x2000, v126
	v_lshl_add_u64 v[8:9], v[8:9], 1, v[42:43]
	v_cmp_ne_u32_e32 vcc, 0, v1
	ds_write_b64 v0, v[8:9] offset:720
	s_and_saveexec_b64 s[24:25], vcc
	s_cbranch_execz .LBB32_3055
; %bb.3054:                             ;   in Loop: Header=BB32_47 Depth=1
	ds_read_b64 v[8:9], v0 offset:872
	s_waitcnt lgkmcnt(0)
	v_lshl_add_u64 v[8:9], v[8:9], 0, 1
	ds_write_b64 v0, v[8:9] offset:872
.LBB32_3055:                            ;   in Loop: Header=BB32_47 Depth=1
	s_or_b64 exec, exec, s[24:25]
	v_mov_b64_e32 v[116:117], v[4:5]
	s_or_b64 exec, exec, s[28:29]
	s_and_saveexec_b64 s[24:25], s[6:7]
	s_cbranch_execnz .LBB32_3033
.LBB32_3056:                            ;   in Loop: Header=BB32_47 Depth=1
	s_or_b64 exec, exec, s[24:25]
	s_and_saveexec_b64 s[24:25], s[22:23]
	s_xor_b64 s[24:25], exec, s[24:25]
	s_cbranch_execz .LBB32_3067
.LBB32_3057:                            ;   in Loop: Header=BB32_47 Depth=1
	s_trap 2
	ds_read_b32 v1, v0
	v_sub_u32_e32 v0, v59, v0
	v_min_i32_e32 v0, v58, v0
	v_cmp_lt_i32_e32 vcc, 0, v0
	v_and_b32_e32 v0, 16, v126
	s_waitcnt lgkmcnt(0)
	v_readfirstlane_b32 s28, v1
	s_cmp_eq_u32 s28, 0
	s_cselect_b64 s[28:29], -1, 0
	s_and_b64 s[28:29], vcc, s[28:29]
	v_cmp_ne_u32_e32 vcc, 0, v0
	s_and_b64 s[40:41], vcc, s[28:29]
	s_and_saveexec_b64 s[28:29], s[40:41]
	s_cbranch_execz .LBB32_3059
; %bb.3058:                             ;   in Loop: Header=BB32_47 Depth=1
	buffer_wbl2 sc1
	s_waitcnt vmcnt(0)
	buffer_inv sc1
.LBB32_3059:                            ;   in Loop: Header=BB32_47 Depth=1
	s_or_b64 exec, exec, s[28:29]
	s_andn2_saveexec_b64 s[24:25], s[24:25]
	s_cbranch_execz .LBB32_3086
	s_branch .LBB32_3068
.LBB32_3060:                            ;   in Loop: Header=BB32_47 Depth=1
	s_or_b64 exec, exec, s[44:45]
	s_and_saveexec_b64 s[44:45], s[46:47]
	s_xor_b64 s[44:45], exec, s[44:45]
	s_cbranch_execz .LBB32_3062
; %bb.3061:                             ;   in Loop: Header=BB32_47 Depth=1
	ds_write_b32 v0, v31
	s_trap 2
.LBB32_3062:                            ;   in Loop: Header=BB32_47 Depth=1
	s_or_b64 exec, exec, s[42:43]
	;;#ASMSTART
	s_wakeup
	;;#ASMEND
.LBB32_3063:                            ;   in Loop: Header=BB32_47 Depth=1
	s_or_b64 exec, exec, s[40:41]
.LBB32_3064:                            ;   in Loop: Header=BB32_47 Depth=1
	s_andn2_saveexec_b64 s[28:29], s[28:29]
	s_cbranch_execz .LBB32_3066
; %bb.3065:                             ;   in Loop: Header=BB32_47 Depth=1
	s_waitcnt lgkmcnt(0)
	s_barrier
.LBB32_3066:                            ;   in Loop: Header=BB32_47 Depth=1
	s_or_b64 exec, exec, s[28:29]
	s_or_b64 exec, exec, s[24:25]
	s_and_saveexec_b64 s[24:25], s[22:23]
	s_xor_b64 s[24:25], exec, s[24:25]
	s_cbranch_execnz .LBB32_3057
.LBB32_3067:                            ;   in Loop: Header=BB32_47 Depth=1
	s_andn2_saveexec_b64 s[24:25], s[24:25]
	s_cbranch_execz .LBB32_3086
.LBB32_3068:                            ;   in Loop: Header=BB32_47 Depth=1
	s_and_saveexec_b64 s[28:29], s[78:79]
	s_xor_b64 s[28:29], exec, s[28:29]
	s_cbranch_execz .LBB32_3083
; %bb.3069:                             ;   in Loop: Header=BB32_47 Depth=1
	s_and_saveexec_b64 s[40:41], s[14:15]
	s_cbranch_execz .LBB32_3082
; %bb.3070:                             ;   in Loop: Header=BB32_47 Depth=1
	s_mov_b64 s[44:45], exec
	v_mbcnt_lo_u32_b32 v0, s44, 0
	v_mbcnt_hi_u32_b32 v0, s45, v0
	v_cmp_eq_u32_e32 vcc, 0, v0
	;;#ASMSTART
	s_waitcnt lgkmcnt(0) vmcnt(0)
	;;#ASMEND
	s_and_saveexec_b64 s[42:43], vcc
	s_cbranch_execz .LBB32_3072
; %bb.3071:                             ;   in Loop: Header=BB32_47 Depth=1
	s_bcnt1_i32_b64 s44, s[44:45]
	v_mov_b32_e32 v2, s44
	s_waitcnt lgkmcnt(0)
	ds_add_u64 v0, v[2:3]
	s_trap 2
.LBB32_3072:                            ;   in Loop: Header=BB32_47 Depth=1
	s_or_b64 exec, exec, s[42:43]
	s_trap 2
	ds_read_b64 v[0:1], v0
	s_waitcnt lgkmcnt(0)
	v_lshl_add_u64 v[46:47], v[46:47], 0, v[60:61]
	v_cmp_lt_u64_e32 vcc, v[0:1], v[46:47]
	s_and_saveexec_b64 s[42:43], vcc
	s_cbranch_execz .LBB32_3081
; %bb.3073:                             ;   in Loop: Header=BB32_47 Depth=1
	s_mov_b32 s76, 0
	s_mov_b64 s[44:45], 0
                                        ; implicit-def: $sgpr46_sgpr47
                                        ; implicit-def: $sgpr56_sgpr57
	s_branch .LBB32_3075
.LBB32_3074:                            ;   in Loop: Header=BB32_3075 Depth=2
	s_or_b64 exec, exec, s[60:61]
	s_and_b64 s[58:59], exec, s[62:63]
	s_or_b64 s[44:45], s[58:59], s[44:45]
	s_andn2_b64 s[46:47], s[46:47], exec
	s_and_b64 s[58:59], s[56:57], exec
	s_or_b64 s[46:47], s[46:47], s[58:59]
	s_andn2_b64 exec, exec, s[44:45]
	s_cbranch_execz .LBB32_3079
.LBB32_3075:                            ;   Parent Loop BB32_47 Depth=1
                                        ; =>  This Inner Loop Header: Depth=2
	s_add_i32 s76, s76, 1
	s_cmpk_lg_i32 s76, 0x2710
	s_cselect_b64 s[58:59], -1, 0
	s_and_b64 vcc, exec, s[58:59]
	s_cbranch_vccz .LBB32_3077
; %bb.3076:                             ;   in Loop: Header=BB32_3075 Depth=2
	s_mov_b64 s[62:63], -1
	s_or_b64 s[56:57], s[56:57], exec
	s_and_saveexec_b64 s[60:61], s[58:59]
	s_cbranch_execz .LBB32_3074
	s_branch .LBB32_3078
.LBB32_3077:                            ;   in Loop: Header=BB32_3075 Depth=2
	s_trap 2
	ds_read_b64 v[0:1], v0
	s_andn2_b64 s[58:59], s[58:59], exec
	s_mov_b32 s76, 0
	s_waitcnt vmcnt(0) lgkmcnt(0)
	flat_load_dword v0, v[0:1] sc0 sc1
	s_waitcnt vmcnt(0) lgkmcnt(0)
	buffer_inv sc0 sc1
	v_cmp_eq_u32_e32 vcc, 0, v0
	s_and_b64 s[60:61], vcc, exec
	s_or_b64 s[58:59], s[58:59], s[60:61]
	s_mov_b64 s[62:63], -1
	s_or_b64 s[56:57], s[56:57], exec
	s_and_saveexec_b64 s[60:61], s[58:59]
	s_cbranch_execz .LBB32_3074
.LBB32_3078:                            ;   in Loop: Header=BB32_3075 Depth=2
	s_sleep 1
	s_trap 2
	ds_read_b64 v[0:1], v0
	s_waitcnt lgkmcnt(0)
	s_andn2_b64 s[56:57], s[56:57], exec
	v_cmp_ge_u64_e32 vcc, v[0:1], v[46:47]
	s_orn2_b64 s[62:63], vcc, exec
	s_branch .LBB32_3074
.LBB32_3079:                            ;   in Loop: Header=BB32_47 Depth=1
	s_or_b64 exec, exec, s[44:45]
	s_and_saveexec_b64 s[44:45], s[46:47]
	s_xor_b64 s[44:45], exec, s[44:45]
	s_cbranch_execz .LBB32_3081
; %bb.3080:                             ;   in Loop: Header=BB32_47 Depth=1
	ds_write_b32 v0, v31
	s_trap 2
.LBB32_3081:                            ;   in Loop: Header=BB32_47 Depth=1
	s_or_b64 exec, exec, s[42:43]
	;;#ASMSTART
	s_wakeup
	;;#ASMEND
.LBB32_3082:                            ;   in Loop: Header=BB32_47 Depth=1
	s_or_b64 exec, exec, s[40:41]
.LBB32_3083:                            ;   in Loop: Header=BB32_47 Depth=1
	s_andn2_saveexec_b64 s[28:29], s[28:29]
	s_cbranch_execz .LBB32_3085
; %bb.3084:                             ;   in Loop: Header=BB32_47 Depth=1
	;;#ASMSTART
	s_waitcnt lgkmcnt(0) vmcnt(0)
	;;#ASMEND
	s_barrier
.LBB32_3085:                            ;   in Loop: Header=BB32_47 Depth=1
	s_or_b64 exec, exec, s[28:29]
.LBB32_3086:                            ;   in Loop: Header=BB32_47 Depth=1
	s_or_b64 exec, exec, s[24:25]
	v_and_b32_e32 v0, 32, v126
	v_cmp_ne_u32_e32 vcc, 0, v0
	s_and_saveexec_b64 s[24:25], vcc
	s_cbranch_execz .LBB32_45
; %bb.3087:                             ;   in Loop: Header=BB32_47 Depth=1
	v_lshl_add_u64 v[116:117], v[116:117], 0, 4
	flat_store_dwordx2 v[40:41], v[116:117] sc0 sc1
	s_branch .LBB32_45
.LBB32_3088:
	s_or_b64 exec, exec, s[88:89]
	scratch_load_dword v18, off, s33 offset:284 ; 4-byte Folded Reload
	scratch_load_dword v31, off, s33 offset:288 ; 4-byte Folded Reload
	;; [unrolled: 1-line block ×3, first 2 shown]
	scratch_load_dwordx2 v[20:21], off, s33 offset:296 ; 8-byte Folded Reload
.LBB32_3089:
	s_or_b64 exec, exec, s[74:75]
	v_and_b32_e32 v0, 0x800, v126
	v_cmp_eq_u32_e32 vcc, 0, v0
	s_and_saveexec_b64 s[2:3], vcc
	s_cbranch_execz .LBB32_3122
; %bb.3090:
	v_and_b32_e32 v0, 48, v126
	v_cmp_ne_u32_e32 vcc, 0, v0
	s_and_saveexec_b64 s[0:1], vcc
	s_cbranch_execz .LBB32_3092
; %bb.3091:
	s_waitcnt vmcnt(0)
	flat_store_dwordx2 v[20:21], v[116:117] offset:104
.LBB32_3092:
	s_or_b64 exec, exec, s[0:1]
	s_movk_i32 s0, 0x88
	v_and_b32_e32 v0, 0x88, v126
	v_cmp_eq_u32_e32 vcc, s0, v0
	s_and_saveexec_b64 s[4:5], vcc
	s_cbranch_execz .LBB32_3102
; %bb.3093:
	v_bitop3_b32 v0, v116, 4, 7 bitop3:0x6c
	v_mad_u64_u32 v[2:3], s[0:1], v0, 24, v[6:7]
	flat_load_dwordx2 v[0:1], v[2:3] offset:8 sc0 sc1
	s_waitcnt vmcnt(0)
	v_and_b32_e32 v4, 64, v126
	v_cmp_eq_u32_e64 s[0:1], 0, v4
	s_mov_b32 s18, 0
	s_waitcnt lgkmcnt(0)
	v_cmp_ne_u64_e32 vcc, -1, v[0:1]
	s_and_b64 s[0:1], vcc, s[0:1]
	s_and_b64 exec, exec, s[0:1]
	s_cbranch_execz .LBB32_3102
; %bb.3094:
	s_mov_b64 s[0:1], 0
                                        ; implicit-def: $sgpr6_sgpr7
                                        ; implicit-def: $sgpr10_sgpr11
	s_branch .LBB32_3097
.LBB32_3095:                            ;   in Loop: Header=BB32_3097 Depth=1
	flat_load_dwordx2 v[4:5], v[2:3] offset:8 sc0 sc1
	s_waitcnt vmcnt(0)
	s_andn2_b64 s[10:11], s[10:11], exec
	s_waitcnt lgkmcnt(0)
	v_cmp_eq_u64_e32 vcc, -1, v[4:5]
	s_orn2_b64 s[14:15], vcc, exec
.LBB32_3096:                            ;   in Loop: Header=BB32_3097 Depth=1
	s_or_b64 exec, exec, s[16:17]
	s_and_b64 s[12:13], exec, s[14:15]
	s_or_b64 s[0:1], s[12:13], s[0:1]
	s_andn2_b64 s[6:7], s[6:7], exec
	s_and_b64 s[12:13], s[10:11], exec
	s_or_b64 s[6:7], s[6:7], s[12:13]
	s_andn2_b64 exec, exec, s[0:1]
	s_cbranch_execz .LBB32_3100
.LBB32_3097:                            ; =>This Inner Loop Header: Depth=1
	s_cmpk_lt_i32 s18, 0x270f
	s_cselect_b64 s[12:13], -1, 0
	s_and_b64 vcc, exec, s[12:13]
	s_cbranch_vccnz .LBB32_3099
; %bb.3098:                             ;   in Loop: Header=BB32_3097 Depth=1
	s_trap 2
	ds_read_b64 v[0:1], v0
	s_andn2_b64 s[12:13], s[12:13], exec
	s_mov_b32 s18, 0
	s_waitcnt lgkmcnt(0)
	flat_load_dword v0, v[0:1] sc0 sc1
	s_waitcnt vmcnt(0) lgkmcnt(0)
	buffer_inv sc0 sc1
	v_cmp_eq_u32_e32 vcc, 0, v0
	s_and_b64 s[14:15], vcc, exec
	s_or_b64 s[12:13], s[12:13], s[14:15]
	s_mov_b64 s[14:15], -1
	s_or_b64 s[10:11], s[10:11], exec
	s_and_saveexec_b64 s[16:17], s[12:13]
	s_cbranch_execz .LBB32_3096
	s_branch .LBB32_3095
.LBB32_3099:                            ;   in Loop: Header=BB32_3097 Depth=1
	s_add_i32 s18, s18, 1
                                        ; implicit-def: $vgpr0
	s_mov_b64 s[14:15], -1
	s_or_b64 s[10:11], s[10:11], exec
	s_and_saveexec_b64 s[16:17], s[12:13]
	s_cbranch_execz .LBB32_3096
	s_branch .LBB32_3095
.LBB32_3100:
	s_or_b64 exec, exec, s[0:1]
	s_and_saveexec_b64 s[0:1], s[6:7]
	s_xor_b64 s[0:1], exec, s[0:1]
	s_cbranch_execz .LBB32_3102
; %bb.3101:
	ds_write_b32 v0, v0
	s_trap 2
.LBB32_3102:
	s_or_b64 exec, exec, s[4:5]
	v_and_b32_e32 v0, 0x2000, v126
	v_cmp_ne_u32_e32 vcc, 0, v0
	s_and_saveexec_b64 s[0:1], vcc
	s_cbranch_execz .LBB32_3104
; %bb.3103:
	scratch_load_dwordx2 v[2:3], off, s33 offset:312 ; 8-byte Folded Reload
	ds_read_b64 v[0:1], v0 offset:872
	s_waitcnt vmcnt(0) lgkmcnt(0)
	flat_store_dwordx2 v[2:3], v[0:1] offset:16
.LBB32_3104:
	s_or_b64 exec, exec, s[0:1]
	s_waitcnt vmcnt(0)
	v_cmp_ne_u32_e32 vcc, 64, v18
	s_and_b64 exec, exec, vcc
	s_cbranch_execz .LBB32_3122
; %bb.3105:
	v_cmp_ne_u32_sdwa s[0:1], v18, v19 src0_sel:DWORD src1_sel:WORD_0
	s_and_saveexec_b64 s[4:5], s[0:1]
	s_xor_b64 s[0:1], exec, s[4:5]
	s_cbranch_execz .LBB32_3120
; %bb.3106:
	v_and_b32_e32 v0, 63, v31
	v_cmp_eq_u32_e32 vcc, 0, v0
	s_and_saveexec_b64 s[4:5], vcc
	s_cbranch_execz .LBB32_3119
; %bb.3107:
	s_mov_b64 s[10:11], exec
	v_mbcnt_lo_u32_b32 v0, s10, 0
	v_mbcnt_hi_u32_b32 v0, s11, v0
	v_cmp_eq_u32_e32 vcc, 0, v0
	s_waitcnt lgkmcnt(0)
	s_and_saveexec_b64 s[6:7], vcc
	s_cbranch_execz .LBB32_3109
; %bb.3108:
	s_bcnt1_i32_b64 s10, s[10:11]
	v_mov_b32_e32 v0, s10
	v_mov_b32_e32 v1, 0
	ds_add_u64 v0, v[0:1]
	s_trap 2
.LBB32_3109:
	s_or_b64 exec, exec, s[6:7]
	s_trap 2
	ds_read_b64 v[2:3], v0
	s_waitcnt lgkmcnt(0)
	v_lshrrev_b32_e32 v0, 6, v18
	v_mov_b32_e32 v1, 0
	v_lshl_add_u64 v[0:1], v[46:47], 0, v[0:1]
	v_cmp_lt_u64_e32 vcc, v[2:3], v[0:1]
	s_and_saveexec_b64 s[6:7], vcc
	s_cbranch_execz .LBB32_3118
; %bb.3110:
	s_mov_b32 s22, 0
	s_mov_b64 s[10:11], 0
                                        ; implicit-def: $sgpr12_sgpr13
                                        ; implicit-def: $sgpr14_sgpr15
	s_branch .LBB32_3112
.LBB32_3111:                            ;   in Loop: Header=BB32_3112 Depth=1
	s_or_b64 exec, exec, s[18:19]
	s_and_b64 s[16:17], exec, s[20:21]
	s_or_b64 s[10:11], s[16:17], s[10:11]
	s_andn2_b64 s[12:13], s[12:13], exec
	s_and_b64 s[16:17], s[14:15], exec
	s_or_b64 s[12:13], s[12:13], s[16:17]
	s_andn2_b64 exec, exec, s[10:11]
	s_cbranch_execz .LBB32_3116
.LBB32_3112:                            ; =>This Inner Loop Header: Depth=1
	s_add_i32 s22, s22, 1
	s_cmpk_lg_i32 s22, 0x2710
	s_cselect_b64 s[16:17], -1, 0
	s_and_b64 vcc, exec, s[16:17]
	s_cbranch_vccz .LBB32_3114
; %bb.3113:                             ;   in Loop: Header=BB32_3112 Depth=1
	s_mov_b64 s[20:21], -1
	s_or_b64 s[14:15], s[14:15], exec
	s_and_saveexec_b64 s[18:19], s[16:17]
	s_cbranch_execz .LBB32_3111
	s_branch .LBB32_3115
.LBB32_3114:                            ;   in Loop: Header=BB32_3112 Depth=1
	s_trap 2
	ds_read_b64 v[2:3], v0
	s_andn2_b64 s[16:17], s[16:17], exec
	s_mov_b32 s22, 0
	s_waitcnt lgkmcnt(0)
	flat_load_dword v2, v[2:3] sc0 sc1
	s_waitcnt vmcnt(0) lgkmcnt(0)
	buffer_inv sc0 sc1
	v_cmp_eq_u32_e32 vcc, 0, v2
	s_and_b64 s[18:19], vcc, exec
	s_or_b64 s[16:17], s[16:17], s[18:19]
	s_mov_b64 s[20:21], -1
	s_or_b64 s[14:15], s[14:15], exec
	s_and_saveexec_b64 s[18:19], s[16:17]
	s_cbranch_execz .LBB32_3111
.LBB32_3115:                            ;   in Loop: Header=BB32_3112 Depth=1
	s_sleep 1
	s_trap 2
	ds_read_b64 v[2:3], v0
	s_waitcnt lgkmcnt(0)
	s_andn2_b64 s[14:15], s[14:15], exec
	v_cmp_ge_u64_e32 vcc, v[2:3], v[0:1]
	s_orn2_b64 s[20:21], vcc, exec
	s_branch .LBB32_3111
.LBB32_3116:
	s_or_b64 exec, exec, s[10:11]
	s_and_saveexec_b64 s[10:11], s[12:13]
	s_xor_b64 s[10:11], exec, s[10:11]
	s_cbranch_execz .LBB32_3118
; %bb.3117:
	v_mov_b32_e32 v0, 1
	ds_write_b32 v0, v0
	s_trap 2
.LBB32_3118:
	s_or_b64 exec, exec, s[6:7]
	;;#ASMSTART
	s_wakeup
	;;#ASMEND
.LBB32_3119:
	s_or_b64 exec, exec, s[4:5]
.LBB32_3120:
	s_andn2_saveexec_b64 s[0:1], s[0:1]
	s_cbranch_execz .LBB32_3122
; %bb.3121:
	s_waitcnt lgkmcnt(0)
	s_barrier
.LBB32_3122:
	s_or_b64 exec, exec, s[2:3]
.LBB32_3123:
	s_andn2_saveexec_b64 s[22:23], s[72:73]
	s_cbranch_execz .LBB32_3125
; %bb.3124:
	s_getpc_b64 s[0:1]
	s_add_u32 s0, s0, __PRETTY_FUNCTION__._ZN10PrimitivesI12hip_bfloat1610FuncMinMaxIS0_E12FanSymmetricILi1EELi0E11ProtoSimpleILi1ELi4ELi1ELi4ELi0ELi0EELi0ELb0ELi0ELi0ELi1EEC2EiiPKiS9_PKvPvmhhhP15ncclDevWorkCollP14ncclDevWorkP2pii@rel32@lo+4
	s_addc_u32 s1, s1, __PRETTY_FUNCTION__._ZN10PrimitivesI12hip_bfloat1610FuncMinMaxIS0_E12FanSymmetricILi1EELi0E11ProtoSimpleILi1ELi4ELi1ELi4ELi0ELi0EELi0ELb0ELi0ELi0ELi1EEC2EiiPKiS9_PKvPvmhhhP15ncclDevWorkCollP14ncclDevWorkP2pii@rel32@hi+12
	s_getpc_b64 s[2:3]
	s_add_u32 s2, s2, __assert_fail@rel32@lo+4
	s_addc_u32 s3, s3, __assert_fail@rel32@hi+12
	v_mov_b32_e32 v0, s0
	v_mov_b32_e32 v1, s1
	s_swappc_b64 s[30:31], s[2:3]
	; divergent unreachable
.LBB32_3125:
	s_or_b64 exec, exec, s[22:23]
	scratch_load_dword v126, off, s33       ; 4-byte Folded Reload
	scratch_load_dword v125, off, s33 offset:4 ; 4-byte Folded Reload
	scratch_load_dword v124, off, s33 offset:8 ; 4-byte Folded Reload
	;; [unrolled: 1-line block ×36, first 2 shown]
	s_waitcnt lgkmcnt(0)
	scratch_load_dword v57, off, s33 offset:148 ; 4-byte Folded Reload
	scratch_load_dword v56, off, s33 offset:152 ; 4-byte Folded Reload
	;; [unrolled: 1-line block ×10, first 2 shown]
	v_readlane_b32 s30, v127, 32
	v_readlane_b32 s31, v127, 33
	;; [unrolled: 1-line block ×34, first 2 shown]
	s_mov_b32 s32, s33
	v_readlane_b32 s0, v127, 34
	s_or_saveexec_b64 s[2:3], -1
	scratch_load_dword v127, off, s33 offset:320 ; 4-byte Folded Reload
	s_mov_b64 exec, s[2:3]
	s_mov_b32 s33, s0
	s_waitcnt vmcnt(0)
	s_setpc_b64 s[30:31]
.Lfunc_end32:
	.size	_ZN12_GLOBAL__N_17runRingI12hip_bfloat1610FuncMinMaxIS1_E11ProtoSimpleILi1ELi4ELi1ELi4ELi0ELi0EELi0ELi1ELi4ELi0EEEviiP15ncclDevWorkColl, .Lfunc_end32-_ZN12_GLOBAL__N_17runRingI12hip_bfloat1610FuncMinMaxIS1_E11ProtoSimpleILi1ELi4ELi1ELi4ELi0ELi0EELi0ELi1ELi4ELi0EEEviiP15ncclDevWorkColl
                                        ; -- End function
	.set .L_ZN12_GLOBAL__N_17runRingI12hip_bfloat1610FuncMinMaxIS1_E11ProtoSimpleILi1ELi4ELi1ELi4ELi0ELi0EELi0ELi1ELi4ELi0EEEviiP15ncclDevWorkColl.num_vgpr, max(128, .L__assert_fail.num_vgpr)
	.set .L_ZN12_GLOBAL__N_17runRingI12hip_bfloat1610FuncMinMaxIS1_E11ProtoSimpleILi1ELi4ELi1ELi4ELi0ELi0EELi0ELi1ELi4ELi0EEEviiP15ncclDevWorkColl.num_agpr, max(0, .L__assert_fail.num_agpr)
	.set .L_ZN12_GLOBAL__N_17runRingI12hip_bfloat1610FuncMinMaxIS1_E11ProtoSimpleILi1ELi4ELi1ELi4ELi0ELi0EELi0ELi1ELi4ELi0EEEviiP15ncclDevWorkColl.numbered_sgpr, max(98, .L__assert_fail.numbered_sgpr)
	.set .L_ZN12_GLOBAL__N_17runRingI12hip_bfloat1610FuncMinMaxIS1_E11ProtoSimpleILi1ELi4ELi1ELi4ELi0ELi0EELi0ELi1ELi4ELi0EEEviiP15ncclDevWorkColl.num_named_barrier, max(0, .L__assert_fail.num_named_barrier)
	.set .L_ZN12_GLOBAL__N_17runRingI12hip_bfloat1610FuncMinMaxIS1_E11ProtoSimpleILi1ELi4ELi1ELi4ELi0ELi0EELi0ELi1ELi4ELi0EEEviiP15ncclDevWorkColl.private_seg_size, 336+max(.L__assert_fail.private_seg_size)
	.set .L_ZN12_GLOBAL__N_17runRingI12hip_bfloat1610FuncMinMaxIS1_E11ProtoSimpleILi1ELi4ELi1ELi4ELi0ELi0EELi0ELi1ELi4ELi0EEEviiP15ncclDevWorkColl.uses_vcc, or(1, .L__assert_fail.uses_vcc)
	.set .L_ZN12_GLOBAL__N_17runRingI12hip_bfloat1610FuncMinMaxIS1_E11ProtoSimpleILi1ELi4ELi1ELi4ELi0ELi0EELi0ELi1ELi4ELi0EEEviiP15ncclDevWorkColl.uses_flat_scratch, or(0, .L__assert_fail.uses_flat_scratch)
	.set .L_ZN12_GLOBAL__N_17runRingI12hip_bfloat1610FuncMinMaxIS1_E11ProtoSimpleILi1ELi4ELi1ELi4ELi0ELi0EELi0ELi1ELi4ELi0EEEviiP15ncclDevWorkColl.has_dyn_sized_stack, or(0, .L__assert_fail.has_dyn_sized_stack)
	.set .L_ZN12_GLOBAL__N_17runRingI12hip_bfloat1610FuncMinMaxIS1_E11ProtoSimpleILi1ELi4ELi1ELi4ELi0ELi0EELi0ELi1ELi4ELi0EEEviiP15ncclDevWorkColl.has_recursion, or(1, .L__assert_fail.has_recursion)
	.set .L_ZN12_GLOBAL__N_17runRingI12hip_bfloat1610FuncMinMaxIS1_E11ProtoSimpleILi1ELi4ELi1ELi4ELi0ELi0EELi0ELi1ELi4ELi0EEEviiP15ncclDevWorkColl.has_indirect_call, or(0, .L__assert_fail.has_indirect_call)
	.section	.AMDGPU.csdata,"",@progbits
; Function info:
; codeLenInByte = 99308
; TotalNumSgprs: 104
; NumVgprs: 128
; NumAgprs: 0
; TotalNumVgprs: 128
; ScratchSize: 400
; MemoryBound: 1
	.text
	.p2align	2                               ; -- Begin function _ZN12_GLOBAL__N_17runRingI12hip_bfloat1610FuncMinMaxIS1_E11ProtoSimpleILi2ELi2ELi1ELi4ELi0ELi0EELi0ELi1ELi4ELi0EEEviiP15ncclDevWorkColl
	.type	_ZN12_GLOBAL__N_17runRingI12hip_bfloat1610FuncMinMaxIS1_E11ProtoSimpleILi2ELi2ELi1ELi4ELi0ELi0EELi0ELi1ELi4ELi0EEEviiP15ncclDevWorkColl,@function
_ZN12_GLOBAL__N_17runRingI12hip_bfloat1610FuncMinMaxIS1_E11ProtoSimpleILi2ELi2ELi1ELi4ELi0ELi0EELi0ELi1ELi4ELi0EEEviiP15ncclDevWorkColl: ; @_ZN12_GLOBAL__N_17runRingI12hip_bfloat1610FuncMinMaxIS1_E11ProtoSimpleILi2ELi2ELi1ELi4ELi0ELi0EELi0ELi1ELi4ELi0EEEviiP15ncclDevWorkColl
; %bb.0:
	s_waitcnt vmcnt(0) expcnt(0) lgkmcnt(0)
	s_mov_b32 s0, s33
	s_mov_b32 s33, s32
	s_or_saveexec_b64 s[2:3], -1
	scratch_store_dword off, v127, s33 offset:332 ; 4-byte Folded Spill
	scratch_store_dword off, v126, s33 offset:336 ; 4-byte Folded Spill
	s_mov_b64 exec, s[2:3]
	v_writelane_b32 v127, s0, 34
	s_addk_i32 s32, 0x160
	scratch_store_dword off, v40, s33 offset:180 ; 4-byte Folded Spill
	scratch_store_dword off, v41, s33 offset:176 ; 4-byte Folded Spill
	;; [unrolled: 1-line block ×45, first 2 shown]
	scratch_store_dword off, v125, s33      ; 4-byte Folded Spill
	v_writelane_b32 v127, s34, 0
	v_writelane_b32 v127, s35, 1
	;; [unrolled: 1-line block ×33, first 2 shown]
	s_nop 1
	v_writelane_b32 v127, s31, 33
	v_mov_b32_e32 v18, v1
	s_trap 2
	flat_load_dword v1, v[2:3]
	ds_read_b32 v6, v0
	v_mov_b32_e32 v109, v0
                                        ; implicit-def: $vgpr4_vgpr5
                                        ; implicit-def: $vgpr8_vgpr9
                                        ; kill: killed $vgpr8_vgpr9
                                        ; implicit-def: $vgpr20_vgpr21
	s_waitcnt lgkmcnt(0)
	v_readfirstlane_b32 s66, v6
	s_waitcnt vmcnt(0)
	v_cmp_ne_u32_sdwa s[0:1], v6, v1 src0_sel:DWORD src1_sel:BYTE_0
	s_and_saveexec_b64 s[2:3], s[0:1]
	s_xor_b64 s[0:1], exec, s[2:3]
	s_cbranch_execz .LBB33_6
; %bb.1:
	v_not_b32_sdwa v0, v1 dst_sel:DWORD dst_unused:UNUSED_PAD src0_sel:BYTE_0
	v_cmp_ne_u32_sdwa s[2:3], v6, v1 src0_sel:DWORD src1_sel:BYTE_1
                                        ; implicit-def: $vgpr4_vgpr5
                                        ; implicit-def: $vgpr8_vgpr9
                                        ; kill: killed $vgpr8_vgpr9
                                        ; implicit-def: $vgpr20_vgpr21
	s_and_saveexec_b64 s[4:5], s[2:3]
	s_xor_b64 s[2:3], exec, s[4:5]
	s_cbranch_execz .LBB33_3
; %bb.2:
	flat_load_dwordx4 v[8:11], v[2:3] offset:72
	flat_load_dwordx2 v[4:5], v[2:3] offset:96
	v_add_u32_e32 v0, v6, v0
	v_ashrrev_i32_e32 v1, 31, v0
	s_waitcnt vmcnt(0) lgkmcnt(0)
	v_mul_lo_u32 v1, v10, v1
	v_mad_u64_u32 v[6:7], s[4:5], v10, v0, v[8:9]
	v_mul_lo_u32 v0, v11, v0
	v_add3_u32 v7, v0, v7, v1
	v_lshrrev_b64 v[4:5], 13, v[4:5]
	scratch_store_dwordx2 off, v[6:7], s33 offset:264 ; 8-byte Folded Spill
	v_mov_b64_e32 v[20:21], v[10:11]
                                        ; implicit-def: $vgpr1
                                        ; implicit-def: $vgpr0
.LBB33_3:
	s_andn2_saveexec_b64 s[2:3], s[2:3]
	s_cbranch_execz .LBB33_5
; %bb.4:
	flat_load_dwordx4 v[4:7], v[2:3] offset:72
	flat_load_dwordx4 v[20:23], v[2:3] offset:88
	v_add_u32_sdwa v0, v1, v0 dst_sel:DWORD dst_unused:UNUSED_PAD src0_sel:BYTE_1 src1_sel:DWORD
	v_ashrrev_i32_e32 v1, 31, v0
	s_waitcnt vmcnt(0) lgkmcnt(0)
	v_mul_lo_u32 v1, v6, v1
	v_mad_u64_u32 v[4:5], s[4:5], v6, v0, v[4:5]
	v_mul_lo_u32 v0, v7, v0
	v_add3_u32 v5, v0, v5, v1
	scratch_store_dwordx2 off, v[4:5], s33 offset:264 ; 8-byte Folded Spill
	v_lshrrev_b32_e32 v4, 2, v23
.LBB33_5:
	s_or_b64 exec, exec, s[2:3]
.LBB33_6:
	s_andn2_saveexec_b64 s[0:1], s[0:1]
	s_cbranch_execz .LBB33_8
; %bb.7:
	flat_load_dwordx2 v[0:1], v[2:3] offset:96
	flat_load_dwordx2 v[20:21], v[2:3] offset:72
	s_waitcnt vmcnt(0) lgkmcnt(0)
	v_lshlrev_b64 v[4:5], 8, v[0:1]
	v_mov_b64_e32 v[0:1], 0
	scratch_store_dwordx2 off, v[0:1], s33 offset:264 ; 8-byte Folded Spill
.LBB33_8:
	s_or_b64 exec, exec, s[0:1]
	s_trap 2
	ds_read_b64 v[0:1], v0
	s_waitcnt lgkmcnt(0)
	v_cmp_ne_u32_e32 vcc, -1, v0
	s_nop 1
	v_cndmask_b32_e64 v0, 0, 1, vcc
	v_cmp_ne_u32_e32 vcc, -1, v1
	s_nop 1
	v_addc_co_u32_e64 v1, s[0:1], 0, v0, vcc
	v_lshlrev_b32_e32 v5, 1, v1
	v_cmp_le_u32_e64 s[0:1], v5, v18
	s_and_saveexec_b64 s[2:3], s[0:1]
	s_xor_b64 s[24:25], exec, s[2:3]
	s_cbranch_execz .LBB33_3140
; %bb.9:
	flat_load_dwordx4 v[10:13], v[2:3] offset:16
	flat_load_dwordx2 v[14:15], v[2:3] offset:104
	flat_load_ushort v7, v[2:3] offset:8
	flat_load_dword v6, v[2:3] offset:4
	s_trap 2
	s_load_dword s0, s[8:9], 0x0
	v_mov_b32_e32 v5, 0
	v_mov_b32_e32 v58, 4
	s_waitcnt lgkmcnt(0)
	s_cmp_lt_u32 s12, s0
	s_cselect_b32 s0, 12, 18
	s_add_u32 s0, s8, s0
	s_addc_u32 s1, s9, 0
	global_load_ushort v19, v5, s[0:1]
	ds_read_b32 v5, v0
	v_cmp_ge_u32_e64 s[0:1], v109, v0
	s_waitcnt lgkmcnt(0)
	v_readfirstlane_b32 s20, v5
	s_and_saveexec_b64 s[2:3], s[0:1]
	s_cbranch_execz .LBB33_19
; %bb.10:
	v_cmp_ge_u32_e64 s[0:1], v109, v1
                                        ; implicit-def: $vgpr58
	s_and_saveexec_b64 s[4:5], s[0:1]
	s_xor_b64 s[0:1], exec, s[4:5]
	s_cbranch_execz .LBB33_16
; %bb.11:
	v_cndmask_b32_e64 v5, 0, 1, vcc
	v_sub_u32_e32 v5, v18, v5
	v_cmp_ge_u32_e32 vcc, v109, v5
	s_and_saveexec_b64 s[4:5], vcc
	s_xor_b64 s[4:5], exec, s[4:5]
; %bb.12:
                                        ; implicit-def: $vgpr1
; %bb.13:
	s_or_saveexec_b64 s[4:5], s[4:5]
	v_mov_b32_e32 v58, 16
	s_xor_b64 exec, exec, s[4:5]
; %bb.14:
	v_sub_u32_e32 v1, v18, v1
	v_cmp_lt_i32_e32 vcc, v109, v1
	s_nop 1
	v_cndmask_b32_e64 v58, 32, 0, vcc
; %bb.15:
	s_or_b64 exec, exec, s[4:5]
.LBB33_16:
	s_andn2_saveexec_b64 s[0:1], s[0:1]
; %bb.17:
	v_mov_b32_e32 v58, 8
; %bb.18:
	s_or_b64 exec, exec, s[0:1]
.LBB33_19:
	s_or_b64 exec, exec, s[2:3]
	v_and_b32_e32 v1, 36, v58
	v_cmp_ne_u32_e32 vcc, 0, v1
	v_mov_b32_e32 v8, -1
	s_and_saveexec_b64 s[0:1], vcc
	s_cbranch_execz .LBB33_21
; %bb.20:
	s_trap 2
	ds_read_b32 v8, v0
.LBB33_21:
	s_or_b64 exec, exec, s[0:1]
	v_and_b32_e32 v1, 24, v58
	v_cmp_ne_u32_e64 s[0:1], 0, v1
	s_and_saveexec_b64 s[2:3], s[0:1]
	s_cbranch_execz .LBB33_23
; %bb.22:
	s_trap 2
	s_waitcnt lgkmcnt(0)
	ds_read_b32 v8, v0
.LBB33_23:
	s_or_b64 exec, exec, s[2:3]
	s_waitcnt vmcnt(0)
	v_lshrrev_b64 v[6:7], 31, v[6:7]
	v_and_b32_e32 v1, 3, v6
	v_mov_b64_e32 v[6:7], 0
	scratch_store_dwordx2 off, v[6:7], s33 offset:304 ; 8-byte Folded Spill
                                        ; implicit-def: $vgpr6_vgpr7
                                        ; kill: killed $vgpr6_vgpr7
                                        ; implicit-def: $vgpr30
                                        ; implicit-def: $vgpr116_vgpr117
                                        ; implicit-def: $vgpr42_vgpr43
                                        ; implicit-def: $vgpr56_vgpr57
                                        ; implicit-def: $vgpr40_vgpr41
	v_mov_b64_e32 v[6:7], 0
	s_and_saveexec_b64 s[0:1], vcc
	s_cbranch_execz .LBB33_33
; %bb.24:
	s_trap 2
	ds_read_b64 v[6:7], v0
	s_waitcnt lgkmcnt(1)
	v_ashrrev_i32_e32 v9, 31, v8
	v_and_b32_e32 v5, 0xffff, v1
	s_movk_i32 s2, 0xa8
	s_waitcnt lgkmcnt(0)
	v_lshl_add_u64 v[6:7], v[8:9], 3, v[6:7]
	flat_load_dwordx2 v[6:7], v[6:7]
	s_waitcnt vmcnt(0) lgkmcnt(0)
	v_mad_u64_u32 v[16:17], s[2:3], v5, s2, v[6:7]
	flat_load_dword v5, v[16:17] offset:640
                                        ; implicit-def: $vgpr6_vgpr7
                                        ; kill: killed $vgpr6_vgpr7
	s_waitcnt vmcnt(0) lgkmcnt(0)
	v_cmp_eq_u32_e32 vcc, 1, v5
	s_and_saveexec_b64 s[2:3], vcc
	s_cbranch_execz .LBB33_26
; %bb.25:
	flat_load_dwordx2 v[22:23], v[16:17] offset:648
	v_or_b32_e32 v58, 0x2000, v58
	s_waitcnt vmcnt(0) lgkmcnt(0)
	flat_load_dwordx2 v[6:7], v[22:23]
	s_trap 2
	scratch_store_dwordx2 off, v[22:23], s33 offset:324 ; 8-byte Folded Spill
	s_waitcnt vmcnt(0) lgkmcnt(0)
	ds_write_b64 v0, v[6:7]
	flat_load_dwordx2 v[6:7], v[22:23] offset:8
	s_waitcnt vmcnt(0) lgkmcnt(0)
	ds_write_b64 v0, v[6:7]
	flat_load_dwordx2 v[6:7], v[22:23] offset:16
	s_waitcnt vmcnt(0) lgkmcnt(0)
	ds_write_b64 v0, v[6:7]
.LBB33_26:
	s_or_b64 exec, exec, s[2:3]
	flat_load_dwordx2 v[6:7], v[16:17] offset:608
	v_and_b32_e32 v5, 32, v58
	v_cmp_ne_u32_e32 vcc, 0, v5
                                        ; implicit-def: $vgpr40_vgpr41
	s_waitcnt vmcnt(0) lgkmcnt(0)
	v_lshl_add_u64 v[116:117], v[6:7], 0, 3
	v_and_b32_e32 v116, -4, v116
	s_and_saveexec_b64 s[2:3], vcc
	s_cbranch_execz .LBB33_28
; %bb.27:
	flat_load_dwordx2 v[40:41], v[16:17] offset:560
	s_waitcnt vmcnt(0) lgkmcnt(0)
	flat_store_dwordx2 v[40:41], v[116:117] sc0 sc1
.LBB33_28:
	s_or_b64 exec, exec, s[2:3]
	s_mov_b64 s[2:3], 0x1f8
	v_lshl_add_u64 v[6:7], v[16:17], 0, s[2:3]
	v_and_b32_e32 v5, 4, v58
	scratch_store_dwordx2 off, v[6:7], s33 offset:304 ; 8-byte Folded Spill
	v_cmp_ne_u32_e32 vcc, 0, v5
	v_mov_b64_e32 v[6:7], 0
                                        ; implicit-def: $vgpr30
                                        ; implicit-def: $vgpr42_vgpr43
                                        ; implicit-def: $vgpr56_vgpr57
	s_and_saveexec_b64 s[2:3], vcc
	s_cbranch_execz .LBB33_32
; %bb.29:
	v_and_b32_e32 v5, 0x800, v58
	v_cmp_eq_u32_e32 vcc, 0, v5
	s_and_saveexec_b64 s[4:5], vcc
	s_cbranch_execz .LBB33_31
; %bb.30:
	s_trap 2
	scratch_load_dwordx2 v[6:7], off, s33 offset:304 ; 8-byte Folded Reload
	s_waitcnt vmcnt(0)
	ds_write_b64 v0, v[6:7]
.LBB33_31:
	s_or_b64 exec, exec, s[4:5]
	flat_load_dwordx2 v[40:41], v[16:17] offset:552
	v_or_b32_e32 v9, 0x100, v58
	s_waitcnt vmcnt(0) lgkmcnt(0)
	flat_load_dwordx2 v[56:57], v[40:41] sc0 sc1
	flat_load_dword v5, v[16:17] offset:576
	flat_load_dwordx2 v[6:7], v[16:17] offset:600
	flat_load_dwordx2 v[42:43], v[16:17] offset:520
	s_waitcnt vmcnt(0) lgkmcnt(0)
	v_ashrrev_i32_e32 v30, 1, v5
	v_cmp_eq_u64_e32 vcc, 0, v[6:7]
	s_nop 1
	v_cndmask_b32_e32 v58, v9, v58, vcc
.LBB33_32:
	s_or_b64 exec, exec, s[2:3]
.LBB33_33:
	s_or_b64 exec, exec, s[0:1]
	v_and_b32_e32 v5, 24, v58
	v_cmp_ne_u32_e32 vcc, 0, v5
                                        ; implicit-def: $vgpr44_vgpr45
	s_and_saveexec_b64 s[0:1], vcc
	s_cbranch_execz .LBB33_41
; %bb.34:
	s_trap 2
	ds_read_b64 v[6:7], v0
	s_waitcnt lgkmcnt(0)
	v_ashrrev_i32_e32 v9, 31, v8
	v_and_b32_e32 v1, 0xffff, v1
	s_movk_i32 s2, 0xa8
                                        ; implicit-def: $vgpr44_vgpr45
	v_lshl_add_u64 v[6:7], v[8:9], 3, v[6:7]
	flat_load_dwordx2 v[6:7], v[6:7]
	s_waitcnt vmcnt(0) lgkmcnt(0)
	v_mad_u64_u32 v[6:7], s[2:3], v1, s2, v[6:7]
	scratch_store_dwordx2 off, v[6:7], s33 offset:304 ; 8-byte Folded Spill
	flat_load_dwordx4 v[6:9], v[6:7] offset:96
	v_or_b32_e32 v1, 0x100, v58
	s_waitcnt vmcnt(0) lgkmcnt(0)
	v_cmp_eq_u64_e32 vcc, 0, v[6:7]
	s_nop 1
	v_cndmask_b32_e32 v58, v1, v58, vcc
	v_and_b32_e32 v1, 16, v58
	v_cmp_ne_u32_e32 vcc, 0, v1
	s_and_saveexec_b64 s[2:3], vcc
	s_cbranch_execz .LBB33_36
; %bb.35:
	scratch_load_dwordx2 v[16:17], off, s33 offset:304 ; 8-byte Folded Reload
	s_waitcnt vmcnt(0)
	flat_load_dwordx2 v[40:41], v[16:17] offset:48
	flat_load_dwordx2 v[44:45], v[16:17] offset:120
	;; [unrolled: 1-line block ×3, first 2 shown]
.LBB33_36:
	s_or_b64 exec, exec, s[2:3]
	v_lshl_add_u64 v[116:117], v[8:9], 0, 3
	v_and_b32_e32 v1, 8, v58
	v_and_b32_e32 v116, -4, v116
	v_cmp_ne_u32_e32 vcc, 0, v1
	s_and_saveexec_b64 s[2:3], vcc
	s_cbranch_execz .LBB33_40
; %bb.37:
	v_and_b32_e32 v1, 0x800, v58
	v_cmp_eq_u32_e32 vcc, 0, v1
	s_and_saveexec_b64 s[4:5], vcc
	s_cbranch_execz .LBB33_39
; %bb.38:
	s_trap 2
	scratch_load_dwordx2 v[8:9], off, s33 offset:304 ; 8-byte Folded Reload
	s_waitcnt vmcnt(0)
	ds_write_b64 v0, v[8:9]
.LBB33_39:
	s_or_b64 exec, exec, s[4:5]
	scratch_load_dwordx2 v[8:9], off, s33 offset:304 ; 8-byte Folded Reload
	s_waitcnt vmcnt(0) lgkmcnt(0)
	flat_load_dwordx2 v[40:41], v[8:9] offset:56
	s_waitcnt vmcnt(0) lgkmcnt(0)
	flat_load_dwordx2 v[56:57], v[40:41] sc0 sc1
	flat_load_dword v1, v[8:9] offset:72
	flat_load_dwordx2 v[42:43], v[8:9] offset:16
	s_waitcnt vmcnt(0) lgkmcnt(0)
	v_ashrrev_i32_e32 v30, 1, v1
.LBB33_40:
	s_or_b64 exec, exec, s[2:3]
.LBB33_41:
	s_or_b64 exec, exec, s[0:1]
	v_cmp_eq_u32_e64 s[0:1], 0, v109
	s_and_saveexec_b64 s[2:3], s[0:1]
	s_cbranch_execz .LBB33_43
; %bb.42:
	s_waitcnt lgkmcnt(0)
	flat_load_dwordx2 v[8:9], v[2:3] offset:32
	ds_write2_b64 v0, v[12:13], v[10:11] offset1:1
	s_trap 2
	s_waitcnt vmcnt(0) lgkmcnt(0)
	ds_write_b64 v0, v[8:9]
	ds_write_b64 v0, v[14:15]
.LBB33_43:
	s_or_b64 exec, exec, s[2:3]
	v_mov_b64_e32 v[46:47], 0
	v_cmp_lt_i64_e32 vcc, 0, v[20:21]
	s_mov_b64 s[2:3], exec
                                        ; implicit-def: $vgpr126 : SGPR spill to VGPR lane
	v_writelane_b32 v126, s2, 0
	s_nop 1
	v_writelane_b32 v126, s3, 1
	s_and_b64 s[2:3], s[2:3], vcc
	s_mov_b64 exec, s[2:3]
	s_cbranch_execz .LBB33_3106
; %bb.44:
	flat_load_dword v1, v[2:3] offset:4
	s_ashr_i32 s14, s20, 31
	s_lshr_b32 s21, s14, 29
	s_add_i32 s20, s20, s21
	s_ashr_i32 s67, s66, 31
	s_ashr_i32 s21, s20, 4
	s_add_u32 s92, s66, -1
	s_addc_u32 s93, s67, -1
	s_add_i32 s70, s66, s66
	s_not_b32 s22, s66
	s_cmp_gt_i32 s66, 0
	s_cselect_b32 s22, s22, -1
	s_ashr_i32 s20, s20, 31
	s_lshr_b32 s20, s20, 28
	v_and_b32_e32 v110, 63, v109
	s_add_i32 s71, s22, s70
	s_add_i32 s21, s21, s20
	v_cmp_lt_u32_e64 s[16:17], v110, v0
	v_cmp_le_u32_e64 s[18:19], v110, v0
	s_ashr_i32 s80, s71, 31
	s_ashr_i32 s81, s21, 4
	s_cmp_gt_i32 s66, 2
	v_and_b32_e32 v2, 0x1fffff00, v4
	v_lshrrev_b32_e32 v60, 6, v18
	v_lshlrev_b32_e32 v5, 1, v18
	s_cselect_b64 s[94:95], -1, 0
	s_add_i32 s22, s66, 1
	v_cmp_ge_u32_e32 vcc, v109, v18
	scratch_store_dword off, v31, s33 offset:316 ; 4-byte Folded Spill
	v_and_b32_e32 v4, 63, v31
	s_trap 2
	v_cmp_eq_u32_e64 s[2:3], 64, v18
	v_cmp_ne_u32_e64 s[4:5], 64, v18
	scratch_store_dword off, v19, s33 offset:320 ; 4-byte Folded Spill
	v_cmp_ne_u32_sdwa s[76:77], v18, v19 src0_sel:DWORD src1_sel:WORD_0
	scratch_store_dword off, v18, s33 offset:312 ; 4-byte Folded Spill
	v_mad_i64_i32 v[18:19], s[12:13], v2, s66, 0
	v_lshlrev_b32_e32 v76, 10, v60
	v_and_b32_e32 v88, 0x7f80, v5
	v_lshrrev_b32_e32 v111, 6, v109
	v_cmp_eq_u32_e64 s[12:13], 0, v4
	v_lshlrev_b32_e32 v4, 4, v110
	v_add_u32_e32 v94, 0xfffffc00, v76
	v_add_u32_e32 v120, 0xffffff80, v88
	v_writelane_b32 v126, s24, 2
	v_mov_b32_e32 v3, 0
	s_mov_b64 s[88:89], 0x400
	s_mov_b64 s[90:91], 0x80
	v_lshl_or_b32 v90, v111, 12, v4
	v_lshl_or_b32 v84, v111, 13, v4
	v_ashrrev_i32_e32 v95, 31, v94
	v_ashrrev_i32_e32 v121, 31, v120
	v_writelane_b32 v126, s25, 3
	s_mov_b32 s75, 0
	s_mov_b64 s[78:79], 0
	s_waitcnt vmcnt(0) lgkmcnt(0)
	v_cmp_eq_u64_e64 s[6:7], 0, v[44:45]
	v_cmp_ne_u64_e64 s[10:11], 0, v[44:45]
	s_movk_i32 s68, 0xfc00
	s_movk_i32 s69, 0xff80
	v_mov_b64_e32 v[16:17], 0
	v_mov_b64_e32 v[46:47], 0
	v_mov_b32_e32 v61, v3
	v_cmp_eq_u32_e64 s[14:15], 0, v110
	v_lshlrev_b32_e32 v74, 13, v60
	v_mov_b32_e32 v75, v3
	v_mov_b32_e32 v77, v3
	v_lshlrev_b32_e32 v78, 11, v60
	v_mov_b32_e32 v79, v3
	v_mov_b32_e32 v89, v3
	;; [unrolled: 1-line block ×3, first 2 shown]
	v_lshlrev_b32_e32 v92, 12, v60
	v_mov_b32_e32 v93, v3
	v_mov_b32_e32 v85, v3
	;; [unrolled: 1-line block ×4, first 2 shown]
	v_or_b32_e32 v4, 0xc00, v90
	v_or_b32_e32 v8, 0x1c00, v84
	v_lshl_add_u64 v[124:125], v[94:95], 0, s[88:89]
	v_lshl_add_u64 v[122:123], v[120:121], 0, s[90:91]
	v_and_b32_e32 v0, 1, v1
	v_cmp_eq_u32_e64 s[20:21], 1, v0
	s_xor_b64 s[30:31], s[20:21], -1
	s_cmp_ge_i32 s22, s66
	s_cselect_b32 s23, s66, 0
	s_sub_i32 s83, s22, s23
	s_add_i32 s82, s66, -2
	s_xor_b64 s[34:35], vcc, -1
	s_ashr_i32 s84, s83, 31
	v_mov_b32_e32 v1, 1
	s_movk_i32 s85, 0x1000
	s_movk_i32 s86, 0x108
	s_mov_b32 s87, 0x7f800000
	s_movk_i32 s96, 0x7fff
	s_mov_b32 s97, 0xffff0000
	s_mov_b64 s[36:37], 0x780
	s_movk_i32 s72, 0xf880
	v_mov_b32_e32 v96, v3
	v_mov_b32_e32 v97, v3
	;; [unrolled: 1-line block ×6, first 2 shown]
	scratch_store_dwordx2 off, v[4:5], s33 offset:296 ; 8-byte Folded Spill
	scratch_store_dwordx2 off, v[8:9], s33 offset:236 ; 8-byte Folded Spill
	;; [unrolled: 1-line block ×3, first 2 shown]
	scratch_store_dword off, v109, s33 offset:216 ; 4-byte Folded Spill
	scratch_store_dword off, v110, s33 offset:220 ; 4-byte Folded Spill
	;; [unrolled: 1-line block ×3, first 2 shown]
	scratch_store_dwordx2 off, v[124:125], s33 offset:228 ; 8-byte Folded Spill
	scratch_store_dwordx2 off, v[96:97], s33 offset:208 ; 8-byte Folded Spill
	scratch_store_dwordx4 off, v[20:23], s33 offset:272 ; 16-byte Folded Spill
	scratch_store_dwordx2 off, v[18:19], s33 offset:288 ; 8-byte Folded Spill
	scratch_store_dwordx2 off, v[84:85], s33 offset:184 ; 8-byte Folded Spill
	s_branch .LBB33_47
.LBB33_45:                              ;   in Loop: Header=BB33_47 Depth=1
	s_or_b64 exec, exec, s[26:27]
.LBB33_46:                              ;   in Loop: Header=BB33_47 Depth=1
	s_or_b64 exec, exec, s[24:25]
	s_waitcnt vmcnt(0)
	v_lshl_add_u64 v[16:17], v[16:17], 0, v[18:19]
	v_cmp_ge_i64_e32 vcc, v[16:17], v[20:21]
	s_or_b64 s[78:79], vcc, s[78:79]
	s_andn2_b64 exec, exec, s[78:79]
	s_cbranch_execz .LBB33_3105
.LBB33_47:                              ; =>This Loop Header: Depth=1
                                        ;     Child Loop BB33_57 Depth 2
                                        ;       Child Loop BB33_65 Depth 3
                                        ;       Child Loop BB33_89 Depth 3
	;; [unrolled: 1-line block ×9, first 2 shown]
                                        ;     Child Loop BB33_197 Depth 2
                                        ;       Child Loop BB33_203 Depth 3
                                        ;       Child Loop BB33_227 Depth 3
	;; [unrolled: 1-line block ×3, first 2 shown]
                                        ;     Child Loop BB33_269 Depth 2
                                        ;       Child Loop BB33_272 Depth 3
                                        ;         Child Loop BB33_280 Depth 4
                                        ;         Child Loop BB33_308 Depth 4
	;; [unrolled: 1-line block ×9, first 2 shown]
                                        ;       Child Loop BB33_644 Depth 3
                                        ;         Child Loop BB33_650 Depth 4
                                        ;         Child Loop BB33_678 Depth 4
	;; [unrolled: 1-line block ×3, first 2 shown]
                                        ;     Child Loop BB33_719 Depth 2
                                        ;       Child Loop BB33_727 Depth 3
                                        ;       Child Loop BB33_755 Depth 3
	;; [unrolled: 1-line block ×9, first 2 shown]
                                        ;         Child Loop BB33_1097 Depth 4
                                        ;       Child Loop BB33_1105 Depth 3
                                        ;       Child Loop BB33_1237 Depth 3
                                        ;         Child Loop BB33_1242 Depth 4
                                        ;       Child Loop BB33_1698 Depth 3
                                        ;       Child Loop BB33_1717 Depth 3
                                        ;     Child Loop BB33_1736 Depth 2
                                        ;       Child Loop BB33_1742 Depth 3
                                        ;       Child Loop BB33_1770 Depth 3
	;; [unrolled: 1-line block ×3, first 2 shown]
                                        ;     Child Loop BB33_1811 Depth 2
                                        ;       Child Loop BB33_1814 Depth 3
                                        ;         Child Loop BB33_1822 Depth 4
                                        ;         Child Loop BB33_1850 Depth 4
                                        ;         Child Loop BB33_1869 Depth 4
                                        ;         Child Loop BB33_2121 Depth 4
                                        ;         Child Loop BB33_2381 Depth 4
                                        ;         Child Loop BB33_2388 Depth 4
                                        ;         Child Loop BB33_2456 Depth 4
                                        ;         Child Loop BB33_1899 Depth 4
                                        ;         Child Loop BB33_2031 Depth 4
                                        ;           Child Loop BB33_2032 Depth 5
                                        ;         Child Loop BB33_2040 Depth 4
                                        ;         Child Loop BB33_2108 Depth 4
                                        ;           Child Loop BB33_2109 Depth 5
                                        ;         Child Loop BB33_2465 Depth 4
                                        ;         Child Loop BB33_2484 Depth 4
                                        ;       Child Loop BB33_2503 Depth 3
                                        ;         Child Loop BB33_2509 Depth 4
                                        ;         Child Loop BB33_2537 Depth 4
	;; [unrolled: 1-line block ×3, first 2 shown]
                                        ;     Child Loop BB33_2581 Depth 2
                                        ;       Child Loop BB33_2589 Depth 3
                                        ;       Child Loop BB33_2613 Depth 3
	;; [unrolled: 1-line block ×9, first 2 shown]
                                        ;     Child Loop BB33_3039 Depth 2
                                        ;       Child Loop BB33_3045 Depth 3
                                        ;       Child Loop BB33_3069 Depth 3
	;; [unrolled: 1-line block ×3, first 2 shown]
	v_sub_co_u32_e32 v86, vcc, v20, v16
	s_nop 1
	v_subb_co_u32_e32 v87, vcc, v21, v17, vcc
	v_cmp_lt_i64_e32 vcc, v[86:87], v[18:19]
	s_and_saveexec_b64 s[24:25], vcc
	s_cbranch_execz .LBB33_53
; %bb.48:                               ;   in Loop: Header=BB33_47 Depth=1
	v_lshl_add_u64 v[4:5], s[92:93], 0, v[86:87]
	v_or_b32_e32 v9, s67, v5
	v_mov_b32_e32 v8, v3
	v_cmp_ne_u64_e32 vcc, 0, v[8:9]
                                        ; implicit-def: $vgpr8_vgpr9
	s_and_saveexec_b64 s[22:23], vcc
	s_xor_b64 s[26:27], exec, s[22:23]
	s_cbranch_execz .LBB33_50
; %bb.49:                               ;   in Loop: Header=BB33_47 Depth=1
	s_ashr_i32 s28, s67, 31
	s_add_u32 s22, s66, s28
	s_mov_b32 s29, s28
	s_addc_u32 s23, s67, s28
	s_xor_b64 s[40:41], s[22:23], s[28:29]
	v_cvt_f32_u32_e32 v0, s40
	v_cvt_f32_u32_e32 v2, s41
	s_sub_u32 s29, 0, s40
	s_subb_u32 s42, 0, s41
	v_ashrrev_i32_e32 v8, 31, v5
	v_fmac_f32_e32 v0, 0x4f800000, v2
	v_rcp_f32_e32 v0, v0
	v_mov_b32_e32 v9, v8
	v_lshl_add_u64 v[4:5], v[4:5], 0, v[8:9]
	v_xor_b32_e32 v9, v4, v8
	v_mul_f32_e32 v0, 0x5f7ffffc, v0
	v_mul_f32_e32 v2, 0x2f800000, v0
	v_trunc_f32_e32 v2, v2
	v_fmac_f32_e32 v0, 0xcf800000, v2
	v_cvt_u32_f32_e32 v2, v2
	v_cvt_u32_f32_e32 v0, v0
	v_readfirstlane_b32 s43, v2
	v_readfirstlane_b32 s22, v0
	s_mul_i32 s23, s29, s43
	s_mul_hi_u32 s45, s29, s22
	s_mul_i32 s44, s42, s22
	s_add_i32 s23, s45, s23
	s_add_i32 s23, s23, s44
	s_mul_i32 s46, s29, s22
	s_mul_i32 s45, s22, s23
	s_mul_hi_u32 s47, s22, s46
	s_mul_hi_u32 s44, s22, s23
	s_add_u32 s45, s47, s45
	s_addc_u32 s44, 0, s44
	s_mul_hi_u32 s56, s43, s46
	s_mul_i32 s46, s43, s46
	s_add_u32 s45, s45, s46
	s_mul_hi_u32 s47, s43, s23
	s_addc_u32 s44, s44, s56
	s_addc_u32 s45, s47, 0
	s_mul_i32 s23, s43, s23
	s_add_u32 s23, s44, s23
	s_addc_u32 s44, 0, s45
	s_add_u32 s45, s22, s23
	s_cselect_b64 s[22:23], -1, 0
	s_cmp_lg_u64 s[22:23], 0
	s_addc_u32 s43, s43, s44
	s_mul_i32 s22, s29, s43
	s_mul_hi_u32 s23, s29, s45
	s_add_i32 s22, s23, s22
	s_mul_i32 s42, s42, s45
	s_add_i32 s22, s22, s42
	s_mul_i32 s29, s29, s45
	s_mul_hi_u32 s42, s43, s29
	s_mul_i32 s44, s43, s29
	s_mul_i32 s47, s45, s22
	s_mul_hi_u32 s29, s45, s29
	s_mul_hi_u32 s46, s45, s22
	s_add_u32 s29, s29, s47
	s_addc_u32 s46, 0, s46
	s_add_u32 s29, s29, s44
	s_mul_hi_u32 s23, s43, s22
	s_addc_u32 s29, s46, s42
	s_addc_u32 s23, s23, 0
	s_mul_i32 s22, s43, s22
	s_add_u32 s22, s29, s22
	s_addc_u32 s29, 0, s23
	s_add_u32 s42, s45, s22
	s_cselect_b64 s[22:23], -1, 0
	s_cmp_lg_u64 s[22:23], 0
	s_addc_u32 s29, s43, s29
	v_xor_b32_e32 v0, v5, v8
	v_mad_u64_u32 v[4:5], s[22:23], v9, s29, 0
	v_mul_hi_u32 v2, v9, s42
	v_lshl_add_u64 v[4:5], v[2:3], 0, v[4:5]
	v_mad_u64_u32 v[12:13], s[22:23], v0, s42, 0
	v_add_co_u32_e32 v2, vcc, v4, v12
	v_mad_u64_u32 v[10:11], s[22:23], v0, s29, 0
	s_nop 0
	v_addc_co_u32_e32 v2, vcc, v5, v13, vcc
	s_nop 1
	v_addc_co_u32_e32 v11, vcc, 0, v11, vcc
	v_lshl_add_u64 v[4:5], v[2:3], 0, v[10:11]
	v_mul_lo_u32 v2, s41, v4
	v_mul_lo_u32 v12, s40, v5
	v_mad_u64_u32 v[10:11], s[22:23], s40, v4, 0
	v_add3_u32 v2, v11, v12, v2
	v_sub_u32_e32 v11, v0, v2
	v_mov_b32_e32 v12, s41
	v_sub_co_u32_e32 v9, vcc, v9, v10
	s_nop 1
	v_subb_co_u32_e64 v10, s[22:23], v11, v12, vcc
	v_subrev_co_u32_e64 v11, s[22:23], s40, v9
	v_subb_co_u32_e32 v0, vcc, v0, v2, vcc
	s_nop 0
	v_subbrev_co_u32_e64 v10, s[22:23], 0, v10, s[22:23]
	v_cmp_le_u32_e64 s[22:23], s41, v10
	v_cmp_le_u32_e32 vcc, s41, v0
	s_nop 0
	v_cndmask_b32_e64 v12, 0, -1, s[22:23]
	v_cmp_le_u32_e64 s[22:23], s40, v11
	v_cndmask_b32_e64 v2, 0, -1, vcc
	v_cmp_le_u32_e32 vcc, s40, v9
	v_cndmask_b32_e64 v11, 0, -1, s[22:23]
	v_cmp_eq_u32_e64 s[22:23], s41, v10
	v_cndmask_b32_e64 v9, 0, -1, vcc
	v_cmp_eq_u32_e32 vcc, s41, v0
	v_cndmask_b32_e64 v14, v12, v11, s[22:23]
	v_lshl_add_u64 v[10:11], v[4:5], 0, 2
	v_lshl_add_u64 v[12:13], v[4:5], 0, 1
	v_cmp_ne_u32_e64 s[22:23], 0, v14
	v_cndmask_b32_e32 v0, v2, v9, vcc
	v_cmp_ne_u32_e32 vcc, 0, v0
	v_cndmask_b32_e64 v2, v12, v10, s[22:23]
	v_cndmask_b32_e64 v11, v13, v11, s[22:23]
	v_cndmask_b32_e32 v2, v4, v2, vcc
	v_xor_b32_e32 v4, s28, v8
	v_cndmask_b32_e32 v0, v5, v11, vcc
	v_xor_b32_e32 v2, v2, v4
	v_xor_b32_e32 v0, v0, v4
	v_sub_co_u32_e32 v8, vcc, v2, v4
	s_nop 1
	v_subb_co_u32_e32 v9, vcc, v0, v4, vcc
                                        ; implicit-def: $vgpr4_vgpr5
.LBB33_50:                              ;   in Loop: Header=BB33_47 Depth=1
	s_andn2_saveexec_b64 s[22:23], s[26:27]
	s_cbranch_execz .LBB33_52
; %bb.51:                               ;   in Loop: Header=BB33_47 Depth=1
	v_cvt_f32_u32_e32 v0, s66
	s_sub_i32 s26, 0, s66
	v_rcp_iflag_f32_e32 v0, v0
	s_nop 0
	v_mul_f32_e32 v0, 0x4f7ffffe, v0
	v_cvt_u32_f32_e32 v0, v0
	v_mul_lo_u32 v2, s26, v0
	v_mul_hi_u32 v2, v0, v2
	v_add_u32_e32 v0, v0, v2
	v_mul_hi_u32 v0, v4, v0
	v_mul_lo_u32 v2, v0, s66
	v_sub_u32_e32 v2, v4, v2
	v_add_u32_e32 v5, 1, v0
	v_subrev_u32_e32 v4, s66, v2
	v_cmp_le_u32_e32 vcc, s66, v2
	s_nop 1
	v_cndmask_b32_e32 v2, v2, v4, vcc
	v_cndmask_b32_e32 v0, v0, v5, vcc
	v_add_u32_e32 v4, 1, v0
	v_cmp_le_u32_e32 vcc, s66, v2
	s_nop 1
	v_cndmask_b32_e32 v2, v0, v4, vcc
	v_mov_b64_e32 v[8:9], v[2:3]
.LBB33_52:                              ;   in Loop: Header=BB33_47 Depth=1
	s_or_b64 exec, exec, s[22:23]
	v_lshl_add_u64 v[4:5], v[8:9], 0, 7
	v_and_b32_e32 v4, -8, v4
	scratch_store_dwordx2 off, v[4:5], s33 offset:192 ; 8-byte Folded Spill
.LBB33_53:                              ;   in Loop: Header=BB33_47 Depth=1
	s_or_b64 exec, exec, s[24:25]
	scratch_load_dwordx2 v[8:9], off, s33 offset:192 ; 8-byte Folded Reload
	scratch_load_dwordx2 v[4:5], off, s33 offset:264 ; 8-byte Folded Reload
	s_waitcnt vmcnt(0)
	v_mul_lo_u32 v0, v9, s71
	v_mul_lo_u32 v2, v8, s80
	v_mad_u64_u32 v[10:11], s[22:23], v8, s71, 0
	v_add3_u32 v11, v11, v2, v0
	s_waitcnt vmcnt(0)
	v_lshl_add_u64 v[104:105], v[16:17], 0, v[4:5]
	v_sub_co_u32_e32 v4, vcc, v86, v10
	v_mov_b32_e32 v2, 0
	s_nop 0
	v_subb_co_u32_e32 v5, vcc, v87, v11, vcc
	v_cmp_lt_i64_e32 vcc, v[8:9], v[4:5]
	scratch_store_dwordx2 off, v[16:17], s33 offset:248 ; 8-byte Folded Spill
	s_nop 0
	v_cndmask_b32_e32 v5, v4, v8, vcc
	v_max_i32_e32 v0, 0, v5
	v_add_u32_e32 v4, 31, v0
	v_ashrrev_i32_e32 v8, 31, v4
	v_lshrrev_b32_e32 v8, 27, v8
	v_add_u32_e32 v4, v4, v8
	v_ashrrev_i32_e32 v4, 5, v4
	v_lshlrev_b32_e32 v4, 4, v4
	v_cmp_lt_i32_e32 vcc, 0, v5
	v_max_i32_e32 v4, s81, v4
	s_and_b64 s[22:23], s[34:35], vcc
	v_mov_b32_e32 v8, 0
	s_and_saveexec_b64 s[24:25], s[22:23]
	s_cbranch_execz .LBB33_193
; %bb.54:                               ;   in Loop: Header=BB33_47 Depth=1
	s_mov_b32 s62, 1
	s_mov_b64 s[28:29], -1
	v_mov_b32_e32 v8, 0
	s_mov_b64 s[26:27], 0
	s_branch .LBB33_57
.LBB33_55:                              ;   in Loop: Header=BB33_57 Depth=2
	s_or_b64 exec, exec, s[40:41]
	v_lshl_add_u64 v[116:117], v[116:117], 0, 2
	flat_store_dwordx2 v[40:41], v[116:117] sc0 sc1
.LBB33_56:                              ;   in Loop: Header=BB33_57 Depth=2
	s_or_b64 exec, exec, s[22:23]
	v_add_u32_e32 v8, v4, v8
	v_cmp_ge_i32_e32 vcc, v8, v0
	s_xor_b64 s[22:23], s[28:29], -1
	s_or_b64 s[22:23], s[22:23], vcc
	s_and_b64 s[22:23], exec, s[22:23]
	s_or_b64 s[26:27], s[22:23], s[26:27]
	s_mov_b64 s[28:29], 0
	v_mov_b32_e32 v2, s62
	s_mov_b32 s62, 2
	s_andn2_b64 exec, exec, s[26:27]
	s_cbranch_execz .LBB33_192
.LBB33_57:                              ;   Parent Loop BB33_47 Depth=1
                                        ; =>  This Loop Header: Depth=2
                                        ;       Child Loop BB33_65 Depth 3
                                        ;       Child Loop BB33_89 Depth 3
                                        ;       Child Loop BB33_108 Depth 3
                                        ;       Child Loop BB33_135 Depth 3
                                        ;       Child Loop BB33_140 Depth 3
                                        ;       Child Loop BB33_146 Depth 3
                                        ;       Child Loop BB33_151 Depth 3
                                        ;       Child Loop BB33_160 Depth 3
                                        ;       Child Loop BB33_179 Depth 3
	s_and_saveexec_b64 s[22:23], s[0:1]
	s_cbranch_execz .LBB33_59
; %bb.58:                               ;   in Loop: Header=BB33_57 Depth=2
	s_trap 2
	ds_read_b64 v[12:13], v0
	v_ashrrev_i32_e32 v9, 31, v8
	s_waitcnt lgkmcnt(0)
	v_lshl_add_u64 v[12:13], v[104:105], 1, v[12:13]
	v_lshl_add_u64 v[12:13], v[10:11], 1, v[12:13]
	;; [unrolled: 1-line block ×3, first 2 shown]
	ds_write_b64 v0, v[12:13]
	ds_write_b64 v0, v[96:97]
.LBB33_59:                              ;   in Loop: Header=BB33_57 Depth=2
	s_or_b64 exec, exec, s[22:23]
	v_sub_u32_e32 v2, v0, v8
	v_min_i32_e32 v4, v4, v2
	v_and_b32_e32 v2, 8, v58
	v_cmp_ne_u32_e32 vcc, 0, v2
	s_and_saveexec_b64 s[40:41], vcc
	s_cbranch_execz .LBB33_81
; %bb.60:                               ;   in Loop: Header=BB33_57 Depth=2
	s_waitcnt vmcnt(0) lgkmcnt(0)
	v_lshl_add_u64 v[14:15], v[56:57], 0, 8
	v_lshl_add_u64 v[12:13], v[116:117], 0, 2
	v_cmp_lt_u64_e32 vcc, v[14:15], v[12:13]
	s_and_saveexec_b64 s[42:43], vcc
	s_cbranch_execz .LBB33_72
; %bb.61:                               ;   in Loop: Header=BB33_57 Depth=2
	v_and_b32_e32 v2, 64, v58
	s_mov_b32 s63, 0
	v_cmp_eq_u32_e32 vcc, 0, v2
	s_mov_b64 s[44:45], 0
                                        ; implicit-def: $sgpr46_sgpr47
                                        ; implicit-def: $sgpr56_sgpr57
                                        ; implicit-def: $sgpr58_sgpr59
	s_branch .LBB33_65
.LBB33_62:                              ;   in Loop: Header=BB33_65 Depth=3
	s_waitcnt vmcnt(0) lgkmcnt(0)
	v_lshl_add_u64 v[14:15], v[56:57], 0, 8
	v_cmp_ge_u64_e64 s[22:23], v[14:15], v[12:13]
	s_or_b64 s[48:49], s[48:49], exec
	s_orn2_b64 s[38:39], s[22:23], exec
.LBB33_63:                              ;   in Loop: Header=BB33_65 Depth=3
	s_or_b64 exec, exec, s[52:53]
	s_andn2_b64 s[22:23], s[58:59], exec
	s_and_b64 s[58:59], s[48:49], exec
	s_or_b64 s[58:59], s[22:23], s[58:59]
	s_andn2_b64 s[22:23], s[56:57], exec
	s_and_b64 s[56:57], s[38:39], exec
	s_or_b64 s[56:57], s[22:23], s[56:57]
.LBB33_64:                              ;   in Loop: Header=BB33_65 Depth=3
	s_or_b64 exec, exec, s[60:61]
	s_and_b64 s[22:23], exec, s[56:57]
	s_or_b64 s[44:45], s[22:23], s[44:45]
	s_andn2_b64 s[22:23], s[46:47], exec
	s_and_b64 s[46:47], s[58:59], exec
	s_or_b64 s[46:47], s[22:23], s[46:47]
	s_andn2_b64 exec, exec, s[44:45]
	s_cbranch_execz .LBB33_69
.LBB33_65:                              ;   Parent Loop BB33_47 Depth=1
                                        ;     Parent Loop BB33_57 Depth=2
                                        ; =>    This Inner Loop Header: Depth=3
	s_sleep 1
	s_waitcnt vmcnt(0) lgkmcnt(0)
	flat_load_dwordx2 v[56:57], v[40:41] sc0 sc1
	s_or_b64 s[58:59], s[58:59], exec
	s_or_b64 s[56:57], s[56:57], exec
                                        ; implicit-def: $vgpr2
	s_and_saveexec_b64 s[60:61], vcc
	s_cbranch_execz .LBB33_64
; %bb.66:                               ;   in Loop: Header=BB33_65 Depth=3
	s_cmpk_lt_i32 s63, 0x270f
	s_cselect_b64 s[50:51], -1, 0
	s_cmpk_gt_i32 s63, 0x270e
	s_mov_b64 s[38:39], -1
	s_cbranch_scc0 .LBB33_68
; %bb.67:                               ;   in Loop: Header=BB33_65 Depth=3
	s_trap 2
	ds_read_b64 v[14:15], v0
	s_andn2_b64 s[50:51], s[50:51], exec
	s_mov_b32 s63, 0
	s_mov_b64 s[48:49], 0
	s_waitcnt vmcnt(0) lgkmcnt(0)
	flat_load_dword v2, v[14:15] sc0 sc1
	s_waitcnt vmcnt(0) lgkmcnt(0)
	buffer_inv sc0 sc1
	v_cmp_eq_u32_e64 s[22:23], 0, v2
	s_and_b64 s[22:23], s[22:23], exec
	s_or_b64 s[50:51], s[50:51], s[22:23]
	s_and_saveexec_b64 s[52:53], s[50:51]
	s_cbranch_execz .LBB33_63
	s_branch .LBB33_62
.LBB33_68:                              ;   in Loop: Header=BB33_65 Depth=3
	s_add_i32 s63, s63, 1
	s_mov_b64 s[48:49], -1
                                        ; implicit-def: $vgpr2
	s_and_saveexec_b64 s[52:53], s[50:51]
	s_cbranch_execz .LBB33_63
	s_branch .LBB33_62
.LBB33_69:                              ;   in Loop: Header=BB33_57 Depth=2
	s_or_b64 exec, exec, s[44:45]
	s_xor_b64 s[22:23], s[46:47], -1
	s_and_saveexec_b64 s[44:45], s[22:23]
	s_xor_b64 s[22:23], exec, s[44:45]
	s_cbranch_execz .LBB33_71
; %bb.70:                               ;   in Loop: Header=BB33_57 Depth=2
	v_or_b32_e32 v58, 64, v58
	s_waitcnt lgkmcnt(0)
	ds_write_b32 v0, v2
	s_trap 2
.LBB33_71:                              ;   in Loop: Header=BB33_57 Depth=2
	s_or_b64 exec, exec, s[22:23]
.LBB33_72:                              ;   in Loop: Header=BB33_57 Depth=2
	s_or_b64 exec, exec, s[42:43]
	v_and_b32_e32 v2, 0x100, v58
	v_cmp_ne_u32_e32 vcc, 0, v2
	v_and_b32_e32 v2, 7, v116
	s_mov_b64 s[22:23], -1
	;;#ASMSTART
	s_wakeup
	;;#ASMEND
                                        ; implicit-def: $vgpr14_vgpr15
	s_and_saveexec_b64 s[42:43], vcc
	s_cbranch_execz .LBB33_76
; %bb.73:                               ;   in Loop: Header=BB33_57 Depth=2
	v_mad_u64_u32 v[16:17], s[22:23], v2, 24, v[6:7]
	flat_load_dword v9, v[16:17]
	v_ashrrev_i32_e32 v5, 31, v4
	v_lshlrev_b64 v[14:15], 1, v[4:5]
	flat_store_dwordx2 v[16:17], v[14:15] offset:8
                                        ; implicit-def: $vgpr14_vgpr15
	s_waitcnt vmcnt(0) lgkmcnt(0)
	v_cmp_ne_u32_e32 vcc, 1, v9
	v_cmp_eq_u32_e64 s[22:23], 1, v9
	s_and_saveexec_b64 s[44:45], s[22:23]
	s_cbranch_execz .LBB33_75
; %bb.74:                               ;   in Loop: Header=BB33_57 Depth=2
	flat_load_dword v14, v[16:17] offset:4 sc0 sc1
	s_waitcnt vmcnt(0) lgkmcnt(0)
	v_ashrrev_i32_e32 v15, 31, v14
	v_lshrrev_b64 v[14:15], 1, v[14:15]
.LBB33_75:                              ;   in Loop: Header=BB33_57 Depth=2
	s_or_b64 exec, exec, s[44:45]
	s_orn2_b64 s[22:23], vcc, exec
.LBB33_76:                              ;   in Loop: Header=BB33_57 Depth=2
	s_or_b64 exec, exec, s[42:43]
	s_and_saveexec_b64 s[42:43], s[22:23]
; %bb.77:                               ;   in Loop: Header=BB33_57 Depth=2
	v_mad_i64_i32 v[14:15], s[22:23], v2, v30, 0
; %bb.78:                               ;   in Loop: Header=BB33_57 Depth=2
	s_or_b64 exec, exec, s[42:43]
	v_and_b32_e32 v2, 0x2000, v58
	v_lshl_add_u64 v[14:15], v[14:15], 1, v[42:43]
	v_cmp_ne_u32_e32 vcc, 0, v2
	ds_write_b64 v0, v[14:15] offset:784
	s_and_saveexec_b64 s[22:23], vcc
	s_cbranch_execz .LBB33_80
; %bb.79:                               ;   in Loop: Header=BB33_57 Depth=2
	ds_read_b64 v[14:15], v0 offset:872
	s_waitcnt lgkmcnt(0)
	v_lshl_add_u64 v[14:15], v[14:15], 0, 1
	ds_write_b64 v0, v[14:15] offset:872
.LBB33_80:                              ;   in Loop: Header=BB33_57 Depth=2
	s_or_b64 exec, exec, s[22:23]
	v_mov_b64_e32 v[116:117], v[12:13]
.LBB33_81:                              ;   in Loop: Header=BB33_57 Depth=2
	s_or_b64 exec, exec, s[40:41]
	s_and_saveexec_b64 s[22:23], s[4:5]
	s_cbranch_execz .LBB33_100
; %bb.82:                               ;   in Loop: Header=BB33_57 Depth=2
	s_and_saveexec_b64 s[40:41], s[76:77]
	s_xor_b64 s[40:41], exec, s[40:41]
	s_cbranch_execz .LBB33_97
; %bb.83:                               ;   in Loop: Header=BB33_57 Depth=2
	s_and_saveexec_b64 s[42:43], s[12:13]
	s_cbranch_execz .LBB33_96
; %bb.84:                               ;   in Loop: Header=BB33_57 Depth=2
	s_mov_b64 s[46:47], exec
	v_mbcnt_lo_u32_b32 v2, s46, 0
	v_mbcnt_hi_u32_b32 v2, s47, v2
	v_cmp_eq_u32_e32 vcc, 0, v2
	s_waitcnt lgkmcnt(0)
	s_and_saveexec_b64 s[44:45], vcc
	s_cbranch_execz .LBB33_86
; %bb.85:                               ;   in Loop: Header=BB33_57 Depth=2
	s_bcnt1_i32_b64 s46, s[46:47]
	v_mov_b32_e32 v2, s46
	ds_add_u64 v0, v[2:3]
	s_trap 2
.LBB33_86:                              ;   in Loop: Header=BB33_57 Depth=2
	s_or_b64 exec, exec, s[44:45]
	s_trap 2
	ds_read_b64 v[12:13], v0
	s_waitcnt lgkmcnt(0)
	v_lshl_add_u64 v[46:47], v[46:47], 0, v[60:61]
	v_cmp_lt_u64_e32 vcc, v[12:13], v[46:47]
	s_and_saveexec_b64 s[44:45], vcc
	s_cbranch_execz .LBB33_95
; %bb.87:                               ;   in Loop: Header=BB33_57 Depth=2
	s_mov_b32 s63, 0
	s_mov_b64 s[46:47], 0
                                        ; implicit-def: $sgpr56_sgpr57
                                        ; implicit-def: $sgpr58_sgpr59
	s_branch .LBB33_89
.LBB33_88:                              ;   in Loop: Header=BB33_89 Depth=3
	s_or_b64 exec, exec, s[38:39]
	s_and_b64 s[60:61], exec, vcc
	s_or_b64 s[46:47], s[60:61], s[46:47]
	s_andn2_b64 s[56:57], s[56:57], exec
	s_and_b64 s[60:61], s[58:59], exec
	s_or_b64 s[56:57], s[56:57], s[60:61]
	s_andn2_b64 exec, exec, s[46:47]
	s_cbranch_execz .LBB33_93
.LBB33_89:                              ;   Parent Loop BB33_47 Depth=1
                                        ;     Parent Loop BB33_57 Depth=2
                                        ; =>    This Inner Loop Header: Depth=3
	s_add_i32 s63, s63, 1
	s_cmpk_lg_i32 s63, 0x2710
	s_cselect_b64 s[60:61], -1, 0
	s_and_b64 vcc, exec, s[60:61]
	s_cbranch_vccz .LBB33_91
; %bb.90:                               ;   in Loop: Header=BB33_89 Depth=3
	s_mov_b64 vcc, -1
	s_or_b64 s[58:59], s[58:59], exec
	s_and_saveexec_b64 s[38:39], s[60:61]
	s_cbranch_execz .LBB33_88
	s_branch .LBB33_92
.LBB33_91:                              ;   in Loop: Header=BB33_89 Depth=3
	s_trap 2
	ds_read_b64 v[12:13], v0
	s_andn2_b64 s[60:61], s[60:61], exec
	s_mov_b32 s63, 0
	s_waitcnt vmcnt(0) lgkmcnt(0)
	flat_load_dword v2, v[12:13] sc0 sc1
	s_waitcnt vmcnt(0) lgkmcnt(0)
	buffer_inv sc0 sc1
	v_cmp_eq_u32_e32 vcc, 0, v2
	s_and_b64 vcc, vcc, exec
	s_or_b64 s[60:61], s[60:61], vcc
	s_mov_b64 vcc, -1
	s_or_b64 s[58:59], s[58:59], exec
	s_and_saveexec_b64 s[38:39], s[60:61]
	s_cbranch_execz .LBB33_88
.LBB33_92:                              ;   in Loop: Header=BB33_89 Depth=3
	s_sleep 1
	s_trap 2
	ds_read_b64 v[12:13], v0
	s_waitcnt lgkmcnt(0)
	s_andn2_b64 s[58:59], s[58:59], exec
	v_cmp_ge_u64_e32 vcc, v[12:13], v[46:47]
	s_orn2_b64 vcc, vcc, exec
	s_branch .LBB33_88
.LBB33_93:                              ;   in Loop: Header=BB33_57 Depth=2
	s_or_b64 exec, exec, s[46:47]
	s_and_saveexec_b64 s[46:47], s[56:57]
	s_xor_b64 s[46:47], exec, s[46:47]
	s_cbranch_execz .LBB33_95
; %bb.94:                               ;   in Loop: Header=BB33_57 Depth=2
	ds_write_b32 v0, v1
	s_trap 2
.LBB33_95:                              ;   in Loop: Header=BB33_57 Depth=2
	s_or_b64 exec, exec, s[44:45]
	;;#ASMSTART
	s_wakeup
	;;#ASMEND
.LBB33_96:                              ;   in Loop: Header=BB33_57 Depth=2
	s_or_b64 exec, exec, s[42:43]
.LBB33_97:                              ;   in Loop: Header=BB33_57 Depth=2
	s_andn2_saveexec_b64 s[40:41], s[40:41]
	s_cbranch_execz .LBB33_99
; %bb.98:                               ;   in Loop: Header=BB33_57 Depth=2
	s_waitcnt lgkmcnt(0)
	s_barrier
.LBB33_99:                              ;   in Loop: Header=BB33_57 Depth=2
	s_or_b64 exec, exec, s[40:41]
.LBB33_100:                             ;   in Loop: Header=BB33_57 Depth=2
	s_or_b64 exec, exec, s[22:23]
	s_trap 2
	ds_read_b32 v5, v0
	v_and_b32_e32 v2, 0x4000, v58
	v_cmp_ne_u32_e32 vcc, 0, v2
	s_xor_b64 s[22:23], s[2:3], -1
	s_and_b64 s[40:41], s[22:23], vcc
	s_and_saveexec_b64 s[22:23], s[40:41]
	s_cbranch_execz .LBB33_119
; %bb.101:                              ;   in Loop: Header=BB33_57 Depth=2
	s_and_saveexec_b64 s[40:41], s[76:77]
	s_xor_b64 s[40:41], exec, s[40:41]
	s_cbranch_execz .LBB33_116
; %bb.102:                              ;   in Loop: Header=BB33_57 Depth=2
	s_and_saveexec_b64 s[42:43], s[12:13]
	s_cbranch_execz .LBB33_115
; %bb.103:                              ;   in Loop: Header=BB33_57 Depth=2
	s_mov_b64 s[46:47], exec
	v_mbcnt_lo_u32_b32 v2, s46, 0
	v_mbcnt_hi_u32_b32 v2, s47, v2
	v_cmp_eq_u32_e32 vcc, 0, v2
	s_waitcnt lgkmcnt(0)
	s_and_saveexec_b64 s[44:45], vcc
	s_cbranch_execz .LBB33_105
; %bb.104:                              ;   in Loop: Header=BB33_57 Depth=2
	s_bcnt1_i32_b64 s46, s[46:47]
	v_mov_b32_e32 v2, s46
	ds_add_u64 v0, v[2:3]
	s_trap 2
.LBB33_105:                             ;   in Loop: Header=BB33_57 Depth=2
	s_or_b64 exec, exec, s[44:45]
	s_trap 2
	ds_read_b64 v[12:13], v0
	s_waitcnt lgkmcnt(0)
	v_lshl_add_u64 v[46:47], v[46:47], 0, v[60:61]
	v_cmp_lt_u64_e32 vcc, v[12:13], v[46:47]
	s_and_saveexec_b64 s[44:45], vcc
	s_cbranch_execz .LBB33_114
; %bb.106:                              ;   in Loop: Header=BB33_57 Depth=2
	s_mov_b32 s63, 0
	s_mov_b64 s[46:47], 0
                                        ; implicit-def: $sgpr56_sgpr57
                                        ; implicit-def: $sgpr58_sgpr59
	s_branch .LBB33_108
.LBB33_107:                             ;   in Loop: Header=BB33_108 Depth=3
	s_or_b64 exec, exec, s[38:39]
	s_and_b64 s[60:61], exec, vcc
	s_or_b64 s[46:47], s[60:61], s[46:47]
	s_andn2_b64 s[56:57], s[56:57], exec
	s_and_b64 s[60:61], s[58:59], exec
	s_or_b64 s[56:57], s[56:57], s[60:61]
	s_andn2_b64 exec, exec, s[46:47]
	s_cbranch_execz .LBB33_112
.LBB33_108:                             ;   Parent Loop BB33_47 Depth=1
                                        ;     Parent Loop BB33_57 Depth=2
                                        ; =>    This Inner Loop Header: Depth=3
	s_add_i32 s63, s63, 1
	s_cmpk_lg_i32 s63, 0x2710
	s_cselect_b64 s[60:61], -1, 0
	s_and_b64 vcc, exec, s[60:61]
	s_cbranch_vccz .LBB33_110
; %bb.109:                              ;   in Loop: Header=BB33_108 Depth=3
	s_mov_b64 vcc, -1
	s_or_b64 s[58:59], s[58:59], exec
	s_and_saveexec_b64 s[38:39], s[60:61]
	s_cbranch_execz .LBB33_107
	s_branch .LBB33_111
.LBB33_110:                             ;   in Loop: Header=BB33_108 Depth=3
	s_trap 2
	ds_read_b64 v[12:13], v0
	s_andn2_b64 s[60:61], s[60:61], exec
	s_mov_b32 s63, 0
	s_waitcnt vmcnt(0) lgkmcnt(0)
	flat_load_dword v2, v[12:13] sc0 sc1
	s_waitcnt vmcnt(0) lgkmcnt(0)
	buffer_inv sc0 sc1
	v_cmp_eq_u32_e32 vcc, 0, v2
	s_and_b64 vcc, vcc, exec
	s_or_b64 s[60:61], s[60:61], vcc
	s_mov_b64 vcc, -1
	s_or_b64 s[58:59], s[58:59], exec
	s_and_saveexec_b64 s[38:39], s[60:61]
	s_cbranch_execz .LBB33_107
.LBB33_111:                             ;   in Loop: Header=BB33_108 Depth=3
	s_sleep 1
	s_trap 2
	ds_read_b64 v[12:13], v0
	s_waitcnt lgkmcnt(0)
	s_andn2_b64 s[58:59], s[58:59], exec
	v_cmp_ge_u64_e32 vcc, v[12:13], v[46:47]
	s_orn2_b64 vcc, vcc, exec
	s_branch .LBB33_107
.LBB33_112:                             ;   in Loop: Header=BB33_57 Depth=2
	s_or_b64 exec, exec, s[46:47]
	s_and_saveexec_b64 s[46:47], s[56:57]
	s_xor_b64 s[46:47], exec, s[46:47]
	s_cbranch_execz .LBB33_114
; %bb.113:                              ;   in Loop: Header=BB33_57 Depth=2
	ds_write_b32 v0, v1
	s_trap 2
.LBB33_114:                             ;   in Loop: Header=BB33_57 Depth=2
	s_or_b64 exec, exec, s[44:45]
	;;#ASMSTART
	s_wakeup
	;;#ASMEND
.LBB33_115:                             ;   in Loop: Header=BB33_57 Depth=2
	s_or_b64 exec, exec, s[42:43]
.LBB33_116:                             ;   in Loop: Header=BB33_57 Depth=2
	s_andn2_saveexec_b64 s[40:41], s[40:41]
	s_cbranch_execz .LBB33_118
; %bb.117:                              ;   in Loop: Header=BB33_57 Depth=2
	s_waitcnt lgkmcnt(0)
	s_barrier
.LBB33_118:                             ;   in Loop: Header=BB33_57 Depth=2
	s_or_b64 exec, exec, s[40:41]
.LBB33_119:                             ;   in Loop: Header=BB33_57 Depth=2
	s_or_b64 exec, exec, s[22:23]
	s_trap 2
	ds_read_b64 v[12:13], v0
	s_waitcnt lgkmcnt(0)
	v_cmp_eq_u64_e32 vcc, 0, v[12:13]
	s_cbranch_vccnz .LBB33_127
; %bb.120:                              ;   in Loop: Header=BB33_57 Depth=2
	s_trap 2
	ds_read_b64 v[14:15], v0
	s_waitcnt lgkmcnt(0)
	v_cmp_eq_u64_e32 vcc, 0, v[14:15]
	s_cbranch_vccnz .LBB33_127
; %bb.121:                              ;   in Loop: Header=BB33_57 Depth=2
	s_mov_b64 s[22:23], -1
	s_and_saveexec_b64 s[40:41], s[14:15]
	s_cbranch_execz .LBB33_123
; %bb.122:                              ;   in Loop: Header=BB33_57 Depth=2
	ds_read_b32 v2, v0 offset:720
	s_waitcnt lgkmcnt(0)
	v_and_b32_e32 v2, 15, v2
	v_cmp_eq_u32_e32 vcc, 0, v2
	s_orn2_b64 s[22:23], vcc, exec
.LBB33_123:                             ;   in Loop: Header=BB33_57 Depth=2
	s_or_b64 exec, exec, s[40:41]
	s_and_saveexec_b64 s[40:41], s[16:17]
	s_cbranch_execz .LBB33_125
; %bb.124:                              ;   in Loop: Header=BB33_57 Depth=2
	ds_read_b32 v2, v0 offset:784
	s_waitcnt lgkmcnt(0)
	v_and_b32_e32 v2, 15, v2
	v_cmp_eq_u32_e32 vcc, 0, v2
	s_and_b64 s[42:43], s[22:23], vcc
	s_andn2_b64 s[22:23], s[22:23], exec
	s_and_b64 s[42:43], s[42:43], exec
	s_or_b64 s[22:23], s[22:23], s[42:43]
.LBB33_125:                             ;   in Loop: Header=BB33_57 Depth=2
	s_or_b64 exec, exec, s[40:41]
	v_cmp_eq_u32_e32 vcc, 0, v5
	s_xor_b64 s[22:23], s[22:23], -1
	v_cndmask_b32_e64 v9, 0, 1, s[22:23]
	v_cndmask_b32_e32 v2, 0, v4, vcc
	v_lshlrev_b32_e32 v5, 1, v2
	s_mov_b64 s[42:43], -1
	v_cmp_ne_u32_e32 vcc, 0, v9
	v_mov_b32_e32 v9, 0
	s_cbranch_vccz .LBB33_133
; %bb.126:                              ;   in Loop: Header=BB33_57 Depth=2
	v_mov_b32_e32 v22, v109
	s_and_saveexec_b64 s[22:23], s[42:43]
	s_cbranch_execnz .LBB33_144
	s_branch .LBB33_152
.LBB33_127:                             ;   in Loop: Header=BB33_57 Depth=2
	s_mov_b64 s[22:23], 0
	s_and_saveexec_b64 s[40:41], s[4:5]
	s_cbranch_execnz .LBB33_153
.LBB33_128:                             ;   in Loop: Header=BB33_57 Depth=2
	s_or_b64 exec, exec, s[40:41]
                                        ; implicit-def: $vgpr2
	s_and_saveexec_b64 s[40:41], s[20:21]
	s_xor_b64 s[40:41], exec, s[40:41]
	s_cbranch_execz .LBB33_171
.LBB33_129:                             ;   in Loop: Header=BB33_57 Depth=2
	v_and_b32_e32 v5, 16, v58
	v_cmp_ne_u32_e32 vcc, 0, v5
	v_and_b32_e32 v2, 16, v58
	s_and_b64 s[42:43], vcc, s[22:23]
	s_and_saveexec_b64 s[22:23], s[42:43]
	s_cbranch_execz .LBB33_131
; %bb.130:                              ;   in Loop: Header=BB33_57 Depth=2
	v_mov_b32_e32 v2, 1
	buffer_wbl2 sc1
	s_waitcnt vmcnt(0) lgkmcnt(0)
	buffer_inv sc1
.LBB33_131:                             ;   in Loop: Header=BB33_57 Depth=2
	s_or_b64 exec, exec, s[22:23]
	s_andn2_saveexec_b64 s[22:23], s[40:41]
	s_cbranch_execnz .LBB33_172
.LBB33_132:                             ;   in Loop: Header=BB33_57 Depth=2
	s_or_b64 exec, exec, s[22:23]
	v_cmp_ne_u32_e32 vcc, 0, v2
	s_and_saveexec_b64 s[22:23], vcc
	s_cbranch_execz .LBB33_56
	s_branch .LBB33_190
.LBB33_133:                             ;   in Loop: Header=BB33_57 Depth=2
	v_ashrrev_i32_e32 v9, 31, v5
	v_lshrrev_b32_e32 v9, 19, v9
	v_add_u32_e32 v9, v5, v9
	v_ashrrev_i32_e32 v9, 13, v9
	v_sub_u32_e32 v20, v9, v111
	v_cmp_lt_i32_e32 vcc, 0, v20
	s_and_saveexec_b64 s[40:41], vcc
	s_cbranch_execz .LBB33_137
; %bb.134:                              ;   in Loop: Header=BB33_57 Depth=2
	s_mov_b64 s[42:43], 0
	v_mov_b64_e32 v[16:17], v[14:15]
	v_mov_b64_e32 v[18:19], v[12:13]
.LBB33_135:                             ;   Parent Loop BB33_47 Depth=1
                                        ;     Parent Loop BB33_57 Depth=2
                                        ; =>    This Inner Loop Header: Depth=3
	v_lshl_add_u64 v[48:49], v[84:85], 0, v[18:19]
	v_add_co_u32_e32 v68, vcc, 0x1000, v48
	global_load_dwordx4 v[22:25], v[48:49], off nt
	global_load_dwordx4 v[26:29], v[48:49], off offset:1024 nt
	global_load_dwordx4 v[32:35], v[48:49], off offset:2048 nt
	;; [unrolled: 1-line block ×3, first 2 shown]
	v_addc_co_u32_e32 v69, vcc, 0, v49, vcc
	global_load_dwordx4 v[48:51], v[68:69], off nt
	global_load_dwordx4 v[52:55], v[68:69], off offset:1024 nt
	global_load_dwordx4 v[64:67], v[68:69], off offset:2048 nt
	s_nop 0
	global_load_dwordx4 v[68:71], v[68:69], off offset:3072 nt
	v_sub_u32_e32 v20, v20, v60
	v_lshl_add_u64 v[80:81], v[84:85], 0, v[16:17]
	v_cmp_gt_i32_e64 s[22:23], 1, v20
	v_lshl_add_u64 v[18:19], v[18:19], 0, v[74:75]
	v_lshl_add_u64 v[16:17], v[16:17], 0, v[74:75]
	v_add_co_u32_e32 v82, vcc, 0x1000, v80
	s_or_b64 s[42:43], s[22:23], s[42:43]
	s_nop 0
	v_addc_co_u32_e32 v83, vcc, 0, v81, vcc
	s_waitcnt vmcnt(0)
	global_store_dwordx4 v[80:81], v[22:25], off
	global_store_dwordx4 v[80:81], v[26:29], off offset:1024
	global_store_dwordx4 v[80:81], v[32:35], off offset:2048
	;; [unrolled: 1-line block ×3, first 2 shown]
	global_store_dwordx4 v[82:83], v[48:51], off
	global_store_dwordx4 v[82:83], v[52:55], off offset:1024
	global_store_dwordx4 v[82:83], v[64:67], off offset:2048
	;; [unrolled: 1-line block ×3, first 2 shown]
	s_andn2_b64 exec, exec, s[42:43]
	s_cbranch_execnz .LBB33_135
; %bb.136:                              ;   in Loop: Header=BB33_57 Depth=2
	s_or_b64 exec, exec, s[42:43]
.LBB33_137:                             ;   in Loop: Header=BB33_57 Depth=2
	s_or_b64 exec, exec, s[40:41]
	v_lshlrev_b32_e32 v18, 13, v9
	v_cmp_ne_u32_e32 vcc, v5, v18
	s_mov_b64 s[42:43], 0
	v_mov_b32_e32 v9, 0
                                        ; implicit-def: $vgpr22
	s_and_saveexec_b64 s[40:41], vcc
	s_cbranch_execz .LBB33_143
; %bb.138:                              ;   in Loop: Header=BB33_57 Depth=2
	v_lshlrev_b32_e32 v9, 6, v20
	v_sub_u32_e32 v9, v110, v9
	v_ashrrev_i32_e32 v16, 31, v9
	v_lshrrev_b32_e32 v16, 26, v16
	v_add_u32_e32 v16, v9, v16
	v_ashrrev_i32_e32 v21, 6, v16
	v_and_b32_e32 v16, 0xffffffc0, v16
	v_sub_u32_e32 v19, v9, v16
	v_sub_u32_e32 v17, v5, v18
	v_lshlrev_b32_e32 v9, 4, v19
	v_lshl_add_u32 v16, v21, 10, v9
	v_ashrrev_i32_e32 v9, 31, v17
	v_lshrrev_b32_e32 v9, 22, v9
	v_add_u32_e32 v9, v17, v9
	v_ashrrev_i32_e32 v23, 10, v9
	v_and_b32_e32 v9, 0xfffffc00, v9
	v_sub_u32_e32 v20, v17, v9
	v_cmp_lt_i32_e32 vcc, 15, v20
	v_sub_u32_e32 v22, v17, v16
	s_nop 0
	v_addc_co_u32_e64 v17, s[22:23], 0, v23, vcc
	v_sub_u32_e32 v21, v17, v21
	v_cmp_lt_i32_e64 s[22:23], 15, v22
	s_and_saveexec_b64 s[42:43], s[22:23]
	s_cbranch_execz .LBB33_142
; %bb.139:                              ;   in Loop: Header=BB33_57 Depth=2
	v_add_u32_e32 v16, v16, v18
	v_ashrrev_i32_e32 v17, 31, v16
	s_mov_b64 s[44:45], 0
.LBB33_140:                             ;   Parent Loop BB33_47 Depth=1
                                        ;     Parent Loop BB33_57 Depth=2
                                        ; =>    This Inner Loop Header: Depth=3
	v_lshl_add_u64 v[24:25], v[12:13], 0, v[16:17]
	global_load_dwordx4 v[24:27], v[24:25], off nt
	v_sub_u32_e32 v22, v22, v76
	v_cmp_gt_i32_e64 s[22:23], 16, v22
	v_lshl_add_u64 v[28:29], v[14:15], 0, v[16:17]
	v_sub_u32_e32 v21, v21, v60
	v_lshl_add_u64 v[16:17], v[16:17], 0, v[76:77]
	s_or_b64 s[44:45], s[22:23], s[44:45]
	s_waitcnt vmcnt(0)
	global_store_dwordx4 v[28:29], v[24:27], off
	s_andn2_b64 exec, exec, s[44:45]
	s_cbranch_execnz .LBB33_140
; %bb.141:                              ;   in Loop: Header=BB33_57 Depth=2
	s_or_b64 exec, exec, s[44:45]
.LBB33_142:                             ;   in Loop: Header=BB33_57 Depth=2
	s_or_b64 exec, exec, s[42:43]
	v_and_b32_e32 v5, 14, v5
	v_sub_u32_e32 v16, v20, v5
	v_cndmask_b32_e32 v16, 0, v16, vcc
	v_cndmask_b32_e32 v5, v20, v5, vcc
	v_cmp_lt_i32_e32 vcc, 0, v21
	v_add3_u32 v9, v9, v18, v16
	s_nop 0
	v_cndmask_b32_e32 v16, 0, v60, vcc
	v_sub_u32_e32 v16, v16, v21
	v_cmp_ne_u32_e32 vcc, 0, v5
	v_lshl_add_u32 v22, v16, 6, v19
	s_and_b64 s[42:43], vcc, exec
.LBB33_143:                             ;   in Loop: Header=BB33_57 Depth=2
	s_or_b64 exec, exec, s[40:41]
	s_and_saveexec_b64 s[22:23], s[42:43]
	s_cbranch_execz .LBB33_152
.LBB33_144:                             ;   in Loop: Header=BB33_57 Depth=2
	v_ashrrev_i32_e32 v16, 31, v22
	v_ashrrev_i32_e32 v17, 31, v5
	v_lshrrev_b32_e32 v16, 26, v16
	v_lshrrev_b32_e32 v17, 21, v17
	v_add_u32_e32 v16, v22, v16
	v_add_u32_e32 v17, v5, v17
	v_ashrrev_i32_e32 v23, 6, v16
	v_ashrrev_i32_e32 v25, 11, v17
	v_sub_u32_e32 v24, v25, v23
	v_cmp_lt_i32_e32 vcc, 0, v24
	s_and_saveexec_b64 s[40:41], vcc
	s_cbranch_execz .LBB33_148
; %bb.145:                              ;   in Loop: Header=BB33_57 Depth=2
	v_and_b32_e32 v16, 0x7fffffc0, v16
	v_sub_u32_e32 v16, v22, v16
	v_lshlrev_b32_e32 v16, 1, v16
	v_lshlrev_b32_e32 v17, 11, v23
	v_add3_u32 v16, v16, v9, v17
	v_ashrrev_i32_e32 v17, 31, v16
	s_mov_b64 s[42:43], 0
	v_mov_b64_e32 v[18:19], v[14:15]
	v_mov_b64_e32 v[20:21], v[12:13]
.LBB33_146:                             ;   Parent Loop BB33_47 Depth=1
                                        ;     Parent Loop BB33_57 Depth=2
                                        ; =>    This Inner Loop Header: Depth=3
	v_lshl_add_u64 v[26:27], v[16:17], 0, v[20:21]
	flat_load_ushort v28, v[26:27] nt
	flat_load_ushort v29, v[26:27] offset:128 nt
	flat_load_ushort v31, v[26:27] offset:256 nt
	;; [unrolled: 1-line block ×15, first 2 shown]
	v_sub_u32_e32 v24, v24, v60
	v_cmp_gt_i32_e32 vcc, 1, v24
	v_lshl_add_u64 v[26:27], v[16:17], 0, v[18:19]
	v_lshl_add_u64 v[20:21], v[20:21], 0, v[78:79]
	;; [unrolled: 1-line block ×3, first 2 shown]
	s_or_b64 s[42:43], vcc, s[42:43]
	s_waitcnt vmcnt(0) lgkmcnt(0)
	flat_store_short v[26:27], v28 nt
	flat_store_short v[26:27], v29 offset:128 nt
	flat_store_short v[26:27], v31 offset:256 nt
	;; [unrolled: 1-line block ×15, first 2 shown]
	s_andn2_b64 exec, exec, s[42:43]
	s_cbranch_execnz .LBB33_146
; %bb.147:                              ;   in Loop: Header=BB33_57 Depth=2
	s_or_b64 exec, exec, s[42:43]
.LBB33_148:                             ;   in Loop: Header=BB33_57 Depth=2
	s_or_b64 exec, exec, s[40:41]
	v_lshlrev_b32_e32 v16, 11, v25
	v_cmp_ne_u32_e32 vcc, v5, v16
	s_and_b64 exec, exec, vcc
	s_cbranch_execz .LBB33_152
; %bb.149:                              ;   in Loop: Header=BB33_57 Depth=2
	v_lshlrev_b32_e32 v17, 6, v23
	v_sub_u32_e32 v17, v22, v17
	v_lshlrev_b32_e32 v18, 6, v24
	v_sub_u32_e32 v17, v17, v18
	v_ashrrev_i32_e32 v18, 31, v17
	v_lshrrev_b32_e32 v18, 26, v18
	v_add_u32_e32 v18, v17, v18
	v_and_b32_e32 v19, 0x7fffffc0, v18
	v_sub_u32_e32 v17, v17, v19
	v_lshlrev_b32_e32 v18, 1, v18
	v_and_b32_e32 v18, 0xffffff80, v18
	v_lshlrev_b32_e32 v17, 1, v17
	v_add3_u32 v16, v18, v17, v16
	v_sub_u32_e32 v5, v5, v16
	v_cmp_lt_i32_e32 vcc, 1, v5
	s_and_b64 exec, exec, vcc
	s_cbranch_execz .LBB33_152
; %bb.150:                              ;   in Loop: Header=BB33_57 Depth=2
	v_add_u32_e32 v16, v16, v9
	v_ashrrev_i32_e32 v17, 31, v16
	s_mov_b64 s[40:41], 0
.LBB33_151:                             ;   Parent Loop BB33_47 Depth=1
                                        ;     Parent Loop BB33_57 Depth=2
                                        ; =>    This Inner Loop Header: Depth=3
	v_lshl_add_u64 v[18:19], v[12:13], 0, v[16:17]
	flat_load_ushort v9, v[18:19] nt
	v_sub_u32_e32 v5, v5, v88
	v_cmp_gt_i32_e32 vcc, 2, v5
	v_lshl_add_u64 v[18:19], v[14:15], 0, v[16:17]
	v_lshl_add_u64 v[16:17], v[16:17], 0, v[88:89]
	s_or_b64 s[40:41], vcc, s[40:41]
	s_waitcnt vmcnt(0) lgkmcnt(0)
	flat_store_short v[18:19], v9 nt
	s_andn2_b64 exec, exec, s[40:41]
	s_cbranch_execnz .LBB33_151
.LBB33_152:                             ;   in Loop: Header=BB33_57 Depth=2
	s_or_b64 exec, exec, s[22:23]
	v_cmp_lt_i32_e64 s[22:23], 0, v2
	s_and_saveexec_b64 s[40:41], s[4:5]
	s_cbranch_execz .LBB33_128
.LBB33_153:                             ;   in Loop: Header=BB33_57 Depth=2
	s_and_saveexec_b64 s[42:43], s[76:77]
	s_xor_b64 s[42:43], exec, s[42:43]
	s_cbranch_execz .LBB33_168
; %bb.154:                              ;   in Loop: Header=BB33_57 Depth=2
	s_and_saveexec_b64 s[44:45], s[12:13]
	s_cbranch_execz .LBB33_167
; %bb.155:                              ;   in Loop: Header=BB33_57 Depth=2
	s_mov_b64 s[56:57], exec
	v_mbcnt_lo_u32_b32 v2, s56, 0
	v_mbcnt_hi_u32_b32 v2, s57, v2
	v_cmp_eq_u32_e32 vcc, 0, v2
	s_waitcnt lgkmcnt(0)
	s_and_saveexec_b64 s[46:47], vcc
	s_cbranch_execz .LBB33_157
; %bb.156:                              ;   in Loop: Header=BB33_57 Depth=2
	s_bcnt1_i32_b64 s56, s[56:57]
	v_mov_b32_e32 v2, s56
	ds_add_u64 v0, v[2:3]
	s_trap 2
.LBB33_157:                             ;   in Loop: Header=BB33_57 Depth=2
	s_or_b64 exec, exec, s[46:47]
	s_trap 2
	ds_read_b64 v[12:13], v0
	s_waitcnt lgkmcnt(0)
	v_lshl_add_u64 v[46:47], v[46:47], 0, v[60:61]
	v_cmp_lt_u64_e32 vcc, v[12:13], v[46:47]
	s_and_saveexec_b64 s[46:47], vcc
	s_cbranch_execz .LBB33_166
; %bb.158:                              ;   in Loop: Header=BB33_57 Depth=2
	s_mov_b32 s63, 0
	s_mov_b64 s[56:57], 0
                                        ; implicit-def: $sgpr58_sgpr59
                                        ; implicit-def: $sgpr60_sgpr61
	s_branch .LBB33_160
.LBB33_159:                             ;   in Loop: Header=BB33_160 Depth=3
	s_or_b64 exec, exec, s[48:49]
	s_and_b64 vcc, exec, vcc
	s_or_b64 s[56:57], vcc, s[56:57]
	s_andn2_b64 s[58:59], s[58:59], exec
	s_and_b64 vcc, s[60:61], exec
	s_or_b64 s[58:59], s[58:59], vcc
	s_andn2_b64 exec, exec, s[56:57]
	s_cbranch_execz .LBB33_164
.LBB33_160:                             ;   Parent Loop BB33_47 Depth=1
                                        ;     Parent Loop BB33_57 Depth=2
                                        ; =>    This Inner Loop Header: Depth=3
	s_add_i32 s63, s63, 1
	s_cmpk_lg_i32 s63, 0x2710
	s_cselect_b64 s[38:39], -1, 0
	s_and_b64 vcc, exec, s[38:39]
	s_cbranch_vccz .LBB33_162
; %bb.161:                              ;   in Loop: Header=BB33_160 Depth=3
	s_mov_b64 vcc, -1
	s_or_b64 s[60:61], s[60:61], exec
	s_and_saveexec_b64 s[48:49], s[38:39]
	s_cbranch_execz .LBB33_159
	s_branch .LBB33_163
.LBB33_162:                             ;   in Loop: Header=BB33_160 Depth=3
	s_trap 2
	ds_read_b64 v[12:13], v0
	s_andn2_b64 s[38:39], s[38:39], exec
	s_mov_b32 s63, 0
	s_waitcnt vmcnt(0) lgkmcnt(0)
	flat_load_dword v2, v[12:13] sc0 sc1
	s_waitcnt vmcnt(0) lgkmcnt(0)
	buffer_inv sc0 sc1
	v_cmp_eq_u32_e32 vcc, 0, v2
	s_and_b64 vcc, vcc, exec
	s_or_b64 s[38:39], s[38:39], vcc
	s_mov_b64 vcc, -1
	s_or_b64 s[60:61], s[60:61], exec
	s_and_saveexec_b64 s[48:49], s[38:39]
	s_cbranch_execz .LBB33_159
.LBB33_163:                             ;   in Loop: Header=BB33_160 Depth=3
	s_sleep 1
	s_trap 2
	ds_read_b64 v[12:13], v0
	s_waitcnt lgkmcnt(0)
	s_andn2_b64 s[60:61], s[60:61], exec
	v_cmp_ge_u64_e32 vcc, v[12:13], v[46:47]
	s_orn2_b64 vcc, vcc, exec
	s_branch .LBB33_159
.LBB33_164:                             ;   in Loop: Header=BB33_57 Depth=2
	s_or_b64 exec, exec, s[56:57]
	s_and_saveexec_b64 s[56:57], s[58:59]
	s_xor_b64 s[56:57], exec, s[56:57]
	s_cbranch_execz .LBB33_166
; %bb.165:                              ;   in Loop: Header=BB33_57 Depth=2
	ds_write_b32 v0, v1
	s_trap 2
.LBB33_166:                             ;   in Loop: Header=BB33_57 Depth=2
	s_or_b64 exec, exec, s[46:47]
	;;#ASMSTART
	s_wakeup
	;;#ASMEND
.LBB33_167:                             ;   in Loop: Header=BB33_57 Depth=2
	s_or_b64 exec, exec, s[44:45]
.LBB33_168:                             ;   in Loop: Header=BB33_57 Depth=2
	s_andn2_saveexec_b64 s[42:43], s[42:43]
	s_cbranch_execz .LBB33_170
; %bb.169:                              ;   in Loop: Header=BB33_57 Depth=2
	s_waitcnt lgkmcnt(0)
	s_barrier
.LBB33_170:                             ;   in Loop: Header=BB33_57 Depth=2
	s_or_b64 exec, exec, s[42:43]
	s_or_b64 exec, exec, s[40:41]
                                        ; implicit-def: $vgpr2
	s_and_saveexec_b64 s[40:41], s[20:21]
	s_xor_b64 s[40:41], exec, s[40:41]
	s_cbranch_execnz .LBB33_129
.LBB33_171:                             ;   in Loop: Header=BB33_57 Depth=2
	s_andn2_saveexec_b64 s[22:23], s[40:41]
	s_cbranch_execz .LBB33_132
.LBB33_172:                             ;   in Loop: Header=BB33_57 Depth=2
	s_and_saveexec_b64 s[40:41], s[76:77]
	s_xor_b64 s[40:41], exec, s[40:41]
	s_cbranch_execz .LBB33_187
; %bb.173:                              ;   in Loop: Header=BB33_57 Depth=2
	s_and_saveexec_b64 s[42:43], s[12:13]
	s_cbranch_execz .LBB33_186
; %bb.174:                              ;   in Loop: Header=BB33_57 Depth=2
	s_mov_b64 s[46:47], exec
	v_mbcnt_lo_u32_b32 v2, s46, 0
	v_mbcnt_hi_u32_b32 v2, s47, v2
	v_cmp_eq_u32_e32 vcc, 0, v2
	;;#ASMSTART
	s_waitcnt lgkmcnt(0) vmcnt(0)
	;;#ASMEND
	s_and_saveexec_b64 s[44:45], vcc
	s_cbranch_execz .LBB33_176
; %bb.175:                              ;   in Loop: Header=BB33_57 Depth=2
	s_bcnt1_i32_b64 s46, s[46:47]
	v_mov_b32_e32 v2, s46
	s_waitcnt lgkmcnt(0)
	ds_add_u64 v0, v[2:3]
	s_trap 2
.LBB33_176:                             ;   in Loop: Header=BB33_57 Depth=2
	s_or_b64 exec, exec, s[44:45]
	s_trap 2
	ds_read_b64 v[12:13], v0
	s_waitcnt lgkmcnt(0)
	v_lshl_add_u64 v[46:47], v[46:47], 0, v[60:61]
	v_cmp_lt_u64_e32 vcc, v[12:13], v[46:47]
	s_and_saveexec_b64 s[44:45], vcc
	s_cbranch_execz .LBB33_185
; %bb.177:                              ;   in Loop: Header=BB33_57 Depth=2
	s_mov_b32 s63, 0
	s_mov_b64 s[46:47], 0
                                        ; implicit-def: $sgpr56_sgpr57
                                        ; implicit-def: $sgpr58_sgpr59
	s_branch .LBB33_179
.LBB33_178:                             ;   in Loop: Header=BB33_179 Depth=3
	s_or_b64 exec, exec, s[38:39]
	s_and_b64 s[60:61], exec, vcc
	s_or_b64 s[46:47], s[60:61], s[46:47]
	s_andn2_b64 s[56:57], s[56:57], exec
	s_and_b64 s[60:61], s[58:59], exec
	s_or_b64 s[56:57], s[56:57], s[60:61]
	s_andn2_b64 exec, exec, s[46:47]
	s_cbranch_execz .LBB33_183
.LBB33_179:                             ;   Parent Loop BB33_47 Depth=1
                                        ;     Parent Loop BB33_57 Depth=2
                                        ; =>    This Inner Loop Header: Depth=3
	s_add_i32 s63, s63, 1
	s_cmpk_lg_i32 s63, 0x2710
	s_cselect_b64 s[60:61], -1, 0
	s_and_b64 vcc, exec, s[60:61]
	s_cbranch_vccz .LBB33_181
; %bb.180:                              ;   in Loop: Header=BB33_179 Depth=3
	s_mov_b64 vcc, -1
	s_or_b64 s[58:59], s[58:59], exec
	s_and_saveexec_b64 s[38:39], s[60:61]
	s_cbranch_execz .LBB33_178
	s_branch .LBB33_182
.LBB33_181:                             ;   in Loop: Header=BB33_179 Depth=3
	s_trap 2
	ds_read_b64 v[12:13], v0
	s_andn2_b64 s[60:61], s[60:61], exec
	s_mov_b32 s63, 0
	s_waitcnt vmcnt(0) lgkmcnt(0)
	flat_load_dword v2, v[12:13] sc0 sc1
	s_waitcnt vmcnt(0) lgkmcnt(0)
	buffer_inv sc0 sc1
	v_cmp_eq_u32_e32 vcc, 0, v2
	s_and_b64 vcc, vcc, exec
	s_or_b64 s[60:61], s[60:61], vcc
	s_mov_b64 vcc, -1
	s_or_b64 s[58:59], s[58:59], exec
	s_and_saveexec_b64 s[38:39], s[60:61]
	s_cbranch_execz .LBB33_178
.LBB33_182:                             ;   in Loop: Header=BB33_179 Depth=3
	s_sleep 1
	s_trap 2
	ds_read_b64 v[12:13], v0
	s_waitcnt lgkmcnt(0)
	s_andn2_b64 s[58:59], s[58:59], exec
	v_cmp_ge_u64_e32 vcc, v[12:13], v[46:47]
	s_orn2_b64 vcc, vcc, exec
	s_branch .LBB33_178
.LBB33_183:                             ;   in Loop: Header=BB33_57 Depth=2
	s_or_b64 exec, exec, s[46:47]
	s_and_saveexec_b64 s[46:47], s[56:57]
	s_xor_b64 s[46:47], exec, s[46:47]
	s_cbranch_execz .LBB33_185
; %bb.184:                              ;   in Loop: Header=BB33_57 Depth=2
	ds_write_b32 v0, v1
	s_trap 2
.LBB33_185:                             ;   in Loop: Header=BB33_57 Depth=2
	s_or_b64 exec, exec, s[44:45]
	;;#ASMSTART
	s_wakeup
	;;#ASMEND
.LBB33_186:                             ;   in Loop: Header=BB33_57 Depth=2
	s_or_b64 exec, exec, s[42:43]
.LBB33_187:                             ;   in Loop: Header=BB33_57 Depth=2
	s_andn2_saveexec_b64 s[40:41], s[40:41]
	s_cbranch_execz .LBB33_189
; %bb.188:                              ;   in Loop: Header=BB33_57 Depth=2
	;;#ASMSTART
	s_waitcnt lgkmcnt(0) vmcnt(0)
	;;#ASMEND
	s_barrier
.LBB33_189:                             ;   in Loop: Header=BB33_57 Depth=2
	s_or_b64 exec, exec, s[40:41]
	v_and_b32_e32 v2, 16, v58
	s_or_b64 exec, exec, s[22:23]
	v_cmp_ne_u32_e32 vcc, 0, v2
	s_and_saveexec_b64 s[22:23], vcc
	s_cbranch_execz .LBB33_56
.LBB33_190:                             ;   in Loop: Header=BB33_57 Depth=2
	s_and_saveexec_b64 s[40:41], s[10:11]
	s_cbranch_execz .LBB33_55
; %bb.191:                              ;   in Loop: Header=BB33_57 Depth=2
	flat_store_dword v[44:45], v1 sc0 sc1
	s_branch .LBB33_55
.LBB33_192:                             ;   in Loop: Header=BB33_47 Depth=1
	s_or_b64 exec, exec, s[26:27]
.LBB33_193:                             ;   in Loop: Header=BB33_47 Depth=1
	s_or_b64 exec, exec, s[24:25]
	v_cmp_gt_i32_e32 vcc, 2, v2
	s_and_saveexec_b64 s[24:25], vcc
	s_cbranch_execz .LBB33_265
; %bb.194:                              ;   in Loop: Header=BB33_47 Depth=1
	v_cmp_eq_u32_e64 s[28:29], 0, v2
	s_mov_b64 s[26:27], 0
	s_branch .LBB33_197
.LBB33_195:                             ;   in Loop: Header=BB33_197 Depth=2
	s_or_b64 exec, exec, s[28:29]
	v_lshl_add_u64 v[116:117], v[116:117], 0, 2
	flat_store_dwordx2 v[40:41], v[116:117] sc0 sc1
.LBB33_196:                             ;   in Loop: Header=BB33_197 Depth=2
	s_or_b64 exec, exec, s[22:23]
	v_add_u32_e32 v8, v4, v8
	s_mov_b64 s[28:29], 0
	s_andn2_b64 exec, exec, s[26:27]
	s_cbranch_execz .LBB33_264
.LBB33_197:                             ;   Parent Loop BB33_47 Depth=1
                                        ; =>  This Loop Header: Depth=2
                                        ;       Child Loop BB33_203 Depth 3
                                        ;       Child Loop BB33_227 Depth 3
	;; [unrolled: 1-line block ×3, first 2 shown]
	v_sub_u32_e32 v2, v0, v8
	v_min_i32_e32 v4, v4, v2
	v_and_b32_e32 v2, 8, v58
	v_cmp_ne_u32_e32 vcc, 0, v2
	s_and_saveexec_b64 s[40:41], vcc
	s_cbranch_execz .LBB33_219
; %bb.198:                              ;   in Loop: Header=BB33_197 Depth=2
	s_waitcnt vmcnt(0) lgkmcnt(0)
	v_lshl_add_u64 v[12:13], v[56:57], 0, 8
	v_lshl_add_u64 v[10:11], v[116:117], 0, 2
	v_cmp_lt_u64_e32 vcc, v[12:13], v[10:11]
	s_and_saveexec_b64 s[42:43], vcc
	s_cbranch_execz .LBB33_210
; %bb.199:                              ;   in Loop: Header=BB33_197 Depth=2
	v_and_b32_e32 v2, 64, v58
	s_mov_b32 s62, 0
	v_cmp_eq_u32_e32 vcc, 0, v2
	s_mov_b64 s[44:45], 0
                                        ; implicit-def: $sgpr46_sgpr47
                                        ; implicit-def: $sgpr56_sgpr57
                                        ; implicit-def: $sgpr58_sgpr59
	s_branch .LBB33_203
.LBB33_200:                             ;   in Loop: Header=BB33_203 Depth=3
	s_waitcnt vmcnt(0) lgkmcnt(0)
	v_lshl_add_u64 v[12:13], v[56:57], 0, 8
	v_cmp_ge_u64_e64 s[22:23], v[12:13], v[10:11]
	s_or_b64 s[48:49], s[48:49], exec
	s_orn2_b64 s[38:39], s[22:23], exec
.LBB33_201:                             ;   in Loop: Header=BB33_203 Depth=3
	s_or_b64 exec, exec, s[52:53]
	s_andn2_b64 s[22:23], s[58:59], exec
	s_and_b64 s[58:59], s[48:49], exec
	s_or_b64 s[58:59], s[22:23], s[58:59]
	s_andn2_b64 s[22:23], s[56:57], exec
	s_and_b64 s[56:57], s[38:39], exec
	s_or_b64 s[56:57], s[22:23], s[56:57]
.LBB33_202:                             ;   in Loop: Header=BB33_203 Depth=3
	s_or_b64 exec, exec, s[60:61]
	s_and_b64 s[22:23], exec, s[56:57]
	s_or_b64 s[44:45], s[22:23], s[44:45]
	s_andn2_b64 s[22:23], s[46:47], exec
	s_and_b64 s[46:47], s[58:59], exec
	s_or_b64 s[46:47], s[22:23], s[46:47]
	s_andn2_b64 exec, exec, s[44:45]
	s_cbranch_execz .LBB33_207
.LBB33_203:                             ;   Parent Loop BB33_47 Depth=1
                                        ;     Parent Loop BB33_197 Depth=2
                                        ; =>    This Inner Loop Header: Depth=3
	s_sleep 1
	s_waitcnt vmcnt(0) lgkmcnt(0)
	flat_load_dwordx2 v[56:57], v[40:41] sc0 sc1
	s_or_b64 s[58:59], s[58:59], exec
	s_or_b64 s[56:57], s[56:57], exec
                                        ; implicit-def: $vgpr2
	s_and_saveexec_b64 s[60:61], vcc
	s_cbranch_execz .LBB33_202
; %bb.204:                              ;   in Loop: Header=BB33_203 Depth=3
	s_cmpk_lt_i32 s62, 0x270f
	s_cselect_b64 s[50:51], -1, 0
	s_cmpk_gt_i32 s62, 0x270e
	s_mov_b64 s[38:39], -1
	s_cbranch_scc0 .LBB33_206
; %bb.205:                              ;   in Loop: Header=BB33_203 Depth=3
	s_trap 2
	ds_read_b64 v[12:13], v0
	s_andn2_b64 s[50:51], s[50:51], exec
	s_mov_b32 s62, 0
	s_mov_b64 s[48:49], 0
	s_waitcnt vmcnt(0) lgkmcnt(0)
	flat_load_dword v2, v[12:13] sc0 sc1
	s_waitcnt vmcnt(0) lgkmcnt(0)
	buffer_inv sc0 sc1
	v_cmp_eq_u32_e64 s[22:23], 0, v2
	s_and_b64 s[22:23], s[22:23], exec
	s_or_b64 s[50:51], s[50:51], s[22:23]
	s_and_saveexec_b64 s[52:53], s[50:51]
	s_cbranch_execz .LBB33_201
	s_branch .LBB33_200
.LBB33_206:                             ;   in Loop: Header=BB33_203 Depth=3
	s_add_i32 s62, s62, 1
	s_mov_b64 s[48:49], -1
                                        ; implicit-def: $vgpr2
	s_and_saveexec_b64 s[52:53], s[50:51]
	s_cbranch_execz .LBB33_201
	s_branch .LBB33_200
.LBB33_207:                             ;   in Loop: Header=BB33_197 Depth=2
	s_or_b64 exec, exec, s[44:45]
	s_xor_b64 s[22:23], s[46:47], -1
	s_and_saveexec_b64 s[44:45], s[22:23]
	s_xor_b64 s[22:23], exec, s[44:45]
	s_cbranch_execz .LBB33_209
; %bb.208:                              ;   in Loop: Header=BB33_197 Depth=2
	v_or_b32_e32 v58, 64, v58
	s_waitcnt lgkmcnt(0)
	ds_write_b32 v0, v2
	s_trap 2
.LBB33_209:                             ;   in Loop: Header=BB33_197 Depth=2
	s_or_b64 exec, exec, s[22:23]
.LBB33_210:                             ;   in Loop: Header=BB33_197 Depth=2
	s_or_b64 exec, exec, s[42:43]
	v_and_b32_e32 v2, 0x100, v58
	v_cmp_ne_u32_e32 vcc, 0, v2
	v_and_b32_e32 v2, 7, v116
	s_mov_b64 s[22:23], -1
	;;#ASMSTART
	s_wakeup
	;;#ASMEND
                                        ; implicit-def: $vgpr12_vgpr13
	s_and_saveexec_b64 s[42:43], vcc
	s_cbranch_execz .LBB33_214
; %bb.211:                              ;   in Loop: Header=BB33_197 Depth=2
	v_mad_u64_u32 v[14:15], s[22:23], v2, 24, v[6:7]
	flat_load_dword v9, v[14:15]
	v_ashrrev_i32_e32 v5, 31, v4
	v_lshlrev_b64 v[12:13], 1, v[4:5]
	flat_store_dwordx2 v[14:15], v[12:13] offset:8
                                        ; implicit-def: $vgpr12_vgpr13
	s_waitcnt vmcnt(0) lgkmcnt(0)
	v_cmp_ne_u32_e32 vcc, 1, v9
	v_cmp_eq_u32_e64 s[22:23], 1, v9
	s_and_saveexec_b64 s[44:45], s[22:23]
	s_cbranch_execz .LBB33_213
; %bb.212:                              ;   in Loop: Header=BB33_197 Depth=2
	flat_load_dword v12, v[14:15] offset:4 sc0 sc1
	s_waitcnt vmcnt(0) lgkmcnt(0)
	v_ashrrev_i32_e32 v13, 31, v12
	v_lshrrev_b64 v[12:13], 1, v[12:13]
.LBB33_213:                             ;   in Loop: Header=BB33_197 Depth=2
	s_or_b64 exec, exec, s[44:45]
	s_orn2_b64 s[22:23], vcc, exec
.LBB33_214:                             ;   in Loop: Header=BB33_197 Depth=2
	s_or_b64 exec, exec, s[42:43]
	s_and_saveexec_b64 s[42:43], s[22:23]
; %bb.215:                              ;   in Loop: Header=BB33_197 Depth=2
	v_mad_i64_i32 v[12:13], s[22:23], v2, v30, 0
; %bb.216:                              ;   in Loop: Header=BB33_197 Depth=2
	s_or_b64 exec, exec, s[42:43]
	v_and_b32_e32 v2, 0x2000, v58
	v_lshl_add_u64 v[12:13], v[12:13], 1, v[42:43]
	v_cmp_ne_u32_e32 vcc, 0, v2
	ds_write_b64 v0, v[12:13] offset:784
	s_and_saveexec_b64 s[22:23], vcc
	s_cbranch_execz .LBB33_218
; %bb.217:                              ;   in Loop: Header=BB33_197 Depth=2
	ds_read_b64 v[12:13], v0 offset:872
	s_waitcnt lgkmcnt(0)
	v_lshl_add_u64 v[12:13], v[12:13], 0, 1
	ds_write_b64 v0, v[12:13] offset:872
.LBB33_218:                             ;   in Loop: Header=BB33_197 Depth=2
	s_or_b64 exec, exec, s[22:23]
	v_mov_b64_e32 v[116:117], v[10:11]
.LBB33_219:                             ;   in Loop: Header=BB33_197 Depth=2
	s_or_b64 exec, exec, s[40:41]
	s_xor_b64 s[22:23], s[28:29], -1
	s_and_b64 s[22:23], exec, s[22:23]
	s_or_b64 s[26:27], s[22:23], s[26:27]
	s_and_saveexec_b64 s[22:23], s[4:5]
	s_cbranch_execz .LBB33_238
; %bb.220:                              ;   in Loop: Header=BB33_197 Depth=2
	s_and_saveexec_b64 s[28:29], s[76:77]
	s_xor_b64 s[28:29], exec, s[28:29]
	s_cbranch_execz .LBB33_235
; %bb.221:                              ;   in Loop: Header=BB33_197 Depth=2
	s_and_saveexec_b64 s[40:41], s[12:13]
	s_cbranch_execz .LBB33_234
; %bb.222:                              ;   in Loop: Header=BB33_197 Depth=2
	s_mov_b64 s[44:45], exec
	v_mbcnt_lo_u32_b32 v2, s44, 0
	v_mbcnt_hi_u32_b32 v2, s45, v2
	v_cmp_eq_u32_e32 vcc, 0, v2
	s_waitcnt lgkmcnt(0)
	s_and_saveexec_b64 s[42:43], vcc
	s_cbranch_execz .LBB33_224
; %bb.223:                              ;   in Loop: Header=BB33_197 Depth=2
	s_bcnt1_i32_b64 s44, s[44:45]
	v_mov_b32_e32 v2, s44
	ds_add_u64 v0, v[2:3]
	s_trap 2
.LBB33_224:                             ;   in Loop: Header=BB33_197 Depth=2
	s_or_b64 exec, exec, s[42:43]
	s_trap 2
	ds_read_b64 v[10:11], v0
	s_waitcnt lgkmcnt(0)
	v_lshl_add_u64 v[46:47], v[46:47], 0, v[60:61]
	v_cmp_lt_u64_e32 vcc, v[10:11], v[46:47]
	s_and_saveexec_b64 s[42:43], vcc
	s_cbranch_execz .LBB33_233
; %bb.225:                              ;   in Loop: Header=BB33_197 Depth=2
	s_mov_b32 s62, 0
	s_mov_b64 s[44:45], 0
                                        ; implicit-def: $sgpr46_sgpr47
                                        ; implicit-def: $sgpr56_sgpr57
	s_branch .LBB33_227
.LBB33_226:                             ;   in Loop: Header=BB33_227 Depth=3
	s_or_b64 exec, exec, s[60:61]
	s_and_b64 s[58:59], exec, vcc
	s_or_b64 s[44:45], s[58:59], s[44:45]
	s_andn2_b64 s[46:47], s[46:47], exec
	s_and_b64 s[58:59], s[56:57], exec
	s_or_b64 s[46:47], s[46:47], s[58:59]
	s_andn2_b64 exec, exec, s[44:45]
	s_cbranch_execz .LBB33_231
.LBB33_227:                             ;   Parent Loop BB33_47 Depth=1
                                        ;     Parent Loop BB33_197 Depth=2
                                        ; =>    This Inner Loop Header: Depth=3
	s_add_i32 s62, s62, 1
	s_cmpk_lg_i32 s62, 0x2710
	s_cselect_b64 s[58:59], -1, 0
	s_and_b64 vcc, exec, s[58:59]
	s_cbranch_vccz .LBB33_229
; %bb.228:                              ;   in Loop: Header=BB33_227 Depth=3
	s_mov_b64 vcc, -1
	s_or_b64 s[56:57], s[56:57], exec
	s_and_saveexec_b64 s[60:61], s[58:59]
	s_cbranch_execz .LBB33_226
	s_branch .LBB33_230
.LBB33_229:                             ;   in Loop: Header=BB33_227 Depth=3
	s_trap 2
	ds_read_b64 v[10:11], v0
	s_andn2_b64 s[58:59], s[58:59], exec
	s_mov_b32 s62, 0
	s_waitcnt vmcnt(0) lgkmcnt(0)
	flat_load_dword v2, v[10:11] sc0 sc1
	s_waitcnt vmcnt(0) lgkmcnt(0)
	buffer_inv sc0 sc1
	v_cmp_eq_u32_e32 vcc, 0, v2
	s_and_b64 s[60:61], vcc, exec
	s_or_b64 s[58:59], s[58:59], s[60:61]
	s_mov_b64 vcc, -1
	s_or_b64 s[56:57], s[56:57], exec
	s_and_saveexec_b64 s[60:61], s[58:59]
	s_cbranch_execz .LBB33_226
.LBB33_230:                             ;   in Loop: Header=BB33_227 Depth=3
	s_sleep 1
	s_trap 2
	ds_read_b64 v[10:11], v0
	s_waitcnt lgkmcnt(0)
	s_andn2_b64 s[56:57], s[56:57], exec
	v_cmp_ge_u64_e32 vcc, v[10:11], v[46:47]
	s_orn2_b64 vcc, vcc, exec
	s_branch .LBB33_226
.LBB33_231:                             ;   in Loop: Header=BB33_197 Depth=2
	s_or_b64 exec, exec, s[44:45]
	s_and_saveexec_b64 s[44:45], s[46:47]
	s_xor_b64 s[44:45], exec, s[44:45]
	s_cbranch_execz .LBB33_233
; %bb.232:                              ;   in Loop: Header=BB33_197 Depth=2
	ds_write_b32 v0, v1
	s_trap 2
.LBB33_233:                             ;   in Loop: Header=BB33_197 Depth=2
	s_or_b64 exec, exec, s[42:43]
	;;#ASMSTART
	s_wakeup
	;;#ASMEND
.LBB33_234:                             ;   in Loop: Header=BB33_197 Depth=2
	s_or_b64 exec, exec, s[40:41]
.LBB33_235:                             ;   in Loop: Header=BB33_197 Depth=2
	s_andn2_saveexec_b64 s[28:29], s[28:29]
	s_cbranch_execz .LBB33_237
; %bb.236:                              ;   in Loop: Header=BB33_197 Depth=2
	s_waitcnt lgkmcnt(0)
	s_barrier
.LBB33_237:                             ;   in Loop: Header=BB33_197 Depth=2
	s_or_b64 exec, exec, s[28:29]
.LBB33_238:                             ;   in Loop: Header=BB33_197 Depth=2
	s_or_b64 exec, exec, s[22:23]
                                        ; implicit-def: $vgpr2
	s_and_saveexec_b64 s[22:23], s[20:21]
	s_xor_b64 s[22:23], exec, s[22:23]
	s_cbranch_execz .LBB33_243
; %bb.239:                              ;   in Loop: Header=BB33_197 Depth=2
	s_trap 2
	ds_read_b32 v5, v0
	v_cmp_lt_i32_e32 vcc, 0, v4
	v_and_b32_e32 v9, 16, v58
	v_and_b32_e32 v2, 16, v58
	s_waitcnt lgkmcnt(0)
	v_readfirstlane_b32 s28, v5
	s_cmp_eq_u32 s28, 0
	s_cselect_b64 s[28:29], -1, 0
	s_and_b64 s[28:29], vcc, s[28:29]
	v_cmp_ne_u32_e32 vcc, 0, v9
	s_and_b64 s[40:41], vcc, s[28:29]
	s_and_saveexec_b64 s[28:29], s[40:41]
	s_cbranch_execz .LBB33_241
; %bb.240:                              ;   in Loop: Header=BB33_197 Depth=2
	v_mov_b32_e32 v2, 1
	buffer_wbl2 sc1
	s_waitcnt vmcnt(0)
	buffer_inv sc1
.LBB33_241:                             ;   in Loop: Header=BB33_197 Depth=2
	s_or_b64 exec, exec, s[28:29]
	s_andn2_saveexec_b64 s[22:23], s[22:23]
	s_cbranch_execnz .LBB33_244
.LBB33_242:                             ;   in Loop: Header=BB33_197 Depth=2
	s_or_b64 exec, exec, s[22:23]
	v_cmp_ne_u32_e32 vcc, 0, v2
	s_and_saveexec_b64 s[22:23], vcc
	s_cbranch_execz .LBB33_196
	s_branch .LBB33_262
.LBB33_243:                             ;   in Loop: Header=BB33_197 Depth=2
	s_andn2_saveexec_b64 s[22:23], s[22:23]
	s_cbranch_execz .LBB33_242
.LBB33_244:                             ;   in Loop: Header=BB33_197 Depth=2
	s_and_saveexec_b64 s[28:29], s[76:77]
	s_xor_b64 s[28:29], exec, s[28:29]
	s_cbranch_execz .LBB33_259
; %bb.245:                              ;   in Loop: Header=BB33_197 Depth=2
	s_and_saveexec_b64 s[40:41], s[12:13]
	s_cbranch_execz .LBB33_258
; %bb.246:                              ;   in Loop: Header=BB33_197 Depth=2
	s_mov_b64 s[44:45], exec
	v_mbcnt_lo_u32_b32 v2, s44, 0
	v_mbcnt_hi_u32_b32 v2, s45, v2
	v_cmp_eq_u32_e32 vcc, 0, v2
	;;#ASMSTART
	s_waitcnt lgkmcnt(0) vmcnt(0)
	;;#ASMEND
	s_and_saveexec_b64 s[42:43], vcc
	s_cbranch_execz .LBB33_248
; %bb.247:                              ;   in Loop: Header=BB33_197 Depth=2
	s_bcnt1_i32_b64 s44, s[44:45]
	v_mov_b32_e32 v2, s44
	s_waitcnt lgkmcnt(0)
	ds_add_u64 v0, v[2:3]
	s_trap 2
.LBB33_248:                             ;   in Loop: Header=BB33_197 Depth=2
	s_or_b64 exec, exec, s[42:43]
	s_trap 2
	ds_read_b64 v[10:11], v0
	s_waitcnt lgkmcnt(0)
	v_lshl_add_u64 v[46:47], v[46:47], 0, v[60:61]
	v_cmp_lt_u64_e32 vcc, v[10:11], v[46:47]
	s_and_saveexec_b64 s[42:43], vcc
	s_cbranch_execz .LBB33_257
; %bb.249:                              ;   in Loop: Header=BB33_197 Depth=2
	s_mov_b32 s62, 0
	s_mov_b64 s[44:45], 0
                                        ; implicit-def: $sgpr46_sgpr47
                                        ; implicit-def: $sgpr56_sgpr57
	s_branch .LBB33_251
.LBB33_250:                             ;   in Loop: Header=BB33_251 Depth=3
	s_or_b64 exec, exec, s[60:61]
	s_and_b64 s[58:59], exec, vcc
	s_or_b64 s[44:45], s[58:59], s[44:45]
	s_andn2_b64 s[46:47], s[46:47], exec
	s_and_b64 s[58:59], s[56:57], exec
	s_or_b64 s[46:47], s[46:47], s[58:59]
	s_andn2_b64 exec, exec, s[44:45]
	s_cbranch_execz .LBB33_255
.LBB33_251:                             ;   Parent Loop BB33_47 Depth=1
                                        ;     Parent Loop BB33_197 Depth=2
                                        ; =>    This Inner Loop Header: Depth=3
	s_add_i32 s62, s62, 1
	s_cmpk_lg_i32 s62, 0x2710
	s_cselect_b64 s[58:59], -1, 0
	s_and_b64 vcc, exec, s[58:59]
	s_cbranch_vccz .LBB33_253
; %bb.252:                              ;   in Loop: Header=BB33_251 Depth=3
	s_mov_b64 vcc, -1
	s_or_b64 s[56:57], s[56:57], exec
	s_and_saveexec_b64 s[60:61], s[58:59]
	s_cbranch_execz .LBB33_250
	s_branch .LBB33_254
.LBB33_253:                             ;   in Loop: Header=BB33_251 Depth=3
	s_trap 2
	ds_read_b64 v[10:11], v0
	s_andn2_b64 s[58:59], s[58:59], exec
	s_mov_b32 s62, 0
	s_waitcnt vmcnt(0) lgkmcnt(0)
	flat_load_dword v2, v[10:11] sc0 sc1
	s_waitcnt vmcnt(0) lgkmcnt(0)
	buffer_inv sc0 sc1
	v_cmp_eq_u32_e32 vcc, 0, v2
	s_and_b64 s[60:61], vcc, exec
	s_or_b64 s[58:59], s[58:59], s[60:61]
	s_mov_b64 vcc, -1
	s_or_b64 s[56:57], s[56:57], exec
	s_and_saveexec_b64 s[60:61], s[58:59]
	s_cbranch_execz .LBB33_250
.LBB33_254:                             ;   in Loop: Header=BB33_251 Depth=3
	s_sleep 1
	s_trap 2
	ds_read_b64 v[10:11], v0
	s_waitcnt lgkmcnt(0)
	s_andn2_b64 s[56:57], s[56:57], exec
	v_cmp_ge_u64_e32 vcc, v[10:11], v[46:47]
	s_orn2_b64 vcc, vcc, exec
	s_branch .LBB33_250
.LBB33_255:                             ;   in Loop: Header=BB33_197 Depth=2
	s_or_b64 exec, exec, s[44:45]
	s_and_saveexec_b64 s[44:45], s[46:47]
	s_xor_b64 s[44:45], exec, s[44:45]
	s_cbranch_execz .LBB33_257
; %bb.256:                              ;   in Loop: Header=BB33_197 Depth=2
	ds_write_b32 v0, v1
	s_trap 2
.LBB33_257:                             ;   in Loop: Header=BB33_197 Depth=2
	s_or_b64 exec, exec, s[42:43]
	;;#ASMSTART
	s_wakeup
	;;#ASMEND
.LBB33_258:                             ;   in Loop: Header=BB33_197 Depth=2
	s_or_b64 exec, exec, s[40:41]
.LBB33_259:                             ;   in Loop: Header=BB33_197 Depth=2
	s_andn2_saveexec_b64 s[28:29], s[28:29]
	s_cbranch_execz .LBB33_261
; %bb.260:                              ;   in Loop: Header=BB33_197 Depth=2
	;;#ASMSTART
	s_waitcnt lgkmcnt(0) vmcnt(0)
	;;#ASMEND
	s_barrier
.LBB33_261:                             ;   in Loop: Header=BB33_197 Depth=2
	s_or_b64 exec, exec, s[28:29]
	v_and_b32_e32 v2, 16, v58
	s_or_b64 exec, exec, s[22:23]
	v_cmp_ne_u32_e32 vcc, 0, v2
	s_and_saveexec_b64 s[22:23], vcc
	s_cbranch_execz .LBB33_196
.LBB33_262:                             ;   in Loop: Header=BB33_197 Depth=2
	s_and_saveexec_b64 s[28:29], s[10:11]
	s_cbranch_execz .LBB33_195
; %bb.263:                              ;   in Loop: Header=BB33_197 Depth=2
	flat_store_dword v[44:45], v1 sc0 sc1
	s_branch .LBB33_195
.LBB33_264:                             ;   in Loop: Header=BB33_47 Depth=1
	s_or_b64 exec, exec, s[26:27]
.LBB33_265:                             ;   in Loop: Header=BB33_47 Depth=1
	s_or_b64 exec, exec, s[24:25]
	v_cndmask_b32_e64 v0, 0, 1, s[94:95]
	v_cmp_ne_u32_e64 s[22:23], 1, v0
	s_andn2_b64 vcc, exec, s[94:95]
	s_cbranch_vccnz .LBB33_716
; %bb.266:                              ;   in Loop: Header=BB33_47 Depth=1
	s_mov_b32 s62, 2
	s_branch .LBB33_269
.LBB33_267:                             ;   in Loop: Header=BB33_269 Depth=2
	s_or_b64 exec, exec, s[28:29]
.LBB33_268:                             ;   in Loop: Header=BB33_269 Depth=2
	s_or_b64 exec, exec, s[26:27]
	s_add_i32 s62, s62, 1
	s_cmp_eq_u32 s62, s66
	s_cbranch_scc1 .LBB33_716
.LBB33_269:                             ;   Parent Loop BB33_47 Depth=1
                                        ; =>  This Loop Header: Depth=2
                                        ;       Child Loop BB33_272 Depth 3
                                        ;         Child Loop BB33_280 Depth 4
                                        ;         Child Loop BB33_308 Depth 4
                                        ;         Child Loop BB33_327 Depth 4
                                        ;         Child Loop BB33_354 Depth 4
                                        ;         Child Loop BB33_487 Depth 4
                                        ;         Child Loop BB33_525 Depth 4
                                        ;         Child Loop BB33_594 Depth 4
                                        ;         Child Loop BB33_606 Depth 4
                                        ;         Child Loop BB33_625 Depth 4
                                        ;       Child Loop BB33_644 Depth 3
                                        ;         Child Loop BB33_650 Depth 4
                                        ;         Child Loop BB33_678 Depth 4
	;; [unrolled: 1-line block ×3, first 2 shown]
	scratch_load_dwordx2 v[8:9], off, s33 offset:192 ; 8-byte Folded Reload
	s_sub_i32 s24, s70, s62
	s_cmp_ge_i32 s24, s66
	s_cselect_b32 s25, s66, 0
	s_sub_i32 s24, s24, s25
	s_ashr_i32 s25, s24, 31
	s_waitcnt lgkmcnt(0)
	v_mov_b32_e32 v28, 0
	s_waitcnt vmcnt(0)
	v_mul_lo_u32 v0, v8, s25
	v_mul_lo_u32 v2, v9, s24
	v_mad_u64_u32 v[52:53], s[24:25], v8, s24, 0
	v_add3_u32 v53, v53, v0, v2
	v_sub_co_u32_e32 v4, vcc, v86, v52
	s_nop 1
	v_subb_co_u32_e32 v5, vcc, v87, v53, vcc
	v_cmp_lt_i64_e32 vcc, v[8:9], v[4:5]
	s_nop 1
	v_cndmask_b32_e32 v0, v4, v8, vcc
	v_max_i32_e32 v31, 0, v0
	v_add_u32_e32 v2, 31, v31
	v_ashrrev_i32_e32 v4, 31, v2
	v_lshrrev_b32_e32 v4, 27, v4
	v_add_u32_e32 v2, v2, v4
	v_ashrrev_i32_e32 v2, 5, v2
	v_lshlrev_b32_e32 v2, 4, v2
	v_cmp_lt_i32_e32 vcc, 0, v0
	v_max_i32_e32 v4, s81, v2
	s_and_b64 s[24:25], s[34:35], vcc
	v_mov_b32_e32 v0, 0
	s_and_saveexec_b64 s[28:29], s[24:25]
	s_cbranch_execz .LBB33_641
; %bb.270:                              ;   in Loop: Header=BB33_269 Depth=2
	s_mov_b32 s63, 1
	s_mov_b64 s[42:43], -1
	v_mov_b32_e32 v28, 0
	s_mov_b64 s[40:41], 0
	s_branch .LBB33_272
.LBB33_271:                             ;   in Loop: Header=BB33_272 Depth=3
	s_or_b64 exec, exec, s[24:25]
	v_add_u32_e32 v28, v4, v28
	v_cmp_ge_i32_e32 vcc, v28, v31
	s_xor_b64 s[24:25], s[42:43], -1
	s_or_b64 s[24:25], s[24:25], vcc
	s_and_b64 s[24:25], exec, s[24:25]
	s_or_b64 s[40:41], s[24:25], s[40:41]
	s_mov_b64 s[42:43], 0
	v_mov_b32_e32 v0, s63
	s_mov_b32 s63, 2
	s_andn2_b64 exec, exec, s[40:41]
	s_cbranch_execz .LBB33_640
.LBB33_272:                             ;   Parent Loop BB33_47 Depth=1
                                        ;     Parent Loop BB33_269 Depth=2
                                        ; =>    This Loop Header: Depth=3
                                        ;         Child Loop BB33_280 Depth 4
                                        ;         Child Loop BB33_308 Depth 4
	;; [unrolled: 1-line block ×9, first 2 shown]
	s_and_saveexec_b64 s[24:25], s[0:1]
	s_cbranch_execz .LBB33_274
; %bb.273:                              ;   in Loop: Header=BB33_272 Depth=3
	s_trap 2
	ds_read_b64 v[8:9], v0
	v_ashrrev_i32_e32 v29, 31, v28
	s_waitcnt lgkmcnt(0)
	v_lshl_add_u64 v[8:9], v[104:105], 1, v[8:9]
	v_lshl_add_u64 v[8:9], v[52:53], 1, v[8:9]
	;; [unrolled: 1-line block ×3, first 2 shown]
	ds_write_b64 v0, v[8:9]
	ds_write_b64 v0, v[96:97]
.LBB33_274:                             ;   in Loop: Header=BB33_272 Depth=3
	s_or_b64 exec, exec, s[24:25]
	v_sub_u32_e32 v0, v31, v28
	v_min_i32_e32 v4, v4, v0
	v_and_b32_e32 v0, 12, v58
	v_cmp_ne_u32_e32 vcc, 0, v0
	s_and_saveexec_b64 s[26:27], vcc
	s_cbranch_execz .LBB33_300
; %bb.275:                              ;   in Loop: Header=BB33_272 Depth=3
	v_and_b32_e32 v2, 8, v58
	s_waitcnt vmcnt(0) lgkmcnt(0)
	v_lshl_add_u64 v[10:11], v[56:57], 0, v[2:3]
	v_lshl_add_u64 v[8:9], v[116:117], 0, 2
	v_cmp_lt_u64_e32 vcc, v[10:11], v[8:9]
	s_and_saveexec_b64 s[44:45], vcc
	s_cbranch_execz .LBB33_287
; %bb.276:                              ;   in Loop: Header=BB33_272 Depth=3
	v_and_b32_e32 v0, 64, v58
	s_mov_b32 s73, 0
	v_cmp_eq_u32_e32 vcc, 0, v0
	s_mov_b64 s[46:47], 0
                                        ; implicit-def: $sgpr56_sgpr57
                                        ; implicit-def: $sgpr58_sgpr59
                                        ; implicit-def: $sgpr60_sgpr61
	s_branch .LBB33_280
.LBB33_277:                             ;   in Loop: Header=BB33_280 Depth=4
	s_waitcnt vmcnt(0) lgkmcnt(0)
	v_lshl_add_u64 v[10:11], v[56:57], 0, v[2:3]
	v_cmp_ge_u64_e64 s[24:25], v[10:11], v[8:9]
	s_or_b64 s[50:51], s[50:51], exec
	s_orn2_b64 s[48:49], s[24:25], exec
.LBB33_278:                             ;   in Loop: Header=BB33_280 Depth=4
	s_or_b64 exec, exec, s[54:55]
	s_andn2_b64 s[24:25], s[60:61], exec
	s_and_b64 s[60:61], s[50:51], exec
	s_or_b64 s[60:61], s[24:25], s[60:61]
	s_andn2_b64 s[24:25], s[58:59], exec
	s_and_b64 s[58:59], s[48:49], exec
	s_or_b64 s[58:59], s[24:25], s[58:59]
.LBB33_279:                             ;   in Loop: Header=BB33_280 Depth=4
	s_or_b64 exec, exec, s[38:39]
	s_and_b64 s[24:25], exec, s[58:59]
	s_or_b64 s[46:47], s[24:25], s[46:47]
	s_andn2_b64 s[24:25], s[56:57], exec
	s_and_b64 s[56:57], s[60:61], exec
	s_or_b64 s[56:57], s[24:25], s[56:57]
	s_andn2_b64 exec, exec, s[46:47]
	s_cbranch_execz .LBB33_284
.LBB33_280:                             ;   Parent Loop BB33_47 Depth=1
                                        ;     Parent Loop BB33_269 Depth=2
                                        ;       Parent Loop BB33_272 Depth=3
                                        ; =>      This Inner Loop Header: Depth=4
	s_sleep 1
	s_waitcnt vmcnt(0) lgkmcnt(0)
	flat_load_dwordx2 v[56:57], v[40:41] sc0 sc1
	s_or_b64 s[60:61], s[60:61], exec
	s_or_b64 s[58:59], s[58:59], exec
                                        ; implicit-def: $vgpr0
	s_and_saveexec_b64 s[38:39], vcc
	s_cbranch_execz .LBB33_279
; %bb.281:                              ;   in Loop: Header=BB33_280 Depth=4
	s_cmpk_lt_i32 s73, 0x270f
	s_cselect_b64 s[52:53], -1, 0
	s_cmpk_gt_i32 s73, 0x270e
	s_mov_b64 s[48:49], -1
	s_cbranch_scc0 .LBB33_283
; %bb.282:                              ;   in Loop: Header=BB33_280 Depth=4
	s_trap 2
	ds_read_b64 v[10:11], v0
	s_andn2_b64 s[52:53], s[52:53], exec
	s_mov_b32 s73, 0
	s_mov_b64 s[50:51], 0
	s_waitcnt vmcnt(0) lgkmcnt(0)
	flat_load_dword v0, v[10:11] sc0 sc1
	s_waitcnt vmcnt(0) lgkmcnt(0)
	buffer_inv sc0 sc1
	v_cmp_eq_u32_e64 s[24:25], 0, v0
	s_and_b64 s[24:25], s[24:25], exec
	s_or_b64 s[52:53], s[52:53], s[24:25]
	s_and_saveexec_b64 s[54:55], s[52:53]
	s_cbranch_execz .LBB33_278
	s_branch .LBB33_277
.LBB33_283:                             ;   in Loop: Header=BB33_280 Depth=4
	s_add_i32 s73, s73, 1
	s_mov_b64 s[50:51], -1
                                        ; implicit-def: $vgpr0
	s_and_saveexec_b64 s[54:55], s[52:53]
	s_cbranch_execz .LBB33_278
	s_branch .LBB33_277
.LBB33_284:                             ;   in Loop: Header=BB33_272 Depth=3
	s_or_b64 exec, exec, s[46:47]
	s_xor_b64 s[24:25], s[56:57], -1
	s_and_saveexec_b64 s[46:47], s[24:25]
	s_xor_b64 s[24:25], exec, s[46:47]
	s_cbranch_execz .LBB33_286
; %bb.285:                              ;   in Loop: Header=BB33_272 Depth=3
	v_or_b32_e32 v58, 64, v58
	s_waitcnt lgkmcnt(0)
	ds_write_b32 v0, v0
	s_trap 2
.LBB33_286:                             ;   in Loop: Header=BB33_272 Depth=3
	s_or_b64 exec, exec, s[24:25]
.LBB33_287:                             ;   in Loop: Header=BB33_272 Depth=3
	s_or_b64 exec, exec, s[44:45]
	v_and_b32_e32 v0, 0x108, v58
	v_cmp_ne_u32_e32 vcc, s86, v0
	;;#ASMSTART
	s_wakeup
	;;#ASMEND
                                        ; implicit-def: $vgpr10_vgpr11
	s_and_saveexec_b64 s[24:25], vcc
	s_xor_b64 s[24:25], exec, s[24:25]
; %bb.288:                              ;   in Loop: Header=BB33_272 Depth=3
	v_and_b32_e32 v10, 7, v116
	v_mov_b32_e32 v11, v3
                                        ; implicit-def: $vgpr116_vgpr117
; %bb.289:                              ;   in Loop: Header=BB33_272 Depth=3
	s_andn2_saveexec_b64 s[24:25], s[24:25]
	s_cbranch_execz .LBB33_291
; %bb.290:                              ;   in Loop: Header=BB33_272 Depth=3
	v_and_b32_e32 v10, 7, v116
	v_ashrrev_i32_e32 v5, 31, v4
	v_mov_b32_e32 v11, v3
	v_mad_u64_u32 v[12:13], s[44:45], v10, 24, v[6:7]
	v_lshlrev_b64 v[14:15], 1, v[4:5]
	flat_store_dwordx2 v[12:13], v[14:15] offset:8
.LBB33_291:                             ;   in Loop: Header=BB33_272 Depth=3
	s_or_b64 exec, exec, s[24:25]
	v_and_b32_e32 v0, 0x100, v58
	v_cmp_ne_u32_e32 vcc, 0, v0
	s_mov_b64 s[24:25], -1
                                        ; implicit-def: $vgpr12_vgpr13
	s_and_saveexec_b64 s[44:45], vcc
	s_cbranch_execz .LBB33_295
; %bb.292:                              ;   in Loop: Header=BB33_272 Depth=3
	v_mad_u64_u32 v[14:15], s[24:25], v10, 24, v[6:7]
	v_mov_b32_e32 v0, v15
	v_mad_u64_u32 v[12:13], s[24:25], v11, 24, v[0:1]
	v_mov_b32_e32 v15, v12
	flat_load_dword v0, v[14:15]
                                        ; implicit-def: $vgpr12_vgpr13
	s_waitcnt vmcnt(0) lgkmcnt(0)
	v_cmp_ne_u32_e32 vcc, 1, v0
	v_cmp_eq_u32_e64 s[24:25], 1, v0
	s_and_saveexec_b64 s[46:47], s[24:25]
	s_cbranch_execz .LBB33_294
; %bb.293:                              ;   in Loop: Header=BB33_272 Depth=3
	flat_load_dword v12, v[14:15] offset:4 sc0 sc1
	s_waitcnt vmcnt(0) lgkmcnt(0)
	v_ashrrev_i32_e32 v13, 31, v12
	v_lshrrev_b64 v[12:13], 1, v[12:13]
.LBB33_294:                             ;   in Loop: Header=BB33_272 Depth=3
	s_or_b64 exec, exec, s[46:47]
	s_orn2_b64 s[24:25], vcc, exec
.LBB33_295:                             ;   in Loop: Header=BB33_272 Depth=3
	s_or_b64 exec, exec, s[44:45]
	s_and_saveexec_b64 s[44:45], s[24:25]
; %bb.296:                              ;   in Loop: Header=BB33_272 Depth=3
	v_ashrrev_i32_e32 v5, 31, v30
	v_mul_lo_u32 v0, v11, v30
	v_mul_lo_u32 v5, v10, v5
	v_mad_u64_u32 v[12:13], s[24:25], v10, v30, 0
	v_add3_u32 v13, v13, v5, v0
; %bb.297:                              ;   in Loop: Header=BB33_272 Depth=3
	s_or_b64 exec, exec, s[44:45]
	v_cmp_eq_u32_e32 vcc, 0, v2
	v_lshl_add_u64 v[10:11], v[12:13], 1, v[42:43]
	s_nop 0
	v_cndmask_b32_e32 v0, v102, v103, vcc
	v_add_u32_e32 v0, v0, v0
	ds_write_b64 v0, v[10:11] offset:584
	v_and_b32_e32 v0, 0x2000, v58
	v_cmp_ne_u32_e32 vcc, 0, v0
	s_and_saveexec_b64 s[24:25], vcc
	s_cbranch_execz .LBB33_299
; %bb.298:                              ;   in Loop: Header=BB33_272 Depth=3
	ds_read_b64 v[10:11], v0 offset:872
	s_waitcnt lgkmcnt(0)
	v_lshl_add_u64 v[10:11], v[10:11], 0, 1
	ds_write_b64 v0, v[10:11] offset:872
.LBB33_299:                             ;   in Loop: Header=BB33_272 Depth=3
	s_or_b64 exec, exec, s[24:25]
	v_mov_b64_e32 v[116:117], v[8:9]
.LBB33_300:                             ;   in Loop: Header=BB33_272 Depth=3
	s_or_b64 exec, exec, s[26:27]
	s_and_saveexec_b64 s[24:25], s[4:5]
	s_cbranch_execz .LBB33_319
; %bb.301:                              ;   in Loop: Header=BB33_272 Depth=3
	s_and_saveexec_b64 s[26:27], s[76:77]
	s_xor_b64 s[26:27], exec, s[26:27]
	s_cbranch_execz .LBB33_316
; %bb.302:                              ;   in Loop: Header=BB33_272 Depth=3
	s_and_saveexec_b64 s[44:45], s[12:13]
	s_cbranch_execz .LBB33_315
; %bb.303:                              ;   in Loop: Header=BB33_272 Depth=3
	s_mov_b64 s[56:57], exec
	v_mbcnt_lo_u32_b32 v0, s56, 0
	v_mbcnt_hi_u32_b32 v0, s57, v0
	v_cmp_eq_u32_e32 vcc, 0, v0
	s_waitcnt lgkmcnt(0)
	s_and_saveexec_b64 s[46:47], vcc
	s_cbranch_execz .LBB33_305
; %bb.304:                              ;   in Loop: Header=BB33_272 Depth=3
	s_bcnt1_i32_b64 s56, s[56:57]
	v_mov_b32_e32 v2, s56
	ds_add_u64 v0, v[2:3]
	s_trap 2
.LBB33_305:                             ;   in Loop: Header=BB33_272 Depth=3
	s_or_b64 exec, exec, s[46:47]
	s_trap 2
	ds_read_b64 v[8:9], v0
	s_waitcnt lgkmcnt(0)
	v_lshl_add_u64 v[46:47], v[46:47], 0, v[60:61]
	v_cmp_lt_u64_e32 vcc, v[8:9], v[46:47]
	s_and_saveexec_b64 s[46:47], vcc
	s_cbranch_execz .LBB33_314
; %bb.306:                              ;   in Loop: Header=BB33_272 Depth=3
	s_mov_b32 s73, 0
	s_mov_b64 s[56:57], 0
                                        ; implicit-def: $sgpr58_sgpr59
                                        ; implicit-def: $sgpr60_sgpr61
	s_branch .LBB33_308
.LBB33_307:                             ;   in Loop: Header=BB33_308 Depth=4
	s_or_b64 exec, exec, s[48:49]
	s_and_b64 vcc, exec, vcc
	s_or_b64 s[56:57], vcc, s[56:57]
	s_andn2_b64 s[58:59], s[58:59], exec
	s_and_b64 vcc, s[60:61], exec
	s_or_b64 s[58:59], s[58:59], vcc
	s_andn2_b64 exec, exec, s[56:57]
	s_cbranch_execz .LBB33_312
.LBB33_308:                             ;   Parent Loop BB33_47 Depth=1
                                        ;     Parent Loop BB33_269 Depth=2
                                        ;       Parent Loop BB33_272 Depth=3
                                        ; =>      This Inner Loop Header: Depth=4
	s_add_i32 s73, s73, 1
	s_cmpk_lg_i32 s73, 0x2710
	s_cselect_b64 s[38:39], -1, 0
	s_and_b64 vcc, exec, s[38:39]
	s_cbranch_vccz .LBB33_310
; %bb.309:                              ;   in Loop: Header=BB33_308 Depth=4
	s_mov_b64 vcc, -1
	s_or_b64 s[60:61], s[60:61], exec
	s_and_saveexec_b64 s[48:49], s[38:39]
	s_cbranch_execz .LBB33_307
	s_branch .LBB33_311
.LBB33_310:                             ;   in Loop: Header=BB33_308 Depth=4
	s_trap 2
	ds_read_b64 v[8:9], v0
	s_andn2_b64 s[38:39], s[38:39], exec
	s_mov_b32 s73, 0
	s_waitcnt vmcnt(0) lgkmcnt(0)
	flat_load_dword v0, v[8:9] sc0 sc1
	s_waitcnt vmcnt(0) lgkmcnt(0)
	buffer_inv sc0 sc1
	v_cmp_eq_u32_e32 vcc, 0, v0
	s_and_b64 vcc, vcc, exec
	s_or_b64 s[38:39], s[38:39], vcc
	s_mov_b64 vcc, -1
	s_or_b64 s[60:61], s[60:61], exec
	s_and_saveexec_b64 s[48:49], s[38:39]
	s_cbranch_execz .LBB33_307
.LBB33_311:                             ;   in Loop: Header=BB33_308 Depth=4
	s_sleep 1
	s_trap 2
	ds_read_b64 v[8:9], v0
	s_waitcnt lgkmcnt(0)
	s_andn2_b64 s[60:61], s[60:61], exec
	v_cmp_ge_u64_e32 vcc, v[8:9], v[46:47]
	s_orn2_b64 vcc, vcc, exec
	s_branch .LBB33_307
.LBB33_312:                             ;   in Loop: Header=BB33_272 Depth=3
	s_or_b64 exec, exec, s[56:57]
	s_and_saveexec_b64 s[56:57], s[58:59]
	s_xor_b64 s[56:57], exec, s[56:57]
	s_cbranch_execz .LBB33_314
; %bb.313:                              ;   in Loop: Header=BB33_272 Depth=3
	ds_write_b32 v0, v1
	s_trap 2
.LBB33_314:                             ;   in Loop: Header=BB33_272 Depth=3
	s_or_b64 exec, exec, s[46:47]
	;;#ASMSTART
	s_wakeup
	;;#ASMEND
.LBB33_315:                             ;   in Loop: Header=BB33_272 Depth=3
	s_or_b64 exec, exec, s[44:45]
.LBB33_316:                             ;   in Loop: Header=BB33_272 Depth=3
	s_andn2_saveexec_b64 s[26:27], s[26:27]
	s_cbranch_execz .LBB33_318
; %bb.317:                              ;   in Loop: Header=BB33_272 Depth=3
	s_waitcnt lgkmcnt(0)
	s_barrier
.LBB33_318:                             ;   in Loop: Header=BB33_272 Depth=3
	s_or_b64 exec, exec, s[26:27]
.LBB33_319:                             ;   in Loop: Header=BB33_272 Depth=3
	s_or_b64 exec, exec, s[24:25]
	s_trap 2
	ds_read_b32 v0, v0
	v_and_b32_e32 v2, 0x4000, v58
	v_cmp_ne_u32_e32 vcc, 0, v2
	s_xor_b64 s[24:25], s[2:3], -1
	s_and_b64 s[26:27], s[24:25], vcc
	s_and_saveexec_b64 s[24:25], s[26:27]
	s_cbranch_execz .LBB33_338
; %bb.320:                              ;   in Loop: Header=BB33_272 Depth=3
	s_and_saveexec_b64 s[26:27], s[76:77]
	s_xor_b64 s[26:27], exec, s[26:27]
	s_cbranch_execz .LBB33_335
; %bb.321:                              ;   in Loop: Header=BB33_272 Depth=3
	s_and_saveexec_b64 s[44:45], s[12:13]
	s_cbranch_execz .LBB33_334
; %bb.322:                              ;   in Loop: Header=BB33_272 Depth=3
	s_mov_b64 s[56:57], exec
	v_mbcnt_lo_u32_b32 v2, s56, 0
	v_mbcnt_hi_u32_b32 v2, s57, v2
	v_cmp_eq_u32_e32 vcc, 0, v2
	s_waitcnt lgkmcnt(0)
	s_and_saveexec_b64 s[46:47], vcc
	s_cbranch_execz .LBB33_324
; %bb.323:                              ;   in Loop: Header=BB33_272 Depth=3
	s_bcnt1_i32_b64 s56, s[56:57]
	v_mov_b32_e32 v2, s56
	ds_add_u64 v0, v[2:3]
	s_trap 2
.LBB33_324:                             ;   in Loop: Header=BB33_272 Depth=3
	s_or_b64 exec, exec, s[46:47]
	s_trap 2
	ds_read_b64 v[8:9], v0
	s_waitcnt lgkmcnt(0)
	v_lshl_add_u64 v[46:47], v[46:47], 0, v[60:61]
	v_cmp_lt_u64_e32 vcc, v[8:9], v[46:47]
	s_and_saveexec_b64 s[46:47], vcc
	s_cbranch_execz .LBB33_333
; %bb.325:                              ;   in Loop: Header=BB33_272 Depth=3
	s_mov_b32 s73, 0
	s_mov_b64 s[56:57], 0
                                        ; implicit-def: $sgpr58_sgpr59
                                        ; implicit-def: $sgpr60_sgpr61
	s_branch .LBB33_327
.LBB33_326:                             ;   in Loop: Header=BB33_327 Depth=4
	s_or_b64 exec, exec, s[48:49]
	s_and_b64 vcc, exec, vcc
	s_or_b64 s[56:57], vcc, s[56:57]
	s_andn2_b64 s[58:59], s[58:59], exec
	s_and_b64 vcc, s[60:61], exec
	s_or_b64 s[58:59], s[58:59], vcc
	s_andn2_b64 exec, exec, s[56:57]
	s_cbranch_execz .LBB33_331
.LBB33_327:                             ;   Parent Loop BB33_47 Depth=1
                                        ;     Parent Loop BB33_269 Depth=2
                                        ;       Parent Loop BB33_272 Depth=3
                                        ; =>      This Inner Loop Header: Depth=4
	s_add_i32 s73, s73, 1
	s_cmpk_lg_i32 s73, 0x2710
	s_cselect_b64 s[38:39], -1, 0
	s_and_b64 vcc, exec, s[38:39]
	s_cbranch_vccz .LBB33_329
; %bb.328:                              ;   in Loop: Header=BB33_327 Depth=4
	s_mov_b64 vcc, -1
	s_or_b64 s[60:61], s[60:61], exec
	s_and_saveexec_b64 s[48:49], s[38:39]
	s_cbranch_execz .LBB33_326
	s_branch .LBB33_330
.LBB33_329:                             ;   in Loop: Header=BB33_327 Depth=4
	s_trap 2
	ds_read_b64 v[8:9], v0
	s_andn2_b64 s[38:39], s[38:39], exec
	s_mov_b32 s73, 0
	s_waitcnt vmcnt(0) lgkmcnt(0)
	flat_load_dword v2, v[8:9] sc0 sc1
	s_waitcnt vmcnt(0) lgkmcnt(0)
	buffer_inv sc0 sc1
	v_cmp_eq_u32_e32 vcc, 0, v2
	s_and_b64 vcc, vcc, exec
	s_or_b64 s[38:39], s[38:39], vcc
	s_mov_b64 vcc, -1
	s_or_b64 s[60:61], s[60:61], exec
	s_and_saveexec_b64 s[48:49], s[38:39]
	s_cbranch_execz .LBB33_326
.LBB33_330:                             ;   in Loop: Header=BB33_327 Depth=4
	s_sleep 1
	s_trap 2
	ds_read_b64 v[8:9], v0
	s_waitcnt lgkmcnt(0)
	s_andn2_b64 s[60:61], s[60:61], exec
	v_cmp_ge_u64_e32 vcc, v[8:9], v[46:47]
	s_orn2_b64 vcc, vcc, exec
	s_branch .LBB33_326
.LBB33_331:                             ;   in Loop: Header=BB33_272 Depth=3
	s_or_b64 exec, exec, s[56:57]
	s_and_saveexec_b64 s[56:57], s[58:59]
	s_xor_b64 s[56:57], exec, s[56:57]
	s_cbranch_execz .LBB33_333
; %bb.332:                              ;   in Loop: Header=BB33_272 Depth=3
	ds_write_b32 v0, v1
	s_trap 2
.LBB33_333:                             ;   in Loop: Header=BB33_272 Depth=3
	s_or_b64 exec, exec, s[46:47]
	;;#ASMSTART
	s_wakeup
	;;#ASMEND
.LBB33_334:                             ;   in Loop: Header=BB33_272 Depth=3
	s_or_b64 exec, exec, s[44:45]
.LBB33_335:                             ;   in Loop: Header=BB33_272 Depth=3
	s_andn2_saveexec_b64 s[26:27], s[26:27]
	s_cbranch_execz .LBB33_337
; %bb.336:                              ;   in Loop: Header=BB33_272 Depth=3
	s_waitcnt lgkmcnt(0)
	s_barrier
.LBB33_337:                             ;   in Loop: Header=BB33_272 Depth=3
	s_or_b64 exec, exec, s[26:27]
.LBB33_338:                             ;   in Loop: Header=BB33_272 Depth=3
	s_or_b64 exec, exec, s[24:25]
	s_trap 2
	s_waitcnt lgkmcnt(0)
	ds_read_b64 v[54:55], v0
	s_waitcnt lgkmcnt(0)
	v_cmp_eq_u64_e32 vcc, 0, v[54:55]
	s_cbranch_vccnz .LBB33_346
; %bb.339:                              ;   in Loop: Header=BB33_272 Depth=3
	s_trap 2
	ds_read_b64 v[64:65], v0
	s_waitcnt lgkmcnt(0)
	v_cmp_eq_u64_e32 vcc, 0, v[64:65]
	s_cbranch_vccnz .LBB33_346
; %bb.340:                              ;   in Loop: Header=BB33_272 Depth=3
	s_trap 2
	ds_read_b64 v[8:9], v0
	s_mov_b64 s[26:27], -1
	s_waitcnt lgkmcnt(0)
	v_readfirstlane_b32 s60, v8
	s_and_saveexec_b64 s[24:25], s[18:19]
	s_cbranch_execz .LBB33_342
; %bb.341:                              ;   in Loop: Header=BB33_272 Depth=3
	ds_read_b32 v2, v0 offset:720
	s_waitcnt lgkmcnt(0)
	v_and_b32_e32 v2, 15, v2
	v_cmp_eq_u32_e32 vcc, 0, v2
	s_orn2_b64 s[26:27], vcc, exec
.LBB33_342:                             ;   in Loop: Header=BB33_272 Depth=3
	s_or_b64 exec, exec, s[24:25]
	s_and_saveexec_b64 s[24:25], s[16:17]
	s_cbranch_execz .LBB33_344
; %bb.343:                              ;   in Loop: Header=BB33_272 Depth=3
	ds_read_b32 v2, v0 offset:784
	s_waitcnt lgkmcnt(0)
	v_and_b32_e32 v2, 15, v2
	v_cmp_eq_u32_e32 vcc, 0, v2
	s_and_b64 s[44:45], s[26:27], vcc
	s_andn2_b64 s[26:27], s[26:27], exec
	s_and_b64 s[44:45], s[44:45], exec
	s_or_b64 s[26:27], s[26:27], s[44:45]
.LBB33_344:                             ;   in Loop: Header=BB33_272 Depth=3
	s_or_b64 exec, exec, s[24:25]
	v_cmp_eq_u32_e32 vcc, 0, v0
	s_xor_b64 s[26:27], s[26:27], -1
	v_cndmask_b32_e64 v5, 0, 1, s[26:27]
	v_cndmask_b32_e32 v2, 0, v4, vcc
	v_lshlrev_b32_e32 v0, 1, v2
	s_mov_b64 s[24:25], -1
	v_cmp_ne_u32_e32 vcc, 0, v5
	v_mov_b32_e32 v14, 0
	s_cbranch_vccz .LBB33_351
; %bb.345:                              ;   in Loop: Header=BB33_272 Depth=3
	v_mov_b32_e32 v15, v109
	s_and_saveexec_b64 s[26:27], s[24:25]
	s_cbranch_execnz .LBB33_522
	s_branch .LBB33_598
.LBB33_346:                             ;   in Loop: Header=BB33_272 Depth=3
	s_mov_b64 s[24:25], 0
	s_and_saveexec_b64 s[26:27], s[4:5]
	s_cbranch_execnz .LBB33_599
.LBB33_347:                             ;   in Loop: Header=BB33_272 Depth=3
	s_or_b64 exec, exec, s[26:27]
                                        ; implicit-def: $vgpr0
	s_and_saveexec_b64 s[26:27], s[20:21]
	s_xor_b64 s[26:27], exec, s[26:27]
	s_cbranch_execz .LBB33_617
.LBB33_348:                             ;   in Loop: Header=BB33_272 Depth=3
	v_and_b32_e32 v2, 16, v58
	v_cmp_ne_u32_e32 vcc, 0, v2
	v_and_b32_e32 v0, 16, v58
	s_and_b64 s[44:45], vcc, s[24:25]
	s_and_saveexec_b64 s[24:25], s[44:45]
	s_cbranch_execz .LBB33_350
; %bb.349:                              ;   in Loop: Header=BB33_272 Depth=3
	v_mov_b32_e32 v0, 1
	buffer_wbl2 sc1
	s_waitcnt vmcnt(0) lgkmcnt(0)
	buffer_inv sc1
.LBB33_350:                             ;   in Loop: Header=BB33_272 Depth=3
	s_or_b64 exec, exec, s[24:25]
	s_andn2_saveexec_b64 s[24:25], s[26:27]
	s_cbranch_execz .LBB33_636
	s_branch .LBB33_618
.LBB33_351:                             ;   in Loop: Header=BB33_272 Depth=3
	v_ashrrev_i32_e32 v5, 31, v0
	v_lshrrev_b32_e32 v5, 20, v5
	v_add_u32_e32 v5, v0, v5
	v_ashrrev_i32_e32 v29, 12, v5
	v_sub_u32_e32 v5, v29, v111
	v_cmp_lt_i32_e32 vcc, 0, v5
	s_and_saveexec_b64 s[26:27], vcc
	s_cbranch_execz .LBB33_483
; %bb.352:                              ;   in Loop: Header=BB33_272 Depth=3
	s_trap 2
	ds_read_b64 v[8:9], v0
	s_and_b32 s74, s60, 1
	s_cmp_eq_u64 s[74:75], 0
	v_lshl_add_u64 v[66:67], v[54:55], 0, v[90:91]
	v_lshl_add_u64 v[68:69], v[64:65], 0, v[90:91]
	s_waitcnt lgkmcnt(0)
	v_lshl_add_u64 v[70:71], v[8:9], 0, v[90:91]
	s_mov_b64 s[44:45], 0
	s_cselect_b64 vcc, -1, 0
	s_branch .LBB33_354
.LBB33_353:                             ;   in Loop: Header=BB33_354 Depth=4
	s_or_b64 exec, exec, s[46:47]
	v_lshrrev_b32_e32 v15, 16, v20
	v_and_or_b32 v17, v17, s97, v15
	v_lshrrev_b32_e32 v15, 16, v35
	v_and_or_b32 v16, v16, s97, v15
	v_lshrrev_b32_e32 v15, 16, v21
	v_and_or_b32 v18, v18, s97, v15
	v_lshrrev_b32_e32 v15, 16, v22
	v_and_or_b32 v19, v19, s97, v15
	v_lshrrev_b32_e32 v15, 16, v32
	v_and_or_b32 v25, v25, s97, v15
	v_lshrrev_b32_e32 v15, 16, v51
	v_and_or_b32 v24, v24, s97, v15
	v_lshrrev_b32_e32 v15, 16, v33
	v_and_or_b32 v26, v26, s97, v15
	v_lshrrev_b32_e32 v15, 16, v34
	v_and_or_b32 v27, v27, s97, v15
	v_lshrrev_b32_e32 v15, 16, v48
	v_and_or_b32 v33, v37, s97, v15
	v_lshrrev_b32_e32 v15, 16, v80
	v_lshrrev_b32_e32 v12, 16, v12
	v_and_or_b32 v32, v36, s97, v15
	v_lshrrev_b32_e32 v15, 16, v49
	v_and_or_b32 v9, v9, s97, v12
	;; [unrolled: 2-line block ×4, first 2 shown]
	v_lshrrev_b32_e32 v12, 16, v13
	v_sub_u32_e32 v5, v5, v60
	v_and_or_b32 v35, v39, s97, v15
	v_and_or_b32 v10, v10, s97, v12
	v_lshrrev_b32_e32 v12, 16, v14
	v_cmp_gt_i32_e64 s[24:25], 1, v5
	v_and_or_b32 v11, v11, s97, v12
	global_store_dwordx4 v[68:69], v[32:35], off
	global_store_dwordx4 v[68:69], v[24:27], off offset:1024
	global_store_dwordx4 v[68:69], v[16:19], off offset:2048
	;; [unrolled: 1-line block ×3, first 2 shown]
	v_lshl_add_u64 v[66:67], v[66:67], 0, v[92:93]
	v_lshl_add_u64 v[70:71], v[70:71], 0, v[92:93]
	s_or_b64 s[44:45], s[24:25], s[44:45]
	v_lshl_add_u64 v[68:69], v[68:69], 0, v[92:93]
	s_andn2_b64 exec, exec, s[44:45]
	s_cbranch_execz .LBB33_482
.LBB33_354:                             ;   Parent Loop BB33_47 Depth=1
                                        ;     Parent Loop BB33_269 Depth=2
                                        ;       Parent Loop BB33_272 Depth=3
                                        ; =>      This Inner Loop Header: Depth=4
	global_load_dwordx4 v[36:39], v[66:67], off nt
	global_load_dwordx4 v[48:51], v[70:71], off nt
	global_load_dwordx4 v[24:27], v[66:67], off offset:1024 nt
	global_load_dwordx4 v[16:19], v[66:67], off offset:2048 nt
	;; [unrolled: 1-line block ×6, first 2 shown]
	s_waitcnt vmcnt(0)
	v_lshlrev_b32_e32 v80, 16, v36
	v_lshlrev_b32_e32 v81, 16, v48
	v_max_f32_e32 v81, v81, v81
	v_max_f32_e32 v80, v80, v80
	v_min_f32_e32 v82, v80, v81
	v_max_f32_e32 v80, v80, v81
	v_cndmask_b32_e32 v81, v80, v82, vcc
	v_and_b32_e32 v80, 0x7f800000, v81
	v_cmp_ne_u32_e64 s[24:25], s87, v80
                                        ; implicit-def: $vgpr80
	s_and_saveexec_b64 s[46:47], s[24:25]
	s_xor_b64 s[24:25], exec, s[46:47]
; %bb.355:                              ;   in Loop: Header=BB33_354 Depth=4
	v_bfe_u32 v80, v81, 16, 1
	v_add3_u32 v80, v81, v80, s96
                                        ; implicit-def: $vgpr81
; %bb.356:                              ;   in Loop: Header=BB33_354 Depth=4
	s_andn2_saveexec_b64 s[46:47], s[24:25]
; %bb.357:                              ;   in Loop: Header=BB33_354 Depth=4
	v_or_b32_e32 v80, 0x10000, v81
	v_cmp_eq_u32_sdwa s[24:25], v81, v3 src0_sel:WORD_0 src1_sel:DWORD
	s_nop 1
	v_cndmask_b32_e64 v80, v80, v81, s[24:25]
; %bb.358:                              ;   in Loop: Header=BB33_354 Depth=4
	s_or_b64 exec, exec, s[46:47]
	v_and_b32_e32 v36, 0xffff0000, v36
	v_and_b32_e32 v48, 0xffff0000, v48
	v_max_f32_e32 v48, v48, v48
	v_max_f32_e32 v36, v36, v36
	v_min_f32_e32 v81, v36, v48
	v_max_f32_e32 v36, v36, v48
	v_cndmask_b32_e32 v48, v36, v81, vcc
	v_and_b32_e32 v36, 0x7f800000, v48
	v_cmp_ne_u32_e64 s[24:25], s87, v36
                                        ; implicit-def: $vgpr36
	s_and_saveexec_b64 s[46:47], s[24:25]
	s_xor_b64 s[24:25], exec, s[46:47]
; %bb.359:                              ;   in Loop: Header=BB33_354 Depth=4
	v_bfe_u32 v36, v48, 16, 1
	v_add3_u32 v36, v48, v36, s96
                                        ; implicit-def: $vgpr48
; %bb.360:                              ;   in Loop: Header=BB33_354 Depth=4
	s_andn2_saveexec_b64 s[46:47], s[24:25]
; %bb.361:                              ;   in Loop: Header=BB33_354 Depth=4
	v_or_b32_e32 v36, 0x10000, v48
	v_cmp_eq_u32_sdwa s[24:25], v48, v3 src0_sel:WORD_0 src1_sel:DWORD
	s_nop 1
	v_cndmask_b32_e64 v36, v36, v48, s[24:25]
; %bb.362:                              ;   in Loop: Header=BB33_354 Depth=4
	s_or_b64 exec, exec, s[46:47]
	v_lshlrev_b32_e32 v48, 16, v37
	v_lshlrev_b32_e32 v81, 16, v49
	v_max_f32_e32 v81, v81, v81
	v_max_f32_e32 v48, v48, v48
	v_min_f32_e32 v82, v48, v81
	v_max_f32_e32 v48, v48, v81
	v_cndmask_b32_e32 v81, v48, v82, vcc
	v_and_b32_e32 v48, 0x7f800000, v81
	v_cmp_ne_u32_e64 s[24:25], s87, v48
                                        ; implicit-def: $vgpr48
	s_and_saveexec_b64 s[46:47], s[24:25]
	s_xor_b64 s[24:25], exec, s[46:47]
; %bb.363:                              ;   in Loop: Header=BB33_354 Depth=4
	v_bfe_u32 v48, v81, 16, 1
	v_add3_u32 v48, v81, v48, s96
                                        ; implicit-def: $vgpr81
; %bb.364:                              ;   in Loop: Header=BB33_354 Depth=4
	s_andn2_saveexec_b64 s[46:47], s[24:25]
; %bb.365:                              ;   in Loop: Header=BB33_354 Depth=4
	v_or_b32_e32 v48, 0x10000, v81
	v_cmp_eq_u32_sdwa s[24:25], v81, v3 src0_sel:WORD_0 src1_sel:DWORD
	s_nop 1
	v_cndmask_b32_e64 v48, v48, v81, s[24:25]
; %bb.366:                              ;   in Loop: Header=BB33_354 Depth=4
	s_or_b64 exec, exec, s[46:47]
	v_and_b32_e32 v37, 0xffff0000, v37
	v_and_b32_e32 v49, 0xffff0000, v49
	v_max_f32_e32 v49, v49, v49
	v_max_f32_e32 v37, v37, v37
	v_min_f32_e32 v81, v37, v49
	v_max_f32_e32 v37, v37, v49
	v_cndmask_b32_e32 v49, v37, v81, vcc
	v_and_b32_e32 v37, 0x7f800000, v49
	v_cmp_ne_u32_e64 s[24:25], s87, v37
                                        ; implicit-def: $vgpr37
	s_and_saveexec_b64 s[46:47], s[24:25]
	s_xor_b64 s[24:25], exec, s[46:47]
; %bb.367:                              ;   in Loop: Header=BB33_354 Depth=4
	v_bfe_u32 v37, v49, 16, 1
	v_add3_u32 v37, v49, v37, s96
                                        ; implicit-def: $vgpr49
; %bb.368:                              ;   in Loop: Header=BB33_354 Depth=4
	s_andn2_saveexec_b64 s[46:47], s[24:25]
; %bb.369:                              ;   in Loop: Header=BB33_354 Depth=4
	v_or_b32_e32 v37, 0x10000, v49
	v_cmp_eq_u32_sdwa s[24:25], v49, v3 src0_sel:WORD_0 src1_sel:DWORD
	s_nop 1
	v_cndmask_b32_e64 v37, v37, v49, s[24:25]
; %bb.370:                              ;   in Loop: Header=BB33_354 Depth=4
	s_or_b64 exec, exec, s[46:47]
	v_lshlrev_b32_e32 v49, 16, v38
	v_lshlrev_b32_e32 v81, 16, v50
	v_max_f32_e32 v81, v81, v81
	v_max_f32_e32 v49, v49, v49
	v_min_f32_e32 v82, v49, v81
	v_max_f32_e32 v49, v49, v81
	v_cndmask_b32_e32 v81, v49, v82, vcc
	v_and_b32_e32 v49, 0x7f800000, v81
	v_cmp_ne_u32_e64 s[24:25], s87, v49
                                        ; implicit-def: $vgpr49
	s_and_saveexec_b64 s[46:47], s[24:25]
	s_xor_b64 s[24:25], exec, s[46:47]
; %bb.371:                              ;   in Loop: Header=BB33_354 Depth=4
	v_bfe_u32 v49, v81, 16, 1
	v_add3_u32 v49, v81, v49, s96
                                        ; implicit-def: $vgpr81
; %bb.372:                              ;   in Loop: Header=BB33_354 Depth=4
	s_andn2_saveexec_b64 s[46:47], s[24:25]
; %bb.373:                              ;   in Loop: Header=BB33_354 Depth=4
	v_or_b32_e32 v49, 0x10000, v81
	v_cmp_eq_u32_sdwa s[24:25], v81, v3 src0_sel:WORD_0 src1_sel:DWORD
	s_nop 1
	v_cndmask_b32_e64 v49, v49, v81, s[24:25]
; %bb.374:                              ;   in Loop: Header=BB33_354 Depth=4
	s_or_b64 exec, exec, s[46:47]
	v_and_b32_e32 v38, 0xffff0000, v38
	v_and_b32_e32 v50, 0xffff0000, v50
	v_max_f32_e32 v50, v50, v50
	v_max_f32_e32 v38, v38, v38
	v_min_f32_e32 v81, v38, v50
	v_max_f32_e32 v38, v38, v50
	v_cndmask_b32_e32 v50, v38, v81, vcc
	v_and_b32_e32 v38, 0x7f800000, v50
	v_cmp_ne_u32_e64 s[24:25], s87, v38
                                        ; implicit-def: $vgpr38
	s_and_saveexec_b64 s[46:47], s[24:25]
	s_xor_b64 s[24:25], exec, s[46:47]
; %bb.375:                              ;   in Loop: Header=BB33_354 Depth=4
	v_bfe_u32 v38, v50, 16, 1
	v_add3_u32 v38, v50, v38, s96
                                        ; implicit-def: $vgpr50
; %bb.376:                              ;   in Loop: Header=BB33_354 Depth=4
	s_andn2_saveexec_b64 s[46:47], s[24:25]
; %bb.377:                              ;   in Loop: Header=BB33_354 Depth=4
	v_or_b32_e32 v38, 0x10000, v50
	v_cmp_eq_u32_sdwa s[24:25], v50, v3 src0_sel:WORD_0 src1_sel:DWORD
	s_nop 1
	v_cndmask_b32_e64 v38, v38, v50, s[24:25]
; %bb.378:                              ;   in Loop: Header=BB33_354 Depth=4
	s_or_b64 exec, exec, s[46:47]
	v_lshlrev_b32_e32 v50, 16, v39
	v_lshlrev_b32_e32 v81, 16, v51
	v_max_f32_e32 v81, v81, v81
	v_max_f32_e32 v50, v50, v50
	v_min_f32_e32 v82, v50, v81
	v_max_f32_e32 v50, v50, v81
	v_cndmask_b32_e32 v81, v50, v82, vcc
	v_and_b32_e32 v50, 0x7f800000, v81
	v_cmp_ne_u32_e64 s[24:25], s87, v50
                                        ; implicit-def: $vgpr50
	s_and_saveexec_b64 s[46:47], s[24:25]
	s_xor_b64 s[24:25], exec, s[46:47]
; %bb.379:                              ;   in Loop: Header=BB33_354 Depth=4
	v_bfe_u32 v50, v81, 16, 1
	v_add3_u32 v50, v81, v50, s96
                                        ; implicit-def: $vgpr81
; %bb.380:                              ;   in Loop: Header=BB33_354 Depth=4
	s_andn2_saveexec_b64 s[46:47], s[24:25]
; %bb.381:                              ;   in Loop: Header=BB33_354 Depth=4
	v_or_b32_e32 v50, 0x10000, v81
	v_cmp_eq_u32_sdwa s[24:25], v81, v3 src0_sel:WORD_0 src1_sel:DWORD
	s_nop 1
	v_cndmask_b32_e64 v50, v50, v81, s[24:25]
; %bb.382:                              ;   in Loop: Header=BB33_354 Depth=4
	s_or_b64 exec, exec, s[46:47]
	v_and_b32_e32 v39, 0xffff0000, v39
	v_and_b32_e32 v51, 0xffff0000, v51
	v_max_f32_e32 v51, v51, v51
	v_max_f32_e32 v39, v39, v39
	v_min_f32_e32 v81, v39, v51
	v_max_f32_e32 v39, v39, v51
	v_cndmask_b32_e32 v51, v39, v81, vcc
	v_and_b32_e32 v39, 0x7f800000, v51
	v_cmp_ne_u32_e64 s[24:25], s87, v39
                                        ; implicit-def: $vgpr39
	s_and_saveexec_b64 s[46:47], s[24:25]
	s_xor_b64 s[24:25], exec, s[46:47]
; %bb.383:                              ;   in Loop: Header=BB33_354 Depth=4
	v_bfe_u32 v39, v51, 16, 1
	v_add3_u32 v39, v51, v39, s96
                                        ; implicit-def: $vgpr51
; %bb.384:                              ;   in Loop: Header=BB33_354 Depth=4
	s_andn2_saveexec_b64 s[46:47], s[24:25]
; %bb.385:                              ;   in Loop: Header=BB33_354 Depth=4
	v_or_b32_e32 v39, 0x10000, v51
	v_cmp_eq_u32_sdwa s[24:25], v51, v3 src0_sel:WORD_0 src1_sel:DWORD
	s_nop 1
	v_cndmask_b32_e64 v39, v39, v51, s[24:25]
; %bb.386:                              ;   in Loop: Header=BB33_354 Depth=4
	s_or_b64 exec, exec, s[46:47]
	v_lshlrev_b32_e32 v51, 16, v24
	v_lshlrev_b32_e32 v81, 16, v32
	v_max_f32_e32 v81, v81, v81
	v_max_f32_e32 v51, v51, v51
	v_min_f32_e32 v82, v51, v81
	v_max_f32_e32 v51, v51, v81
	v_cndmask_b32_e32 v81, v51, v82, vcc
	v_and_b32_e32 v51, 0x7f800000, v81
	v_cmp_ne_u32_e64 s[24:25], s87, v51
                                        ; implicit-def: $vgpr51
	s_and_saveexec_b64 s[46:47], s[24:25]
	s_xor_b64 s[24:25], exec, s[46:47]
; %bb.387:                              ;   in Loop: Header=BB33_354 Depth=4
	v_bfe_u32 v51, v81, 16, 1
	v_add3_u32 v51, v81, v51, s96
                                        ; implicit-def: $vgpr81
; %bb.388:                              ;   in Loop: Header=BB33_354 Depth=4
	s_andn2_saveexec_b64 s[46:47], s[24:25]
; %bb.389:                              ;   in Loop: Header=BB33_354 Depth=4
	v_or_b32_e32 v51, 0x10000, v81
	v_cmp_eq_u32_sdwa s[24:25], v81, v3 src0_sel:WORD_0 src1_sel:DWORD
	s_nop 1
	v_cndmask_b32_e64 v51, v51, v81, s[24:25]
; %bb.390:                              ;   in Loop: Header=BB33_354 Depth=4
	s_or_b64 exec, exec, s[46:47]
	v_and_b32_e32 v24, 0xffff0000, v24
	v_and_b32_e32 v32, 0xffff0000, v32
	v_max_f32_e32 v32, v32, v32
	v_max_f32_e32 v24, v24, v24
	v_min_f32_e32 v81, v24, v32
	v_max_f32_e32 v24, v24, v32
	v_cndmask_b32_e32 v32, v24, v81, vcc
	v_and_b32_e32 v24, 0x7f800000, v32
	v_cmp_ne_u32_e64 s[24:25], s87, v24
                                        ; implicit-def: $vgpr24
	s_and_saveexec_b64 s[46:47], s[24:25]
	s_xor_b64 s[24:25], exec, s[46:47]
; %bb.391:                              ;   in Loop: Header=BB33_354 Depth=4
	v_bfe_u32 v24, v32, 16, 1
	v_add3_u32 v24, v32, v24, s96
                                        ; implicit-def: $vgpr32
; %bb.392:                              ;   in Loop: Header=BB33_354 Depth=4
	s_andn2_saveexec_b64 s[46:47], s[24:25]
; %bb.393:                              ;   in Loop: Header=BB33_354 Depth=4
	v_or_b32_e32 v24, 0x10000, v32
	v_cmp_eq_u32_sdwa s[24:25], v32, v3 src0_sel:WORD_0 src1_sel:DWORD
	s_nop 1
	v_cndmask_b32_e64 v24, v24, v32, s[24:25]
; %bb.394:                              ;   in Loop: Header=BB33_354 Depth=4
	s_or_b64 exec, exec, s[46:47]
	v_lshlrev_b32_e32 v32, 16, v25
	v_lshlrev_b32_e32 v81, 16, v33
	v_max_f32_e32 v81, v81, v81
	v_max_f32_e32 v32, v32, v32
	v_min_f32_e32 v82, v32, v81
	v_max_f32_e32 v32, v32, v81
	v_cndmask_b32_e32 v81, v32, v82, vcc
	v_and_b32_e32 v32, 0x7f800000, v81
	v_cmp_ne_u32_e64 s[24:25], s87, v32
                                        ; implicit-def: $vgpr32
	s_and_saveexec_b64 s[46:47], s[24:25]
	s_xor_b64 s[24:25], exec, s[46:47]
; %bb.395:                              ;   in Loop: Header=BB33_354 Depth=4
	v_bfe_u32 v32, v81, 16, 1
	v_add3_u32 v32, v81, v32, s96
                                        ; implicit-def: $vgpr81
; %bb.396:                              ;   in Loop: Header=BB33_354 Depth=4
	s_andn2_saveexec_b64 s[46:47], s[24:25]
; %bb.397:                              ;   in Loop: Header=BB33_354 Depth=4
	v_or_b32_e32 v32, 0x10000, v81
	v_cmp_eq_u32_sdwa s[24:25], v81, v3 src0_sel:WORD_0 src1_sel:DWORD
	s_nop 1
	v_cndmask_b32_e64 v32, v32, v81, s[24:25]
; %bb.398:                              ;   in Loop: Header=BB33_354 Depth=4
	s_or_b64 exec, exec, s[46:47]
	v_and_b32_e32 v25, 0xffff0000, v25
	v_and_b32_e32 v33, 0xffff0000, v33
	v_max_f32_e32 v33, v33, v33
	v_max_f32_e32 v25, v25, v25
	v_min_f32_e32 v81, v25, v33
	v_max_f32_e32 v25, v25, v33
	v_cndmask_b32_e32 v33, v25, v81, vcc
	v_and_b32_e32 v25, 0x7f800000, v33
	v_cmp_ne_u32_e64 s[24:25], s87, v25
                                        ; implicit-def: $vgpr25
	s_and_saveexec_b64 s[46:47], s[24:25]
	s_xor_b64 s[24:25], exec, s[46:47]
; %bb.399:                              ;   in Loop: Header=BB33_354 Depth=4
	v_bfe_u32 v25, v33, 16, 1
	v_add3_u32 v25, v33, v25, s96
                                        ; implicit-def: $vgpr33
; %bb.400:                              ;   in Loop: Header=BB33_354 Depth=4
	s_andn2_saveexec_b64 s[46:47], s[24:25]
; %bb.401:                              ;   in Loop: Header=BB33_354 Depth=4
	v_or_b32_e32 v25, 0x10000, v33
	v_cmp_eq_u32_sdwa s[24:25], v33, v3 src0_sel:WORD_0 src1_sel:DWORD
	s_nop 1
	v_cndmask_b32_e64 v25, v25, v33, s[24:25]
; %bb.402:                              ;   in Loop: Header=BB33_354 Depth=4
	s_or_b64 exec, exec, s[46:47]
	v_lshlrev_b32_e32 v33, 16, v26
	v_lshlrev_b32_e32 v81, 16, v34
	v_max_f32_e32 v81, v81, v81
	v_max_f32_e32 v33, v33, v33
	v_min_f32_e32 v82, v33, v81
	v_max_f32_e32 v33, v33, v81
	v_cndmask_b32_e32 v81, v33, v82, vcc
	v_and_b32_e32 v33, 0x7f800000, v81
	v_cmp_ne_u32_e64 s[24:25], s87, v33
                                        ; implicit-def: $vgpr33
	s_and_saveexec_b64 s[46:47], s[24:25]
	s_xor_b64 s[24:25], exec, s[46:47]
; %bb.403:                              ;   in Loop: Header=BB33_354 Depth=4
	v_bfe_u32 v33, v81, 16, 1
	v_add3_u32 v33, v81, v33, s96
                                        ; implicit-def: $vgpr81
; %bb.404:                              ;   in Loop: Header=BB33_354 Depth=4
	s_andn2_saveexec_b64 s[46:47], s[24:25]
; %bb.405:                              ;   in Loop: Header=BB33_354 Depth=4
	v_or_b32_e32 v33, 0x10000, v81
	v_cmp_eq_u32_sdwa s[24:25], v81, v3 src0_sel:WORD_0 src1_sel:DWORD
	s_nop 1
	v_cndmask_b32_e64 v33, v33, v81, s[24:25]
; %bb.406:                              ;   in Loop: Header=BB33_354 Depth=4
	s_or_b64 exec, exec, s[46:47]
	v_and_b32_e32 v26, 0xffff0000, v26
	v_and_b32_e32 v34, 0xffff0000, v34
	v_max_f32_e32 v34, v34, v34
	v_max_f32_e32 v26, v26, v26
	v_min_f32_e32 v81, v26, v34
	v_max_f32_e32 v26, v26, v34
	v_cndmask_b32_e32 v34, v26, v81, vcc
	v_and_b32_e32 v26, 0x7f800000, v34
	v_cmp_ne_u32_e64 s[24:25], s87, v26
                                        ; implicit-def: $vgpr26
	s_and_saveexec_b64 s[46:47], s[24:25]
	s_xor_b64 s[24:25], exec, s[46:47]
; %bb.407:                              ;   in Loop: Header=BB33_354 Depth=4
	v_bfe_u32 v26, v34, 16, 1
	v_add3_u32 v26, v34, v26, s96
                                        ; implicit-def: $vgpr34
; %bb.408:                              ;   in Loop: Header=BB33_354 Depth=4
	s_andn2_saveexec_b64 s[46:47], s[24:25]
; %bb.409:                              ;   in Loop: Header=BB33_354 Depth=4
	v_or_b32_e32 v26, 0x10000, v34
	v_cmp_eq_u32_sdwa s[24:25], v34, v3 src0_sel:WORD_0 src1_sel:DWORD
	s_nop 1
	v_cndmask_b32_e64 v26, v26, v34, s[24:25]
; %bb.410:                              ;   in Loop: Header=BB33_354 Depth=4
	s_or_b64 exec, exec, s[46:47]
	v_lshlrev_b32_e32 v34, 16, v27
	v_lshlrev_b32_e32 v81, 16, v35
	v_max_f32_e32 v81, v81, v81
	v_max_f32_e32 v34, v34, v34
	v_min_f32_e32 v82, v34, v81
	v_max_f32_e32 v34, v34, v81
	v_cndmask_b32_e32 v81, v34, v82, vcc
	v_and_b32_e32 v34, 0x7f800000, v81
	v_cmp_ne_u32_e64 s[24:25], s87, v34
                                        ; implicit-def: $vgpr34
	s_and_saveexec_b64 s[46:47], s[24:25]
	s_xor_b64 s[24:25], exec, s[46:47]
; %bb.411:                              ;   in Loop: Header=BB33_354 Depth=4
	v_bfe_u32 v34, v81, 16, 1
	v_add3_u32 v34, v81, v34, s96
                                        ; implicit-def: $vgpr81
; %bb.412:                              ;   in Loop: Header=BB33_354 Depth=4
	s_andn2_saveexec_b64 s[46:47], s[24:25]
; %bb.413:                              ;   in Loop: Header=BB33_354 Depth=4
	v_or_b32_e32 v34, 0x10000, v81
	v_cmp_eq_u32_sdwa s[24:25], v81, v3 src0_sel:WORD_0 src1_sel:DWORD
	s_nop 1
	v_cndmask_b32_e64 v34, v34, v81, s[24:25]
; %bb.414:                              ;   in Loop: Header=BB33_354 Depth=4
	s_or_b64 exec, exec, s[46:47]
	v_and_b32_e32 v27, 0xffff0000, v27
	v_and_b32_e32 v35, 0xffff0000, v35
	v_max_f32_e32 v35, v35, v35
	v_max_f32_e32 v27, v27, v27
	v_min_f32_e32 v81, v27, v35
	v_max_f32_e32 v27, v27, v35
	v_cndmask_b32_e32 v35, v27, v81, vcc
	v_and_b32_e32 v27, 0x7f800000, v35
	v_cmp_ne_u32_e64 s[24:25], s87, v27
                                        ; implicit-def: $vgpr27
	s_and_saveexec_b64 s[46:47], s[24:25]
	s_xor_b64 s[24:25], exec, s[46:47]
; %bb.415:                              ;   in Loop: Header=BB33_354 Depth=4
	v_bfe_u32 v27, v35, 16, 1
	v_add3_u32 v27, v35, v27, s96
                                        ; implicit-def: $vgpr35
; %bb.416:                              ;   in Loop: Header=BB33_354 Depth=4
	s_andn2_saveexec_b64 s[46:47], s[24:25]
; %bb.417:                              ;   in Loop: Header=BB33_354 Depth=4
	v_or_b32_e32 v27, 0x10000, v35
	v_cmp_eq_u32_sdwa s[24:25], v35, v3 src0_sel:WORD_0 src1_sel:DWORD
	s_nop 1
	v_cndmask_b32_e64 v27, v27, v35, s[24:25]
; %bb.418:                              ;   in Loop: Header=BB33_354 Depth=4
	s_or_b64 exec, exec, s[46:47]
	v_lshlrev_b32_e32 v35, 16, v16
	v_lshlrev_b32_e32 v81, 16, v20
	v_max_f32_e32 v81, v81, v81
	v_max_f32_e32 v35, v35, v35
	v_min_f32_e32 v82, v35, v81
	v_max_f32_e32 v35, v35, v81
	v_cndmask_b32_e32 v81, v35, v82, vcc
	v_and_b32_e32 v35, 0x7f800000, v81
	v_cmp_ne_u32_e64 s[24:25], s87, v35
                                        ; implicit-def: $vgpr35
	s_and_saveexec_b64 s[46:47], s[24:25]
	s_xor_b64 s[24:25], exec, s[46:47]
; %bb.419:                              ;   in Loop: Header=BB33_354 Depth=4
	v_bfe_u32 v35, v81, 16, 1
	v_add3_u32 v35, v81, v35, s96
                                        ; implicit-def: $vgpr81
; %bb.420:                              ;   in Loop: Header=BB33_354 Depth=4
	s_andn2_saveexec_b64 s[46:47], s[24:25]
; %bb.421:                              ;   in Loop: Header=BB33_354 Depth=4
	v_or_b32_e32 v35, 0x10000, v81
	v_cmp_eq_u32_sdwa s[24:25], v81, v3 src0_sel:WORD_0 src1_sel:DWORD
	s_nop 1
	v_cndmask_b32_e64 v35, v35, v81, s[24:25]
; %bb.422:                              ;   in Loop: Header=BB33_354 Depth=4
	s_or_b64 exec, exec, s[46:47]
	v_and_b32_e32 v16, 0xffff0000, v16
	v_and_b32_e32 v20, 0xffff0000, v20
	v_max_f32_e32 v20, v20, v20
	v_max_f32_e32 v16, v16, v16
	v_min_f32_e32 v81, v16, v20
	v_max_f32_e32 v16, v16, v20
	v_cndmask_b32_e32 v20, v16, v81, vcc
	v_and_b32_e32 v16, 0x7f800000, v20
	v_cmp_ne_u32_e64 s[24:25], s87, v16
                                        ; implicit-def: $vgpr16
	s_and_saveexec_b64 s[46:47], s[24:25]
	s_xor_b64 s[24:25], exec, s[46:47]
; %bb.423:                              ;   in Loop: Header=BB33_354 Depth=4
	v_bfe_u32 v16, v20, 16, 1
	v_add3_u32 v16, v20, v16, s96
                                        ; implicit-def: $vgpr20
; %bb.424:                              ;   in Loop: Header=BB33_354 Depth=4
	s_andn2_saveexec_b64 s[46:47], s[24:25]
; %bb.425:                              ;   in Loop: Header=BB33_354 Depth=4
	v_or_b32_e32 v16, 0x10000, v20
	v_cmp_eq_u32_sdwa s[24:25], v20, v3 src0_sel:WORD_0 src1_sel:DWORD
	s_nop 1
	v_cndmask_b32_e64 v16, v16, v20, s[24:25]
; %bb.426:                              ;   in Loop: Header=BB33_354 Depth=4
	s_or_b64 exec, exec, s[46:47]
	v_lshlrev_b32_e32 v20, 16, v17
	v_lshlrev_b32_e32 v81, 16, v21
	v_max_f32_e32 v81, v81, v81
	v_max_f32_e32 v20, v20, v20
	v_min_f32_e32 v82, v20, v81
	v_max_f32_e32 v20, v20, v81
	v_cndmask_b32_e32 v81, v20, v82, vcc
	v_and_b32_e32 v20, 0x7f800000, v81
	v_cmp_ne_u32_e64 s[24:25], s87, v20
                                        ; implicit-def: $vgpr20
	s_and_saveexec_b64 s[46:47], s[24:25]
	s_xor_b64 s[24:25], exec, s[46:47]
; %bb.427:                              ;   in Loop: Header=BB33_354 Depth=4
	v_bfe_u32 v20, v81, 16, 1
	v_add3_u32 v20, v81, v20, s96
                                        ; implicit-def: $vgpr81
; %bb.428:                              ;   in Loop: Header=BB33_354 Depth=4
	s_andn2_saveexec_b64 s[46:47], s[24:25]
; %bb.429:                              ;   in Loop: Header=BB33_354 Depth=4
	v_or_b32_e32 v20, 0x10000, v81
	v_cmp_eq_u32_sdwa s[24:25], v81, v3 src0_sel:WORD_0 src1_sel:DWORD
	s_nop 1
	v_cndmask_b32_e64 v20, v20, v81, s[24:25]
; %bb.430:                              ;   in Loop: Header=BB33_354 Depth=4
	s_or_b64 exec, exec, s[46:47]
	v_and_b32_e32 v17, 0xffff0000, v17
	v_and_b32_e32 v21, 0xffff0000, v21
	v_max_f32_e32 v21, v21, v21
	v_max_f32_e32 v17, v17, v17
	v_min_f32_e32 v81, v17, v21
	v_max_f32_e32 v17, v17, v21
	v_cndmask_b32_e32 v21, v17, v81, vcc
	v_and_b32_e32 v17, 0x7f800000, v21
	v_cmp_ne_u32_e64 s[24:25], s87, v17
                                        ; implicit-def: $vgpr17
	s_and_saveexec_b64 s[46:47], s[24:25]
	s_xor_b64 s[24:25], exec, s[46:47]
; %bb.431:                              ;   in Loop: Header=BB33_354 Depth=4
	v_bfe_u32 v17, v21, 16, 1
	v_add3_u32 v17, v21, v17, s96
                                        ; implicit-def: $vgpr21
; %bb.432:                              ;   in Loop: Header=BB33_354 Depth=4
	s_andn2_saveexec_b64 s[46:47], s[24:25]
; %bb.433:                              ;   in Loop: Header=BB33_354 Depth=4
	v_or_b32_e32 v17, 0x10000, v21
	v_cmp_eq_u32_sdwa s[24:25], v21, v3 src0_sel:WORD_0 src1_sel:DWORD
	s_nop 1
	v_cndmask_b32_e64 v17, v17, v21, s[24:25]
; %bb.434:                              ;   in Loop: Header=BB33_354 Depth=4
	s_or_b64 exec, exec, s[46:47]
	v_lshlrev_b32_e32 v21, 16, v18
	v_lshlrev_b32_e32 v81, 16, v22
	v_max_f32_e32 v81, v81, v81
	v_max_f32_e32 v21, v21, v21
	v_min_f32_e32 v82, v21, v81
	v_max_f32_e32 v21, v21, v81
	v_cndmask_b32_e32 v81, v21, v82, vcc
	v_and_b32_e32 v21, 0x7f800000, v81
	v_cmp_ne_u32_e64 s[24:25], s87, v21
                                        ; implicit-def: $vgpr21
	s_and_saveexec_b64 s[46:47], s[24:25]
	s_xor_b64 s[24:25], exec, s[46:47]
; %bb.435:                              ;   in Loop: Header=BB33_354 Depth=4
	v_bfe_u32 v21, v81, 16, 1
	v_add3_u32 v21, v81, v21, s96
                                        ; implicit-def: $vgpr81
; %bb.436:                              ;   in Loop: Header=BB33_354 Depth=4
	s_andn2_saveexec_b64 s[46:47], s[24:25]
; %bb.437:                              ;   in Loop: Header=BB33_354 Depth=4
	v_or_b32_e32 v21, 0x10000, v81
	v_cmp_eq_u32_sdwa s[24:25], v81, v3 src0_sel:WORD_0 src1_sel:DWORD
	s_nop 1
	v_cndmask_b32_e64 v21, v21, v81, s[24:25]
; %bb.438:                              ;   in Loop: Header=BB33_354 Depth=4
	s_or_b64 exec, exec, s[46:47]
	v_and_b32_e32 v18, 0xffff0000, v18
	v_and_b32_e32 v22, 0xffff0000, v22
	v_max_f32_e32 v22, v22, v22
	v_max_f32_e32 v18, v18, v18
	v_min_f32_e32 v81, v18, v22
	v_max_f32_e32 v18, v18, v22
	v_cndmask_b32_e32 v22, v18, v81, vcc
	v_and_b32_e32 v18, 0x7f800000, v22
	v_cmp_ne_u32_e64 s[24:25], s87, v18
                                        ; implicit-def: $vgpr18
	s_and_saveexec_b64 s[46:47], s[24:25]
	s_xor_b64 s[24:25], exec, s[46:47]
; %bb.439:                              ;   in Loop: Header=BB33_354 Depth=4
	v_bfe_u32 v18, v22, 16, 1
	v_add3_u32 v18, v22, v18, s96
                                        ; implicit-def: $vgpr22
; %bb.440:                              ;   in Loop: Header=BB33_354 Depth=4
	s_andn2_saveexec_b64 s[46:47], s[24:25]
; %bb.441:                              ;   in Loop: Header=BB33_354 Depth=4
	v_or_b32_e32 v18, 0x10000, v22
	v_cmp_eq_u32_sdwa s[24:25], v22, v3 src0_sel:WORD_0 src1_sel:DWORD
	s_nop 1
	v_cndmask_b32_e64 v18, v18, v22, s[24:25]
; %bb.442:                              ;   in Loop: Header=BB33_354 Depth=4
	s_or_b64 exec, exec, s[46:47]
	v_lshlrev_b32_e32 v22, 16, v19
	v_lshlrev_b32_e32 v81, 16, v23
	v_max_f32_e32 v81, v81, v81
	v_max_f32_e32 v22, v22, v22
	v_min_f32_e32 v82, v22, v81
	v_max_f32_e32 v22, v22, v81
	v_cndmask_b32_e32 v81, v22, v82, vcc
	v_and_b32_e32 v22, 0x7f800000, v81
	v_cmp_ne_u32_e64 s[24:25], s87, v22
                                        ; implicit-def: $vgpr22
	s_and_saveexec_b64 s[46:47], s[24:25]
	s_xor_b64 s[24:25], exec, s[46:47]
; %bb.443:                              ;   in Loop: Header=BB33_354 Depth=4
	v_bfe_u32 v22, v81, 16, 1
	v_add3_u32 v22, v81, v22, s96
                                        ; implicit-def: $vgpr81
; %bb.444:                              ;   in Loop: Header=BB33_354 Depth=4
	s_andn2_saveexec_b64 s[46:47], s[24:25]
; %bb.445:                              ;   in Loop: Header=BB33_354 Depth=4
	v_or_b32_e32 v22, 0x10000, v81
	v_cmp_eq_u32_sdwa s[24:25], v81, v3 src0_sel:WORD_0 src1_sel:DWORD
	s_nop 1
	v_cndmask_b32_e64 v22, v22, v81, s[24:25]
; %bb.446:                              ;   in Loop: Header=BB33_354 Depth=4
	s_or_b64 exec, exec, s[46:47]
	v_and_b32_e32 v19, 0xffff0000, v19
	v_and_b32_e32 v23, 0xffff0000, v23
	v_max_f32_e32 v23, v23, v23
	v_max_f32_e32 v19, v19, v19
	v_min_f32_e32 v81, v19, v23
	v_max_f32_e32 v19, v19, v23
	v_cndmask_b32_e32 v23, v19, v81, vcc
	v_and_b32_e32 v19, 0x7f800000, v23
	v_cmp_ne_u32_e64 s[24:25], s87, v19
                                        ; implicit-def: $vgpr19
	s_and_saveexec_b64 s[46:47], s[24:25]
	s_xor_b64 s[24:25], exec, s[46:47]
; %bb.447:                              ;   in Loop: Header=BB33_354 Depth=4
	v_bfe_u32 v19, v23, 16, 1
	v_add3_u32 v19, v23, v19, s96
                                        ; implicit-def: $vgpr23
; %bb.448:                              ;   in Loop: Header=BB33_354 Depth=4
	s_andn2_saveexec_b64 s[46:47], s[24:25]
; %bb.449:                              ;   in Loop: Header=BB33_354 Depth=4
	v_or_b32_e32 v19, 0x10000, v23
	v_cmp_eq_u32_sdwa s[24:25], v23, v3 src0_sel:WORD_0 src1_sel:DWORD
	s_nop 1
	v_cndmask_b32_e64 v19, v19, v23, s[24:25]
; %bb.450:                              ;   in Loop: Header=BB33_354 Depth=4
	s_or_b64 exec, exec, s[46:47]
	v_lshlrev_b32_e32 v23, 16, v8
	v_lshlrev_b32_e32 v81, 16, v12
	v_max_f32_e32 v81, v81, v81
	v_max_f32_e32 v23, v23, v23
	v_min_f32_e32 v82, v23, v81
	v_max_f32_e32 v23, v23, v81
	v_cndmask_b32_e32 v81, v23, v82, vcc
	v_and_b32_e32 v23, 0x7f800000, v81
	v_cmp_ne_u32_e64 s[24:25], s87, v23
                                        ; implicit-def: $vgpr23
	s_and_saveexec_b64 s[46:47], s[24:25]
	s_xor_b64 s[24:25], exec, s[46:47]
; %bb.451:                              ;   in Loop: Header=BB33_354 Depth=4
	v_bfe_u32 v23, v81, 16, 1
	v_add3_u32 v23, v81, v23, s96
                                        ; implicit-def: $vgpr81
; %bb.452:                              ;   in Loop: Header=BB33_354 Depth=4
	s_andn2_saveexec_b64 s[46:47], s[24:25]
; %bb.453:                              ;   in Loop: Header=BB33_354 Depth=4
	v_or_b32_e32 v23, 0x10000, v81
	v_cmp_eq_u32_sdwa s[24:25], v81, v3 src0_sel:WORD_0 src1_sel:DWORD
	s_nop 1
	v_cndmask_b32_e64 v23, v23, v81, s[24:25]
; %bb.454:                              ;   in Loop: Header=BB33_354 Depth=4
	s_or_b64 exec, exec, s[46:47]
	v_and_b32_e32 v8, 0xffff0000, v8
	v_and_b32_e32 v12, 0xffff0000, v12
	v_max_f32_e32 v12, v12, v12
	v_max_f32_e32 v8, v8, v8
	v_min_f32_e32 v81, v8, v12
	v_max_f32_e32 v8, v8, v12
	v_cndmask_b32_e32 v12, v8, v81, vcc
	v_and_b32_e32 v8, 0x7f800000, v12
	v_cmp_ne_u32_e64 s[24:25], s87, v8
                                        ; implicit-def: $vgpr8
	s_and_saveexec_b64 s[46:47], s[24:25]
	s_xor_b64 s[24:25], exec, s[46:47]
; %bb.455:                              ;   in Loop: Header=BB33_354 Depth=4
	v_bfe_u32 v8, v12, 16, 1
	v_add3_u32 v8, v12, v8, s96
                                        ; implicit-def: $vgpr12
; %bb.456:                              ;   in Loop: Header=BB33_354 Depth=4
	s_andn2_saveexec_b64 s[46:47], s[24:25]
; %bb.457:                              ;   in Loop: Header=BB33_354 Depth=4
	v_or_b32_e32 v8, 0x10000, v12
	v_cmp_eq_u32_sdwa s[24:25], v12, v3 src0_sel:WORD_0 src1_sel:DWORD
	s_nop 1
	v_cndmask_b32_e64 v8, v8, v12, s[24:25]
; %bb.458:                              ;   in Loop: Header=BB33_354 Depth=4
	s_or_b64 exec, exec, s[46:47]
	v_lshlrev_b32_e32 v12, 16, v9
	v_lshlrev_b32_e32 v81, 16, v13
	v_max_f32_e32 v81, v81, v81
	v_max_f32_e32 v12, v12, v12
	v_min_f32_e32 v82, v12, v81
	v_max_f32_e32 v12, v12, v81
	v_cndmask_b32_e32 v81, v12, v82, vcc
	v_and_b32_e32 v12, 0x7f800000, v81
	v_cmp_ne_u32_e64 s[24:25], s87, v12
                                        ; implicit-def: $vgpr12
	s_and_saveexec_b64 s[46:47], s[24:25]
	s_xor_b64 s[24:25], exec, s[46:47]
; %bb.459:                              ;   in Loop: Header=BB33_354 Depth=4
	v_bfe_u32 v12, v81, 16, 1
	v_add3_u32 v12, v81, v12, s96
                                        ; implicit-def: $vgpr81
; %bb.460:                              ;   in Loop: Header=BB33_354 Depth=4
	s_andn2_saveexec_b64 s[46:47], s[24:25]
; %bb.461:                              ;   in Loop: Header=BB33_354 Depth=4
	v_or_b32_e32 v12, 0x10000, v81
	v_cmp_eq_u32_sdwa s[24:25], v81, v3 src0_sel:WORD_0 src1_sel:DWORD
	s_nop 1
	v_cndmask_b32_e64 v12, v12, v81, s[24:25]
; %bb.462:                              ;   in Loop: Header=BB33_354 Depth=4
	s_or_b64 exec, exec, s[46:47]
	v_and_b32_e32 v9, 0xffff0000, v9
	v_and_b32_e32 v13, 0xffff0000, v13
	v_max_f32_e32 v13, v13, v13
	v_max_f32_e32 v9, v9, v9
	v_min_f32_e32 v81, v9, v13
	v_max_f32_e32 v9, v9, v13
	v_cndmask_b32_e32 v13, v9, v81, vcc
	v_and_b32_e32 v9, 0x7f800000, v13
	v_cmp_ne_u32_e64 s[24:25], s87, v9
                                        ; implicit-def: $vgpr9
	s_and_saveexec_b64 s[46:47], s[24:25]
	s_xor_b64 s[24:25], exec, s[46:47]
; %bb.463:                              ;   in Loop: Header=BB33_354 Depth=4
	v_bfe_u32 v9, v13, 16, 1
	v_add3_u32 v9, v13, v9, s96
                                        ; implicit-def: $vgpr13
; %bb.464:                              ;   in Loop: Header=BB33_354 Depth=4
	s_andn2_saveexec_b64 s[46:47], s[24:25]
; %bb.465:                              ;   in Loop: Header=BB33_354 Depth=4
	v_or_b32_e32 v9, 0x10000, v13
	v_cmp_eq_u32_sdwa s[24:25], v13, v3 src0_sel:WORD_0 src1_sel:DWORD
	s_nop 1
	v_cndmask_b32_e64 v9, v9, v13, s[24:25]
; %bb.466:                              ;   in Loop: Header=BB33_354 Depth=4
	s_or_b64 exec, exec, s[46:47]
	v_lshlrev_b32_e32 v13, 16, v10
	v_lshlrev_b32_e32 v81, 16, v14
	v_max_f32_e32 v81, v81, v81
	v_max_f32_e32 v13, v13, v13
	v_min_f32_e32 v82, v13, v81
	v_max_f32_e32 v13, v13, v81
	v_cndmask_b32_e32 v81, v13, v82, vcc
	v_and_b32_e32 v13, 0x7f800000, v81
	v_cmp_ne_u32_e64 s[24:25], s87, v13
                                        ; implicit-def: $vgpr13
	s_and_saveexec_b64 s[46:47], s[24:25]
	s_xor_b64 s[24:25], exec, s[46:47]
; %bb.467:                              ;   in Loop: Header=BB33_354 Depth=4
	v_bfe_u32 v13, v81, 16, 1
	v_add3_u32 v13, v81, v13, s96
                                        ; implicit-def: $vgpr81
; %bb.468:                              ;   in Loop: Header=BB33_354 Depth=4
	s_andn2_saveexec_b64 s[46:47], s[24:25]
; %bb.469:                              ;   in Loop: Header=BB33_354 Depth=4
	v_or_b32_e32 v13, 0x10000, v81
	v_cmp_eq_u32_sdwa s[24:25], v81, v3 src0_sel:WORD_0 src1_sel:DWORD
	s_nop 1
	v_cndmask_b32_e64 v13, v13, v81, s[24:25]
; %bb.470:                              ;   in Loop: Header=BB33_354 Depth=4
	s_or_b64 exec, exec, s[46:47]
	v_and_b32_e32 v10, 0xffff0000, v10
	v_and_b32_e32 v14, 0xffff0000, v14
	v_max_f32_e32 v14, v14, v14
	v_max_f32_e32 v10, v10, v10
	v_min_f32_e32 v81, v10, v14
	v_max_f32_e32 v10, v10, v14
	v_cndmask_b32_e32 v14, v10, v81, vcc
	v_and_b32_e32 v10, 0x7f800000, v14
	v_cmp_ne_u32_e64 s[24:25], s87, v10
                                        ; implicit-def: $vgpr10
	s_and_saveexec_b64 s[46:47], s[24:25]
	s_xor_b64 s[24:25], exec, s[46:47]
; %bb.471:                              ;   in Loop: Header=BB33_354 Depth=4
	v_bfe_u32 v10, v14, 16, 1
	v_add3_u32 v10, v14, v10, s96
                                        ; implicit-def: $vgpr14
; %bb.472:                              ;   in Loop: Header=BB33_354 Depth=4
	s_andn2_saveexec_b64 s[46:47], s[24:25]
; %bb.473:                              ;   in Loop: Header=BB33_354 Depth=4
	v_or_b32_e32 v10, 0x10000, v14
	v_cmp_eq_u32_sdwa s[24:25], v14, v3 src0_sel:WORD_0 src1_sel:DWORD
	s_nop 1
	v_cndmask_b32_e64 v10, v10, v14, s[24:25]
; %bb.474:                              ;   in Loop: Header=BB33_354 Depth=4
	s_or_b64 exec, exec, s[46:47]
	v_lshlrev_b32_e32 v14, 16, v11
	v_lshlrev_b32_e32 v81, 16, v15
	v_max_f32_e32 v81, v81, v81
	v_max_f32_e32 v14, v14, v14
	v_min_f32_e32 v82, v14, v81
	v_max_f32_e32 v14, v14, v81
	v_cndmask_b32_e32 v81, v14, v82, vcc
	v_and_b32_e32 v14, 0x7f800000, v81
	v_cmp_ne_u32_e64 s[24:25], s87, v14
                                        ; implicit-def: $vgpr14
	s_and_saveexec_b64 s[46:47], s[24:25]
	s_xor_b64 s[24:25], exec, s[46:47]
; %bb.475:                              ;   in Loop: Header=BB33_354 Depth=4
	v_bfe_u32 v14, v81, 16, 1
	v_add3_u32 v14, v81, v14, s96
                                        ; implicit-def: $vgpr81
; %bb.476:                              ;   in Loop: Header=BB33_354 Depth=4
	s_andn2_saveexec_b64 s[46:47], s[24:25]
; %bb.477:                              ;   in Loop: Header=BB33_354 Depth=4
	v_or_b32_e32 v14, 0x10000, v81
	v_cmp_eq_u32_sdwa s[24:25], v81, v3 src0_sel:WORD_0 src1_sel:DWORD
	s_nop 1
	v_cndmask_b32_e64 v14, v14, v81, s[24:25]
; %bb.478:                              ;   in Loop: Header=BB33_354 Depth=4
	s_or_b64 exec, exec, s[46:47]
	v_and_b32_e32 v11, 0xffff0000, v11
	v_and_b32_e32 v15, 0xffff0000, v15
	v_max_f32_e32 v15, v15, v15
	v_max_f32_e32 v11, v11, v11
	v_min_f32_e32 v81, v11, v15
	v_max_f32_e32 v11, v11, v15
	v_cndmask_b32_e32 v15, v11, v81, vcc
	v_and_b32_e32 v11, 0x7f800000, v15
	v_cmp_ne_u32_e64 s[24:25], s87, v11
                                        ; implicit-def: $vgpr11
	s_and_saveexec_b64 s[46:47], s[24:25]
	s_xor_b64 s[24:25], exec, s[46:47]
; %bb.479:                              ;   in Loop: Header=BB33_354 Depth=4
	v_bfe_u32 v11, v15, 16, 1
	v_add3_u32 v11, v15, v11, s96
                                        ; implicit-def: $vgpr15
; %bb.480:                              ;   in Loop: Header=BB33_354 Depth=4
	s_andn2_saveexec_b64 s[46:47], s[24:25]
	s_cbranch_execz .LBB33_353
; %bb.481:                              ;   in Loop: Header=BB33_354 Depth=4
	v_or_b32_e32 v11, 0x10000, v15
	v_cmp_eq_u32_sdwa s[24:25], v15, v3 src0_sel:WORD_0 src1_sel:DWORD
	s_nop 1
	v_cndmask_b32_e64 v11, v11, v15, s[24:25]
	s_branch .LBB33_353
.LBB33_482:                             ;   in Loop: Header=BB33_272 Depth=3
	s_or_b64 exec, exec, s[44:45]
.LBB33_483:                             ;   in Loop: Header=BB33_272 Depth=3
	s_or_b64 exec, exec, s[26:27]
	v_lshlrev_b32_e32 v22, 12, v29
	v_cmp_ne_u32_e32 vcc, v0, v22
	s_mov_b64 s[24:25], 0
	v_mov_b32_e32 v14, 0
                                        ; implicit-def: $vgpr15
	s_and_saveexec_b64 s[44:45], vcc
	s_cbranch_execz .LBB33_521
; %bb.484:                              ;   in Loop: Header=BB33_272 Depth=3
	v_lshlrev_b32_e32 v5, 6, v5
	v_sub_u32_e32 v5, v110, v5
	v_sub_u32_e32 v9, v0, v22
	v_ashrrev_i32_e32 v8, 31, v5
	v_lshrrev_b32_e32 v8, 26, v8
	v_ashrrev_i32_e32 v11, 31, v9
	v_add_u32_e32 v8, v5, v8
	v_lshrrev_b32_e32 v11, 22, v11
	v_ashrrev_i32_e32 v10, 6, v8
	v_and_b32_e32 v8, 0xffffffc0, v8
	v_add_u32_e32 v11, v9, v11
	v_sub_u32_e32 v5, v5, v8
	v_and_b32_e32 v23, 0xfffffc00, v11
	v_lshlrev_b32_e32 v8, 4, v5
	v_sub_u32_e32 v24, v9, v23
	v_lshl_add_u32 v8, v10, 10, v8
	v_ashrrev_i32_e32 v12, 10, v11
	v_cmp_lt_i32_e32 vcc, 15, v24
	v_sub_u32_e32 v26, v9, v8
	s_nop 0
	v_addc_co_u32_e64 v9, s[24:25], 0, v12, vcc
	v_sub_u32_e32 v25, v9, v10
	v_cmp_lt_i32_e64 s[24:25], 15, v26
	s_and_saveexec_b64 s[46:47], s[24:25]
	s_cbranch_execz .LBB33_520
; %bb.485:                              ;   in Loop: Header=BB33_272 Depth=3
	s_trap 2
	ds_read_b64 v[10:11], v0
	v_add_u32_e32 v8, v8, v22
	s_and_b32 s74, s60, 1
	v_ashrrev_i32_e32 v9, 31, v8
	s_cmp_eq_u64 s[74:75], 0
	v_lshl_add_u64 v[16:17], v[8:9], 0, v[54:55]
	s_waitcnt lgkmcnt(0)
	v_lshl_add_u64 v[18:19], v[10:11], 0, v[8:9]
	v_lshl_add_u64 v[20:21], v[8:9], 0, v[64:65]
	s_mov_b64 s[56:57], 0
	s_cselect_b64 s[24:25], -1, 0
	s_branch .LBB33_487
.LBB33_486:                             ;   in Loop: Header=BB33_487 Depth=4
	s_or_b64 exec, exec, s[58:59]
	v_lshrrev_b32_e32 v12, 16, v12
	v_and_or_b32 v9, v9, s97, v12
	v_lshrrev_b32_e32 v12, 16, v27
	v_and_or_b32 v8, v8, s97, v12
	;; [unrolled: 2-line block ×3, first 2 shown]
	v_lshrrev_b32_e32 v12, 16, v14
	v_sub_u32_e32 v26, v26, v76
	v_and_or_b32 v11, v11, s97, v12
	v_cmp_gt_i32_e64 s[26:27], 16, v26
	global_store_dwordx4 v[20:21], v[8:11], off
	v_lshl_add_u64 v[16:17], v[16:17], 0, v[76:77]
	v_lshl_add_u64 v[18:19], v[18:19], 0, v[76:77]
	;; [unrolled: 1-line block ×3, first 2 shown]
	s_or_b64 s[56:57], s[26:27], s[56:57]
	v_sub_u32_e32 v25, v25, v60
	s_andn2_b64 exec, exec, s[56:57]
	s_cbranch_execz .LBB33_519
.LBB33_487:                             ;   Parent Loop BB33_47 Depth=1
                                        ;     Parent Loop BB33_269 Depth=2
                                        ;       Parent Loop BB33_272 Depth=3
                                        ; =>      This Inner Loop Header: Depth=4
	global_load_dwordx4 v[8:11], v[18:19], off nt
	global_load_dwordx4 v[12:15], v[16:17], off nt
	s_waitcnt vmcnt(0)
	v_lshlrev_b32_e32 v27, 16, v8
	v_lshlrev_b32_e32 v29, 16, v12
	v_max_f32_e32 v27, v27, v27
	v_max_f32_e32 v29, v29, v29
	v_min_f32_e32 v32, v29, v27
	v_max_f32_e32 v27, v29, v27
	v_cndmask_b32_e64 v29, v27, v32, s[24:25]
	v_and_b32_e32 v27, 0x7f800000, v29
	v_cmp_ne_u32_e64 s[26:27], s87, v27
                                        ; implicit-def: $vgpr27
	s_and_saveexec_b64 s[58:59], s[26:27]
	s_xor_b64 s[26:27], exec, s[58:59]
; %bb.488:                              ;   in Loop: Header=BB33_487 Depth=4
	v_bfe_u32 v27, v29, 16, 1
	v_add3_u32 v27, v29, v27, s96
                                        ; implicit-def: $vgpr29
; %bb.489:                              ;   in Loop: Header=BB33_487 Depth=4
	s_andn2_saveexec_b64 s[58:59], s[26:27]
; %bb.490:                              ;   in Loop: Header=BB33_487 Depth=4
	v_or_b32_e32 v27, 0x10000, v29
	v_cmp_eq_u32_sdwa s[26:27], v29, v3 src0_sel:WORD_0 src1_sel:DWORD
	s_nop 1
	v_cndmask_b32_e64 v27, v27, v29, s[26:27]
; %bb.491:                              ;   in Loop: Header=BB33_487 Depth=4
	s_or_b64 exec, exec, s[58:59]
	v_and_b32_e32 v8, 0xffff0000, v8
	v_and_b32_e32 v12, 0xffff0000, v12
	v_max_f32_e32 v8, v8, v8
	v_max_f32_e32 v12, v12, v12
	v_min_f32_e32 v29, v12, v8
	v_max_f32_e32 v8, v12, v8
	v_cndmask_b32_e64 v12, v8, v29, s[24:25]
	v_and_b32_e32 v8, 0x7f800000, v12
	v_cmp_ne_u32_e64 s[26:27], s87, v8
                                        ; implicit-def: $vgpr8
	s_and_saveexec_b64 s[58:59], s[26:27]
	s_xor_b64 s[26:27], exec, s[58:59]
; %bb.492:                              ;   in Loop: Header=BB33_487 Depth=4
	v_bfe_u32 v8, v12, 16, 1
	v_add3_u32 v8, v12, v8, s96
                                        ; implicit-def: $vgpr12
; %bb.493:                              ;   in Loop: Header=BB33_487 Depth=4
	s_andn2_saveexec_b64 s[58:59], s[26:27]
; %bb.494:                              ;   in Loop: Header=BB33_487 Depth=4
	v_or_b32_e32 v8, 0x10000, v12
	v_cmp_eq_u32_sdwa s[26:27], v12, v3 src0_sel:WORD_0 src1_sel:DWORD
	s_nop 1
	v_cndmask_b32_e64 v8, v8, v12, s[26:27]
; %bb.495:                              ;   in Loop: Header=BB33_487 Depth=4
	s_or_b64 exec, exec, s[58:59]
	v_lshlrev_b32_e32 v12, 16, v9
	v_lshlrev_b32_e32 v29, 16, v13
	v_max_f32_e32 v12, v12, v12
	v_max_f32_e32 v29, v29, v29
	v_min_f32_e32 v32, v29, v12
	v_max_f32_e32 v12, v29, v12
	v_cndmask_b32_e64 v29, v12, v32, s[24:25]
	v_and_b32_e32 v12, 0x7f800000, v29
	v_cmp_ne_u32_e64 s[26:27], s87, v12
                                        ; implicit-def: $vgpr12
	s_and_saveexec_b64 s[58:59], s[26:27]
	s_xor_b64 s[26:27], exec, s[58:59]
; %bb.496:                              ;   in Loop: Header=BB33_487 Depth=4
	v_bfe_u32 v12, v29, 16, 1
	v_add3_u32 v12, v29, v12, s96
                                        ; implicit-def: $vgpr29
; %bb.497:                              ;   in Loop: Header=BB33_487 Depth=4
	s_andn2_saveexec_b64 s[58:59], s[26:27]
; %bb.498:                              ;   in Loop: Header=BB33_487 Depth=4
	v_or_b32_e32 v12, 0x10000, v29
	v_cmp_eq_u32_sdwa s[26:27], v29, v3 src0_sel:WORD_0 src1_sel:DWORD
	s_nop 1
	v_cndmask_b32_e64 v12, v12, v29, s[26:27]
; %bb.499:                              ;   in Loop: Header=BB33_487 Depth=4
	s_or_b64 exec, exec, s[58:59]
	v_and_b32_e32 v13, 0xffff0000, v13
	v_and_b32_e32 v9, 0xffff0000, v9
	v_max_f32_e32 v9, v9, v9
	v_max_f32_e32 v13, v13, v13
	v_min_f32_e32 v29, v13, v9
	v_max_f32_e32 v9, v13, v9
	v_cndmask_b32_e64 v13, v9, v29, s[24:25]
	v_and_b32_e32 v9, 0x7f800000, v13
	v_cmp_ne_u32_e64 s[26:27], s87, v9
                                        ; implicit-def: $vgpr9
	s_and_saveexec_b64 s[58:59], s[26:27]
	s_xor_b64 s[26:27], exec, s[58:59]
; %bb.500:                              ;   in Loop: Header=BB33_487 Depth=4
	v_bfe_u32 v9, v13, 16, 1
	v_add3_u32 v9, v13, v9, s96
                                        ; implicit-def: $vgpr13
; %bb.501:                              ;   in Loop: Header=BB33_487 Depth=4
	s_andn2_saveexec_b64 s[58:59], s[26:27]
; %bb.502:                              ;   in Loop: Header=BB33_487 Depth=4
	v_or_b32_e32 v9, 0x10000, v13
	v_cmp_eq_u32_sdwa s[26:27], v13, v3 src0_sel:WORD_0 src1_sel:DWORD
	s_nop 1
	v_cndmask_b32_e64 v9, v9, v13, s[26:27]
; %bb.503:                              ;   in Loop: Header=BB33_487 Depth=4
	s_or_b64 exec, exec, s[58:59]
	v_lshlrev_b32_e32 v13, 16, v10
	v_lshlrev_b32_e32 v29, 16, v14
	v_max_f32_e32 v13, v13, v13
	v_max_f32_e32 v29, v29, v29
	v_min_f32_e32 v32, v29, v13
	v_max_f32_e32 v13, v29, v13
	v_cndmask_b32_e64 v29, v13, v32, s[24:25]
	v_and_b32_e32 v13, 0x7f800000, v29
	v_cmp_ne_u32_e64 s[26:27], s87, v13
                                        ; implicit-def: $vgpr13
	s_and_saveexec_b64 s[58:59], s[26:27]
	s_xor_b64 s[26:27], exec, s[58:59]
; %bb.504:                              ;   in Loop: Header=BB33_487 Depth=4
	v_bfe_u32 v13, v29, 16, 1
	v_add3_u32 v13, v29, v13, s96
                                        ; implicit-def: $vgpr29
; %bb.505:                              ;   in Loop: Header=BB33_487 Depth=4
	s_andn2_saveexec_b64 s[58:59], s[26:27]
; %bb.506:                              ;   in Loop: Header=BB33_487 Depth=4
	v_or_b32_e32 v13, 0x10000, v29
	v_cmp_eq_u32_sdwa s[26:27], v29, v3 src0_sel:WORD_0 src1_sel:DWORD
	s_nop 1
	v_cndmask_b32_e64 v13, v13, v29, s[26:27]
; %bb.507:                              ;   in Loop: Header=BB33_487 Depth=4
	s_or_b64 exec, exec, s[58:59]
	v_and_b32_e32 v14, 0xffff0000, v14
	v_and_b32_e32 v10, 0xffff0000, v10
	v_max_f32_e32 v10, v10, v10
	v_max_f32_e32 v14, v14, v14
	v_min_f32_e32 v29, v14, v10
	v_max_f32_e32 v10, v14, v10
	v_cndmask_b32_e64 v14, v10, v29, s[24:25]
	v_and_b32_e32 v10, 0x7f800000, v14
	v_cmp_ne_u32_e64 s[26:27], s87, v10
                                        ; implicit-def: $vgpr10
	s_and_saveexec_b64 s[58:59], s[26:27]
	s_xor_b64 s[26:27], exec, s[58:59]
; %bb.508:                              ;   in Loop: Header=BB33_487 Depth=4
	v_bfe_u32 v10, v14, 16, 1
	v_add3_u32 v10, v14, v10, s96
                                        ; implicit-def: $vgpr14
; %bb.509:                              ;   in Loop: Header=BB33_487 Depth=4
	s_andn2_saveexec_b64 s[58:59], s[26:27]
; %bb.510:                              ;   in Loop: Header=BB33_487 Depth=4
	v_or_b32_e32 v10, 0x10000, v14
	v_cmp_eq_u32_sdwa s[26:27], v14, v3 src0_sel:WORD_0 src1_sel:DWORD
	s_nop 1
	v_cndmask_b32_e64 v10, v10, v14, s[26:27]
; %bb.511:                              ;   in Loop: Header=BB33_487 Depth=4
	s_or_b64 exec, exec, s[58:59]
	v_lshlrev_b32_e32 v14, 16, v11
	v_lshlrev_b32_e32 v29, 16, v15
	v_max_f32_e32 v14, v14, v14
	v_max_f32_e32 v29, v29, v29
	v_min_f32_e32 v32, v29, v14
	v_max_f32_e32 v14, v29, v14
	v_cndmask_b32_e64 v29, v14, v32, s[24:25]
	v_and_b32_e32 v14, 0x7f800000, v29
	v_cmp_ne_u32_e64 s[26:27], s87, v14
                                        ; implicit-def: $vgpr14
	s_and_saveexec_b64 s[58:59], s[26:27]
	s_xor_b64 s[26:27], exec, s[58:59]
; %bb.512:                              ;   in Loop: Header=BB33_487 Depth=4
	v_bfe_u32 v14, v29, 16, 1
	v_add3_u32 v14, v29, v14, s96
                                        ; implicit-def: $vgpr29
; %bb.513:                              ;   in Loop: Header=BB33_487 Depth=4
	s_andn2_saveexec_b64 s[58:59], s[26:27]
; %bb.514:                              ;   in Loop: Header=BB33_487 Depth=4
	v_or_b32_e32 v14, 0x10000, v29
	v_cmp_eq_u32_sdwa s[26:27], v29, v3 src0_sel:WORD_0 src1_sel:DWORD
	s_nop 1
	v_cndmask_b32_e64 v14, v14, v29, s[26:27]
; %bb.515:                              ;   in Loop: Header=BB33_487 Depth=4
	s_or_b64 exec, exec, s[58:59]
	v_and_b32_e32 v15, 0xffff0000, v15
	v_and_b32_e32 v11, 0xffff0000, v11
	v_max_f32_e32 v11, v11, v11
	v_max_f32_e32 v15, v15, v15
	v_min_f32_e32 v29, v15, v11
	v_max_f32_e32 v11, v15, v11
	v_cndmask_b32_e64 v15, v11, v29, s[24:25]
	v_and_b32_e32 v11, 0x7f800000, v15
	v_cmp_ne_u32_e64 s[26:27], s87, v11
                                        ; implicit-def: $vgpr11
	s_and_saveexec_b64 s[58:59], s[26:27]
	s_xor_b64 s[26:27], exec, s[58:59]
; %bb.516:                              ;   in Loop: Header=BB33_487 Depth=4
	v_bfe_u32 v11, v15, 16, 1
	v_add3_u32 v11, v15, v11, s96
                                        ; implicit-def: $vgpr15
; %bb.517:                              ;   in Loop: Header=BB33_487 Depth=4
	s_andn2_saveexec_b64 s[58:59], s[26:27]
	s_cbranch_execz .LBB33_486
; %bb.518:                              ;   in Loop: Header=BB33_487 Depth=4
	v_or_b32_e32 v11, 0x10000, v15
	v_cmp_eq_u32_sdwa s[26:27], v15, v3 src0_sel:WORD_0 src1_sel:DWORD
	s_nop 1
	v_cndmask_b32_e64 v11, v11, v15, s[26:27]
	s_branch .LBB33_486
.LBB33_519:                             ;   in Loop: Header=BB33_272 Depth=3
	s_or_b64 exec, exec, s[56:57]
.LBB33_520:                             ;   in Loop: Header=BB33_272 Depth=3
	s_or_b64 exec, exec, s[46:47]
	v_and_b32_e32 v0, 14, v0
	v_sub_u32_e32 v8, v24, v0
	v_cndmask_b32_e32 v8, 0, v8, vcc
	v_cndmask_b32_e32 v0, v24, v0, vcc
	v_cmp_lt_i32_e32 vcc, 0, v25
	v_add3_u32 v14, v23, v22, v8
	s_nop 0
	v_cndmask_b32_e32 v8, 0, v60, vcc
	v_sub_u32_e32 v8, v8, v25
	v_cmp_ne_u32_e32 vcc, 0, v0
	v_lshl_add_u32 v15, v8, 6, v5
	s_and_b64 s[24:25], vcc, exec
.LBB33_521:                             ;   in Loop: Header=BB33_272 Depth=3
	s_or_b64 exec, exec, s[44:45]
	s_and_saveexec_b64 s[26:27], s[24:25]
	s_cbranch_execz .LBB33_598
.LBB33_522:                             ;   in Loop: Header=BB33_272 Depth=3
	v_ashrrev_i32_e32 v5, 31, v15
	v_ashrrev_i32_e32 v9, 31, v0
	v_lshrrev_b32_e32 v5, 26, v5
	v_lshrrev_b32_e32 v9, 21, v9
	v_add_u32_e32 v8, v15, v5
	v_add_u32_e32 v9, v0, v9
	v_ashrrev_i32_e32 v5, 6, v8
	v_ashrrev_i32_e32 v17, 11, v9
	v_sub_u32_e32 v16, v17, v5
	v_cmp_lt_i32_e32 vcc, 0, v16
	s_and_saveexec_b64 s[44:45], vcc
	s_cbranch_execz .LBB33_590
; %bb.523:                              ;   in Loop: Header=BB33_272 Depth=3
	v_and_b32_e32 v8, 0x7fffffc0, v8
	s_trap 2
	ds_read_b64 v[10:11], v0
	v_sub_u32_e32 v8, v15, v8
	v_lshlrev_b32_e32 v8, 1, v8
	v_lshlrev_b32_e32 v9, 11, v5
	v_add3_u32 v12, v8, v14, v9
	s_and_b32 s74, s60, 1
	v_ashrrev_i32_e32 v13, 31, v12
	s_cmp_eq_u64 s[74:75], 0
	v_lshl_add_u64 v[18:19], v[64:65], 0, s[36:37]
	v_lshl_add_u64 v[8:9], v[12:13], 0, v[54:55]
	s_waitcnt lgkmcnt(0)
	v_lshl_add_u64 v[10:11], v[10:11], 0, v[12:13]
	s_mov_b64 s[46:47], 0
	s_cselect_b64 s[24:25], -1, 0
	v_lshl_add_u64 v[12:13], v[18:19], 0, v[12:13]
	s_branch .LBB33_525
.LBB33_524:                             ;   in Loop: Header=BB33_525 Depth=4
	s_or_b64 exec, exec, s[56:57]
	v_add_co_u32_e32 v66, vcc, 0xfffff880, v12
	v_sub_u32_e32 v16, v16, v60
	s_nop 0
	v_addc_co_u32_e32 v67, vcc, -1, v13, vcc
	flat_store_short_d16_hi v[66:67], v19 nt
	v_add_co_u32_e32 v66, vcc, 0xfffff900, v12
	v_lshl_add_u64 v[8:9], v[8:9], 0, v[78:79]
	s_nop 0
	v_addc_co_u32_e32 v67, vcc, -1, v13, vcc
	flat_store_short_d16_hi v[66:67], v22 nt
	v_add_co_u32_e32 v66, vcc, 0xfffff980, v12
	v_lshl_add_u64 v[10:11], v[10:11], 0, v[78:79]
	s_nop 0
	v_addc_co_u32_e32 v67, vcc, -1, v13, vcc
	flat_store_short_d16_hi v[66:67], v24 nt
	v_add_co_u32_e32 v24, vcc, 0xfffffa00, v12
	s_nop 1
	v_addc_co_u32_e32 v25, vcc, -1, v13, vcc
	flat_store_short_d16_hi v[24:25], v26 nt
	v_add_co_u32_e32 v24, vcc, 0xfffffa80, v12
	;; [unrolled: 4-line block ×11, first 2 shown]
	s_nop 1
	v_addc_co_u32_e32 v25, vcc, -1, v13, vcc
	v_add_co_u32_e32 v22, vcc, 0xffffff80, v12
	flat_store_short_d16_hi v[24:25], v23 nt
	s_nop 0
	v_addc_co_u32_e32 v23, vcc, -1, v13, vcc
	v_cmp_gt_i32_e32 vcc, 1, v16
	flat_store_short_d16_hi v[22:23], v20 nt
	flat_store_short_d16_hi v[12:13], v18 nt
	s_or_b64 s[46:47], vcc, s[46:47]
	v_lshl_add_u64 v[12:13], v[12:13], 0, v[78:79]
	s_andn2_b64 exec, exec, s[46:47]
	s_cbranch_execz .LBB33_589
.LBB33_525:                             ;   Parent Loop BB33_47 Depth=1
                                        ;     Parent Loop BB33_269 Depth=2
                                        ;       Parent Loop BB33_272 Depth=3
                                        ; =>      This Inner Loop Header: Depth=4
	flat_load_ushort v50, v[8:9] offset:1024 nt
	flat_load_ushort v39, v[8:9] offset:1152 nt
	;; [unrolled: 1-line block ×15, first 2 shown]
	flat_load_ushort v19, v[8:9] nt
	flat_load_ushort v81, v[10:11] offset:128 nt
	flat_load_ushort v80, v[10:11] offset:256 nt
	;; [unrolled: 1-line block ×7, first 2 shown]
	flat_load_ushort v82, v[10:11] nt
	flat_load_ushort v66, v[10:11] offset:1024 nt
	flat_load_ushort v51, v[10:11] offset:1152 nt
	;; [unrolled: 1-line block ×8, first 2 shown]
	s_waitcnt vmcnt(0) lgkmcnt(0)
	v_lshlrev_b32_e32 v19, 16, v19
	v_max_f32_e32 v19, v19, v19
	v_lshlrev_b32_e32 v82, 16, v82
	v_max_f32_e32 v82, v82, v82
	v_min_f32_e32 v83, v19, v82
	v_max_f32_e32 v19, v19, v82
	v_cndmask_b32_e64 v82, v19, v83, s[24:25]
	v_and_b32_e32 v19, 0x7f800000, v82
	v_cmp_ne_u32_e32 vcc, s87, v19
                                        ; implicit-def: $vgpr19
	s_and_saveexec_b64 s[56:57], vcc
	s_xor_b64 s[56:57], exec, s[56:57]
; %bb.526:                              ;   in Loop: Header=BB33_525 Depth=4
	v_bfe_u32 v19, v82, 16, 1
	v_add3_u32 v19, v82, v19, s96
                                        ; implicit-def: $vgpr82
; %bb.527:                              ;   in Loop: Header=BB33_525 Depth=4
	s_andn2_saveexec_b64 s[56:57], s[56:57]
; %bb.528:                              ;   in Loop: Header=BB33_525 Depth=4
	v_or_b32_e32 v19, 0x10000, v82
	v_cmp_eq_u32_sdwa vcc, v82, v3 src0_sel:WORD_0 src1_sel:DWORD
	s_nop 1
	v_cndmask_b32_e32 v19, v19, v82, vcc
; %bb.529:                              ;   in Loop: Header=BB33_525 Depth=4
	s_or_b64 exec, exec, s[56:57]
	v_lshlrev_b32_e32 v22, 16, v22
	v_lshlrev_b32_e32 v81, 16, v81
	v_max_f32_e32 v81, v81, v81
	v_max_f32_e32 v22, v22, v22
	v_min_f32_e32 v82, v22, v81
	v_max_f32_e32 v22, v22, v81
	v_cndmask_b32_e64 v81, v22, v82, s[24:25]
	v_and_b32_e32 v22, 0x7f800000, v81
	v_cmp_ne_u32_e32 vcc, s87, v22
                                        ; implicit-def: $vgpr22
	s_and_saveexec_b64 s[56:57], vcc
	s_xor_b64 s[56:57], exec, s[56:57]
; %bb.530:                              ;   in Loop: Header=BB33_525 Depth=4
	v_bfe_u32 v22, v81, 16, 1
	v_add3_u32 v22, v81, v22, s96
                                        ; implicit-def: $vgpr81
; %bb.531:                              ;   in Loop: Header=BB33_525 Depth=4
	s_andn2_saveexec_b64 s[56:57], s[56:57]
; %bb.532:                              ;   in Loop: Header=BB33_525 Depth=4
	v_or_b32_e32 v22, 0x10000, v81
	v_cmp_eq_u32_sdwa vcc, v81, v3 src0_sel:WORD_0 src1_sel:DWORD
	s_nop 1
	v_cndmask_b32_e32 v22, v22, v81, vcc
; %bb.533:                              ;   in Loop: Header=BB33_525 Depth=4
	s_or_b64 exec, exec, s[56:57]
	v_lshlrev_b32_e32 v24, 16, v24
	v_lshlrev_b32_e32 v80, 16, v80
	v_max_f32_e32 v80, v80, v80
	v_max_f32_e32 v24, v24, v24
	v_min_f32_e32 v81, v24, v80
	v_max_f32_e32 v24, v24, v80
	v_cndmask_b32_e64 v80, v24, v81, s[24:25]
	v_and_b32_e32 v24, 0x7f800000, v80
	v_cmp_ne_u32_e32 vcc, s87, v24
                                        ; implicit-def: $vgpr24
	s_and_saveexec_b64 s[56:57], vcc
	s_xor_b64 s[56:57], exec, s[56:57]
; %bb.534:                              ;   in Loop: Header=BB33_525 Depth=4
	v_bfe_u32 v24, v80, 16, 1
	v_add3_u32 v24, v80, v24, s96
                                        ; implicit-def: $vgpr80
; %bb.535:                              ;   in Loop: Header=BB33_525 Depth=4
	s_andn2_saveexec_b64 s[56:57], s[56:57]
; %bb.536:                              ;   in Loop: Header=BB33_525 Depth=4
	v_or_b32_e32 v24, 0x10000, v80
	v_cmp_eq_u32_sdwa vcc, v80, v3 src0_sel:WORD_0 src1_sel:DWORD
	s_nop 1
	v_cndmask_b32_e32 v24, v24, v80, vcc
; %bb.537:                              ;   in Loop: Header=BB33_525 Depth=4
	s_or_b64 exec, exec, s[56:57]
	v_lshlrev_b32_e32 v26, 16, v26
	v_lshlrev_b32_e32 v71, 16, v71
	v_max_f32_e32 v71, v71, v71
	v_max_f32_e32 v26, v26, v26
	v_min_f32_e32 v80, v26, v71
	v_max_f32_e32 v26, v26, v71
	v_cndmask_b32_e64 v71, v26, v80, s[24:25]
	v_and_b32_e32 v26, 0x7f800000, v71
	v_cmp_ne_u32_e32 vcc, s87, v26
                                        ; implicit-def: $vgpr26
	s_and_saveexec_b64 s[56:57], vcc
	s_xor_b64 s[56:57], exec, s[56:57]
; %bb.538:                              ;   in Loop: Header=BB33_525 Depth=4
	v_bfe_u32 v26, v71, 16, 1
	v_add3_u32 v26, v71, v26, s96
                                        ; implicit-def: $vgpr71
; %bb.539:                              ;   in Loop: Header=BB33_525 Depth=4
	s_andn2_saveexec_b64 s[56:57], s[56:57]
; %bb.540:                              ;   in Loop: Header=BB33_525 Depth=4
	v_or_b32_e32 v26, 0x10000, v71
	v_cmp_eq_u32_sdwa vcc, v71, v3 src0_sel:WORD_0 src1_sel:DWORD
	s_nop 1
	v_cndmask_b32_e32 v26, v26, v71, vcc
; %bb.541:                              ;   in Loop: Header=BB33_525 Depth=4
	s_or_b64 exec, exec, s[56:57]
	v_lshlrev_b32_e32 v32, 16, v32
	v_lshlrev_b32_e32 v70, 16, v70
	v_max_f32_e32 v70, v70, v70
	v_max_f32_e32 v32, v32, v32
	v_min_f32_e32 v71, v32, v70
	v_max_f32_e32 v32, v32, v70
	v_cndmask_b32_e64 v70, v32, v71, s[24:25]
	v_and_b32_e32 v32, 0x7f800000, v70
	v_cmp_ne_u32_e32 vcc, s87, v32
                                        ; implicit-def: $vgpr32
	s_and_saveexec_b64 s[56:57], vcc
	s_xor_b64 s[56:57], exec, s[56:57]
; %bb.542:                              ;   in Loop: Header=BB33_525 Depth=4
	v_bfe_u32 v32, v70, 16, 1
	v_add3_u32 v32, v70, v32, s96
                                        ; implicit-def: $vgpr70
; %bb.543:                              ;   in Loop: Header=BB33_525 Depth=4
	s_andn2_saveexec_b64 s[56:57], s[56:57]
; %bb.544:                              ;   in Loop: Header=BB33_525 Depth=4
	v_or_b32_e32 v32, 0x10000, v70
	v_cmp_eq_u32_sdwa vcc, v70, v3 src0_sel:WORD_0 src1_sel:DWORD
	s_nop 1
	v_cndmask_b32_e32 v32, v32, v70, vcc
; %bb.545:                              ;   in Loop: Header=BB33_525 Depth=4
	s_or_b64 exec, exec, s[56:57]
	v_lshlrev_b32_e32 v35, 16, v35
	v_lshlrev_b32_e32 v69, 16, v69
	v_max_f32_e32 v69, v69, v69
	v_max_f32_e32 v35, v35, v35
	v_min_f32_e32 v70, v35, v69
	v_max_f32_e32 v35, v35, v69
	v_cndmask_b32_e64 v69, v35, v70, s[24:25]
	v_and_b32_e32 v35, 0x7f800000, v69
	v_cmp_ne_u32_e32 vcc, s87, v35
                                        ; implicit-def: $vgpr35
	s_and_saveexec_b64 s[56:57], vcc
	s_xor_b64 s[56:57], exec, s[56:57]
; %bb.546:                              ;   in Loop: Header=BB33_525 Depth=4
	v_bfe_u32 v35, v69, 16, 1
	v_add3_u32 v35, v69, v35, s96
                                        ; implicit-def: $vgpr69
; %bb.547:                              ;   in Loop: Header=BB33_525 Depth=4
	s_andn2_saveexec_b64 s[56:57], s[56:57]
; %bb.548:                              ;   in Loop: Header=BB33_525 Depth=4
	v_or_b32_e32 v35, 0x10000, v69
	v_cmp_eq_u32_sdwa vcc, v69, v3 src0_sel:WORD_0 src1_sel:DWORD
	s_nop 1
	v_cndmask_b32_e32 v35, v35, v69, vcc
; %bb.549:                              ;   in Loop: Header=BB33_525 Depth=4
	s_or_b64 exec, exec, s[56:57]
	v_lshlrev_b32_e32 v38, 16, v38
	v_lshlrev_b32_e32 v68, 16, v68
	v_max_f32_e32 v68, v68, v68
	v_max_f32_e32 v38, v38, v38
	v_min_f32_e32 v69, v38, v68
	v_max_f32_e32 v38, v38, v68
	v_cndmask_b32_e64 v68, v38, v69, s[24:25]
	v_and_b32_e32 v38, 0x7f800000, v68
	v_cmp_ne_u32_e32 vcc, s87, v38
                                        ; implicit-def: $vgpr38
	s_and_saveexec_b64 s[56:57], vcc
	s_xor_b64 s[56:57], exec, s[56:57]
; %bb.550:                              ;   in Loop: Header=BB33_525 Depth=4
	v_bfe_u32 v38, v68, 16, 1
	v_add3_u32 v38, v68, v38, s96
                                        ; implicit-def: $vgpr68
; %bb.551:                              ;   in Loop: Header=BB33_525 Depth=4
	s_andn2_saveexec_b64 s[56:57], s[56:57]
; %bb.552:                              ;   in Loop: Header=BB33_525 Depth=4
	v_or_b32_e32 v38, 0x10000, v68
	v_cmp_eq_u32_sdwa vcc, v68, v3 src0_sel:WORD_0 src1_sel:DWORD
	s_nop 1
	v_cndmask_b32_e32 v38, v38, v68, vcc
; %bb.553:                              ;   in Loop: Header=BB33_525 Depth=4
	s_or_b64 exec, exec, s[56:57]
	v_lshlrev_b32_e32 v49, 16, v49
	v_lshlrev_b32_e32 v67, 16, v67
	v_max_f32_e32 v67, v67, v67
	v_max_f32_e32 v49, v49, v49
	v_min_f32_e32 v68, v49, v67
	v_max_f32_e32 v49, v49, v67
	v_cndmask_b32_e64 v67, v49, v68, s[24:25]
	v_and_b32_e32 v49, 0x7f800000, v67
	v_cmp_ne_u32_e32 vcc, s87, v49
                                        ; implicit-def: $vgpr49
	s_and_saveexec_b64 s[56:57], vcc
	s_xor_b64 s[56:57], exec, s[56:57]
; %bb.554:                              ;   in Loop: Header=BB33_525 Depth=4
	v_bfe_u32 v49, v67, 16, 1
	v_add3_u32 v49, v67, v49, s96
                                        ; implicit-def: $vgpr67
; %bb.555:                              ;   in Loop: Header=BB33_525 Depth=4
	s_andn2_saveexec_b64 s[56:57], s[56:57]
; %bb.556:                              ;   in Loop: Header=BB33_525 Depth=4
	v_or_b32_e32 v49, 0x10000, v67
	v_cmp_eq_u32_sdwa vcc, v67, v3 src0_sel:WORD_0 src1_sel:DWORD
	s_nop 1
	v_cndmask_b32_e32 v49, v49, v67, vcc
; %bb.557:                              ;   in Loop: Header=BB33_525 Depth=4
	s_or_b64 exec, exec, s[56:57]
	v_lshlrev_b32_e32 v50, 16, v50
	v_lshlrev_b32_e32 v66, 16, v66
	v_max_f32_e32 v66, v66, v66
	v_max_f32_e32 v50, v50, v50
	v_min_f32_e32 v67, v50, v66
	v_max_f32_e32 v50, v50, v66
	v_cndmask_b32_e64 v66, v50, v67, s[24:25]
	v_and_b32_e32 v50, 0x7f800000, v66
	v_cmp_ne_u32_e32 vcc, s87, v50
                                        ; implicit-def: $vgpr50
	s_and_saveexec_b64 s[56:57], vcc
	s_xor_b64 s[56:57], exec, s[56:57]
; %bb.558:                              ;   in Loop: Header=BB33_525 Depth=4
	v_bfe_u32 v50, v66, 16, 1
	v_add3_u32 v50, v66, v50, s96
                                        ; implicit-def: $vgpr66
; %bb.559:                              ;   in Loop: Header=BB33_525 Depth=4
	s_andn2_saveexec_b64 s[56:57], s[56:57]
; %bb.560:                              ;   in Loop: Header=BB33_525 Depth=4
	v_or_b32_e32 v50, 0x10000, v66
	v_cmp_eq_u32_sdwa vcc, v66, v3 src0_sel:WORD_0 src1_sel:DWORD
	s_nop 1
	v_cndmask_b32_e32 v50, v50, v66, vcc
; %bb.561:                              ;   in Loop: Header=BB33_525 Depth=4
	s_or_b64 exec, exec, s[56:57]
	v_lshlrev_b32_e32 v39, 16, v39
	v_lshlrev_b32_e32 v51, 16, v51
	v_max_f32_e32 v51, v51, v51
	v_max_f32_e32 v39, v39, v39
	v_min_f32_e32 v66, v39, v51
	v_max_f32_e32 v39, v39, v51
	v_cndmask_b32_e64 v51, v39, v66, s[24:25]
	v_and_b32_e32 v39, 0x7f800000, v51
	v_cmp_ne_u32_e32 vcc, s87, v39
                                        ; implicit-def: $vgpr39
	s_and_saveexec_b64 s[56:57], vcc
	s_xor_b64 s[56:57], exec, s[56:57]
; %bb.562:                              ;   in Loop: Header=BB33_525 Depth=4
	v_bfe_u32 v39, v51, 16, 1
	v_add3_u32 v39, v51, v39, s96
                                        ; implicit-def: $vgpr51
; %bb.563:                              ;   in Loop: Header=BB33_525 Depth=4
	s_andn2_saveexec_b64 s[56:57], s[56:57]
; %bb.564:                              ;   in Loop: Header=BB33_525 Depth=4
	v_or_b32_e32 v39, 0x10000, v51
	v_cmp_eq_u32_sdwa vcc, v51, v3 src0_sel:WORD_0 src1_sel:DWORD
	s_nop 1
	v_cndmask_b32_e32 v39, v39, v51, vcc
; %bb.565:                              ;   in Loop: Header=BB33_525 Depth=4
	s_or_b64 exec, exec, s[56:57]
	v_lshlrev_b32_e32 v36, 16, v36
	v_lshlrev_b32_e32 v48, 16, v48
	v_max_f32_e32 v48, v48, v48
	v_max_f32_e32 v36, v36, v36
	v_min_f32_e32 v51, v36, v48
	v_max_f32_e32 v36, v36, v48
	v_cndmask_b32_e64 v48, v36, v51, s[24:25]
	v_and_b32_e32 v36, 0x7f800000, v48
	v_cmp_ne_u32_e32 vcc, s87, v36
                                        ; implicit-def: $vgpr36
	s_and_saveexec_b64 s[56:57], vcc
	s_xor_b64 s[56:57], exec, s[56:57]
; %bb.566:                              ;   in Loop: Header=BB33_525 Depth=4
	v_bfe_u32 v36, v48, 16, 1
	v_add3_u32 v36, v48, v36, s96
                                        ; implicit-def: $vgpr48
; %bb.567:                              ;   in Loop: Header=BB33_525 Depth=4
	s_andn2_saveexec_b64 s[56:57], s[56:57]
; %bb.568:                              ;   in Loop: Header=BB33_525 Depth=4
	v_or_b32_e32 v36, 0x10000, v48
	v_cmp_eq_u32_sdwa vcc, v48, v3 src0_sel:WORD_0 src1_sel:DWORD
	s_nop 1
	v_cndmask_b32_e32 v36, v36, v48, vcc
; %bb.569:                              ;   in Loop: Header=BB33_525 Depth=4
	s_or_b64 exec, exec, s[56:57]
	v_lshlrev_b32_e32 v33, 16, v33
	v_lshlrev_b32_e32 v37, 16, v37
	v_max_f32_e32 v37, v37, v37
	v_max_f32_e32 v33, v33, v33
	v_min_f32_e32 v48, v33, v37
	v_max_f32_e32 v33, v33, v37
	v_cndmask_b32_e64 v37, v33, v48, s[24:25]
	v_and_b32_e32 v33, 0x7f800000, v37
	v_cmp_ne_u32_e32 vcc, s87, v33
                                        ; implicit-def: $vgpr33
	s_and_saveexec_b64 s[56:57], vcc
	s_xor_b64 s[56:57], exec, s[56:57]
; %bb.570:                              ;   in Loop: Header=BB33_525 Depth=4
	v_bfe_u32 v33, v37, 16, 1
	v_add3_u32 v33, v37, v33, s96
                                        ; implicit-def: $vgpr37
; %bb.571:                              ;   in Loop: Header=BB33_525 Depth=4
	s_andn2_saveexec_b64 s[56:57], s[56:57]
; %bb.572:                              ;   in Loop: Header=BB33_525 Depth=4
	v_or_b32_e32 v33, 0x10000, v37
	v_cmp_eq_u32_sdwa vcc, v37, v3 src0_sel:WORD_0 src1_sel:DWORD
	s_nop 1
	v_cndmask_b32_e32 v33, v33, v37, vcc
; %bb.573:                              ;   in Loop: Header=BB33_525 Depth=4
	s_or_b64 exec, exec, s[56:57]
	v_lshlrev_b32_e32 v27, 16, v27
	v_lshlrev_b32_e32 v34, 16, v34
	v_max_f32_e32 v34, v34, v34
	v_max_f32_e32 v27, v27, v27
	v_min_f32_e32 v37, v27, v34
	v_max_f32_e32 v27, v27, v34
	v_cndmask_b32_e64 v34, v27, v37, s[24:25]
	v_and_b32_e32 v27, 0x7f800000, v34
	v_cmp_ne_u32_e32 vcc, s87, v27
                                        ; implicit-def: $vgpr27
	s_and_saveexec_b64 s[56:57], vcc
	s_xor_b64 s[56:57], exec, s[56:57]
; %bb.574:                              ;   in Loop: Header=BB33_525 Depth=4
	v_bfe_u32 v27, v34, 16, 1
	v_add3_u32 v27, v34, v27, s96
                                        ; implicit-def: $vgpr34
; %bb.575:                              ;   in Loop: Header=BB33_525 Depth=4
	s_andn2_saveexec_b64 s[56:57], s[56:57]
; %bb.576:                              ;   in Loop: Header=BB33_525 Depth=4
	v_or_b32_e32 v27, 0x10000, v34
	v_cmp_eq_u32_sdwa vcc, v34, v3 src0_sel:WORD_0 src1_sel:DWORD
	s_nop 1
	v_cndmask_b32_e32 v27, v27, v34, vcc
; %bb.577:                              ;   in Loop: Header=BB33_525 Depth=4
	s_or_b64 exec, exec, s[56:57]
	v_lshlrev_b32_e32 v23, 16, v23
	v_lshlrev_b32_e32 v29, 16, v29
	v_max_f32_e32 v29, v29, v29
	v_max_f32_e32 v23, v23, v23
	v_min_f32_e32 v34, v23, v29
	v_max_f32_e32 v23, v23, v29
	v_cndmask_b32_e64 v29, v23, v34, s[24:25]
	v_and_b32_e32 v23, 0x7f800000, v29
	v_cmp_ne_u32_e32 vcc, s87, v23
                                        ; implicit-def: $vgpr23
	s_and_saveexec_b64 s[56:57], vcc
	s_xor_b64 s[56:57], exec, s[56:57]
; %bb.578:                              ;   in Loop: Header=BB33_525 Depth=4
	v_bfe_u32 v23, v29, 16, 1
	v_add3_u32 v23, v29, v23, s96
                                        ; implicit-def: $vgpr29
; %bb.579:                              ;   in Loop: Header=BB33_525 Depth=4
	s_andn2_saveexec_b64 s[56:57], s[56:57]
; %bb.580:                              ;   in Loop: Header=BB33_525 Depth=4
	v_or_b32_e32 v23, 0x10000, v29
	v_cmp_eq_u32_sdwa vcc, v29, v3 src0_sel:WORD_0 src1_sel:DWORD
	s_nop 1
	v_cndmask_b32_e32 v23, v23, v29, vcc
; %bb.581:                              ;   in Loop: Header=BB33_525 Depth=4
	s_or_b64 exec, exec, s[56:57]
	v_lshlrev_b32_e32 v20, 16, v20
	v_lshlrev_b32_e32 v25, 16, v25
	v_max_f32_e32 v25, v25, v25
	v_max_f32_e32 v20, v20, v20
	v_min_f32_e32 v29, v20, v25
	v_max_f32_e32 v20, v20, v25
	v_cndmask_b32_e64 v25, v20, v29, s[24:25]
	v_and_b32_e32 v20, 0x7f800000, v25
	v_cmp_ne_u32_e32 vcc, s87, v20
                                        ; implicit-def: $vgpr20
	s_and_saveexec_b64 s[56:57], vcc
	s_xor_b64 s[56:57], exec, s[56:57]
; %bb.582:                              ;   in Loop: Header=BB33_525 Depth=4
	v_bfe_u32 v20, v25, 16, 1
	v_add3_u32 v20, v25, v20, s96
                                        ; implicit-def: $vgpr25
; %bb.583:                              ;   in Loop: Header=BB33_525 Depth=4
	s_andn2_saveexec_b64 s[56:57], s[56:57]
; %bb.584:                              ;   in Loop: Header=BB33_525 Depth=4
	v_or_b32_e32 v20, 0x10000, v25
	v_cmp_eq_u32_sdwa vcc, v25, v3 src0_sel:WORD_0 src1_sel:DWORD
	s_nop 1
	v_cndmask_b32_e32 v20, v20, v25, vcc
; %bb.585:                              ;   in Loop: Header=BB33_525 Depth=4
	s_or_b64 exec, exec, s[56:57]
	v_lshlrev_b32_e32 v18, 16, v18
	v_lshlrev_b32_e32 v21, 16, v21
	v_max_f32_e32 v21, v21, v21
	v_max_f32_e32 v18, v18, v18
	v_min_f32_e32 v25, v18, v21
	v_max_f32_e32 v18, v18, v21
	v_cndmask_b32_e64 v21, v18, v25, s[24:25]
	v_and_b32_e32 v18, 0x7f800000, v21
	v_cmp_ne_u32_e32 vcc, s87, v18
                                        ; implicit-def: $vgpr18
	s_and_saveexec_b64 s[56:57], vcc
	s_xor_b64 s[56:57], exec, s[56:57]
; %bb.586:                              ;   in Loop: Header=BB33_525 Depth=4
	v_bfe_u32 v18, v21, 16, 1
	v_add3_u32 v18, v21, v18, s96
                                        ; implicit-def: $vgpr21
; %bb.587:                              ;   in Loop: Header=BB33_525 Depth=4
	s_andn2_saveexec_b64 s[56:57], s[56:57]
	s_cbranch_execz .LBB33_524
; %bb.588:                              ;   in Loop: Header=BB33_525 Depth=4
	v_or_b32_e32 v18, 0x10000, v21
	v_cmp_eq_u32_sdwa vcc, v21, v3 src0_sel:WORD_0 src1_sel:DWORD
	s_nop 1
	v_cndmask_b32_e32 v18, v18, v21, vcc
	s_branch .LBB33_524
.LBB33_589:                             ;   in Loop: Header=BB33_272 Depth=3
	s_or_b64 exec, exec, s[46:47]
.LBB33_590:                             ;   in Loop: Header=BB33_272 Depth=3
	s_or_b64 exec, exec, s[44:45]
	v_lshlrev_b32_e32 v8, 11, v17
	v_cmp_ne_u32_e32 vcc, v0, v8
	s_and_b64 exec, exec, vcc
	s_cbranch_execz .LBB33_598
; %bb.591:                              ;   in Loop: Header=BB33_272 Depth=3
	v_lshlrev_b32_e32 v5, 6, v5
	v_sub_u32_e32 v5, v15, v5
	v_lshlrev_b32_e32 v9, 6, v16
	v_sub_u32_e32 v5, v5, v9
	v_ashrrev_i32_e32 v9, 31, v5
	v_lshrrev_b32_e32 v9, 26, v9
	v_add_u32_e32 v9, v5, v9
	v_and_b32_e32 v10, 0x7fffffc0, v9
	v_sub_u32_e32 v5, v5, v10
	v_lshlrev_b32_e32 v9, 1, v9
	v_and_b32_e32 v9, 0xffffff80, v9
	v_lshlrev_b32_e32 v5, 1, v5
	v_add3_u32 v5, v9, v5, v8
	v_sub_u32_e32 v0, v0, v5
	v_cmp_lt_i32_e32 vcc, 1, v0
	s_and_b64 exec, exec, vcc
	s_cbranch_execz .LBB33_598
; %bb.592:                              ;   in Loop: Header=BB33_272 Depth=3
	s_trap 2
	ds_read_b64 v[10:11], v0
	v_add_u32_e32 v12, v5, v14
	s_and_b32 s74, s60, 1
	v_ashrrev_i32_e32 v13, 31, v12
	s_cmp_eq_u64 s[74:75], 0
	v_lshl_add_u64 v[8:9], v[12:13], 0, v[54:55]
	s_waitcnt lgkmcnt(0)
	v_lshl_add_u64 v[10:11], v[10:11], 0, v[12:13]
	v_lshl_add_u64 v[12:13], v[12:13], 0, v[64:65]
	s_mov_b64 s[44:45], 0
	s_cselect_b64 vcc, -1, 0
	s_branch .LBB33_594
.LBB33_593:                             ;   in Loop: Header=BB33_594 Depth=4
	s_or_b64 exec, exec, s[46:47]
	v_sub_u32_e32 v0, v0, v88
	v_cmp_gt_i32_e64 s[24:25], 2, v0
	flat_store_short_d16_hi v[12:13], v14 nt
	v_lshl_add_u64 v[8:9], v[8:9], 0, v[88:89]
	v_lshl_add_u64 v[10:11], v[10:11], 0, v[88:89]
	s_or_b64 s[44:45], s[24:25], s[44:45]
	v_lshl_add_u64 v[12:13], v[12:13], 0, v[88:89]
	s_andn2_b64 exec, exec, s[44:45]
	s_cbranch_execz .LBB33_598
.LBB33_594:                             ;   Parent Loop BB33_47 Depth=1
                                        ;     Parent Loop BB33_269 Depth=2
                                        ;       Parent Loop BB33_272 Depth=3
                                        ; =>      This Inner Loop Header: Depth=4
	flat_load_ushort v5, v[10:11] nt
	flat_load_ushort v14, v[8:9] nt
	s_waitcnt vmcnt(0) lgkmcnt(0)
	v_lshlrev_b32_e32 v5, 16, v5
	v_lshlrev_b32_e32 v14, 16, v14
	v_max_f32_e32 v5, v5, v5
	v_max_f32_e32 v14, v14, v14
	v_min_f32_e32 v15, v14, v5
	v_max_f32_e32 v5, v14, v5
	v_cndmask_b32_e32 v5, v5, v15, vcc
	v_and_b32_e32 v14, 0x7f800000, v5
	v_cmp_ne_u32_e64 s[24:25], s87, v14
                                        ; implicit-def: $vgpr14
	s_and_saveexec_b64 s[46:47], s[24:25]
	s_xor_b64 s[24:25], exec, s[46:47]
; %bb.595:                              ;   in Loop: Header=BB33_594 Depth=4
	v_bfe_u32 v14, v5, 16, 1
	v_add3_u32 v14, v5, v14, s96
                                        ; implicit-def: $vgpr5
; %bb.596:                              ;   in Loop: Header=BB33_594 Depth=4
	s_andn2_saveexec_b64 s[46:47], s[24:25]
	s_cbranch_execz .LBB33_593
; %bb.597:                              ;   in Loop: Header=BB33_594 Depth=4
	v_or_b32_e32 v14, 0x10000, v5
	v_cmp_eq_u32_sdwa s[24:25], v5, v3 src0_sel:WORD_0 src1_sel:DWORD
	s_nop 1
	v_cndmask_b32_e64 v14, v14, v5, s[24:25]
	s_branch .LBB33_593
.LBB33_598:                             ;   in Loop: Header=BB33_272 Depth=3
	s_or_b64 exec, exec, s[26:27]
	v_cmp_lt_i32_e64 s[24:25], 0, v2
	s_and_saveexec_b64 s[26:27], s[4:5]
	s_cbranch_execz .LBB33_347
.LBB33_599:                             ;   in Loop: Header=BB33_272 Depth=3
	s_and_saveexec_b64 s[44:45], s[76:77]
	s_xor_b64 s[44:45], exec, s[44:45]
	s_cbranch_execz .LBB33_614
; %bb.600:                              ;   in Loop: Header=BB33_272 Depth=3
	s_and_saveexec_b64 s[46:47], s[12:13]
	s_cbranch_execz .LBB33_613
; %bb.601:                              ;   in Loop: Header=BB33_272 Depth=3
	s_mov_b64 s[58:59], exec
	v_mbcnt_lo_u32_b32 v0, s58, 0
	v_mbcnt_hi_u32_b32 v0, s59, v0
	v_cmp_eq_u32_e32 vcc, 0, v0
	s_waitcnt lgkmcnt(0)
	s_and_saveexec_b64 s[56:57], vcc
	s_cbranch_execz .LBB33_603
; %bb.602:                              ;   in Loop: Header=BB33_272 Depth=3
	s_bcnt1_i32_b64 s58, s[58:59]
	v_mov_b32_e32 v2, s58
	ds_add_u64 v0, v[2:3]
	s_trap 2
.LBB33_603:                             ;   in Loop: Header=BB33_272 Depth=3
	s_or_b64 exec, exec, s[56:57]
	s_trap 2
	ds_read_b64 v[8:9], v0
	s_waitcnt lgkmcnt(0)
	v_lshl_add_u64 v[46:47], v[46:47], 0, v[60:61]
	v_cmp_lt_u64_e32 vcc, v[8:9], v[46:47]
	s_and_saveexec_b64 s[56:57], vcc
	s_cbranch_execz .LBB33_612
; %bb.604:                              ;   in Loop: Header=BB33_272 Depth=3
	s_mov_b32 s73, 0
	s_mov_b64 s[58:59], 0
                                        ; implicit-def: $sgpr60_sgpr61
                                        ; implicit-def: $sgpr38_sgpr39
	s_branch .LBB33_606
.LBB33_605:                             ;   in Loop: Header=BB33_606 Depth=4
	s_or_b64 exec, exec, s[50:51]
	s_and_b64 vcc, exec, vcc
	s_or_b64 s[58:59], vcc, s[58:59]
	s_andn2_b64 s[60:61], s[60:61], exec
	s_and_b64 vcc, s[38:39], exec
	s_or_b64 s[60:61], s[60:61], vcc
	s_andn2_b64 exec, exec, s[58:59]
	s_cbranch_execz .LBB33_610
.LBB33_606:                             ;   Parent Loop BB33_47 Depth=1
                                        ;     Parent Loop BB33_269 Depth=2
                                        ;       Parent Loop BB33_272 Depth=3
                                        ; =>      This Inner Loop Header: Depth=4
	s_add_i32 s73, s73, 1
	s_cmpk_lg_i32 s73, 0x2710
	s_cselect_b64 s[48:49], -1, 0
	s_and_b64 vcc, exec, s[48:49]
	s_cbranch_vccz .LBB33_608
; %bb.607:                              ;   in Loop: Header=BB33_606 Depth=4
	s_mov_b64 vcc, -1
	s_or_b64 s[38:39], s[38:39], exec
	s_and_saveexec_b64 s[50:51], s[48:49]
	s_cbranch_execz .LBB33_605
	s_branch .LBB33_609
.LBB33_608:                             ;   in Loop: Header=BB33_606 Depth=4
	s_trap 2
	ds_read_b64 v[8:9], v0
	s_andn2_b64 s[48:49], s[48:49], exec
	s_mov_b32 s73, 0
	s_waitcnt vmcnt(0) lgkmcnt(0)
	flat_load_dword v0, v[8:9] sc0 sc1
	s_waitcnt vmcnt(0) lgkmcnt(0)
	buffer_inv sc0 sc1
	v_cmp_eq_u32_e32 vcc, 0, v0
	s_and_b64 vcc, vcc, exec
	s_or_b64 s[48:49], s[48:49], vcc
	s_mov_b64 vcc, -1
	s_or_b64 s[38:39], s[38:39], exec
	s_and_saveexec_b64 s[50:51], s[48:49]
	s_cbranch_execz .LBB33_605
.LBB33_609:                             ;   in Loop: Header=BB33_606 Depth=4
	s_sleep 1
	s_trap 2
	ds_read_b64 v[8:9], v0
	s_waitcnt lgkmcnt(0)
	s_andn2_b64 s[38:39], s[38:39], exec
	v_cmp_ge_u64_e32 vcc, v[8:9], v[46:47]
	s_orn2_b64 vcc, vcc, exec
	s_branch .LBB33_605
.LBB33_610:                             ;   in Loop: Header=BB33_272 Depth=3
	s_or_b64 exec, exec, s[58:59]
	s_and_saveexec_b64 s[58:59], s[60:61]
	s_xor_b64 s[58:59], exec, s[58:59]
	s_cbranch_execz .LBB33_612
; %bb.611:                              ;   in Loop: Header=BB33_272 Depth=3
	ds_write_b32 v0, v1
	s_trap 2
.LBB33_612:                             ;   in Loop: Header=BB33_272 Depth=3
	s_or_b64 exec, exec, s[56:57]
	;;#ASMSTART
	s_wakeup
	;;#ASMEND
.LBB33_613:                             ;   in Loop: Header=BB33_272 Depth=3
	s_or_b64 exec, exec, s[46:47]
.LBB33_614:                             ;   in Loop: Header=BB33_272 Depth=3
	s_andn2_saveexec_b64 s[44:45], s[44:45]
	s_cbranch_execz .LBB33_616
; %bb.615:                              ;   in Loop: Header=BB33_272 Depth=3
	s_waitcnt lgkmcnt(0)
	s_barrier
.LBB33_616:                             ;   in Loop: Header=BB33_272 Depth=3
	s_or_b64 exec, exec, s[44:45]
	s_or_b64 exec, exec, s[26:27]
                                        ; implicit-def: $vgpr0
	s_and_saveexec_b64 s[26:27], s[20:21]
	s_xor_b64 s[26:27], exec, s[26:27]
	s_cbranch_execnz .LBB33_348
.LBB33_617:                             ;   in Loop: Header=BB33_272 Depth=3
	s_andn2_saveexec_b64 s[24:25], s[26:27]
	s_cbranch_execz .LBB33_636
.LBB33_618:                             ;   in Loop: Header=BB33_272 Depth=3
	s_and_saveexec_b64 s[26:27], s[76:77]
	s_xor_b64 s[26:27], exec, s[26:27]
	s_cbranch_execz .LBB33_633
; %bb.619:                              ;   in Loop: Header=BB33_272 Depth=3
	s_and_saveexec_b64 s[44:45], s[12:13]
	s_cbranch_execz .LBB33_632
; %bb.620:                              ;   in Loop: Header=BB33_272 Depth=3
	s_mov_b64 s[56:57], exec
	v_mbcnt_lo_u32_b32 v0, s56, 0
	v_mbcnt_hi_u32_b32 v0, s57, v0
	v_cmp_eq_u32_e32 vcc, 0, v0
	;;#ASMSTART
	s_waitcnt lgkmcnt(0) vmcnt(0)
	;;#ASMEND
	s_and_saveexec_b64 s[46:47], vcc
	s_cbranch_execz .LBB33_622
; %bb.621:                              ;   in Loop: Header=BB33_272 Depth=3
	s_bcnt1_i32_b64 s56, s[56:57]
	v_mov_b32_e32 v2, s56
	s_waitcnt lgkmcnt(0)
	ds_add_u64 v0, v[2:3]
	s_trap 2
.LBB33_622:                             ;   in Loop: Header=BB33_272 Depth=3
	s_or_b64 exec, exec, s[46:47]
	s_trap 2
	ds_read_b64 v[8:9], v0
	s_waitcnt lgkmcnt(0)
	v_lshl_add_u64 v[46:47], v[46:47], 0, v[60:61]
	v_cmp_lt_u64_e32 vcc, v[8:9], v[46:47]
	s_and_saveexec_b64 s[46:47], vcc
	s_cbranch_execz .LBB33_631
; %bb.623:                              ;   in Loop: Header=BB33_272 Depth=3
	s_mov_b32 s73, 0
	s_mov_b64 s[56:57], 0
                                        ; implicit-def: $sgpr58_sgpr59
                                        ; implicit-def: $sgpr60_sgpr61
	s_branch .LBB33_625
.LBB33_624:                             ;   in Loop: Header=BB33_625 Depth=4
	s_or_b64 exec, exec, s[48:49]
	s_and_b64 vcc, exec, vcc
	s_or_b64 s[56:57], vcc, s[56:57]
	s_andn2_b64 s[58:59], s[58:59], exec
	s_and_b64 vcc, s[60:61], exec
	s_or_b64 s[58:59], s[58:59], vcc
	s_andn2_b64 exec, exec, s[56:57]
	s_cbranch_execz .LBB33_629
.LBB33_625:                             ;   Parent Loop BB33_47 Depth=1
                                        ;     Parent Loop BB33_269 Depth=2
                                        ;       Parent Loop BB33_272 Depth=3
                                        ; =>      This Inner Loop Header: Depth=4
	s_add_i32 s73, s73, 1
	s_cmpk_lg_i32 s73, 0x2710
	s_cselect_b64 s[38:39], -1, 0
	s_and_b64 vcc, exec, s[38:39]
	s_cbranch_vccz .LBB33_627
; %bb.626:                              ;   in Loop: Header=BB33_625 Depth=4
	s_mov_b64 vcc, -1
	s_or_b64 s[60:61], s[60:61], exec
	s_and_saveexec_b64 s[48:49], s[38:39]
	s_cbranch_execz .LBB33_624
	s_branch .LBB33_628
.LBB33_627:                             ;   in Loop: Header=BB33_625 Depth=4
	s_trap 2
	ds_read_b64 v[8:9], v0
	s_andn2_b64 s[38:39], s[38:39], exec
	s_mov_b32 s73, 0
	s_waitcnt vmcnt(0) lgkmcnt(0)
	flat_load_dword v0, v[8:9] sc0 sc1
	s_waitcnt vmcnt(0) lgkmcnt(0)
	buffer_inv sc0 sc1
	v_cmp_eq_u32_e32 vcc, 0, v0
	s_and_b64 vcc, vcc, exec
	s_or_b64 s[38:39], s[38:39], vcc
	s_mov_b64 vcc, -1
	s_or_b64 s[60:61], s[60:61], exec
	s_and_saveexec_b64 s[48:49], s[38:39]
	s_cbranch_execz .LBB33_624
.LBB33_628:                             ;   in Loop: Header=BB33_625 Depth=4
	s_sleep 1
	s_trap 2
	ds_read_b64 v[8:9], v0
	s_waitcnt lgkmcnt(0)
	s_andn2_b64 s[60:61], s[60:61], exec
	v_cmp_ge_u64_e32 vcc, v[8:9], v[46:47]
	s_orn2_b64 vcc, vcc, exec
	s_branch .LBB33_624
.LBB33_629:                             ;   in Loop: Header=BB33_272 Depth=3
	s_or_b64 exec, exec, s[56:57]
	s_and_saveexec_b64 s[56:57], s[58:59]
	s_xor_b64 s[56:57], exec, s[56:57]
	s_cbranch_execz .LBB33_631
; %bb.630:                              ;   in Loop: Header=BB33_272 Depth=3
	ds_write_b32 v0, v1
	s_trap 2
.LBB33_631:                             ;   in Loop: Header=BB33_272 Depth=3
	s_or_b64 exec, exec, s[46:47]
	;;#ASMSTART
	s_wakeup
	;;#ASMEND
.LBB33_632:                             ;   in Loop: Header=BB33_272 Depth=3
	s_or_b64 exec, exec, s[44:45]
.LBB33_633:                             ;   in Loop: Header=BB33_272 Depth=3
	s_andn2_saveexec_b64 s[26:27], s[26:27]
	s_cbranch_execz .LBB33_635
; %bb.634:                              ;   in Loop: Header=BB33_272 Depth=3
	;;#ASMSTART
	s_waitcnt lgkmcnt(0) vmcnt(0)
	;;#ASMEND
	s_barrier
.LBB33_635:                             ;   in Loop: Header=BB33_272 Depth=3
	s_or_b64 exec, exec, s[26:27]
	v_and_b32_e32 v0, 16, v58
.LBB33_636:                             ;   in Loop: Header=BB33_272 Depth=3
	s_or_b64 exec, exec, s[24:25]
	v_cmp_ne_u32_e32 vcc, 0, v0
	s_xor_b64 s[24:25], s[6:7], -1
	s_and_b64 s[26:27], vcc, s[24:25]
	s_and_saveexec_b64 s[24:25], s[26:27]
	s_cbranch_execz .LBB33_638
; %bb.637:                              ;   in Loop: Header=BB33_272 Depth=3
	flat_store_dword v[44:45], v1 sc0 sc1
.LBB33_638:                             ;   in Loop: Header=BB33_272 Depth=3
	s_or_b64 exec, exec, s[24:25]
	v_and_b32_e32 v0, 48, v58
	v_cmp_ne_u32_e32 vcc, 0, v0
	s_and_saveexec_b64 s[24:25], vcc
	s_cbranch_execz .LBB33_271
; %bb.639:                              ;   in Loop: Header=BB33_272 Depth=3
	v_lshl_add_u64 v[116:117], v[116:117], 0, 2
	flat_store_dwordx2 v[40:41], v[116:117] sc0 sc1
	s_branch .LBB33_271
.LBB33_640:                             ;   in Loop: Header=BB33_269 Depth=2
	s_or_b64 exec, exec, s[40:41]
.LBB33_641:                             ;   in Loop: Header=BB33_269 Depth=2
	s_or_b64 exec, exec, s[28:29]
	v_cmp_gt_i32_e32 vcc, 2, v0
	s_and_saveexec_b64 s[26:27], vcc
	s_cbranch_execz .LBB33_268
; %bb.642:                              ;   in Loop: Header=BB33_269 Depth=2
	v_cmp_eq_u32_e64 s[40:41], 0, v0
	s_mov_b64 s[28:29], 0
	s_branch .LBB33_644
.LBB33_643:                             ;   in Loop: Header=BB33_644 Depth=3
	s_or_b64 exec, exec, s[24:25]
	v_add_u32_e32 v28, v4, v28
	s_mov_b64 s[40:41], 0
	s_andn2_b64 exec, exec, s[28:29]
	s_cbranch_execz .LBB33_267
.LBB33_644:                             ;   Parent Loop BB33_47 Depth=1
                                        ;     Parent Loop BB33_269 Depth=2
                                        ; =>    This Loop Header: Depth=3
                                        ;         Child Loop BB33_650 Depth 4
                                        ;         Child Loop BB33_678 Depth 4
	;; [unrolled: 1-line block ×3, first 2 shown]
	v_sub_u32_e32 v0, v31, v28
	v_min_i32_e32 v4, v4, v0
	v_and_b32_e32 v0, 12, v58
	v_cmp_ne_u32_e32 vcc, 0, v0
	s_and_saveexec_b64 s[42:43], vcc
	s_cbranch_execz .LBB33_670
; %bb.645:                              ;   in Loop: Header=BB33_644 Depth=3
	v_and_b32_e32 v2, 8, v58
	s_waitcnt vmcnt(0) lgkmcnt(0)
	v_lshl_add_u64 v[10:11], v[56:57], 0, v[2:3]
	v_lshl_add_u64 v[8:9], v[116:117], 0, 2
	v_cmp_lt_u64_e32 vcc, v[10:11], v[8:9]
	s_and_saveexec_b64 s[44:45], vcc
	s_cbranch_execz .LBB33_657
; %bb.646:                              ;   in Loop: Header=BB33_644 Depth=3
	v_and_b32_e32 v0, 64, v58
	s_mov_b32 s63, 0
	v_cmp_eq_u32_e32 vcc, 0, v0
	s_mov_b64 s[46:47], 0
                                        ; implicit-def: $sgpr56_sgpr57
                                        ; implicit-def: $sgpr58_sgpr59
                                        ; implicit-def: $sgpr60_sgpr61
	s_branch .LBB33_650
.LBB33_647:                             ;   in Loop: Header=BB33_650 Depth=4
	s_waitcnt vmcnt(0) lgkmcnt(0)
	v_lshl_add_u64 v[10:11], v[56:57], 0, v[2:3]
	v_cmp_ge_u64_e64 s[24:25], v[10:11], v[8:9]
	s_or_b64 s[50:51], s[50:51], exec
	s_orn2_b64 s[48:49], s[24:25], exec
.LBB33_648:                             ;   in Loop: Header=BB33_650 Depth=4
	s_or_b64 exec, exec, s[54:55]
	s_andn2_b64 s[24:25], s[60:61], exec
	s_and_b64 s[60:61], s[50:51], exec
	s_or_b64 s[60:61], s[24:25], s[60:61]
	s_andn2_b64 s[24:25], s[58:59], exec
	s_and_b64 s[58:59], s[48:49], exec
	s_or_b64 s[58:59], s[24:25], s[58:59]
.LBB33_649:                             ;   in Loop: Header=BB33_650 Depth=4
	s_or_b64 exec, exec, s[38:39]
	s_and_b64 s[24:25], exec, s[58:59]
	s_or_b64 s[46:47], s[24:25], s[46:47]
	s_andn2_b64 s[24:25], s[56:57], exec
	s_and_b64 s[56:57], s[60:61], exec
	s_or_b64 s[56:57], s[24:25], s[56:57]
	s_andn2_b64 exec, exec, s[46:47]
	s_cbranch_execz .LBB33_654
.LBB33_650:                             ;   Parent Loop BB33_47 Depth=1
                                        ;     Parent Loop BB33_269 Depth=2
                                        ;       Parent Loop BB33_644 Depth=3
                                        ; =>      This Inner Loop Header: Depth=4
	s_sleep 1
	s_waitcnt vmcnt(0) lgkmcnt(0)
	flat_load_dwordx2 v[56:57], v[40:41] sc0 sc1
	s_or_b64 s[60:61], s[60:61], exec
	s_or_b64 s[58:59], s[58:59], exec
                                        ; implicit-def: $vgpr0
	s_and_saveexec_b64 s[38:39], vcc
	s_cbranch_execz .LBB33_649
; %bb.651:                              ;   in Loop: Header=BB33_650 Depth=4
	s_cmpk_lt_i32 s63, 0x270f
	s_cselect_b64 s[52:53], -1, 0
	s_cmpk_gt_i32 s63, 0x270e
	s_mov_b64 s[48:49], -1
	s_cbranch_scc0 .LBB33_653
; %bb.652:                              ;   in Loop: Header=BB33_650 Depth=4
	s_trap 2
	ds_read_b64 v[10:11], v0
	s_andn2_b64 s[52:53], s[52:53], exec
	s_mov_b32 s63, 0
	s_mov_b64 s[50:51], 0
	s_waitcnt vmcnt(0) lgkmcnt(0)
	flat_load_dword v0, v[10:11] sc0 sc1
	s_waitcnt vmcnt(0) lgkmcnt(0)
	buffer_inv sc0 sc1
	v_cmp_eq_u32_e64 s[24:25], 0, v0
	s_and_b64 s[24:25], s[24:25], exec
	s_or_b64 s[52:53], s[52:53], s[24:25]
	s_and_saveexec_b64 s[54:55], s[52:53]
	s_cbranch_execz .LBB33_648
	s_branch .LBB33_647
.LBB33_653:                             ;   in Loop: Header=BB33_650 Depth=4
	s_add_i32 s63, s63, 1
	s_mov_b64 s[50:51], -1
                                        ; implicit-def: $vgpr0
	s_and_saveexec_b64 s[54:55], s[52:53]
	s_cbranch_execz .LBB33_648
	s_branch .LBB33_647
.LBB33_654:                             ;   in Loop: Header=BB33_644 Depth=3
	s_or_b64 exec, exec, s[46:47]
	s_xor_b64 s[24:25], s[56:57], -1
	s_and_saveexec_b64 s[46:47], s[24:25]
	s_xor_b64 s[24:25], exec, s[46:47]
	s_cbranch_execz .LBB33_656
; %bb.655:                              ;   in Loop: Header=BB33_644 Depth=3
	v_or_b32_e32 v58, 64, v58
	s_waitcnt lgkmcnt(0)
	ds_write_b32 v0, v0
	s_trap 2
.LBB33_656:                             ;   in Loop: Header=BB33_644 Depth=3
	s_or_b64 exec, exec, s[24:25]
.LBB33_657:                             ;   in Loop: Header=BB33_644 Depth=3
	s_or_b64 exec, exec, s[44:45]
	v_and_b32_e32 v0, 0x108, v58
	v_cmp_ne_u32_e32 vcc, s86, v0
	;;#ASMSTART
	s_wakeup
	;;#ASMEND
                                        ; implicit-def: $vgpr10_vgpr11
	s_and_saveexec_b64 s[24:25], vcc
	s_xor_b64 s[24:25], exec, s[24:25]
; %bb.658:                              ;   in Loop: Header=BB33_644 Depth=3
	v_and_b32_e32 v10, 7, v116
	v_mov_b32_e32 v11, v3
                                        ; implicit-def: $vgpr116_vgpr117
; %bb.659:                              ;   in Loop: Header=BB33_644 Depth=3
	s_andn2_saveexec_b64 s[24:25], s[24:25]
	s_cbranch_execz .LBB33_661
; %bb.660:                              ;   in Loop: Header=BB33_644 Depth=3
	v_and_b32_e32 v10, 7, v116
	v_ashrrev_i32_e32 v5, 31, v4
	v_mov_b32_e32 v11, v3
	v_mad_u64_u32 v[12:13], s[44:45], v10, 24, v[6:7]
	v_lshlrev_b64 v[14:15], 1, v[4:5]
	flat_store_dwordx2 v[12:13], v[14:15] offset:8
.LBB33_661:                             ;   in Loop: Header=BB33_644 Depth=3
	s_or_b64 exec, exec, s[24:25]
	v_and_b32_e32 v0, 0x100, v58
	v_cmp_ne_u32_e32 vcc, 0, v0
	s_mov_b64 s[24:25], -1
                                        ; implicit-def: $vgpr12_vgpr13
	s_and_saveexec_b64 s[44:45], vcc
	s_cbranch_execz .LBB33_665
; %bb.662:                              ;   in Loop: Header=BB33_644 Depth=3
	v_mad_u64_u32 v[14:15], s[24:25], v10, 24, v[6:7]
	v_mov_b32_e32 v0, v15
	v_mad_u64_u32 v[12:13], s[24:25], v11, 24, v[0:1]
	v_mov_b32_e32 v15, v12
	flat_load_dword v0, v[14:15]
                                        ; implicit-def: $vgpr12_vgpr13
	s_waitcnt vmcnt(0) lgkmcnt(0)
	v_cmp_ne_u32_e32 vcc, 1, v0
	v_cmp_eq_u32_e64 s[24:25], 1, v0
	s_and_saveexec_b64 s[46:47], s[24:25]
	s_cbranch_execz .LBB33_664
; %bb.663:                              ;   in Loop: Header=BB33_644 Depth=3
	flat_load_dword v12, v[14:15] offset:4 sc0 sc1
	s_waitcnt vmcnt(0) lgkmcnt(0)
	v_ashrrev_i32_e32 v13, 31, v12
	v_lshrrev_b64 v[12:13], 1, v[12:13]
.LBB33_664:                             ;   in Loop: Header=BB33_644 Depth=3
	s_or_b64 exec, exec, s[46:47]
	s_orn2_b64 s[24:25], vcc, exec
.LBB33_665:                             ;   in Loop: Header=BB33_644 Depth=3
	s_or_b64 exec, exec, s[44:45]
	s_and_saveexec_b64 s[44:45], s[24:25]
; %bb.666:                              ;   in Loop: Header=BB33_644 Depth=3
	v_ashrrev_i32_e32 v5, 31, v30
	v_mul_lo_u32 v0, v11, v30
	v_mul_lo_u32 v5, v10, v5
	v_mad_u64_u32 v[12:13], s[24:25], v10, v30, 0
	v_add3_u32 v13, v13, v5, v0
; %bb.667:                              ;   in Loop: Header=BB33_644 Depth=3
	s_or_b64 exec, exec, s[44:45]
	v_cmp_eq_u32_e32 vcc, 0, v2
	v_lshl_add_u64 v[10:11], v[12:13], 1, v[42:43]
	s_nop 0
	v_cndmask_b32_e32 v0, v102, v103, vcc
	v_add_u32_e32 v0, v0, v0
	ds_write_b64 v0, v[10:11] offset:584
	v_and_b32_e32 v0, 0x2000, v58
	v_cmp_ne_u32_e32 vcc, 0, v0
	s_and_saveexec_b64 s[24:25], vcc
	s_cbranch_execz .LBB33_669
; %bb.668:                              ;   in Loop: Header=BB33_644 Depth=3
	ds_read_b64 v[10:11], v0 offset:872
	s_waitcnt lgkmcnt(0)
	v_lshl_add_u64 v[10:11], v[10:11], 0, 1
	ds_write_b64 v0, v[10:11] offset:872
.LBB33_669:                             ;   in Loop: Header=BB33_644 Depth=3
	s_or_b64 exec, exec, s[24:25]
	v_mov_b64_e32 v[116:117], v[8:9]
.LBB33_670:                             ;   in Loop: Header=BB33_644 Depth=3
	s_or_b64 exec, exec, s[42:43]
	s_xor_b64 s[24:25], s[40:41], -1
	s_and_b64 s[24:25], exec, s[24:25]
	s_or_b64 s[28:29], s[24:25], s[28:29]
	s_and_saveexec_b64 s[24:25], s[4:5]
	s_cbranch_execz .LBB33_689
; %bb.671:                              ;   in Loop: Header=BB33_644 Depth=3
	s_and_saveexec_b64 s[40:41], s[76:77]
	s_xor_b64 s[40:41], exec, s[40:41]
	s_cbranch_execz .LBB33_686
; %bb.672:                              ;   in Loop: Header=BB33_644 Depth=3
	s_and_saveexec_b64 s[42:43], s[12:13]
	s_cbranch_execz .LBB33_685
; %bb.673:                              ;   in Loop: Header=BB33_644 Depth=3
	s_mov_b64 s[46:47], exec
	v_mbcnt_lo_u32_b32 v0, s46, 0
	v_mbcnt_hi_u32_b32 v0, s47, v0
	v_cmp_eq_u32_e32 vcc, 0, v0
	s_waitcnt lgkmcnt(0)
	s_and_saveexec_b64 s[44:45], vcc
	s_cbranch_execz .LBB33_675
; %bb.674:                              ;   in Loop: Header=BB33_644 Depth=3
	s_bcnt1_i32_b64 s46, s[46:47]
	v_mov_b32_e32 v2, s46
	ds_add_u64 v0, v[2:3]
	s_trap 2
.LBB33_675:                             ;   in Loop: Header=BB33_644 Depth=3
	s_or_b64 exec, exec, s[44:45]
	s_trap 2
	ds_read_b64 v[8:9], v0
	s_waitcnt lgkmcnt(0)
	v_lshl_add_u64 v[46:47], v[46:47], 0, v[60:61]
	v_cmp_lt_u64_e32 vcc, v[8:9], v[46:47]
	s_and_saveexec_b64 s[44:45], vcc
	s_cbranch_execz .LBB33_684
; %bb.676:                              ;   in Loop: Header=BB33_644 Depth=3
	s_mov_b32 s63, 0
	s_mov_b64 s[46:47], 0
                                        ; implicit-def: $sgpr56_sgpr57
                                        ; implicit-def: $sgpr58_sgpr59
	s_branch .LBB33_678
.LBB33_677:                             ;   in Loop: Header=BB33_678 Depth=4
	s_or_b64 exec, exec, s[38:39]
	s_and_b64 s[60:61], exec, vcc
	s_or_b64 s[46:47], s[60:61], s[46:47]
	s_andn2_b64 s[56:57], s[56:57], exec
	s_and_b64 s[60:61], s[58:59], exec
	s_or_b64 s[56:57], s[56:57], s[60:61]
	s_andn2_b64 exec, exec, s[46:47]
	s_cbranch_execz .LBB33_682
.LBB33_678:                             ;   Parent Loop BB33_47 Depth=1
                                        ;     Parent Loop BB33_269 Depth=2
                                        ;       Parent Loop BB33_644 Depth=3
                                        ; =>      This Inner Loop Header: Depth=4
	s_add_i32 s63, s63, 1
	s_cmpk_lg_i32 s63, 0x2710
	s_cselect_b64 s[60:61], -1, 0
	s_and_b64 vcc, exec, s[60:61]
	s_cbranch_vccz .LBB33_680
; %bb.679:                              ;   in Loop: Header=BB33_678 Depth=4
	s_mov_b64 vcc, -1
	s_or_b64 s[58:59], s[58:59], exec
	s_and_saveexec_b64 s[38:39], s[60:61]
	s_cbranch_execz .LBB33_677
	s_branch .LBB33_681
.LBB33_680:                             ;   in Loop: Header=BB33_678 Depth=4
	s_trap 2
	ds_read_b64 v[8:9], v0
	s_andn2_b64 s[60:61], s[60:61], exec
	s_mov_b32 s63, 0
	s_waitcnt vmcnt(0) lgkmcnt(0)
	flat_load_dword v0, v[8:9] sc0 sc1
	s_waitcnt vmcnt(0) lgkmcnt(0)
	buffer_inv sc0 sc1
	v_cmp_eq_u32_e32 vcc, 0, v0
	s_and_b64 vcc, vcc, exec
	s_or_b64 s[60:61], s[60:61], vcc
	s_mov_b64 vcc, -1
	s_or_b64 s[58:59], s[58:59], exec
	s_and_saveexec_b64 s[38:39], s[60:61]
	s_cbranch_execz .LBB33_677
.LBB33_681:                             ;   in Loop: Header=BB33_678 Depth=4
	s_sleep 1
	s_trap 2
	ds_read_b64 v[8:9], v0
	s_waitcnt lgkmcnt(0)
	s_andn2_b64 s[58:59], s[58:59], exec
	v_cmp_ge_u64_e32 vcc, v[8:9], v[46:47]
	s_orn2_b64 vcc, vcc, exec
	s_branch .LBB33_677
.LBB33_682:                             ;   in Loop: Header=BB33_644 Depth=3
	s_or_b64 exec, exec, s[46:47]
	s_and_saveexec_b64 s[46:47], s[56:57]
	s_xor_b64 s[46:47], exec, s[46:47]
	s_cbranch_execz .LBB33_684
; %bb.683:                              ;   in Loop: Header=BB33_644 Depth=3
	ds_write_b32 v0, v1
	s_trap 2
.LBB33_684:                             ;   in Loop: Header=BB33_644 Depth=3
	s_or_b64 exec, exec, s[44:45]
	;;#ASMSTART
	s_wakeup
	;;#ASMEND
.LBB33_685:                             ;   in Loop: Header=BB33_644 Depth=3
	s_or_b64 exec, exec, s[42:43]
.LBB33_686:                             ;   in Loop: Header=BB33_644 Depth=3
	s_andn2_saveexec_b64 s[40:41], s[40:41]
	s_cbranch_execz .LBB33_688
; %bb.687:                              ;   in Loop: Header=BB33_644 Depth=3
	s_waitcnt lgkmcnt(0)
	s_barrier
.LBB33_688:                             ;   in Loop: Header=BB33_644 Depth=3
	s_or_b64 exec, exec, s[40:41]
.LBB33_689:                             ;   in Loop: Header=BB33_644 Depth=3
	s_or_b64 exec, exec, s[24:25]
                                        ; implicit-def: $vgpr0
	s_and_saveexec_b64 s[24:25], s[30:31]
	s_xor_b64 s[24:25], exec, s[24:25]
	s_cbranch_execz .LBB33_701
; %bb.690:                              ;   in Loop: Header=BB33_644 Depth=3
	s_and_saveexec_b64 s[40:41], s[76:77]
	s_xor_b64 s[40:41], exec, s[40:41]
	s_cbranch_execz .LBB33_706
; %bb.691:                              ;   in Loop: Header=BB33_644 Depth=3
	s_and_saveexec_b64 s[42:43], s[12:13]
	s_cbranch_execz .LBB33_705
; %bb.692:                              ;   in Loop: Header=BB33_644 Depth=3
	s_mov_b64 s[46:47], exec
	v_mbcnt_lo_u32_b32 v0, s46, 0
	v_mbcnt_hi_u32_b32 v0, s47, v0
	v_cmp_eq_u32_e32 vcc, 0, v0
	;;#ASMSTART
	s_waitcnt lgkmcnt(0) vmcnt(0)
	;;#ASMEND
	s_and_saveexec_b64 s[44:45], vcc
	s_cbranch_execz .LBB33_694
; %bb.693:                              ;   in Loop: Header=BB33_644 Depth=3
	s_bcnt1_i32_b64 s46, s[46:47]
	v_mov_b32_e32 v2, s46
	s_waitcnt lgkmcnt(0)
	ds_add_u64 v0, v[2:3]
	s_trap 2
.LBB33_694:                             ;   in Loop: Header=BB33_644 Depth=3
	s_or_b64 exec, exec, s[44:45]
	s_trap 2
	ds_read_b64 v[8:9], v0
	s_waitcnt lgkmcnt(0)
	v_lshl_add_u64 v[46:47], v[46:47], 0, v[60:61]
	v_cmp_lt_u64_e32 vcc, v[8:9], v[46:47]
	s_and_saveexec_b64 s[44:45], vcc
	s_cbranch_execz .LBB33_704
; %bb.695:                              ;   in Loop: Header=BB33_644 Depth=3
	s_mov_b32 s63, 0
	s_mov_b64 s[46:47], 0
                                        ; implicit-def: $sgpr56_sgpr57
                                        ; implicit-def: $sgpr58_sgpr59
	s_branch .LBB33_697
.LBB33_696:                             ;   in Loop: Header=BB33_697 Depth=4
	s_or_b64 exec, exec, s[38:39]
	s_and_b64 s[60:61], exec, vcc
	s_or_b64 s[46:47], s[60:61], s[46:47]
	s_andn2_b64 s[56:57], s[56:57], exec
	s_and_b64 s[60:61], s[58:59], exec
	s_or_b64 s[56:57], s[56:57], s[60:61]
	s_andn2_b64 exec, exec, s[46:47]
	s_cbranch_execz .LBB33_702
.LBB33_697:                             ;   Parent Loop BB33_47 Depth=1
                                        ;     Parent Loop BB33_269 Depth=2
                                        ;       Parent Loop BB33_644 Depth=3
                                        ; =>      This Inner Loop Header: Depth=4
	s_add_i32 s63, s63, 1
	s_cmpk_lg_i32 s63, 0x2710
	s_cselect_b64 s[60:61], -1, 0
	s_and_b64 vcc, exec, s[60:61]
	s_cbranch_vccz .LBB33_699
; %bb.698:                              ;   in Loop: Header=BB33_697 Depth=4
	s_mov_b64 vcc, -1
	s_or_b64 s[58:59], s[58:59], exec
	s_and_saveexec_b64 s[38:39], s[60:61]
	s_cbranch_execz .LBB33_696
	s_branch .LBB33_700
.LBB33_699:                             ;   in Loop: Header=BB33_697 Depth=4
	s_trap 2
	ds_read_b64 v[8:9], v0
	s_andn2_b64 s[60:61], s[60:61], exec
	s_mov_b32 s63, 0
	s_waitcnt vmcnt(0) lgkmcnt(0)
	flat_load_dword v0, v[8:9] sc0 sc1
	s_waitcnt vmcnt(0) lgkmcnt(0)
	buffer_inv sc0 sc1
	v_cmp_eq_u32_e32 vcc, 0, v0
	s_and_b64 vcc, vcc, exec
	s_or_b64 s[60:61], s[60:61], vcc
	s_mov_b64 vcc, -1
	s_or_b64 s[58:59], s[58:59], exec
	s_and_saveexec_b64 s[38:39], s[60:61]
	s_cbranch_execz .LBB33_696
.LBB33_700:                             ;   in Loop: Header=BB33_697 Depth=4
	s_sleep 1
	s_trap 2
	ds_read_b64 v[8:9], v0
	s_waitcnt lgkmcnt(0)
	s_andn2_b64 s[58:59], s[58:59], exec
	v_cmp_ge_u64_e32 vcc, v[8:9], v[46:47]
	s_orn2_b64 vcc, vcc, exec
	s_branch .LBB33_696
.LBB33_701:                             ;   in Loop: Header=BB33_644 Depth=3
	s_andn2_saveexec_b64 s[24:25], s[24:25]
	s_cbranch_execnz .LBB33_709
	s_branch .LBB33_712
.LBB33_702:                             ;   in Loop: Header=BB33_644 Depth=3
	s_or_b64 exec, exec, s[46:47]
	s_and_saveexec_b64 s[46:47], s[56:57]
	s_xor_b64 s[46:47], exec, s[46:47]
	s_cbranch_execz .LBB33_704
; %bb.703:                              ;   in Loop: Header=BB33_644 Depth=3
	ds_write_b32 v0, v1
	s_trap 2
.LBB33_704:                             ;   in Loop: Header=BB33_644 Depth=3
	s_or_b64 exec, exec, s[44:45]
	;;#ASMSTART
	s_wakeup
	;;#ASMEND
.LBB33_705:                             ;   in Loop: Header=BB33_644 Depth=3
	s_or_b64 exec, exec, s[42:43]
.LBB33_706:                             ;   in Loop: Header=BB33_644 Depth=3
	s_andn2_saveexec_b64 s[40:41], s[40:41]
	s_cbranch_execz .LBB33_708
; %bb.707:                              ;   in Loop: Header=BB33_644 Depth=3
	;;#ASMSTART
	s_waitcnt lgkmcnt(0) vmcnt(0)
	;;#ASMEND
	s_barrier
.LBB33_708:                             ;   in Loop: Header=BB33_644 Depth=3
	s_or_b64 exec, exec, s[40:41]
	v_and_b32_e32 v0, 16, v58
	s_andn2_saveexec_b64 s[24:25], s[24:25]
	s_cbranch_execz .LBB33_712
.LBB33_709:                             ;   in Loop: Header=BB33_644 Depth=3
	s_trap 2
	ds_read_b32 v2, v0
	v_cmp_lt_i32_e32 vcc, 0, v4
	v_and_b32_e32 v5, 16, v58
	v_and_b32_e32 v0, 16, v58
	s_waitcnt lgkmcnt(0)
	v_readfirstlane_b32 s40, v2
	s_cmp_eq_u32 s40, 0
	s_cselect_b64 s[40:41], -1, 0
	s_and_b64 s[40:41], vcc, s[40:41]
	v_cmp_ne_u32_e32 vcc, 0, v5
	s_and_b64 s[42:43], vcc, s[40:41]
	s_and_saveexec_b64 s[40:41], s[42:43]
	s_cbranch_execz .LBB33_711
; %bb.710:                              ;   in Loop: Header=BB33_644 Depth=3
	v_mov_b32_e32 v0, 1
	buffer_wbl2 sc1
	s_waitcnt vmcnt(0)
	buffer_inv sc1
.LBB33_711:                             ;   in Loop: Header=BB33_644 Depth=3
	s_or_b64 exec, exec, s[40:41]
.LBB33_712:                             ;   in Loop: Header=BB33_644 Depth=3
	s_or_b64 exec, exec, s[24:25]
	v_cmp_ne_u32_e32 vcc, 0, v0
	s_xor_b64 s[24:25], s[6:7], -1
	s_and_b64 s[40:41], vcc, s[24:25]
	s_and_saveexec_b64 s[24:25], s[40:41]
	s_cbranch_execz .LBB33_714
; %bb.713:                              ;   in Loop: Header=BB33_644 Depth=3
	flat_store_dword v[44:45], v1 sc0 sc1
.LBB33_714:                             ;   in Loop: Header=BB33_644 Depth=3
	s_or_b64 exec, exec, s[24:25]
	v_and_b32_e32 v0, 48, v58
	v_cmp_ne_u32_e32 vcc, 0, v0
	s_and_saveexec_b64 s[24:25], vcc
	s_cbranch_execz .LBB33_643
; %bb.715:                              ;   in Loop: Header=BB33_644 Depth=3
	v_lshl_add_u64 v[116:117], v[116:117], 0, 2
	flat_store_dwordx2 v[40:41], v[116:117] sc0 sc1
	s_branch .LBB33_643
.LBB33_716:                             ;   in Loop: Header=BB33_47 Depth=1
	scratch_load_dwordx2 v[10:11], off, s33 offset:192 ; 8-byte Folded Reload
	s_waitcnt vmcnt(0)
	v_mul_lo_u32 v0, v11, s66
	v_mul_lo_u32 v2, v10, s67
	v_mad_u64_u32 v[4:5], s[24:25], v10, s66, 0
	v_add3_u32 v5, v5, v2, v0
	v_sub_co_u32_e32 v8, vcc, v86, v4
	scratch_store_dwordx2 off, v[86:87], s33 offset:200 ; 8-byte Folded Spill
	s_nop 0
	v_subb_co_u32_e32 v9, vcc, v87, v5, vcc
	v_cmp_lt_i64_e32 vcc, v[10:11], v[8:9]
	v_mov_b32_e32 v0, 0
	v_mov_b32_e32 v86, 0
	v_cndmask_b32_e32 v2, v8, v10, vcc
	v_max_i32_e32 v72, 0, v2
	v_add_u32_e32 v8, 31, v72
	v_ashrrev_i32_e32 v9, 31, v8
	v_lshrrev_b32_e32 v9, 27, v9
	v_add_u32_e32 v8, v8, v9
	v_ashrrev_i32_e32 v8, 5, v8
	v_lshlrev_b32_e32 v8, 4, v8
	v_cmp_lt_i32_e32 vcc, 0, v2
	v_max_i32_e32 v84, s81, v8
	s_and_b64 s[24:25], s[34:35], vcc
	s_and_saveexec_b64 s[38:39], s[24:25]
	s_cbranch_execz .LBB33_1733
; %bb.717:                              ;   in Loop: Header=BB33_47 Depth=1
	v_lshl_add_u64 v[4:5], v[4:5], 0, v[104:105]
	s_mov_b32 s73, 1
	s_mov_b64 s[50:51], -1
	v_mov_b32_e32 v86, 0
	s_mov_b64 s[48:49], 0
	v_lshlrev_b64 v[96:97], 1, v[4:5]
	s_branch .LBB33_719
.LBB33_718:                             ;   in Loop: Header=BB33_719 Depth=2
	s_or_b64 exec, exec, s[24:25]
	v_add_u32_e32 v86, v84, v86
	v_cmp_ge_i32_e32 vcc, v86, v72
	s_xor_b64 s[24:25], s[50:51], -1
	s_or_b64 s[24:25], s[24:25], vcc
	s_and_b64 s[24:25], exec, s[24:25]
	s_or_b64 s[48:49], s[24:25], s[48:49]
	s_mov_b64 s[50:51], 0
	v_mov_b32_e32 v0, s73
	s_mov_b32 s73, 2
	s_andn2_b64 exec, exec, s[48:49]
	s_cbranch_execz .LBB33_1732
.LBB33_719:                             ;   Parent Loop BB33_47 Depth=1
                                        ; =>  This Loop Header: Depth=2
                                        ;       Child Loop BB33_727 Depth 3
                                        ;       Child Loop BB33_755 Depth 3
	;; [unrolled: 1-line block ×9, first 2 shown]
                                        ;         Child Loop BB33_1097 Depth 4
                                        ;       Child Loop BB33_1105 Depth 3
                                        ;       Child Loop BB33_1237 Depth 3
                                        ;         Child Loop BB33_1242 Depth 4
                                        ;       Child Loop BB33_1698 Depth 3
                                        ;       Child Loop BB33_1717 Depth 3
	s_and_saveexec_b64 s[24:25], s[0:1]
	s_cbranch_execz .LBB33_721
; %bb.720:                              ;   in Loop: Header=BB33_719 Depth=2
	s_trap 2
	ds_read2_b64 v[8:11], v0 offset1:1
	ds_read_b64 v[4:5], v0
	v_ashrrev_i32_e32 v87, 31, v86
	v_lshlrev_b64 v[12:13], 1, v[86:87]
	s_waitcnt lgkmcnt(0)
	v_lshl_add_u64 v[8:9], v[8:9], 0, v[96:97]
	v_lshl_add_u64 v[8:9], v[8:9], 0, v[12:13]
	ds_write_b64 v0, v[8:9]
	v_lshl_add_u64 v[8:9], v[10:11], 0, v[96:97]
	v_lshl_add_u64 v[8:9], v[8:9], 0, v[12:13]
	ds_write_b64 v0, v[8:9]
	v_lshl_add_u64 v[8:9], v[4:5], 0, v[96:97]
	v_lshl_add_u64 v[8:9], v[8:9], 0, v[12:13]
	v_cmp_ne_u64_e32 vcc, 0, v[4:5]
	s_nop 1
	v_cndmask_b32_e32 v5, 0, v9, vcc
	v_cndmask_b32_e32 v4, 0, v8, vcc
	ds_write_b64 v0, v[4:5]
.LBB33_721:                             ;   in Loop: Header=BB33_719 Depth=2
	s_or_b64 exec, exec, s[24:25]
	v_sub_u32_e32 v0, v72, v86
	v_min_i32_e32 v84, v84, v0
	v_and_b32_e32 v0, 12, v58
	v_cmp_ne_u32_e32 vcc, 0, v0
	s_and_saveexec_b64 s[26:27], vcc
	s_cbranch_execz .LBB33_747
; %bb.722:                              ;   in Loop: Header=BB33_719 Depth=2
	v_and_b32_e32 v2, 8, v58
	s_waitcnt vmcnt(0) lgkmcnt(0)
	v_lshl_add_u64 v[8:9], v[56:57], 0, v[2:3]
	v_lshl_add_u64 v[4:5], v[116:117], 0, 2
	v_cmp_lt_u64_e32 vcc, v[8:9], v[4:5]
	s_and_saveexec_b64 s[28:29], vcc
	s_cbranch_execz .LBB33_734
; %bb.723:                              ;   in Loop: Header=BB33_719 Depth=2
	v_and_b32_e32 v0, 64, v58
	s_mov_b32 s62, 0
	v_cmp_eq_u32_e32 vcc, 0, v0
	s_mov_b64 s[40:41], 0
                                        ; implicit-def: $sgpr42_sgpr43
                                        ; implicit-def: $sgpr44_sgpr45
                                        ; implicit-def: $sgpr46_sgpr47
	s_branch .LBB33_727
.LBB33_724:                             ;   in Loop: Header=BB33_727 Depth=3
	s_waitcnt vmcnt(0) lgkmcnt(0)
	v_lshl_add_u64 v[8:9], v[56:57], 0, v[2:3]
	v_cmp_ge_u64_e64 s[24:25], v[8:9], v[4:5]
	s_or_b64 s[60:61], s[60:61], exec
	s_orn2_b64 s[58:59], s[24:25], exec
.LBB33_725:                             ;   in Loop: Header=BB33_727 Depth=3
	s_or_b64 exec, exec, s[54:55]
	s_andn2_b64 s[24:25], s[46:47], exec
	s_and_b64 s[46:47], s[60:61], exec
	s_or_b64 s[46:47], s[24:25], s[46:47]
	s_andn2_b64 s[24:25], s[44:45], exec
	s_and_b64 s[44:45], s[58:59], exec
	s_or_b64 s[44:45], s[24:25], s[44:45]
.LBB33_726:                             ;   in Loop: Header=BB33_727 Depth=3
	s_or_b64 exec, exec, s[56:57]
	s_and_b64 s[24:25], exec, s[44:45]
	s_or_b64 s[40:41], s[24:25], s[40:41]
	s_andn2_b64 s[24:25], s[42:43], exec
	s_and_b64 s[42:43], s[46:47], exec
	s_or_b64 s[42:43], s[24:25], s[42:43]
	s_andn2_b64 exec, exec, s[40:41]
	s_cbranch_execz .LBB33_731
.LBB33_727:                             ;   Parent Loop BB33_47 Depth=1
                                        ;     Parent Loop BB33_719 Depth=2
                                        ; =>    This Inner Loop Header: Depth=3
	s_sleep 1
	s_waitcnt vmcnt(0) lgkmcnt(0)
	flat_load_dwordx2 v[56:57], v[40:41] sc0 sc1
	s_or_b64 s[46:47], s[46:47], exec
	s_or_b64 s[44:45], s[44:45], exec
                                        ; implicit-def: $vgpr0
	s_and_saveexec_b64 s[56:57], vcc
	s_cbranch_execz .LBB33_726
; %bb.728:                              ;   in Loop: Header=BB33_727 Depth=3
	s_cmpk_lt_i32 s62, 0x270f
	s_cselect_b64 s[52:53], -1, 0
	s_cmpk_gt_i32 s62, 0x270e
	s_mov_b64 s[58:59], -1
	s_cbranch_scc0 .LBB33_730
; %bb.729:                              ;   in Loop: Header=BB33_727 Depth=3
	s_trap 2
	ds_read_b64 v[8:9], v0
	s_andn2_b64 s[52:53], s[52:53], exec
	s_mov_b32 s62, 0
	s_mov_b64 s[60:61], 0
	s_waitcnt vmcnt(0) lgkmcnt(0)
	flat_load_dword v0, v[8:9] sc0 sc1
	s_waitcnt vmcnt(0) lgkmcnt(0)
	buffer_inv sc0 sc1
	v_cmp_eq_u32_e64 s[24:25], 0, v0
	s_and_b64 s[24:25], s[24:25], exec
	s_or_b64 s[52:53], s[52:53], s[24:25]
	s_and_saveexec_b64 s[54:55], s[52:53]
	s_cbranch_execz .LBB33_725
	s_branch .LBB33_724
.LBB33_730:                             ;   in Loop: Header=BB33_727 Depth=3
	s_add_i32 s62, s62, 1
	s_mov_b64 s[60:61], -1
                                        ; implicit-def: $vgpr0
	s_and_saveexec_b64 s[54:55], s[52:53]
	s_cbranch_execz .LBB33_725
	s_branch .LBB33_724
.LBB33_731:                             ;   in Loop: Header=BB33_719 Depth=2
	s_or_b64 exec, exec, s[40:41]
	s_xor_b64 s[24:25], s[42:43], -1
	s_and_saveexec_b64 s[40:41], s[24:25]
	s_xor_b64 s[24:25], exec, s[40:41]
	s_cbranch_execz .LBB33_733
; %bb.732:                              ;   in Loop: Header=BB33_719 Depth=2
	v_or_b32_e32 v58, 64, v58
	s_waitcnt lgkmcnt(0)
	ds_write_b32 v0, v0
	s_trap 2
.LBB33_733:                             ;   in Loop: Header=BB33_719 Depth=2
	s_or_b64 exec, exec, s[24:25]
.LBB33_734:                             ;   in Loop: Header=BB33_719 Depth=2
	s_or_b64 exec, exec, s[28:29]
	v_and_b32_e32 v0, 0x108, v58
	v_cmp_ne_u32_e32 vcc, s86, v0
	;;#ASMSTART
	s_wakeup
	;;#ASMEND
                                        ; implicit-def: $vgpr8_vgpr9
	s_and_saveexec_b64 s[24:25], vcc
	s_xor_b64 s[24:25], exec, s[24:25]
; %bb.735:                              ;   in Loop: Header=BB33_719 Depth=2
	v_and_b32_e32 v8, 7, v116
	v_mov_b32_e32 v9, v3
                                        ; implicit-def: $vgpr116_vgpr117
; %bb.736:                              ;   in Loop: Header=BB33_719 Depth=2
	s_andn2_saveexec_b64 s[24:25], s[24:25]
	s_cbranch_execz .LBB33_738
; %bb.737:                              ;   in Loop: Header=BB33_719 Depth=2
	v_and_b32_e32 v8, 7, v116
	v_ashrrev_i32_e32 v85, 31, v84
	v_mov_b32_e32 v9, v3
	v_mad_u64_u32 v[10:11], s[28:29], v8, 24, v[6:7]
	v_lshlrev_b64 v[12:13], 1, v[84:85]
	flat_store_dwordx2 v[10:11], v[12:13] offset:8
.LBB33_738:                             ;   in Loop: Header=BB33_719 Depth=2
	s_or_b64 exec, exec, s[24:25]
	v_and_b32_e32 v0, 0x100, v58
	v_cmp_ne_u32_e32 vcc, 0, v0
	s_mov_b64 s[24:25], -1
                                        ; implicit-def: $vgpr10_vgpr11
	s_and_saveexec_b64 s[28:29], vcc
	s_cbranch_execz .LBB33_742
; %bb.739:                              ;   in Loop: Header=BB33_719 Depth=2
	v_mad_u64_u32 v[12:13], s[24:25], v8, 24, v[6:7]
	v_mov_b32_e32 v0, v13
	v_mad_u64_u32 v[10:11], s[24:25], v9, 24, v[0:1]
	v_mov_b32_e32 v13, v10
	flat_load_dword v0, v[12:13]
                                        ; implicit-def: $vgpr10_vgpr11
	s_waitcnt vmcnt(0) lgkmcnt(0)
	v_cmp_ne_u32_e32 vcc, 1, v0
	v_cmp_eq_u32_e64 s[24:25], 1, v0
	s_and_saveexec_b64 s[40:41], s[24:25]
	s_cbranch_execz .LBB33_741
; %bb.740:                              ;   in Loop: Header=BB33_719 Depth=2
	flat_load_dword v10, v[12:13] offset:4 sc0 sc1
	s_waitcnt vmcnt(0) lgkmcnt(0)
	v_ashrrev_i32_e32 v11, 31, v10
	v_lshrrev_b64 v[10:11], 1, v[10:11]
.LBB33_741:                             ;   in Loop: Header=BB33_719 Depth=2
	s_or_b64 exec, exec, s[40:41]
	s_orn2_b64 s[24:25], vcc, exec
.LBB33_742:                             ;   in Loop: Header=BB33_719 Depth=2
	s_or_b64 exec, exec, s[28:29]
	s_and_saveexec_b64 s[28:29], s[24:25]
; %bb.743:                              ;   in Loop: Header=BB33_719 Depth=2
	v_mul_lo_u32 v0, v9, v30
	v_ashrrev_i32_e32 v9, 31, v30
	v_mul_lo_u32 v9, v8, v9
	v_mad_u64_u32 v[10:11], s[24:25], v8, v30, 0
	v_add3_u32 v11, v11, v9, v0
; %bb.744:                              ;   in Loop: Header=BB33_719 Depth=2
	s_or_b64 exec, exec, s[28:29]
	v_cmp_eq_u32_e32 vcc, 0, v2
	v_lshl_add_u64 v[8:9], v[10:11], 1, v[42:43]
	s_nop 0
	v_cndmask_b32_e32 v0, v112, v103, vcc
	v_add_u32_e32 v0, v0, v0
	ds_write_b64 v0, v[8:9] offset:584
	v_and_b32_e32 v0, 0x2000, v58
	v_cmp_ne_u32_e32 vcc, 0, v0
	s_and_saveexec_b64 s[24:25], vcc
	s_cbranch_execz .LBB33_746
; %bb.745:                              ;   in Loop: Header=BB33_719 Depth=2
	ds_read_b64 v[8:9], v0 offset:872
	s_waitcnt lgkmcnt(0)
	v_lshl_add_u64 v[8:9], v[8:9], 0, 1
	ds_write_b64 v0, v[8:9] offset:872
.LBB33_746:                             ;   in Loop: Header=BB33_719 Depth=2
	s_or_b64 exec, exec, s[24:25]
	v_mov_b64_e32 v[116:117], v[4:5]
.LBB33_747:                             ;   in Loop: Header=BB33_719 Depth=2
	s_or_b64 exec, exec, s[26:27]
	s_and_saveexec_b64 s[24:25], s[4:5]
	s_cbranch_execz .LBB33_766
; %bb.748:                              ;   in Loop: Header=BB33_719 Depth=2
	s_and_saveexec_b64 s[26:27], s[76:77]
	s_xor_b64 s[26:27], exec, s[26:27]
	s_cbranch_execz .LBB33_763
; %bb.749:                              ;   in Loop: Header=BB33_719 Depth=2
	s_and_saveexec_b64 s[28:29], s[12:13]
	s_cbranch_execz .LBB33_762
; %bb.750:                              ;   in Loop: Header=BB33_719 Depth=2
	s_mov_b64 s[42:43], exec
	v_mbcnt_lo_u32_b32 v0, s42, 0
	v_mbcnt_hi_u32_b32 v0, s43, v0
	v_cmp_eq_u32_e32 vcc, 0, v0
	s_waitcnt lgkmcnt(0)
	s_and_saveexec_b64 s[40:41], vcc
	s_cbranch_execz .LBB33_752
; %bb.751:                              ;   in Loop: Header=BB33_719 Depth=2
	s_bcnt1_i32_b64 s42, s[42:43]
	v_mov_b32_e32 v2, s42
	ds_add_u64 v0, v[2:3]
	s_trap 2
.LBB33_752:                             ;   in Loop: Header=BB33_719 Depth=2
	s_or_b64 exec, exec, s[40:41]
	s_trap 2
	ds_read_b64 v[4:5], v0
	s_waitcnt lgkmcnt(0)
	v_lshl_add_u64 v[46:47], v[46:47], 0, v[60:61]
	v_cmp_lt_u64_e32 vcc, v[4:5], v[46:47]
	s_and_saveexec_b64 s[40:41], vcc
	s_cbranch_execz .LBB33_761
; %bb.753:                              ;   in Loop: Header=BB33_719 Depth=2
	s_mov_b32 s62, 0
	s_mov_b64 s[42:43], 0
                                        ; implicit-def: $sgpr44_sgpr45
                                        ; implicit-def: $sgpr46_sgpr47
	s_branch .LBB33_755
.LBB33_754:                             ;   in Loop: Header=BB33_755 Depth=3
	s_or_b64 exec, exec, s[58:59]
	s_and_b64 s[56:57], exec, s[60:61]
	s_or_b64 s[42:43], s[56:57], s[42:43]
	s_andn2_b64 s[44:45], s[44:45], exec
	s_and_b64 s[56:57], s[46:47], exec
	s_or_b64 s[44:45], s[44:45], s[56:57]
	s_andn2_b64 exec, exec, s[42:43]
	s_cbranch_execz .LBB33_759
.LBB33_755:                             ;   Parent Loop BB33_47 Depth=1
                                        ;     Parent Loop BB33_719 Depth=2
                                        ; =>    This Inner Loop Header: Depth=3
	s_add_i32 s62, s62, 1
	s_cmpk_lg_i32 s62, 0x2710
	s_cselect_b64 s[56:57], -1, 0
	s_and_b64 vcc, exec, s[56:57]
	s_cbranch_vccz .LBB33_757
; %bb.756:                              ;   in Loop: Header=BB33_755 Depth=3
	s_mov_b64 s[60:61], -1
	s_or_b64 s[46:47], s[46:47], exec
	s_and_saveexec_b64 s[58:59], s[56:57]
	s_cbranch_execz .LBB33_754
	s_branch .LBB33_758
.LBB33_757:                             ;   in Loop: Header=BB33_755 Depth=3
	s_trap 2
	ds_read_b64 v[4:5], v0
	s_andn2_b64 s[56:57], s[56:57], exec
	s_mov_b32 s62, 0
	s_waitcnt vmcnt(0) lgkmcnt(0)
	flat_load_dword v0, v[4:5] sc0 sc1
	s_waitcnt vmcnt(0) lgkmcnt(0)
	buffer_inv sc0 sc1
	v_cmp_eq_u32_e32 vcc, 0, v0
	s_and_b64 s[58:59], vcc, exec
	s_or_b64 s[56:57], s[56:57], s[58:59]
	s_mov_b64 s[60:61], -1
	s_or_b64 s[46:47], s[46:47], exec
	s_and_saveexec_b64 s[58:59], s[56:57]
	s_cbranch_execz .LBB33_754
.LBB33_758:                             ;   in Loop: Header=BB33_755 Depth=3
	s_sleep 1
	s_trap 2
	ds_read_b64 v[4:5], v0
	s_waitcnt lgkmcnt(0)
	s_andn2_b64 s[46:47], s[46:47], exec
	v_cmp_ge_u64_e32 vcc, v[4:5], v[46:47]
	s_orn2_b64 s[60:61], vcc, exec
	s_branch .LBB33_754
.LBB33_759:                             ;   in Loop: Header=BB33_719 Depth=2
	s_or_b64 exec, exec, s[42:43]
	s_and_saveexec_b64 s[42:43], s[44:45]
	s_xor_b64 s[42:43], exec, s[42:43]
	s_cbranch_execz .LBB33_761
; %bb.760:                              ;   in Loop: Header=BB33_719 Depth=2
	ds_write_b32 v0, v1
	s_trap 2
.LBB33_761:                             ;   in Loop: Header=BB33_719 Depth=2
	s_or_b64 exec, exec, s[40:41]
	;;#ASMSTART
	s_wakeup
	;;#ASMEND
.LBB33_762:                             ;   in Loop: Header=BB33_719 Depth=2
	s_or_b64 exec, exec, s[28:29]
.LBB33_763:                             ;   in Loop: Header=BB33_719 Depth=2
	s_andn2_saveexec_b64 s[26:27], s[26:27]
	s_cbranch_execz .LBB33_765
; %bb.764:                              ;   in Loop: Header=BB33_719 Depth=2
	s_waitcnt lgkmcnt(0)
	s_barrier
.LBB33_765:                             ;   in Loop: Header=BB33_719 Depth=2
	s_or_b64 exec, exec, s[26:27]
.LBB33_766:                             ;   in Loop: Header=BB33_719 Depth=2
	s_or_b64 exec, exec, s[24:25]
	s_trap 2
	ds_read_b32 v0, v0
	v_and_b32_e32 v2, 0x4000, v58
	v_cmp_ne_u32_e32 vcc, 0, v2
	s_xor_b64 s[24:25], s[2:3], -1
	s_and_b64 s[26:27], s[24:25], vcc
	s_and_saveexec_b64 s[24:25], s[26:27]
	s_cbranch_execz .LBB33_785
; %bb.767:                              ;   in Loop: Header=BB33_719 Depth=2
	s_and_saveexec_b64 s[26:27], s[76:77]
	s_xor_b64 s[26:27], exec, s[26:27]
	s_cbranch_execz .LBB33_782
; %bb.768:                              ;   in Loop: Header=BB33_719 Depth=2
	s_and_saveexec_b64 s[28:29], s[12:13]
	s_cbranch_execz .LBB33_781
; %bb.769:                              ;   in Loop: Header=BB33_719 Depth=2
	s_mov_b64 s[42:43], exec
	v_mbcnt_lo_u32_b32 v2, s42, 0
	v_mbcnt_hi_u32_b32 v2, s43, v2
	v_cmp_eq_u32_e32 vcc, 0, v2
	s_waitcnt lgkmcnt(0)
	s_and_saveexec_b64 s[40:41], vcc
	s_cbranch_execz .LBB33_771
; %bb.770:                              ;   in Loop: Header=BB33_719 Depth=2
	s_bcnt1_i32_b64 s42, s[42:43]
	v_mov_b32_e32 v2, s42
	ds_add_u64 v0, v[2:3]
	s_trap 2
.LBB33_771:                             ;   in Loop: Header=BB33_719 Depth=2
	s_or_b64 exec, exec, s[40:41]
	s_trap 2
	ds_read_b64 v[4:5], v0
	s_waitcnt lgkmcnt(0)
	v_lshl_add_u64 v[46:47], v[46:47], 0, v[60:61]
	v_cmp_lt_u64_e32 vcc, v[4:5], v[46:47]
	s_and_saveexec_b64 s[40:41], vcc
	s_cbranch_execz .LBB33_780
; %bb.772:                              ;   in Loop: Header=BB33_719 Depth=2
	s_mov_b32 s62, 0
	s_mov_b64 s[42:43], 0
                                        ; implicit-def: $sgpr44_sgpr45
                                        ; implicit-def: $sgpr46_sgpr47
	s_branch .LBB33_774
.LBB33_773:                             ;   in Loop: Header=BB33_774 Depth=3
	s_or_b64 exec, exec, s[58:59]
	s_and_b64 s[56:57], exec, s[60:61]
	s_or_b64 s[42:43], s[56:57], s[42:43]
	s_andn2_b64 s[44:45], s[44:45], exec
	s_and_b64 s[56:57], s[46:47], exec
	s_or_b64 s[44:45], s[44:45], s[56:57]
	s_andn2_b64 exec, exec, s[42:43]
	s_cbranch_execz .LBB33_778
.LBB33_774:                             ;   Parent Loop BB33_47 Depth=1
                                        ;     Parent Loop BB33_719 Depth=2
                                        ; =>    This Inner Loop Header: Depth=3
	s_add_i32 s62, s62, 1
	s_cmpk_lg_i32 s62, 0x2710
	s_cselect_b64 s[56:57], -1, 0
	s_and_b64 vcc, exec, s[56:57]
	s_cbranch_vccz .LBB33_776
; %bb.775:                              ;   in Loop: Header=BB33_774 Depth=3
	s_mov_b64 s[60:61], -1
	s_or_b64 s[46:47], s[46:47], exec
	s_and_saveexec_b64 s[58:59], s[56:57]
	s_cbranch_execz .LBB33_773
	s_branch .LBB33_777
.LBB33_776:                             ;   in Loop: Header=BB33_774 Depth=3
	s_trap 2
	ds_read_b64 v[4:5], v0
	s_andn2_b64 s[56:57], s[56:57], exec
	s_mov_b32 s62, 0
	s_waitcnt vmcnt(0) lgkmcnt(0)
	flat_load_dword v2, v[4:5] sc0 sc1
	s_waitcnt vmcnt(0) lgkmcnt(0)
	buffer_inv sc0 sc1
	v_cmp_eq_u32_e32 vcc, 0, v2
	s_and_b64 s[58:59], vcc, exec
	s_or_b64 s[56:57], s[56:57], s[58:59]
	s_mov_b64 s[60:61], -1
	s_or_b64 s[46:47], s[46:47], exec
	s_and_saveexec_b64 s[58:59], s[56:57]
	s_cbranch_execz .LBB33_773
.LBB33_777:                             ;   in Loop: Header=BB33_774 Depth=3
	s_sleep 1
	s_trap 2
	ds_read_b64 v[4:5], v0
	s_waitcnt lgkmcnt(0)
	s_andn2_b64 s[46:47], s[46:47], exec
	v_cmp_ge_u64_e32 vcc, v[4:5], v[46:47]
	s_orn2_b64 s[60:61], vcc, exec
	s_branch .LBB33_773
.LBB33_778:                             ;   in Loop: Header=BB33_719 Depth=2
	s_or_b64 exec, exec, s[42:43]
	s_and_saveexec_b64 s[42:43], s[44:45]
	s_xor_b64 s[42:43], exec, s[42:43]
	s_cbranch_execz .LBB33_780
; %bb.779:                              ;   in Loop: Header=BB33_719 Depth=2
	ds_write_b32 v0, v1
	s_trap 2
.LBB33_780:                             ;   in Loop: Header=BB33_719 Depth=2
	s_or_b64 exec, exec, s[40:41]
	;;#ASMSTART
	s_wakeup
	;;#ASMEND
.LBB33_781:                             ;   in Loop: Header=BB33_719 Depth=2
	s_or_b64 exec, exec, s[28:29]
.LBB33_782:                             ;   in Loop: Header=BB33_719 Depth=2
	s_andn2_saveexec_b64 s[26:27], s[26:27]
	s_cbranch_execz .LBB33_784
; %bb.783:                              ;   in Loop: Header=BB33_719 Depth=2
	s_waitcnt lgkmcnt(0)
	s_barrier
.LBB33_784:                             ;   in Loop: Header=BB33_719 Depth=2
	s_or_b64 exec, exec, s[26:27]
.LBB33_785:                             ;   in Loop: Header=BB33_719 Depth=2
	s_or_b64 exec, exec, s[24:25]
	s_trap 2
	s_waitcnt lgkmcnt(0)
	ds_read_b64 v[100:101], v0
	s_waitcnt lgkmcnt(0)
	v_cmp_eq_u64_e32 vcc, 0, v[100:101]
	s_cbranch_vccnz .LBB33_794
; %bb.786:                              ;   in Loop: Header=BB33_719 Depth=2
	s_trap 2
	ds_read_b64 v[98:99], v0
	s_waitcnt lgkmcnt(0)
	v_cmp_eq_u64_e32 vcc, 0, v[98:99]
	s_cbranch_vccnz .LBB33_794
; %bb.787:                              ;   in Loop: Header=BB33_719 Depth=2
	s_trap 2
	ds_read_b64 v[4:5], v0
	v_cmp_eq_u32_e32 vcc, 0, v0
	s_waitcnt lgkmcnt(0)
	v_readfirstlane_b32 s62, v4
	v_cndmask_b32_e32 v85, 0, v84, vcc
	v_cmp_ne_u64_e32 vcc, 0, v[4:5]
	s_cbranch_vccz .LBB33_799
; %bb.788:                              ;   in Loop: Header=BB33_719 Depth=2
	s_trap 2
	ds_read_b64 v[28:29], v0
	s_mov_b64 s[26:27], -1
	s_and_saveexec_b64 s[24:25], s[18:19]
	s_cbranch_execz .LBB33_790
; %bb.789:                              ;   in Loop: Header=BB33_719 Depth=2
	ds_read_b32 v0, v0 offset:720
	s_waitcnt lgkmcnt(0)
	v_and_b32_e32 v0, 15, v0
	v_cmp_eq_u32_e32 vcc, 0, v0
	s_orn2_b64 s[26:27], vcc, exec
.LBB33_790:                             ;   in Loop: Header=BB33_719 Depth=2
	s_or_b64 exec, exec, s[24:25]
	s_and_saveexec_b64 s[24:25], s[18:19]
	s_cbranch_execz .LBB33_792
; %bb.791:                              ;   in Loop: Header=BB33_719 Depth=2
	ds_read_b32 v0, v0 offset:784
	s_waitcnt lgkmcnt(0)
	v_and_b32_e32 v0, 15, v0
	v_cmp_eq_u32_e32 vcc, 0, v0
	s_and_b64 s[28:29], s[26:27], vcc
	s_andn2_b64 s[26:27], s[26:27], exec
	s_and_b64 s[28:29], s[28:29], exec
	s_or_b64 s[26:27], s[26:27], s[28:29]
.LBB33_792:                             ;   in Loop: Header=BB33_719 Depth=2
	s_or_b64 exec, exec, s[24:25]
	s_xor_b64 s[26:27], s[26:27], -1
	v_cndmask_b32_e64 v0, 0, 1, s[26:27]
	v_lshlrev_b32_e32 v31, 1, v85
	s_mov_b64 s[24:25], -1
	v_mov_b32_e32 v2, 0
	v_cmp_ne_u32_e32 vcc, 0, v0
	s_cbranch_vccz .LBB33_801
; %bb.793:                              ;   in Loop: Header=BB33_719 Depth=2
	v_mov_b32_e32 v18, v109
	s_and_saveexec_b64 s[40:41], s[24:25]
	s_cbranch_execnz .LBB33_1102
	s_branch .LBB33_1244
.LBB33_794:                             ;   in Loop: Header=BB33_719 Depth=2
	s_mov_b64 s[24:25], 0
	s_and_saveexec_b64 s[26:27], s[4:5]
	s_cbranch_execnz .LBB33_1691
.LBB33_795:                             ;   in Loop: Header=BB33_719 Depth=2
	s_or_b64 exec, exec, s[26:27]
                                        ; implicit-def: $vgpr0
	s_and_saveexec_b64 s[26:27], s[20:21]
	s_xor_b64 s[26:27], exec, s[26:27]
	s_cbranch_execz .LBB33_1709
.LBB33_796:                             ;   in Loop: Header=BB33_719 Depth=2
	v_and_b32_e32 v2, 16, v58
	v_cmp_ne_u32_e32 vcc, 0, v2
	v_and_b32_e32 v0, 16, v58
	s_and_b64 s[28:29], vcc, s[24:25]
	s_and_saveexec_b64 s[24:25], s[28:29]
	s_cbranch_execz .LBB33_798
; %bb.797:                              ;   in Loop: Header=BB33_719 Depth=2
	v_mov_b32_e32 v0, 1
	buffer_wbl2 sc1
	s_waitcnt vmcnt(0) lgkmcnt(0)
	buffer_inv sc1
.LBB33_798:                             ;   in Loop: Header=BB33_719 Depth=2
	s_or_b64 exec, exec, s[24:25]
	s_andn2_saveexec_b64 s[24:25], s[26:27]
	s_cbranch_execz .LBB33_1728
	s_branch .LBB33_1710
.LBB33_799:                             ;   in Loop: Header=BB33_719 Depth=2
	s_cbranch_execnz .LBB33_1245
.LBB33_800:                             ;   in Loop: Header=BB33_719 Depth=2
	v_cmp_lt_i32_e64 s[24:25], 0, v85
	s_and_saveexec_b64 s[26:27], s[4:5]
	s_cbranch_execnz .LBB33_1691
	s_branch .LBB33_795
.LBB33_801:                             ;   in Loop: Header=BB33_719 Depth=2
	v_ashrrev_i32_e32 v0, 31, v31
	v_lshrrev_b32_e32 v0, 20, v0
	v_add_u32_e32 v0, v31, v0
	v_ashrrev_i32_e32 v2, 12, v0
	v_sub_u32_e32 v0, v2, v111
	v_cmp_lt_i32_e32 vcc, 0, v0
	s_and_saveexec_b64 s[26:27], vcc
	s_cbranch_execz .LBB33_1061
; %bb.802:                              ;   in Loop: Header=BB33_719 Depth=2
	s_trap 2
	ds_read_b64 v[8:9], v0
	s_and_b32 s74, s62, 1
	s_cmp_eq_u64 s[74:75], 0
	s_waitcnt lgkmcnt(0)
	v_lshl_add_u64 v[102:103], v[28:29], 0, v[90:91]
	v_lshl_add_u64 v[112:113], v[98:99], 0, v[90:91]
	;; [unrolled: 1-line block ×5, first 2 shown]
	s_mov_b64 s[28:29], 0
	s_cselect_b64 vcc, -1, 0
	s_branch .LBB33_804
.LBB33_803:                             ;   in Loop: Header=BB33_804 Depth=3
	s_or_b64 exec, exec, s[40:41]
	v_or_b32_sdwa v65, v33, v24 dst_sel:DWORD dst_unused:UNUSED_PAD src0_sel:DWORD src1_sel:WORD_1
	v_lshrrev_b32_e32 v24, 16, v48
	v_and_or_b32 v9, v9, s97, v24
	v_lshrrev_b32_e32 v24, 16, v35
	v_and_or_b32 v8, v8, s97, v24
	;; [unrolled: 2-line block ×3, first 2 shown]
	v_lshrrev_b32_e32 v24, 16, v50
	v_sub_u32_e32 v0, v0, v60
	v_and_or_b32 v11, v11, s97, v24
	v_cmp_gt_i32_e64 s[24:25], 1, v0
	v_or_b32_sdwa v64, v32, v39 dst_sel:DWORD dst_unused:UNUSED_PAD src0_sel:DWORD src1_sel:WORD_1
	v_or_b32_sdwa v66, v34, v25 dst_sel:DWORD dst_unused:UNUSED_PAD src0_sel:DWORD src1_sel:WORD_1
	;; [unrolled: 1-line block ×15, first 2 shown]
	global_store_dwordx4 v[112:113], v[8:11], off offset:3072
	global_store_dwordx4 v[114:115], v[20:23], off
	global_store_dwordx4 v[114:115], v[16:19], off offset:1024
	global_store_dwordx4 v[114:115], v[12:15], off offset:2048
	;; [unrolled: 1-line block ×3, first 2 shown]
	v_lshl_add_u64 v[118:119], v[118:119], 0, v[92:93]
	v_lshl_add_u64 v[62:63], v[62:63], 0, v[92:93]
	;; [unrolled: 1-line block ×4, first 2 shown]
	s_or_b64 s[28:29], s[24:25], s[28:29]
	v_lshl_add_u64 v[102:103], v[102:103], 0, v[92:93]
	s_andn2_b64 exec, exec, s[28:29]
	s_cbranch_execz .LBB33_1060
.LBB33_804:                             ;   Parent Loop BB33_47 Depth=1
                                        ;     Parent Loop BB33_719 Depth=2
                                        ; =>    This Inner Loop Header: Depth=3
	global_load_dwordx4 v[68:71], v[118:119], off nt
	global_load_dwordx4 v[52:55], v[118:119], off offset:1024 nt
	global_load_dwordx4 v[80:83], v[62:63], off nt
	global_load_dwordx4 v[20:23], v[102:103], off nt
	global_load_dwordx4 v[16:19], v[102:103], off offset:1024 nt
	global_load_dwordx4 v[36:39], v[118:119], off offset:2048 nt
	;; [unrolled: 1-line block ×8, first 2 shown]
	s_waitcnt vmcnt(0)
	v_lshlrev_b32_e32 v87, 16, v68
	v_max_f32_e32 v87, v87, v87
	v_lshlrev_b32_e32 v59, 16, v80
	v_max_f32_e32 v59, v59, v59
	v_min_f32_e32 v73, v87, v59
	v_max_f32_e32 v87, v87, v59
	v_cndmask_b32_e32 v59, v87, v73, vcc
	v_and_b32_e32 v87, 0x7f800000, v59
	v_cmp_ne_u32_e64 s[24:25], s87, v87
                                        ; implicit-def: $vgpr87
	s_and_saveexec_b64 s[40:41], s[24:25]
	s_xor_b64 s[24:25], exec, s[40:41]
; %bb.805:                              ;   in Loop: Header=BB33_804 Depth=3
	v_bfe_u32 v87, v59, 16, 1
	v_add3_u32 v87, v59, v87, s96
                                        ; implicit-def: $vgpr59
; %bb.806:                              ;   in Loop: Header=BB33_804 Depth=3
	s_andn2_saveexec_b64 s[40:41], s[24:25]
; %bb.807:                              ;   in Loop: Header=BB33_804 Depth=3
	v_or_b32_e32 v87, 0x10000, v59
	v_cmp_eq_u32_sdwa s[24:25], v59, v3 src0_sel:WORD_0 src1_sel:DWORD
	s_nop 1
	v_cndmask_b32_e64 v87, v87, v59, s[24:25]
; %bb.808:                              ;   in Loop: Header=BB33_804 Depth=3
	s_or_b64 exec, exec, s[40:41]
	v_and_b32_e32 v68, 0xffff0000, v68
	v_and_b32_e32 v80, 0xffff0000, v80
	v_max_f32_e32 v80, v80, v80
	v_max_f32_e32 v68, v68, v68
	v_min_f32_e32 v59, v68, v80
	v_max_f32_e32 v68, v68, v80
	v_cndmask_b32_e32 v68, v68, v59, vcc
	v_and_b32_e32 v80, 0x7f800000, v68
	v_cmp_ne_u32_e64 s[24:25], s87, v80
                                        ; implicit-def: $vgpr80
	s_and_saveexec_b64 s[40:41], s[24:25]
	s_xor_b64 s[24:25], exec, s[40:41]
; %bb.809:                              ;   in Loop: Header=BB33_804 Depth=3
	v_bfe_u32 v80, v68, 16, 1
	v_add3_u32 v80, v68, v80, s96
                                        ; implicit-def: $vgpr68
; %bb.810:                              ;   in Loop: Header=BB33_804 Depth=3
	s_andn2_saveexec_b64 s[40:41], s[24:25]
; %bb.811:                              ;   in Loop: Header=BB33_804 Depth=3
	v_or_b32_e32 v80, 0x10000, v68
	v_cmp_eq_u32_sdwa s[24:25], v68, v3 src0_sel:WORD_0 src1_sel:DWORD
	s_nop 1
	v_cndmask_b32_e64 v80, v80, v68, s[24:25]
; %bb.812:                              ;   in Loop: Header=BB33_804 Depth=3
	s_or_b64 exec, exec, s[40:41]
	v_lshlrev_b32_e32 v68, 16, v69
	v_lshlrev_b32_e32 v59, 16, v81
	v_max_f32_e32 v59, v59, v59
	v_max_f32_e32 v68, v68, v68
	v_min_f32_e32 v73, v68, v59
	v_max_f32_e32 v68, v68, v59
	v_cndmask_b32_e32 v59, v68, v73, vcc
	v_and_b32_e32 v68, 0x7f800000, v59
	v_cmp_ne_u32_e64 s[24:25], s87, v68
                                        ; implicit-def: $vgpr68
	s_and_saveexec_b64 s[40:41], s[24:25]
	s_xor_b64 s[24:25], exec, s[40:41]
; %bb.813:                              ;   in Loop: Header=BB33_804 Depth=3
	v_bfe_u32 v68, v59, 16, 1
	v_add3_u32 v68, v59, v68, s96
                                        ; implicit-def: $vgpr59
; %bb.814:                              ;   in Loop: Header=BB33_804 Depth=3
	s_andn2_saveexec_b64 s[40:41], s[24:25]
; %bb.815:                              ;   in Loop: Header=BB33_804 Depth=3
	v_or_b32_e32 v68, 0x10000, v59
	v_cmp_eq_u32_sdwa s[24:25], v59, v3 src0_sel:WORD_0 src1_sel:DWORD
	s_nop 1
	v_cndmask_b32_e64 v68, v68, v59, s[24:25]
; %bb.816:                              ;   in Loop: Header=BB33_804 Depth=3
	s_or_b64 exec, exec, s[40:41]
	v_and_b32_e32 v69, 0xffff0000, v69
	v_and_b32_e32 v81, 0xffff0000, v81
	v_max_f32_e32 v81, v81, v81
	v_max_f32_e32 v69, v69, v69
	v_min_f32_e32 v59, v69, v81
	v_max_f32_e32 v69, v69, v81
	v_cndmask_b32_e32 v69, v69, v59, vcc
	v_and_b32_e32 v81, 0x7f800000, v69
	v_cmp_ne_u32_e64 s[24:25], s87, v81
                                        ; implicit-def: $vgpr81
	s_and_saveexec_b64 s[40:41], s[24:25]
	s_xor_b64 s[24:25], exec, s[40:41]
; %bb.817:                              ;   in Loop: Header=BB33_804 Depth=3
	v_bfe_u32 v81, v69, 16, 1
	v_add3_u32 v81, v69, v81, s96
                                        ; implicit-def: $vgpr69
; %bb.818:                              ;   in Loop: Header=BB33_804 Depth=3
	s_andn2_saveexec_b64 s[40:41], s[24:25]
; %bb.819:                              ;   in Loop: Header=BB33_804 Depth=3
	v_or_b32_e32 v81, 0x10000, v69
	v_cmp_eq_u32_sdwa s[24:25], v69, v3 src0_sel:WORD_0 src1_sel:DWORD
	s_nop 1
	v_cndmask_b32_e64 v81, v81, v69, s[24:25]
; %bb.820:                              ;   in Loop: Header=BB33_804 Depth=3
	s_or_b64 exec, exec, s[40:41]
	v_lshlrev_b32_e32 v69, 16, v70
	v_lshlrev_b32_e32 v59, 16, v82
	v_max_f32_e32 v59, v59, v59
	v_max_f32_e32 v69, v69, v69
	v_min_f32_e32 v73, v69, v59
	v_max_f32_e32 v69, v69, v59
	v_cndmask_b32_e32 v59, v69, v73, vcc
	v_and_b32_e32 v69, 0x7f800000, v59
	v_cmp_ne_u32_e64 s[24:25], s87, v69
                                        ; implicit-def: $vgpr69
	s_and_saveexec_b64 s[40:41], s[24:25]
	s_xor_b64 s[24:25], exec, s[40:41]
; %bb.821:                              ;   in Loop: Header=BB33_804 Depth=3
	v_bfe_u32 v69, v59, 16, 1
	v_add3_u32 v69, v59, v69, s96
                                        ; implicit-def: $vgpr59
; %bb.822:                              ;   in Loop: Header=BB33_804 Depth=3
	s_andn2_saveexec_b64 s[40:41], s[24:25]
; %bb.823:                              ;   in Loop: Header=BB33_804 Depth=3
	v_or_b32_e32 v69, 0x10000, v59
	v_cmp_eq_u32_sdwa s[24:25], v59, v3 src0_sel:WORD_0 src1_sel:DWORD
	s_nop 1
	v_cndmask_b32_e64 v69, v69, v59, s[24:25]
; %bb.824:                              ;   in Loop: Header=BB33_804 Depth=3
	s_or_b64 exec, exec, s[40:41]
	v_and_b32_e32 v70, 0xffff0000, v70
	v_and_b32_e32 v82, 0xffff0000, v82
	v_max_f32_e32 v82, v82, v82
	v_max_f32_e32 v70, v70, v70
	v_min_f32_e32 v59, v70, v82
	v_max_f32_e32 v70, v70, v82
	v_cndmask_b32_e32 v70, v70, v59, vcc
	v_and_b32_e32 v82, 0x7f800000, v70
	v_cmp_ne_u32_e64 s[24:25], s87, v82
                                        ; implicit-def: $vgpr82
	s_and_saveexec_b64 s[40:41], s[24:25]
	s_xor_b64 s[24:25], exec, s[40:41]
; %bb.825:                              ;   in Loop: Header=BB33_804 Depth=3
	v_bfe_u32 v82, v70, 16, 1
	v_add3_u32 v82, v70, v82, s96
                                        ; implicit-def: $vgpr70
; %bb.826:                              ;   in Loop: Header=BB33_804 Depth=3
	s_andn2_saveexec_b64 s[40:41], s[24:25]
; %bb.827:                              ;   in Loop: Header=BB33_804 Depth=3
	v_or_b32_e32 v82, 0x10000, v70
	v_cmp_eq_u32_sdwa s[24:25], v70, v3 src0_sel:WORD_0 src1_sel:DWORD
	s_nop 1
	v_cndmask_b32_e64 v82, v82, v70, s[24:25]
; %bb.828:                              ;   in Loop: Header=BB33_804 Depth=3
	s_or_b64 exec, exec, s[40:41]
	v_lshlrev_b32_e32 v70, 16, v71
	v_lshlrev_b32_e32 v59, 16, v83
	v_max_f32_e32 v59, v59, v59
	v_max_f32_e32 v70, v70, v70
	v_min_f32_e32 v73, v70, v59
	v_max_f32_e32 v70, v70, v59
	v_cndmask_b32_e32 v59, v70, v73, vcc
	v_and_b32_e32 v70, 0x7f800000, v59
	v_cmp_ne_u32_e64 s[24:25], s87, v70
                                        ; implicit-def: $vgpr70
	s_and_saveexec_b64 s[40:41], s[24:25]
	s_xor_b64 s[24:25], exec, s[40:41]
; %bb.829:                              ;   in Loop: Header=BB33_804 Depth=3
	v_bfe_u32 v70, v59, 16, 1
	v_add3_u32 v70, v59, v70, s96
                                        ; implicit-def: $vgpr59
; %bb.830:                              ;   in Loop: Header=BB33_804 Depth=3
	s_andn2_saveexec_b64 s[40:41], s[24:25]
; %bb.831:                              ;   in Loop: Header=BB33_804 Depth=3
	v_or_b32_e32 v70, 0x10000, v59
	v_cmp_eq_u32_sdwa s[24:25], v59, v3 src0_sel:WORD_0 src1_sel:DWORD
	s_nop 1
	v_cndmask_b32_e64 v70, v70, v59, s[24:25]
; %bb.832:                              ;   in Loop: Header=BB33_804 Depth=3
	s_or_b64 exec, exec, s[40:41]
	v_and_b32_e32 v71, 0xffff0000, v71
	v_and_b32_e32 v83, 0xffff0000, v83
	v_max_f32_e32 v83, v83, v83
	v_max_f32_e32 v71, v71, v71
	v_min_f32_e32 v59, v71, v83
	v_max_f32_e32 v71, v71, v83
	v_cndmask_b32_e32 v71, v71, v59, vcc
	v_and_b32_e32 v83, 0x7f800000, v71
	v_cmp_ne_u32_e64 s[24:25], s87, v83
                                        ; implicit-def: $vgpr83
	s_and_saveexec_b64 s[40:41], s[24:25]
	s_xor_b64 s[24:25], exec, s[40:41]
; %bb.833:                              ;   in Loop: Header=BB33_804 Depth=3
	v_bfe_u32 v83, v71, 16, 1
	v_add3_u32 v83, v71, v83, s96
                                        ; implicit-def: $vgpr71
; %bb.834:                              ;   in Loop: Header=BB33_804 Depth=3
	s_andn2_saveexec_b64 s[40:41], s[24:25]
; %bb.835:                              ;   in Loop: Header=BB33_804 Depth=3
	v_or_b32_e32 v83, 0x10000, v71
	v_cmp_eq_u32_sdwa s[24:25], v71, v3 src0_sel:WORD_0 src1_sel:DWORD
	s_nop 1
	v_cndmask_b32_e64 v83, v83, v71, s[24:25]
; %bb.836:                              ;   in Loop: Header=BB33_804 Depth=3
	s_or_b64 exec, exec, s[40:41]
	v_lshlrev_b32_e32 v71, 16, v52
	v_lshlrev_b32_e32 v59, 16, v64
	v_max_f32_e32 v59, v59, v59
	v_max_f32_e32 v71, v71, v71
	v_min_f32_e32 v73, v71, v59
	v_max_f32_e32 v71, v71, v59
	v_cndmask_b32_e32 v59, v71, v73, vcc
	v_and_b32_e32 v71, 0x7f800000, v59
	v_cmp_ne_u32_e64 s[24:25], s87, v71
                                        ; implicit-def: $vgpr71
	s_and_saveexec_b64 s[40:41], s[24:25]
	s_xor_b64 s[24:25], exec, s[40:41]
; %bb.837:                              ;   in Loop: Header=BB33_804 Depth=3
	v_bfe_u32 v71, v59, 16, 1
	v_add3_u32 v71, v59, v71, s96
                                        ; implicit-def: $vgpr59
; %bb.838:                              ;   in Loop: Header=BB33_804 Depth=3
	s_andn2_saveexec_b64 s[40:41], s[24:25]
; %bb.839:                              ;   in Loop: Header=BB33_804 Depth=3
	v_or_b32_e32 v71, 0x10000, v59
	v_cmp_eq_u32_sdwa s[24:25], v59, v3 src0_sel:WORD_0 src1_sel:DWORD
	s_nop 1
	v_cndmask_b32_e64 v71, v71, v59, s[24:25]
; %bb.840:                              ;   in Loop: Header=BB33_804 Depth=3
	s_or_b64 exec, exec, s[40:41]
	v_and_b32_e32 v52, 0xffff0000, v52
	v_and_b32_e32 v64, 0xffff0000, v64
	v_max_f32_e32 v64, v64, v64
	v_max_f32_e32 v52, v52, v52
	v_min_f32_e32 v59, v52, v64
	v_max_f32_e32 v52, v52, v64
	v_cndmask_b32_e32 v52, v52, v59, vcc
	v_and_b32_e32 v64, 0x7f800000, v52
	v_cmp_ne_u32_e64 s[24:25], s87, v64
                                        ; implicit-def: $vgpr64
	s_and_saveexec_b64 s[40:41], s[24:25]
	s_xor_b64 s[24:25], exec, s[40:41]
; %bb.841:                              ;   in Loop: Header=BB33_804 Depth=3
	v_bfe_u32 v64, v52, 16, 1
	v_add3_u32 v64, v52, v64, s96
                                        ; implicit-def: $vgpr52
; %bb.842:                              ;   in Loop: Header=BB33_804 Depth=3
	s_andn2_saveexec_b64 s[40:41], s[24:25]
; %bb.843:                              ;   in Loop: Header=BB33_804 Depth=3
	v_or_b32_e32 v64, 0x10000, v52
	v_cmp_eq_u32_sdwa s[24:25], v52, v3 src0_sel:WORD_0 src1_sel:DWORD
	s_nop 1
	v_cndmask_b32_e64 v64, v64, v52, s[24:25]
; %bb.844:                              ;   in Loop: Header=BB33_804 Depth=3
	s_or_b64 exec, exec, s[40:41]
	v_lshlrev_b32_e32 v52, 16, v53
	v_lshlrev_b32_e32 v59, 16, v65
	v_max_f32_e32 v59, v59, v59
	v_max_f32_e32 v52, v52, v52
	v_min_f32_e32 v73, v52, v59
	v_max_f32_e32 v52, v52, v59
	v_cndmask_b32_e32 v59, v52, v73, vcc
	v_and_b32_e32 v52, 0x7f800000, v59
	v_cmp_ne_u32_e64 s[24:25], s87, v52
                                        ; implicit-def: $vgpr52
	s_and_saveexec_b64 s[40:41], s[24:25]
	s_xor_b64 s[24:25], exec, s[40:41]
; %bb.845:                              ;   in Loop: Header=BB33_804 Depth=3
	v_bfe_u32 v52, v59, 16, 1
	v_add3_u32 v52, v59, v52, s96
                                        ; implicit-def: $vgpr59
; %bb.846:                              ;   in Loop: Header=BB33_804 Depth=3
	s_andn2_saveexec_b64 s[40:41], s[24:25]
; %bb.847:                              ;   in Loop: Header=BB33_804 Depth=3
	v_or_b32_e32 v52, 0x10000, v59
	v_cmp_eq_u32_sdwa s[24:25], v59, v3 src0_sel:WORD_0 src1_sel:DWORD
	s_nop 1
	v_cndmask_b32_e64 v52, v52, v59, s[24:25]
; %bb.848:                              ;   in Loop: Header=BB33_804 Depth=3
	s_or_b64 exec, exec, s[40:41]
	v_and_b32_e32 v53, 0xffff0000, v53
	v_and_b32_e32 v65, 0xffff0000, v65
	v_max_f32_e32 v65, v65, v65
	v_max_f32_e32 v53, v53, v53
	v_min_f32_e32 v59, v53, v65
	v_max_f32_e32 v53, v53, v65
	v_cndmask_b32_e32 v53, v53, v59, vcc
	v_and_b32_e32 v65, 0x7f800000, v53
	v_cmp_ne_u32_e64 s[24:25], s87, v65
                                        ; implicit-def: $vgpr65
	s_and_saveexec_b64 s[40:41], s[24:25]
	s_xor_b64 s[24:25], exec, s[40:41]
; %bb.849:                              ;   in Loop: Header=BB33_804 Depth=3
	v_bfe_u32 v65, v53, 16, 1
	v_add3_u32 v65, v53, v65, s96
                                        ; implicit-def: $vgpr53
; %bb.850:                              ;   in Loop: Header=BB33_804 Depth=3
	s_andn2_saveexec_b64 s[40:41], s[24:25]
; %bb.851:                              ;   in Loop: Header=BB33_804 Depth=3
	v_or_b32_e32 v65, 0x10000, v53
	v_cmp_eq_u32_sdwa s[24:25], v53, v3 src0_sel:WORD_0 src1_sel:DWORD
	s_nop 1
	v_cndmask_b32_e64 v65, v65, v53, s[24:25]
; %bb.852:                              ;   in Loop: Header=BB33_804 Depth=3
	s_or_b64 exec, exec, s[40:41]
	v_lshlrev_b32_e32 v53, 16, v54
	v_lshlrev_b32_e32 v59, 16, v66
	v_max_f32_e32 v59, v59, v59
	v_max_f32_e32 v53, v53, v53
	v_min_f32_e32 v73, v53, v59
	v_max_f32_e32 v53, v53, v59
	v_cndmask_b32_e32 v59, v53, v73, vcc
	v_and_b32_e32 v53, 0x7f800000, v59
	v_cmp_ne_u32_e64 s[24:25], s87, v53
                                        ; implicit-def: $vgpr53
	s_and_saveexec_b64 s[40:41], s[24:25]
	s_xor_b64 s[24:25], exec, s[40:41]
; %bb.853:                              ;   in Loop: Header=BB33_804 Depth=3
	v_bfe_u32 v53, v59, 16, 1
	v_add3_u32 v53, v59, v53, s96
                                        ; implicit-def: $vgpr59
; %bb.854:                              ;   in Loop: Header=BB33_804 Depth=3
	s_andn2_saveexec_b64 s[40:41], s[24:25]
; %bb.855:                              ;   in Loop: Header=BB33_804 Depth=3
	v_or_b32_e32 v53, 0x10000, v59
	v_cmp_eq_u32_sdwa s[24:25], v59, v3 src0_sel:WORD_0 src1_sel:DWORD
	s_nop 1
	v_cndmask_b32_e64 v53, v53, v59, s[24:25]
; %bb.856:                              ;   in Loop: Header=BB33_804 Depth=3
	s_or_b64 exec, exec, s[40:41]
	v_and_b32_e32 v54, 0xffff0000, v54
	v_and_b32_e32 v66, 0xffff0000, v66
	v_max_f32_e32 v66, v66, v66
	v_max_f32_e32 v54, v54, v54
	v_min_f32_e32 v59, v54, v66
	v_max_f32_e32 v54, v54, v66
	v_cndmask_b32_e32 v54, v54, v59, vcc
	v_and_b32_e32 v66, 0x7f800000, v54
	v_cmp_ne_u32_e64 s[24:25], s87, v66
                                        ; implicit-def: $vgpr66
	s_and_saveexec_b64 s[40:41], s[24:25]
	s_xor_b64 s[24:25], exec, s[40:41]
; %bb.857:                              ;   in Loop: Header=BB33_804 Depth=3
	v_bfe_u32 v66, v54, 16, 1
	v_add3_u32 v66, v54, v66, s96
                                        ; implicit-def: $vgpr54
; %bb.858:                              ;   in Loop: Header=BB33_804 Depth=3
	s_andn2_saveexec_b64 s[40:41], s[24:25]
; %bb.859:                              ;   in Loop: Header=BB33_804 Depth=3
	v_or_b32_e32 v66, 0x10000, v54
	v_cmp_eq_u32_sdwa s[24:25], v54, v3 src0_sel:WORD_0 src1_sel:DWORD
	s_nop 1
	v_cndmask_b32_e64 v66, v66, v54, s[24:25]
; %bb.860:                              ;   in Loop: Header=BB33_804 Depth=3
	s_or_b64 exec, exec, s[40:41]
	v_lshlrev_b32_e32 v54, 16, v55
	v_lshlrev_b32_e32 v59, 16, v67
	v_max_f32_e32 v59, v59, v59
	v_max_f32_e32 v54, v54, v54
	v_min_f32_e32 v73, v54, v59
	v_max_f32_e32 v54, v54, v59
	v_cndmask_b32_e32 v59, v54, v73, vcc
	v_and_b32_e32 v54, 0x7f800000, v59
	v_cmp_ne_u32_e64 s[24:25], s87, v54
                                        ; implicit-def: $vgpr54
	s_and_saveexec_b64 s[40:41], s[24:25]
	s_xor_b64 s[24:25], exec, s[40:41]
; %bb.861:                              ;   in Loop: Header=BB33_804 Depth=3
	v_bfe_u32 v54, v59, 16, 1
	v_add3_u32 v54, v59, v54, s96
                                        ; implicit-def: $vgpr59
; %bb.862:                              ;   in Loop: Header=BB33_804 Depth=3
	s_andn2_saveexec_b64 s[40:41], s[24:25]
; %bb.863:                              ;   in Loop: Header=BB33_804 Depth=3
	v_or_b32_e32 v54, 0x10000, v59
	v_cmp_eq_u32_sdwa s[24:25], v59, v3 src0_sel:WORD_0 src1_sel:DWORD
	s_nop 1
	v_cndmask_b32_e64 v54, v54, v59, s[24:25]
; %bb.864:                              ;   in Loop: Header=BB33_804 Depth=3
	s_or_b64 exec, exec, s[40:41]
	v_and_b32_e32 v55, 0xffff0000, v55
	v_and_b32_e32 v67, 0xffff0000, v67
	v_max_f32_e32 v67, v67, v67
	v_max_f32_e32 v55, v55, v55
	v_min_f32_e32 v59, v55, v67
	v_max_f32_e32 v55, v55, v67
	v_cndmask_b32_e32 v55, v55, v59, vcc
	v_and_b32_e32 v67, 0x7f800000, v55
	v_cmp_ne_u32_e64 s[24:25], s87, v67
                                        ; implicit-def: $vgpr67
	s_and_saveexec_b64 s[40:41], s[24:25]
	s_xor_b64 s[24:25], exec, s[40:41]
; %bb.865:                              ;   in Loop: Header=BB33_804 Depth=3
	v_bfe_u32 v67, v55, 16, 1
	v_add3_u32 v67, v55, v67, s96
                                        ; implicit-def: $vgpr55
; %bb.866:                              ;   in Loop: Header=BB33_804 Depth=3
	s_andn2_saveexec_b64 s[40:41], s[24:25]
; %bb.867:                              ;   in Loop: Header=BB33_804 Depth=3
	v_or_b32_e32 v67, 0x10000, v55
	v_cmp_eq_u32_sdwa s[24:25], v55, v3 src0_sel:WORD_0 src1_sel:DWORD
	s_nop 1
	v_cndmask_b32_e64 v67, v67, v55, s[24:25]
; %bb.868:                              ;   in Loop: Header=BB33_804 Depth=3
	s_or_b64 exec, exec, s[40:41]
	v_lshlrev_b32_e32 v55, 16, v36
	v_lshlrev_b32_e32 v59, 16, v48
	v_max_f32_e32 v59, v59, v59
	v_max_f32_e32 v55, v55, v55
	v_min_f32_e32 v73, v55, v59
	v_max_f32_e32 v55, v55, v59
	v_cndmask_b32_e32 v59, v55, v73, vcc
	v_and_b32_e32 v55, 0x7f800000, v59
	v_cmp_ne_u32_e64 s[24:25], s87, v55
                                        ; implicit-def: $vgpr55
	s_and_saveexec_b64 s[40:41], s[24:25]
	s_xor_b64 s[24:25], exec, s[40:41]
; %bb.869:                              ;   in Loop: Header=BB33_804 Depth=3
	v_bfe_u32 v55, v59, 16, 1
	v_add3_u32 v55, v59, v55, s96
                                        ; implicit-def: $vgpr59
; %bb.870:                              ;   in Loop: Header=BB33_804 Depth=3
	s_andn2_saveexec_b64 s[40:41], s[24:25]
; %bb.871:                              ;   in Loop: Header=BB33_804 Depth=3
	v_or_b32_e32 v55, 0x10000, v59
	v_cmp_eq_u32_sdwa s[24:25], v59, v3 src0_sel:WORD_0 src1_sel:DWORD
	s_nop 1
	v_cndmask_b32_e64 v55, v55, v59, s[24:25]
; %bb.872:                              ;   in Loop: Header=BB33_804 Depth=3
	s_or_b64 exec, exec, s[40:41]
	v_and_b32_e32 v36, 0xffff0000, v36
	v_and_b32_e32 v48, 0xffff0000, v48
	v_max_f32_e32 v48, v48, v48
	v_max_f32_e32 v36, v36, v36
	v_min_f32_e32 v59, v36, v48
	v_max_f32_e32 v36, v36, v48
	v_cndmask_b32_e32 v36, v36, v59, vcc
	v_and_b32_e32 v48, 0x7f800000, v36
	v_cmp_ne_u32_e64 s[24:25], s87, v48
                                        ; implicit-def: $vgpr48
	s_and_saveexec_b64 s[40:41], s[24:25]
	s_xor_b64 s[24:25], exec, s[40:41]
; %bb.873:                              ;   in Loop: Header=BB33_804 Depth=3
	v_bfe_u32 v48, v36, 16, 1
	v_add3_u32 v48, v36, v48, s96
                                        ; implicit-def: $vgpr36
; %bb.874:                              ;   in Loop: Header=BB33_804 Depth=3
	s_andn2_saveexec_b64 s[40:41], s[24:25]
; %bb.875:                              ;   in Loop: Header=BB33_804 Depth=3
	v_or_b32_e32 v48, 0x10000, v36
	v_cmp_eq_u32_sdwa s[24:25], v36, v3 src0_sel:WORD_0 src1_sel:DWORD
	s_nop 1
	v_cndmask_b32_e64 v48, v48, v36, s[24:25]
; %bb.876:                              ;   in Loop: Header=BB33_804 Depth=3
	s_or_b64 exec, exec, s[40:41]
	v_lshlrev_b32_e32 v36, 16, v37
	v_lshlrev_b32_e32 v59, 16, v49
	v_max_f32_e32 v59, v59, v59
	v_max_f32_e32 v36, v36, v36
	v_min_f32_e32 v73, v36, v59
	v_max_f32_e32 v36, v36, v59
	v_cndmask_b32_e32 v59, v36, v73, vcc
	v_and_b32_e32 v36, 0x7f800000, v59
	v_cmp_ne_u32_e64 s[24:25], s87, v36
                                        ; implicit-def: $vgpr36
	s_and_saveexec_b64 s[40:41], s[24:25]
	s_xor_b64 s[24:25], exec, s[40:41]
; %bb.877:                              ;   in Loop: Header=BB33_804 Depth=3
	v_bfe_u32 v36, v59, 16, 1
	v_add3_u32 v36, v59, v36, s96
                                        ; implicit-def: $vgpr59
; %bb.878:                              ;   in Loop: Header=BB33_804 Depth=3
	s_andn2_saveexec_b64 s[40:41], s[24:25]
; %bb.879:                              ;   in Loop: Header=BB33_804 Depth=3
	v_or_b32_e32 v36, 0x10000, v59
	v_cmp_eq_u32_sdwa s[24:25], v59, v3 src0_sel:WORD_0 src1_sel:DWORD
	s_nop 1
	v_cndmask_b32_e64 v36, v36, v59, s[24:25]
; %bb.880:                              ;   in Loop: Header=BB33_804 Depth=3
	s_or_b64 exec, exec, s[40:41]
	v_and_b32_e32 v37, 0xffff0000, v37
	v_and_b32_e32 v49, 0xffff0000, v49
	v_max_f32_e32 v49, v49, v49
	v_max_f32_e32 v37, v37, v37
	v_min_f32_e32 v59, v37, v49
	v_max_f32_e32 v37, v37, v49
	v_cndmask_b32_e32 v37, v37, v59, vcc
	v_and_b32_e32 v49, 0x7f800000, v37
	v_cmp_ne_u32_e64 s[24:25], s87, v49
                                        ; implicit-def: $vgpr49
	s_and_saveexec_b64 s[40:41], s[24:25]
	s_xor_b64 s[24:25], exec, s[40:41]
; %bb.881:                              ;   in Loop: Header=BB33_804 Depth=3
	v_bfe_u32 v49, v37, 16, 1
	v_add3_u32 v49, v37, v49, s96
                                        ; implicit-def: $vgpr37
; %bb.882:                              ;   in Loop: Header=BB33_804 Depth=3
	s_andn2_saveexec_b64 s[40:41], s[24:25]
; %bb.883:                              ;   in Loop: Header=BB33_804 Depth=3
	v_or_b32_e32 v49, 0x10000, v37
	v_cmp_eq_u32_sdwa s[24:25], v37, v3 src0_sel:WORD_0 src1_sel:DWORD
	s_nop 1
	v_cndmask_b32_e64 v49, v49, v37, s[24:25]
; %bb.884:                              ;   in Loop: Header=BB33_804 Depth=3
	s_or_b64 exec, exec, s[40:41]
	v_lshlrev_b32_e32 v37, 16, v38
	v_lshlrev_b32_e32 v59, 16, v50
	v_max_f32_e32 v59, v59, v59
	v_max_f32_e32 v37, v37, v37
	v_min_f32_e32 v73, v37, v59
	v_max_f32_e32 v37, v37, v59
	v_cndmask_b32_e32 v59, v37, v73, vcc
	v_and_b32_e32 v37, 0x7f800000, v59
	v_cmp_ne_u32_e64 s[24:25], s87, v37
                                        ; implicit-def: $vgpr37
	s_and_saveexec_b64 s[40:41], s[24:25]
	s_xor_b64 s[24:25], exec, s[40:41]
; %bb.885:                              ;   in Loop: Header=BB33_804 Depth=3
	v_bfe_u32 v37, v59, 16, 1
	v_add3_u32 v37, v59, v37, s96
                                        ; implicit-def: $vgpr59
; %bb.886:                              ;   in Loop: Header=BB33_804 Depth=3
	s_andn2_saveexec_b64 s[40:41], s[24:25]
; %bb.887:                              ;   in Loop: Header=BB33_804 Depth=3
	v_or_b32_e32 v37, 0x10000, v59
	v_cmp_eq_u32_sdwa s[24:25], v59, v3 src0_sel:WORD_0 src1_sel:DWORD
	s_nop 1
	v_cndmask_b32_e64 v37, v37, v59, s[24:25]
; %bb.888:                              ;   in Loop: Header=BB33_804 Depth=3
	s_or_b64 exec, exec, s[40:41]
	v_and_b32_e32 v38, 0xffff0000, v38
	v_and_b32_e32 v50, 0xffff0000, v50
	v_max_f32_e32 v50, v50, v50
	v_max_f32_e32 v38, v38, v38
	v_min_f32_e32 v59, v38, v50
	v_max_f32_e32 v38, v38, v50
	v_cndmask_b32_e32 v38, v38, v59, vcc
	v_and_b32_e32 v50, 0x7f800000, v38
	v_cmp_ne_u32_e64 s[24:25], s87, v50
                                        ; implicit-def: $vgpr50
	s_and_saveexec_b64 s[40:41], s[24:25]
	s_xor_b64 s[24:25], exec, s[40:41]
; %bb.889:                              ;   in Loop: Header=BB33_804 Depth=3
	v_bfe_u32 v50, v38, 16, 1
	v_add3_u32 v50, v38, v50, s96
                                        ; implicit-def: $vgpr38
; %bb.890:                              ;   in Loop: Header=BB33_804 Depth=3
	s_andn2_saveexec_b64 s[40:41], s[24:25]
; %bb.891:                              ;   in Loop: Header=BB33_804 Depth=3
	v_or_b32_e32 v50, 0x10000, v38
	v_cmp_eq_u32_sdwa s[24:25], v38, v3 src0_sel:WORD_0 src1_sel:DWORD
	s_nop 1
	v_cndmask_b32_e64 v50, v50, v38, s[24:25]
; %bb.892:                              ;   in Loop: Header=BB33_804 Depth=3
	s_or_b64 exec, exec, s[40:41]
	v_lshlrev_b32_e32 v38, 16, v39
	v_lshlrev_b32_e32 v59, 16, v51
	v_max_f32_e32 v59, v59, v59
	v_max_f32_e32 v38, v38, v38
	v_min_f32_e32 v73, v38, v59
	v_max_f32_e32 v38, v38, v59
	v_cndmask_b32_e32 v59, v38, v73, vcc
	v_and_b32_e32 v38, 0x7f800000, v59
	v_cmp_ne_u32_e64 s[24:25], s87, v38
                                        ; implicit-def: $vgpr38
	s_and_saveexec_b64 s[40:41], s[24:25]
	s_xor_b64 s[24:25], exec, s[40:41]
; %bb.893:                              ;   in Loop: Header=BB33_804 Depth=3
	v_bfe_u32 v38, v59, 16, 1
	v_add3_u32 v38, v59, v38, s96
                                        ; implicit-def: $vgpr59
; %bb.894:                              ;   in Loop: Header=BB33_804 Depth=3
	s_andn2_saveexec_b64 s[40:41], s[24:25]
; %bb.895:                              ;   in Loop: Header=BB33_804 Depth=3
	v_or_b32_e32 v38, 0x10000, v59
	v_cmp_eq_u32_sdwa s[24:25], v59, v3 src0_sel:WORD_0 src1_sel:DWORD
	s_nop 1
	v_cndmask_b32_e64 v38, v38, v59, s[24:25]
; %bb.896:                              ;   in Loop: Header=BB33_804 Depth=3
	s_or_b64 exec, exec, s[40:41]
	v_and_b32_e32 v39, 0xffff0000, v39
	v_and_b32_e32 v51, 0xffff0000, v51
	v_max_f32_e32 v51, v51, v51
	v_max_f32_e32 v39, v39, v39
	v_min_f32_e32 v59, v39, v51
	v_max_f32_e32 v39, v39, v51
	v_cndmask_b32_e32 v39, v39, v59, vcc
	v_and_b32_e32 v51, 0x7f800000, v39
	v_cmp_ne_u32_e64 s[24:25], s87, v51
                                        ; implicit-def: $vgpr51
	s_and_saveexec_b64 s[40:41], s[24:25]
	s_xor_b64 s[24:25], exec, s[40:41]
; %bb.897:                              ;   in Loop: Header=BB33_804 Depth=3
	v_bfe_u32 v51, v39, 16, 1
	v_add3_u32 v51, v39, v51, s96
                                        ; implicit-def: $vgpr39
; %bb.898:                              ;   in Loop: Header=BB33_804 Depth=3
	s_andn2_saveexec_b64 s[40:41], s[24:25]
; %bb.899:                              ;   in Loop: Header=BB33_804 Depth=3
	v_or_b32_e32 v51, 0x10000, v39
	v_cmp_eq_u32_sdwa s[24:25], v39, v3 src0_sel:WORD_0 src1_sel:DWORD
	s_nop 1
	v_cndmask_b32_e64 v51, v51, v39, s[24:25]
; %bb.900:                              ;   in Loop: Header=BB33_804 Depth=3
	s_or_b64 exec, exec, s[40:41]
	v_lshlrev_b32_e32 v39, 16, v24
	v_lshlrev_b32_e32 v59, 16, v32
	v_max_f32_e32 v59, v59, v59
	v_max_f32_e32 v39, v39, v39
	v_min_f32_e32 v73, v39, v59
	v_max_f32_e32 v39, v39, v59
	v_cndmask_b32_e32 v59, v39, v73, vcc
	v_and_b32_e32 v39, 0x7f800000, v59
	v_cmp_ne_u32_e64 s[24:25], s87, v39
                                        ; implicit-def: $vgpr39
	s_and_saveexec_b64 s[40:41], s[24:25]
	s_xor_b64 s[24:25], exec, s[40:41]
; %bb.901:                              ;   in Loop: Header=BB33_804 Depth=3
	v_bfe_u32 v39, v59, 16, 1
	v_add3_u32 v39, v59, v39, s96
                                        ; implicit-def: $vgpr59
; %bb.902:                              ;   in Loop: Header=BB33_804 Depth=3
	s_andn2_saveexec_b64 s[40:41], s[24:25]
; %bb.903:                              ;   in Loop: Header=BB33_804 Depth=3
	v_or_b32_e32 v39, 0x10000, v59
	v_cmp_eq_u32_sdwa s[24:25], v59, v3 src0_sel:WORD_0 src1_sel:DWORD
	s_nop 1
	v_cndmask_b32_e64 v39, v39, v59, s[24:25]
; %bb.904:                              ;   in Loop: Header=BB33_804 Depth=3
	s_or_b64 exec, exec, s[40:41]
	v_and_b32_e32 v24, 0xffff0000, v24
	v_and_b32_e32 v32, 0xffff0000, v32
	v_max_f32_e32 v32, v32, v32
	v_max_f32_e32 v24, v24, v24
	v_min_f32_e32 v59, v24, v32
	v_max_f32_e32 v24, v24, v32
	v_cndmask_b32_e32 v24, v24, v59, vcc
	v_and_b32_e32 v32, 0x7f800000, v24
	v_cmp_ne_u32_e64 s[24:25], s87, v32
                                        ; implicit-def: $vgpr32
	s_and_saveexec_b64 s[40:41], s[24:25]
	s_xor_b64 s[24:25], exec, s[40:41]
; %bb.905:                              ;   in Loop: Header=BB33_804 Depth=3
	v_bfe_u32 v32, v24, 16, 1
	v_add3_u32 v32, v24, v32, s96
                                        ; implicit-def: $vgpr24
; %bb.906:                              ;   in Loop: Header=BB33_804 Depth=3
	s_andn2_saveexec_b64 s[40:41], s[24:25]
; %bb.907:                              ;   in Loop: Header=BB33_804 Depth=3
	v_or_b32_e32 v32, 0x10000, v24
	v_cmp_eq_u32_sdwa s[24:25], v24, v3 src0_sel:WORD_0 src1_sel:DWORD
	s_nop 1
	v_cndmask_b32_e64 v32, v32, v24, s[24:25]
; %bb.908:                              ;   in Loop: Header=BB33_804 Depth=3
	s_or_b64 exec, exec, s[40:41]
	v_lshlrev_b32_e32 v24, 16, v25
	v_lshlrev_b32_e32 v59, 16, v33
	v_max_f32_e32 v59, v59, v59
	v_max_f32_e32 v24, v24, v24
	v_min_f32_e32 v73, v24, v59
	v_max_f32_e32 v24, v24, v59
	v_cndmask_b32_e32 v59, v24, v73, vcc
	v_and_b32_e32 v24, 0x7f800000, v59
	v_cmp_ne_u32_e64 s[24:25], s87, v24
                                        ; implicit-def: $vgpr24
	s_and_saveexec_b64 s[40:41], s[24:25]
	s_xor_b64 s[24:25], exec, s[40:41]
; %bb.909:                              ;   in Loop: Header=BB33_804 Depth=3
	v_bfe_u32 v24, v59, 16, 1
	v_add3_u32 v24, v59, v24, s96
                                        ; implicit-def: $vgpr59
; %bb.910:                              ;   in Loop: Header=BB33_804 Depth=3
	s_andn2_saveexec_b64 s[40:41], s[24:25]
; %bb.911:                              ;   in Loop: Header=BB33_804 Depth=3
	v_or_b32_e32 v24, 0x10000, v59
	v_cmp_eq_u32_sdwa s[24:25], v59, v3 src0_sel:WORD_0 src1_sel:DWORD
	s_nop 1
	v_cndmask_b32_e64 v24, v24, v59, s[24:25]
; %bb.912:                              ;   in Loop: Header=BB33_804 Depth=3
	s_or_b64 exec, exec, s[40:41]
	v_and_b32_e32 v25, 0xffff0000, v25
	v_and_b32_e32 v33, 0xffff0000, v33
	v_max_f32_e32 v33, v33, v33
	v_max_f32_e32 v25, v25, v25
	v_min_f32_e32 v59, v25, v33
	v_max_f32_e32 v25, v25, v33
	v_cndmask_b32_e32 v25, v25, v59, vcc
	v_and_b32_e32 v33, 0x7f800000, v25
	v_cmp_ne_u32_e64 s[24:25], s87, v33
                                        ; implicit-def: $vgpr33
	s_and_saveexec_b64 s[40:41], s[24:25]
	s_xor_b64 s[24:25], exec, s[40:41]
; %bb.913:                              ;   in Loop: Header=BB33_804 Depth=3
	v_bfe_u32 v33, v25, 16, 1
	v_add3_u32 v33, v25, v33, s96
                                        ; implicit-def: $vgpr25
; %bb.914:                              ;   in Loop: Header=BB33_804 Depth=3
	s_andn2_saveexec_b64 s[40:41], s[24:25]
; %bb.915:                              ;   in Loop: Header=BB33_804 Depth=3
	v_or_b32_e32 v33, 0x10000, v25
	v_cmp_eq_u32_sdwa s[24:25], v25, v3 src0_sel:WORD_0 src1_sel:DWORD
	s_nop 1
	v_cndmask_b32_e64 v33, v33, v25, s[24:25]
; %bb.916:                              ;   in Loop: Header=BB33_804 Depth=3
	s_or_b64 exec, exec, s[40:41]
	v_lshlrev_b32_e32 v25, 16, v26
	v_lshlrev_b32_e32 v59, 16, v34
	v_max_f32_e32 v59, v59, v59
	v_max_f32_e32 v25, v25, v25
	v_min_f32_e32 v73, v25, v59
	v_max_f32_e32 v25, v25, v59
	v_cndmask_b32_e32 v59, v25, v73, vcc
	v_and_b32_e32 v25, 0x7f800000, v59
	v_cmp_ne_u32_e64 s[24:25], s87, v25
                                        ; implicit-def: $vgpr25
	s_and_saveexec_b64 s[40:41], s[24:25]
	s_xor_b64 s[24:25], exec, s[40:41]
; %bb.917:                              ;   in Loop: Header=BB33_804 Depth=3
	v_bfe_u32 v25, v59, 16, 1
	v_add3_u32 v25, v59, v25, s96
                                        ; implicit-def: $vgpr59
; %bb.918:                              ;   in Loop: Header=BB33_804 Depth=3
	s_andn2_saveexec_b64 s[40:41], s[24:25]
; %bb.919:                              ;   in Loop: Header=BB33_804 Depth=3
	v_or_b32_e32 v25, 0x10000, v59
	v_cmp_eq_u32_sdwa s[24:25], v59, v3 src0_sel:WORD_0 src1_sel:DWORD
	s_nop 1
	v_cndmask_b32_e64 v25, v25, v59, s[24:25]
; %bb.920:                              ;   in Loop: Header=BB33_804 Depth=3
	s_or_b64 exec, exec, s[40:41]
	v_and_b32_e32 v26, 0xffff0000, v26
	v_and_b32_e32 v34, 0xffff0000, v34
	v_max_f32_e32 v34, v34, v34
	v_max_f32_e32 v26, v26, v26
	v_min_f32_e32 v59, v26, v34
	v_max_f32_e32 v26, v26, v34
	v_cndmask_b32_e32 v26, v26, v59, vcc
	v_and_b32_e32 v34, 0x7f800000, v26
	v_cmp_ne_u32_e64 s[24:25], s87, v34
                                        ; implicit-def: $vgpr34
	s_and_saveexec_b64 s[40:41], s[24:25]
	s_xor_b64 s[24:25], exec, s[40:41]
; %bb.921:                              ;   in Loop: Header=BB33_804 Depth=3
	v_bfe_u32 v34, v26, 16, 1
	v_add3_u32 v34, v26, v34, s96
                                        ; implicit-def: $vgpr26
; %bb.922:                              ;   in Loop: Header=BB33_804 Depth=3
	s_andn2_saveexec_b64 s[40:41], s[24:25]
; %bb.923:                              ;   in Loop: Header=BB33_804 Depth=3
	v_or_b32_e32 v34, 0x10000, v26
	v_cmp_eq_u32_sdwa s[24:25], v26, v3 src0_sel:WORD_0 src1_sel:DWORD
	s_nop 1
	v_cndmask_b32_e64 v34, v34, v26, s[24:25]
; %bb.924:                              ;   in Loop: Header=BB33_804 Depth=3
	s_or_b64 exec, exec, s[40:41]
	v_lshlrev_b32_e32 v26, 16, v27
	v_lshlrev_b32_e32 v59, 16, v35
	v_max_f32_e32 v59, v59, v59
	v_max_f32_e32 v26, v26, v26
	v_min_f32_e32 v73, v26, v59
	v_max_f32_e32 v26, v26, v59
	v_cndmask_b32_e32 v59, v26, v73, vcc
	v_and_b32_e32 v26, 0x7f800000, v59
	v_cmp_ne_u32_e64 s[24:25], s87, v26
                                        ; implicit-def: $vgpr26
	s_and_saveexec_b64 s[40:41], s[24:25]
	s_xor_b64 s[24:25], exec, s[40:41]
; %bb.925:                              ;   in Loop: Header=BB33_804 Depth=3
	v_bfe_u32 v26, v59, 16, 1
	v_add3_u32 v26, v59, v26, s96
                                        ; implicit-def: $vgpr59
; %bb.926:                              ;   in Loop: Header=BB33_804 Depth=3
	s_andn2_saveexec_b64 s[40:41], s[24:25]
; %bb.927:                              ;   in Loop: Header=BB33_804 Depth=3
	v_or_b32_e32 v26, 0x10000, v59
	v_cmp_eq_u32_sdwa s[24:25], v59, v3 src0_sel:WORD_0 src1_sel:DWORD
	s_nop 1
	v_cndmask_b32_e64 v26, v26, v59, s[24:25]
; %bb.928:                              ;   in Loop: Header=BB33_804 Depth=3
	s_or_b64 exec, exec, s[40:41]
	v_and_b32_e32 v27, 0xffff0000, v27
	v_and_b32_e32 v35, 0xffff0000, v35
	v_max_f32_e32 v35, v35, v35
	v_max_f32_e32 v27, v27, v27
	v_min_f32_e32 v59, v27, v35
	v_max_f32_e32 v27, v27, v35
	v_cndmask_b32_e32 v35, v27, v59, vcc
	v_and_b32_e32 v27, 0x7f800000, v35
	v_cmp_ne_u32_e64 s[24:25], s87, v27
                                        ; implicit-def: $vgpr27
	s_and_saveexec_b64 s[40:41], s[24:25]
	s_xor_b64 s[24:25], exec, s[40:41]
; %bb.929:                              ;   in Loop: Header=BB33_804 Depth=3
	v_bfe_u32 v27, v35, 16, 1
	v_add3_u32 v27, v35, v27, s96
                                        ; implicit-def: $vgpr35
; %bb.930:                              ;   in Loop: Header=BB33_804 Depth=3
	s_andn2_saveexec_b64 s[40:41], s[24:25]
; %bb.931:                              ;   in Loop: Header=BB33_804 Depth=3
	v_or_b32_e32 v27, 0x10000, v35
	v_cmp_eq_u32_sdwa s[24:25], v35, v3 src0_sel:WORD_0 src1_sel:DWORD
	s_nop 1
	v_cndmask_b32_e64 v27, v27, v35, s[24:25]
; %bb.932:                              ;   in Loop: Header=BB33_804 Depth=3
	s_or_b64 exec, exec, s[40:41]
	v_and_b32_e32 v35, 0xffff0000, v87
	v_lshlrev_b32_e32 v59, 16, v20
	v_max_f32_e32 v35, v35, v35
	v_max_f32_e32 v59, v59, v59
	v_min_f32_e32 v73, v35, v59
	v_max_f32_e32 v35, v35, v59
	v_cndmask_b32_e32 v59, v35, v73, vcc
	v_and_b32_e32 v35, 0x7f800000, v59
	v_cmp_ne_u32_e64 s[24:25], s87, v35
                                        ; implicit-def: $vgpr35
	s_and_saveexec_b64 s[40:41], s[24:25]
	s_xor_b64 s[24:25], exec, s[40:41]
; %bb.933:                              ;   in Loop: Header=BB33_804 Depth=3
	v_bfe_u32 v35, v59, 16, 1
	v_add3_u32 v35, v59, v35, s96
                                        ; implicit-def: $vgpr59
; %bb.934:                              ;   in Loop: Header=BB33_804 Depth=3
	s_andn2_saveexec_b64 s[40:41], s[24:25]
; %bb.935:                              ;   in Loop: Header=BB33_804 Depth=3
	v_or_b32_e32 v35, 0x10000, v59
	v_cmp_eq_u32_sdwa s[24:25], v59, v3 src0_sel:WORD_0 src1_sel:DWORD
	s_nop 1
	v_cndmask_b32_e64 v35, v35, v59, s[24:25]
; %bb.936:                              ;   in Loop: Header=BB33_804 Depth=3
	s_or_b64 exec, exec, s[40:41]
	v_and_b32_e32 v59, 0xffff0000, v20
	v_and_b32_e32 v20, 0xffff0000, v80
	v_max_f32_e32 v80, v59, v59
	v_max_f32_e32 v59, v20, v20
	v_min_f32_e32 v73, v59, v80
	v_max_f32_e32 v80, v59, v80
	v_cndmask_b32_e32 v59, v80, v73, vcc
	v_and_b32_e32 v80, 0x7f800000, v59
	v_cmp_ne_u32_e64 s[24:25], s87, v80
                                        ; implicit-def: $vgpr80
	s_and_saveexec_b64 s[40:41], s[24:25]
	s_xor_b64 s[24:25], exec, s[40:41]
; %bb.937:                              ;   in Loop: Header=BB33_804 Depth=3
	v_bfe_u32 v80, v59, 16, 1
	v_add3_u32 v80, v59, v80, s96
                                        ; implicit-def: $vgpr59
; %bb.938:                              ;   in Loop: Header=BB33_804 Depth=3
	s_andn2_saveexec_b64 s[40:41], s[24:25]
; %bb.939:                              ;   in Loop: Header=BB33_804 Depth=3
	v_or_b32_e32 v80, 0x10000, v59
	v_cmp_eq_u32_sdwa s[24:25], v59, v3 src0_sel:WORD_0 src1_sel:DWORD
	s_nop 1
	v_cndmask_b32_e64 v80, v80, v59, s[24:25]
; %bb.940:                              ;   in Loop: Header=BB33_804 Depth=3
	s_or_b64 exec, exec, s[40:41]
	v_and_b32_e32 v59, 0xffff0000, v68
	v_lshlrev_b32_e32 v73, 16, v21
	v_max_f32_e32 v59, v59, v59
	v_max_f32_e32 v73, v73, v73
	v_min_f32_e32 v106, v59, v73
	v_max_f32_e32 v59, v59, v73
	v_cndmask_b32_e32 v73, v59, v106, vcc
	v_and_b32_e32 v59, 0x7f800000, v73
	v_cmp_ne_u32_e64 s[24:25], s87, v59
                                        ; implicit-def: $vgpr59
	s_and_saveexec_b64 s[40:41], s[24:25]
	s_xor_b64 s[24:25], exec, s[40:41]
; %bb.941:                              ;   in Loop: Header=BB33_804 Depth=3
	v_bfe_u32 v59, v73, 16, 1
	v_add3_u32 v59, v73, v59, s96
                                        ; implicit-def: $vgpr73
; %bb.942:                              ;   in Loop: Header=BB33_804 Depth=3
	s_andn2_saveexec_b64 s[40:41], s[24:25]
; %bb.943:                              ;   in Loop: Header=BB33_804 Depth=3
	v_or_b32_e32 v59, 0x10000, v73
	v_cmp_eq_u32_sdwa s[24:25], v73, v3 src0_sel:WORD_0 src1_sel:DWORD
	s_nop 1
	v_cndmask_b32_e64 v59, v59, v73, s[24:25]
; %bb.944:                              ;   in Loop: Header=BB33_804 Depth=3
	s_or_b64 exec, exec, s[40:41]
	v_and_b32_e32 v73, 0xffff0000, v21
	v_and_b32_e32 v21, 0xffff0000, v81
	v_max_f32_e32 v81, v73, v73
	v_max_f32_e32 v73, v21, v21
	v_min_f32_e32 v106, v73, v81
	v_max_f32_e32 v81, v73, v81
	v_cndmask_b32_e32 v73, v81, v106, vcc
	v_and_b32_e32 v81, 0x7f800000, v73
	v_cmp_ne_u32_e64 s[24:25], s87, v81
                                        ; implicit-def: $vgpr81
	s_and_saveexec_b64 s[40:41], s[24:25]
	s_xor_b64 s[24:25], exec, s[40:41]
; %bb.945:                              ;   in Loop: Header=BB33_804 Depth=3
	v_bfe_u32 v81, v73, 16, 1
	v_add3_u32 v81, v73, v81, s96
                                        ; implicit-def: $vgpr73
; %bb.946:                              ;   in Loop: Header=BB33_804 Depth=3
	s_andn2_saveexec_b64 s[40:41], s[24:25]
; %bb.947:                              ;   in Loop: Header=BB33_804 Depth=3
	v_or_b32_e32 v81, 0x10000, v73
	v_cmp_eq_u32_sdwa s[24:25], v73, v3 src0_sel:WORD_0 src1_sel:DWORD
	s_nop 1
	v_cndmask_b32_e64 v81, v81, v73, s[24:25]
; %bb.948:                              ;   in Loop: Header=BB33_804 Depth=3
	s_or_b64 exec, exec, s[40:41]
	v_and_b32_e32 v73, 0xffff0000, v69
	v_lshlrev_b32_e32 v106, 16, v22
	v_max_f32_e32 v73, v73, v73
	v_max_f32_e32 v106, v106, v106
	v_min_f32_e32 v107, v73, v106
	v_max_f32_e32 v73, v73, v106
	v_cndmask_b32_e32 v106, v73, v107, vcc
	v_and_b32_e32 v73, 0x7f800000, v106
	v_cmp_ne_u32_e64 s[24:25], s87, v73
                                        ; implicit-def: $vgpr73
	s_and_saveexec_b64 s[40:41], s[24:25]
	s_xor_b64 s[24:25], exec, s[40:41]
; %bb.949:                              ;   in Loop: Header=BB33_804 Depth=3
	v_bfe_u32 v73, v106, 16, 1
	v_add3_u32 v73, v106, v73, s96
                                        ; implicit-def: $vgpr106
; %bb.950:                              ;   in Loop: Header=BB33_804 Depth=3
	s_andn2_saveexec_b64 s[40:41], s[24:25]
; %bb.951:                              ;   in Loop: Header=BB33_804 Depth=3
	v_or_b32_e32 v73, 0x10000, v106
	v_cmp_eq_u32_sdwa s[24:25], v106, v3 src0_sel:WORD_0 src1_sel:DWORD
	s_nop 1
	v_cndmask_b32_e64 v73, v73, v106, s[24:25]
; %bb.952:                              ;   in Loop: Header=BB33_804 Depth=3
	s_or_b64 exec, exec, s[40:41]
	v_and_b32_e32 v106, 0xffff0000, v22
	v_and_b32_e32 v22, 0xffff0000, v82
	v_max_f32_e32 v82, v106, v106
	v_max_f32_e32 v106, v22, v22
	v_min_f32_e32 v107, v106, v82
	v_max_f32_e32 v82, v106, v82
	v_cndmask_b32_e32 v106, v82, v107, vcc
	v_and_b32_e32 v82, 0x7f800000, v106
	v_cmp_ne_u32_e64 s[24:25], s87, v82
                                        ; implicit-def: $vgpr82
	s_and_saveexec_b64 s[40:41], s[24:25]
	s_xor_b64 s[24:25], exec, s[40:41]
; %bb.953:                              ;   in Loop: Header=BB33_804 Depth=3
	v_bfe_u32 v82, v106, 16, 1
	v_add3_u32 v82, v106, v82, s96
                                        ; implicit-def: $vgpr106
; %bb.954:                              ;   in Loop: Header=BB33_804 Depth=3
	s_andn2_saveexec_b64 s[40:41], s[24:25]
; %bb.955:                              ;   in Loop: Header=BB33_804 Depth=3
	v_or_b32_e32 v82, 0x10000, v106
	v_cmp_eq_u32_sdwa s[24:25], v106, v3 src0_sel:WORD_0 src1_sel:DWORD
	s_nop 1
	v_cndmask_b32_e64 v82, v82, v106, s[24:25]
; %bb.956:                              ;   in Loop: Header=BB33_804 Depth=3
	s_or_b64 exec, exec, s[40:41]
	v_and_b32_e32 v106, 0xffff0000, v70
	v_lshlrev_b32_e32 v107, 16, v23
	v_max_f32_e32 v106, v106, v106
	v_max_f32_e32 v107, v107, v107
	v_min_f32_e32 v108, v106, v107
	v_max_f32_e32 v106, v106, v107
	v_cndmask_b32_e32 v107, v106, v108, vcc
	v_and_b32_e32 v106, 0x7f800000, v107
	v_cmp_ne_u32_e64 s[24:25], s87, v106
                                        ; implicit-def: $vgpr106
	s_and_saveexec_b64 s[40:41], s[24:25]
	s_xor_b64 s[24:25], exec, s[40:41]
; %bb.957:                              ;   in Loop: Header=BB33_804 Depth=3
	v_bfe_u32 v106, v107, 16, 1
	v_add3_u32 v106, v107, v106, s96
                                        ; implicit-def: $vgpr107
; %bb.958:                              ;   in Loop: Header=BB33_804 Depth=3
	s_andn2_saveexec_b64 s[40:41], s[24:25]
; %bb.959:                              ;   in Loop: Header=BB33_804 Depth=3
	v_or_b32_e32 v106, 0x10000, v107
	v_cmp_eq_u32_sdwa s[24:25], v107, v3 src0_sel:WORD_0 src1_sel:DWORD
	s_nop 1
	v_cndmask_b32_e64 v106, v106, v107, s[24:25]
; %bb.960:                              ;   in Loop: Header=BB33_804 Depth=3
	s_or_b64 exec, exec, s[40:41]
	v_and_b32_e32 v107, 0xffff0000, v23
	v_and_b32_e32 v23, 0xffff0000, v83
	v_max_f32_e32 v83, v107, v107
	v_max_f32_e32 v107, v23, v23
	v_min_f32_e32 v108, v107, v83
	v_max_f32_e32 v83, v107, v83
	v_cndmask_b32_e32 v107, v83, v108, vcc
	v_and_b32_e32 v83, 0x7f800000, v107
	v_cmp_ne_u32_e64 s[24:25], s87, v83
                                        ; implicit-def: $vgpr83
	s_and_saveexec_b64 s[40:41], s[24:25]
	s_xor_b64 s[24:25], exec, s[40:41]
; %bb.961:                              ;   in Loop: Header=BB33_804 Depth=3
	v_bfe_u32 v83, v107, 16, 1
	v_add3_u32 v83, v107, v83, s96
                                        ; implicit-def: $vgpr107
; %bb.962:                              ;   in Loop: Header=BB33_804 Depth=3
	s_andn2_saveexec_b64 s[40:41], s[24:25]
; %bb.963:                              ;   in Loop: Header=BB33_804 Depth=3
	v_or_b32_e32 v83, 0x10000, v107
	v_cmp_eq_u32_sdwa s[24:25], v107, v3 src0_sel:WORD_0 src1_sel:DWORD
	s_nop 1
	v_cndmask_b32_e64 v83, v83, v107, s[24:25]
; %bb.964:                              ;   in Loop: Header=BB33_804 Depth=3
	s_or_b64 exec, exec, s[40:41]
	v_lshrrev_b32_e32 v35, 16, v35
	v_and_or_b32 v80, v80, s97, v35
	v_lshrrev_b32_e32 v35, 16, v73
	v_lshrrev_b32_e32 v59, 16, v59
	v_and_or_b32 v82, v82, s97, v35
	v_lshrrev_b32_e32 v35, 16, v106
	v_and_or_b32 v81, v81, s97, v59
	v_and_or_b32 v83, v83, s97, v35
	global_store_dwordx4 v[112:113], v[80:83], off
	v_and_b32_e32 v35, 0xffff0000, v71
	v_max_f32_e32 v35, v35, v35
	v_lshlrev_b32_e32 v80, 16, v16
	v_max_f32_e32 v80, v80, v80
	v_min_f32_e32 v81, v35, v80
	v_max_f32_e32 v35, v35, v80
	v_cndmask_b32_e32 v80, v35, v81, vcc
	v_and_b32_e32 v35, 0x7f800000, v80
	v_cmp_ne_u32_e64 s[24:25], s87, v35
                                        ; implicit-def: $vgpr35
	s_and_saveexec_b64 s[40:41], s[24:25]
	s_xor_b64 s[24:25], exec, s[40:41]
; %bb.965:                              ;   in Loop: Header=BB33_804 Depth=3
	v_bfe_u32 v35, v80, 16, 1
	v_add3_u32 v35, v80, v35, s96
                                        ; implicit-def: $vgpr80
; %bb.966:                              ;   in Loop: Header=BB33_804 Depth=3
	s_andn2_saveexec_b64 s[40:41], s[24:25]
; %bb.967:                              ;   in Loop: Header=BB33_804 Depth=3
	v_or_b32_e32 v35, 0x10000, v80
	v_cmp_eq_u32_sdwa s[24:25], v80, v3 src0_sel:WORD_0 src1_sel:DWORD
	s_nop 1
	v_cndmask_b32_e64 v35, v35, v80, s[24:25]
; %bb.968:                              ;   in Loop: Header=BB33_804 Depth=3
	s_or_b64 exec, exec, s[40:41]
	v_and_b32_e32 v80, 0xffff0000, v16
	v_and_b32_e32 v16, 0xffff0000, v64
	v_max_f32_e32 v64, v80, v80
	v_max_f32_e32 v80, v16, v16
	v_min_f32_e32 v81, v80, v64
	v_max_f32_e32 v64, v80, v64
	v_cndmask_b32_e32 v80, v64, v81, vcc
	v_and_b32_e32 v64, 0x7f800000, v80
	v_cmp_ne_u32_e64 s[24:25], s87, v64
                                        ; implicit-def: $vgpr64
	s_and_saveexec_b64 s[40:41], s[24:25]
	s_xor_b64 s[24:25], exec, s[40:41]
; %bb.969:                              ;   in Loop: Header=BB33_804 Depth=3
	v_bfe_u32 v64, v80, 16, 1
	v_add3_u32 v64, v80, v64, s96
                                        ; implicit-def: $vgpr80
; %bb.970:                              ;   in Loop: Header=BB33_804 Depth=3
	s_andn2_saveexec_b64 s[40:41], s[24:25]
; %bb.971:                              ;   in Loop: Header=BB33_804 Depth=3
	v_or_b32_e32 v64, 0x10000, v80
	v_cmp_eq_u32_sdwa s[24:25], v80, v3 src0_sel:WORD_0 src1_sel:DWORD
	s_nop 1
	v_cndmask_b32_e64 v64, v64, v80, s[24:25]
; %bb.972:                              ;   in Loop: Header=BB33_804 Depth=3
	s_or_b64 exec, exec, s[40:41]
	v_and_b32_e32 v80, 0xffff0000, v52
	v_lshlrev_b32_e32 v81, 16, v17
	v_max_f32_e32 v80, v80, v80
	v_max_f32_e32 v81, v81, v81
	v_min_f32_e32 v82, v80, v81
	v_max_f32_e32 v80, v80, v81
	v_cndmask_b32_e32 v81, v80, v82, vcc
	v_and_b32_e32 v80, 0x7f800000, v81
	v_cmp_ne_u32_e64 s[24:25], s87, v80
                                        ; implicit-def: $vgpr80
	s_and_saveexec_b64 s[40:41], s[24:25]
	s_xor_b64 s[24:25], exec, s[40:41]
; %bb.973:                              ;   in Loop: Header=BB33_804 Depth=3
	v_bfe_u32 v80, v81, 16, 1
	v_add3_u32 v80, v81, v80, s96
                                        ; implicit-def: $vgpr81
; %bb.974:                              ;   in Loop: Header=BB33_804 Depth=3
	s_andn2_saveexec_b64 s[40:41], s[24:25]
; %bb.975:                              ;   in Loop: Header=BB33_804 Depth=3
	v_or_b32_e32 v80, 0x10000, v81
	v_cmp_eq_u32_sdwa s[24:25], v81, v3 src0_sel:WORD_0 src1_sel:DWORD
	s_nop 1
	v_cndmask_b32_e64 v80, v80, v81, s[24:25]
; %bb.976:                              ;   in Loop: Header=BB33_804 Depth=3
	s_or_b64 exec, exec, s[40:41]
	v_and_b32_e32 v81, 0xffff0000, v17
	v_and_b32_e32 v17, 0xffff0000, v65
	v_max_f32_e32 v65, v81, v81
	v_max_f32_e32 v81, v17, v17
	v_min_f32_e32 v82, v81, v65
	v_max_f32_e32 v65, v81, v65
	v_cndmask_b32_e32 v81, v65, v82, vcc
	v_and_b32_e32 v65, 0x7f800000, v81
	v_cmp_ne_u32_e64 s[24:25], s87, v65
                                        ; implicit-def: $vgpr65
	s_and_saveexec_b64 s[40:41], s[24:25]
	s_xor_b64 s[24:25], exec, s[40:41]
; %bb.977:                              ;   in Loop: Header=BB33_804 Depth=3
	v_bfe_u32 v65, v81, 16, 1
	v_add3_u32 v65, v81, v65, s96
                                        ; implicit-def: $vgpr81
; %bb.978:                              ;   in Loop: Header=BB33_804 Depth=3
	s_andn2_saveexec_b64 s[40:41], s[24:25]
; %bb.979:                              ;   in Loop: Header=BB33_804 Depth=3
	v_or_b32_e32 v65, 0x10000, v81
	v_cmp_eq_u32_sdwa s[24:25], v81, v3 src0_sel:WORD_0 src1_sel:DWORD
	s_nop 1
	v_cndmask_b32_e64 v65, v65, v81, s[24:25]
; %bb.980:                              ;   in Loop: Header=BB33_804 Depth=3
	s_or_b64 exec, exec, s[40:41]
	v_and_b32_e32 v81, 0xffff0000, v53
	v_lshlrev_b32_e32 v82, 16, v18
	v_max_f32_e32 v81, v81, v81
	v_max_f32_e32 v82, v82, v82
	v_min_f32_e32 v83, v81, v82
	v_max_f32_e32 v81, v81, v82
	v_cndmask_b32_e32 v82, v81, v83, vcc
	v_and_b32_e32 v81, 0x7f800000, v82
	v_cmp_ne_u32_e64 s[24:25], s87, v81
                                        ; implicit-def: $vgpr81
	s_and_saveexec_b64 s[40:41], s[24:25]
	s_xor_b64 s[24:25], exec, s[40:41]
; %bb.981:                              ;   in Loop: Header=BB33_804 Depth=3
	v_bfe_u32 v81, v82, 16, 1
	v_add3_u32 v81, v82, v81, s96
                                        ; implicit-def: $vgpr82
; %bb.982:                              ;   in Loop: Header=BB33_804 Depth=3
	s_andn2_saveexec_b64 s[40:41], s[24:25]
; %bb.983:                              ;   in Loop: Header=BB33_804 Depth=3
	v_or_b32_e32 v81, 0x10000, v82
	v_cmp_eq_u32_sdwa s[24:25], v82, v3 src0_sel:WORD_0 src1_sel:DWORD
	s_nop 1
	v_cndmask_b32_e64 v81, v81, v82, s[24:25]
; %bb.984:                              ;   in Loop: Header=BB33_804 Depth=3
	s_or_b64 exec, exec, s[40:41]
	v_and_b32_e32 v82, 0xffff0000, v18
	v_and_b32_e32 v18, 0xffff0000, v66
	v_max_f32_e32 v66, v82, v82
	v_max_f32_e32 v82, v18, v18
	v_min_f32_e32 v83, v82, v66
	v_max_f32_e32 v66, v82, v66
	v_cndmask_b32_e32 v82, v66, v83, vcc
	v_and_b32_e32 v66, 0x7f800000, v82
	v_cmp_ne_u32_e64 s[24:25], s87, v66
                                        ; implicit-def: $vgpr66
	s_and_saveexec_b64 s[40:41], s[24:25]
	s_xor_b64 s[24:25], exec, s[40:41]
; %bb.985:                              ;   in Loop: Header=BB33_804 Depth=3
	v_bfe_u32 v66, v82, 16, 1
	v_add3_u32 v66, v82, v66, s96
                                        ; implicit-def: $vgpr82
; %bb.986:                              ;   in Loop: Header=BB33_804 Depth=3
	s_andn2_saveexec_b64 s[40:41], s[24:25]
; %bb.987:                              ;   in Loop: Header=BB33_804 Depth=3
	v_or_b32_e32 v66, 0x10000, v82
	v_cmp_eq_u32_sdwa s[24:25], v82, v3 src0_sel:WORD_0 src1_sel:DWORD
	s_nop 1
	v_cndmask_b32_e64 v66, v66, v82, s[24:25]
; %bb.988:                              ;   in Loop: Header=BB33_804 Depth=3
	s_or_b64 exec, exec, s[40:41]
	v_and_b32_e32 v82, 0xffff0000, v54
	v_lshlrev_b32_e32 v83, 16, v19
	v_max_f32_e32 v82, v82, v82
	v_max_f32_e32 v83, v83, v83
	v_min_f32_e32 v59, v82, v83
	v_max_f32_e32 v82, v82, v83
	v_cndmask_b32_e32 v83, v82, v59, vcc
	v_and_b32_e32 v82, 0x7f800000, v83
	v_cmp_ne_u32_e64 s[24:25], s87, v82
                                        ; implicit-def: $vgpr82
	s_and_saveexec_b64 s[40:41], s[24:25]
	s_xor_b64 s[24:25], exec, s[40:41]
; %bb.989:                              ;   in Loop: Header=BB33_804 Depth=3
	v_bfe_u32 v82, v83, 16, 1
	v_add3_u32 v82, v83, v82, s96
                                        ; implicit-def: $vgpr83
; %bb.990:                              ;   in Loop: Header=BB33_804 Depth=3
	s_andn2_saveexec_b64 s[40:41], s[24:25]
; %bb.991:                              ;   in Loop: Header=BB33_804 Depth=3
	v_or_b32_e32 v82, 0x10000, v83
	v_cmp_eq_u32_sdwa s[24:25], v83, v3 src0_sel:WORD_0 src1_sel:DWORD
	s_nop 1
	v_cndmask_b32_e64 v82, v82, v83, s[24:25]
; %bb.992:                              ;   in Loop: Header=BB33_804 Depth=3
	s_or_b64 exec, exec, s[40:41]
	v_and_b32_e32 v83, 0xffff0000, v19
	v_and_b32_e32 v19, 0xffff0000, v67
	v_max_f32_e32 v67, v83, v83
	v_max_f32_e32 v83, v19, v19
	v_min_f32_e32 v59, v83, v67
	v_max_f32_e32 v67, v83, v67
	v_cndmask_b32_e32 v83, v67, v59, vcc
	v_and_b32_e32 v67, 0x7f800000, v83
	v_cmp_ne_u32_e64 s[24:25], s87, v67
                                        ; implicit-def: $vgpr67
	s_and_saveexec_b64 s[40:41], s[24:25]
	s_xor_b64 s[24:25], exec, s[40:41]
; %bb.993:                              ;   in Loop: Header=BB33_804 Depth=3
	v_bfe_u32 v67, v83, 16, 1
	v_add3_u32 v67, v83, v67, s96
                                        ; implicit-def: $vgpr83
; %bb.994:                              ;   in Loop: Header=BB33_804 Depth=3
	s_andn2_saveexec_b64 s[40:41], s[24:25]
; %bb.995:                              ;   in Loop: Header=BB33_804 Depth=3
	v_or_b32_e32 v67, 0x10000, v83
	v_cmp_eq_u32_sdwa s[24:25], v83, v3 src0_sel:WORD_0 src1_sel:DWORD
	s_nop 1
	v_cndmask_b32_e64 v67, v67, v83, s[24:25]
; %bb.996:                              ;   in Loop: Header=BB33_804 Depth=3
	s_or_b64 exec, exec, s[40:41]
	v_lshrrev_b32_e32 v35, 16, v35
	v_and_or_b32 v64, v64, s97, v35
	v_lshrrev_b32_e32 v35, 16, v81
	v_lshrrev_b32_e32 v80, 16, v80
	v_and_or_b32 v66, v66, s97, v35
	v_lshrrev_b32_e32 v35, 16, v82
	v_and_or_b32 v65, v65, s97, v80
	v_and_or_b32 v67, v67, s97, v35
	global_store_dwordx4 v[112:113], v[64:67], off offset:1024
	v_and_b32_e32 v35, 0xffff0000, v55
	v_max_f32_e32 v35, v35, v35
	v_lshlrev_b32_e32 v64, 16, v12
	v_max_f32_e32 v64, v64, v64
	v_min_f32_e32 v65, v35, v64
	v_max_f32_e32 v35, v35, v64
	v_cndmask_b32_e32 v64, v35, v65, vcc
	v_and_b32_e32 v35, 0x7f800000, v64
	v_cmp_ne_u32_e64 s[24:25], s87, v35
                                        ; implicit-def: $vgpr35
	s_and_saveexec_b64 s[40:41], s[24:25]
	s_xor_b64 s[24:25], exec, s[40:41]
; %bb.997:                              ;   in Loop: Header=BB33_804 Depth=3
	v_bfe_u32 v35, v64, 16, 1
	v_add3_u32 v35, v64, v35, s96
                                        ; implicit-def: $vgpr64
; %bb.998:                              ;   in Loop: Header=BB33_804 Depth=3
	s_andn2_saveexec_b64 s[40:41], s[24:25]
; %bb.999:                              ;   in Loop: Header=BB33_804 Depth=3
	v_or_b32_e32 v35, 0x10000, v64
	v_cmp_eq_u32_sdwa s[24:25], v64, v3 src0_sel:WORD_0 src1_sel:DWORD
	s_nop 1
	v_cndmask_b32_e64 v35, v35, v64, s[24:25]
; %bb.1000:                             ;   in Loop: Header=BB33_804 Depth=3
	s_or_b64 exec, exec, s[40:41]
	v_and_b32_e32 v64, 0xffff0000, v12
	v_and_b32_e32 v12, 0xffff0000, v48
	v_max_f32_e32 v48, v64, v64
	v_max_f32_e32 v64, v12, v12
	v_min_f32_e32 v65, v64, v48
	v_max_f32_e32 v48, v64, v48
	v_cndmask_b32_e32 v64, v48, v65, vcc
	v_and_b32_e32 v48, 0x7f800000, v64
	v_cmp_ne_u32_e64 s[24:25], s87, v48
                                        ; implicit-def: $vgpr48
	s_and_saveexec_b64 s[40:41], s[24:25]
	s_xor_b64 s[24:25], exec, s[40:41]
; %bb.1001:                             ;   in Loop: Header=BB33_804 Depth=3
	v_bfe_u32 v48, v64, 16, 1
	v_add3_u32 v48, v64, v48, s96
                                        ; implicit-def: $vgpr64
; %bb.1002:                             ;   in Loop: Header=BB33_804 Depth=3
	s_andn2_saveexec_b64 s[40:41], s[24:25]
; %bb.1003:                             ;   in Loop: Header=BB33_804 Depth=3
	v_or_b32_e32 v48, 0x10000, v64
	v_cmp_eq_u32_sdwa s[24:25], v64, v3 src0_sel:WORD_0 src1_sel:DWORD
	s_nop 1
	v_cndmask_b32_e64 v48, v48, v64, s[24:25]
; %bb.1004:                             ;   in Loop: Header=BB33_804 Depth=3
	s_or_b64 exec, exec, s[40:41]
	v_and_b32_e32 v64, 0xffff0000, v36
	v_lshlrev_b32_e32 v65, 16, v13
	v_max_f32_e32 v64, v64, v64
	v_max_f32_e32 v65, v65, v65
	v_min_f32_e32 v66, v64, v65
	v_max_f32_e32 v64, v64, v65
	v_cndmask_b32_e32 v65, v64, v66, vcc
	v_and_b32_e32 v64, 0x7f800000, v65
	v_cmp_ne_u32_e64 s[24:25], s87, v64
                                        ; implicit-def: $vgpr64
	s_and_saveexec_b64 s[40:41], s[24:25]
	s_xor_b64 s[24:25], exec, s[40:41]
; %bb.1005:                             ;   in Loop: Header=BB33_804 Depth=3
	v_bfe_u32 v64, v65, 16, 1
	v_add3_u32 v64, v65, v64, s96
                                        ; implicit-def: $vgpr65
; %bb.1006:                             ;   in Loop: Header=BB33_804 Depth=3
	s_andn2_saveexec_b64 s[40:41], s[24:25]
; %bb.1007:                             ;   in Loop: Header=BB33_804 Depth=3
	v_or_b32_e32 v64, 0x10000, v65
	v_cmp_eq_u32_sdwa s[24:25], v65, v3 src0_sel:WORD_0 src1_sel:DWORD
	s_nop 1
	v_cndmask_b32_e64 v64, v64, v65, s[24:25]
; %bb.1008:                             ;   in Loop: Header=BB33_804 Depth=3
	s_or_b64 exec, exec, s[40:41]
	v_and_b32_e32 v65, 0xffff0000, v13
	v_and_b32_e32 v13, 0xffff0000, v49
	v_max_f32_e32 v49, v65, v65
	v_max_f32_e32 v65, v13, v13
	v_min_f32_e32 v66, v65, v49
	v_max_f32_e32 v49, v65, v49
	v_cndmask_b32_e32 v65, v49, v66, vcc
	v_and_b32_e32 v49, 0x7f800000, v65
	v_cmp_ne_u32_e64 s[24:25], s87, v49
                                        ; implicit-def: $vgpr49
	s_and_saveexec_b64 s[40:41], s[24:25]
	s_xor_b64 s[24:25], exec, s[40:41]
; %bb.1009:                             ;   in Loop: Header=BB33_804 Depth=3
	v_bfe_u32 v49, v65, 16, 1
	v_add3_u32 v49, v65, v49, s96
                                        ; implicit-def: $vgpr65
; %bb.1010:                             ;   in Loop: Header=BB33_804 Depth=3
	s_andn2_saveexec_b64 s[40:41], s[24:25]
; %bb.1011:                             ;   in Loop: Header=BB33_804 Depth=3
	v_or_b32_e32 v49, 0x10000, v65
	v_cmp_eq_u32_sdwa s[24:25], v65, v3 src0_sel:WORD_0 src1_sel:DWORD
	s_nop 1
	v_cndmask_b32_e64 v49, v49, v65, s[24:25]
; %bb.1012:                             ;   in Loop: Header=BB33_804 Depth=3
	s_or_b64 exec, exec, s[40:41]
	v_and_b32_e32 v65, 0xffff0000, v37
	v_lshlrev_b32_e32 v66, 16, v14
	v_max_f32_e32 v65, v65, v65
	v_max_f32_e32 v66, v66, v66
	v_min_f32_e32 v67, v65, v66
	v_max_f32_e32 v65, v65, v66
	v_cndmask_b32_e32 v66, v65, v67, vcc
	v_and_b32_e32 v65, 0x7f800000, v66
	v_cmp_ne_u32_e64 s[24:25], s87, v65
                                        ; implicit-def: $vgpr65
	s_and_saveexec_b64 s[40:41], s[24:25]
	s_xor_b64 s[24:25], exec, s[40:41]
; %bb.1013:                             ;   in Loop: Header=BB33_804 Depth=3
	v_bfe_u32 v65, v66, 16, 1
	v_add3_u32 v65, v66, v65, s96
                                        ; implicit-def: $vgpr66
; %bb.1014:                             ;   in Loop: Header=BB33_804 Depth=3
	s_andn2_saveexec_b64 s[40:41], s[24:25]
; %bb.1015:                             ;   in Loop: Header=BB33_804 Depth=3
	v_or_b32_e32 v65, 0x10000, v66
	v_cmp_eq_u32_sdwa s[24:25], v66, v3 src0_sel:WORD_0 src1_sel:DWORD
	s_nop 1
	v_cndmask_b32_e64 v65, v65, v66, s[24:25]
; %bb.1016:                             ;   in Loop: Header=BB33_804 Depth=3
	s_or_b64 exec, exec, s[40:41]
	v_and_b32_e32 v66, 0xffff0000, v14
	v_and_b32_e32 v14, 0xffff0000, v50
	v_max_f32_e32 v50, v66, v66
	v_max_f32_e32 v66, v14, v14
	v_min_f32_e32 v67, v66, v50
	v_max_f32_e32 v50, v66, v50
	v_cndmask_b32_e32 v66, v50, v67, vcc
	v_and_b32_e32 v50, 0x7f800000, v66
	v_cmp_ne_u32_e64 s[24:25], s87, v50
                                        ; implicit-def: $vgpr50
	s_and_saveexec_b64 s[40:41], s[24:25]
	s_xor_b64 s[24:25], exec, s[40:41]
; %bb.1017:                             ;   in Loop: Header=BB33_804 Depth=3
	v_bfe_u32 v50, v66, 16, 1
	v_add3_u32 v50, v66, v50, s96
                                        ; implicit-def: $vgpr66
; %bb.1018:                             ;   in Loop: Header=BB33_804 Depth=3
	s_andn2_saveexec_b64 s[40:41], s[24:25]
; %bb.1019:                             ;   in Loop: Header=BB33_804 Depth=3
	v_or_b32_e32 v50, 0x10000, v66
	v_cmp_eq_u32_sdwa s[24:25], v66, v3 src0_sel:WORD_0 src1_sel:DWORD
	s_nop 1
	v_cndmask_b32_e64 v50, v50, v66, s[24:25]
; %bb.1020:                             ;   in Loop: Header=BB33_804 Depth=3
	s_or_b64 exec, exec, s[40:41]
	v_and_b32_e32 v66, 0xffff0000, v38
	v_lshlrev_b32_e32 v67, 16, v15
	v_max_f32_e32 v66, v66, v66
	v_max_f32_e32 v67, v67, v67
	v_min_f32_e32 v80, v66, v67
	v_max_f32_e32 v66, v66, v67
	v_cndmask_b32_e32 v67, v66, v80, vcc
	v_and_b32_e32 v66, 0x7f800000, v67
	v_cmp_ne_u32_e64 s[24:25], s87, v66
                                        ; implicit-def: $vgpr66
	s_and_saveexec_b64 s[40:41], s[24:25]
	s_xor_b64 s[24:25], exec, s[40:41]
; %bb.1021:                             ;   in Loop: Header=BB33_804 Depth=3
	v_bfe_u32 v66, v67, 16, 1
	v_add3_u32 v66, v67, v66, s96
                                        ; implicit-def: $vgpr67
; %bb.1022:                             ;   in Loop: Header=BB33_804 Depth=3
	s_andn2_saveexec_b64 s[40:41], s[24:25]
; %bb.1023:                             ;   in Loop: Header=BB33_804 Depth=3
	v_or_b32_e32 v66, 0x10000, v67
	v_cmp_eq_u32_sdwa s[24:25], v67, v3 src0_sel:WORD_0 src1_sel:DWORD
	s_nop 1
	v_cndmask_b32_e64 v66, v66, v67, s[24:25]
; %bb.1024:                             ;   in Loop: Header=BB33_804 Depth=3
	s_or_b64 exec, exec, s[40:41]
	v_and_b32_e32 v67, 0xffff0000, v15
	v_and_b32_e32 v15, 0xffff0000, v51
	v_max_f32_e32 v51, v67, v67
	v_max_f32_e32 v67, v15, v15
	v_min_f32_e32 v80, v67, v51
	v_max_f32_e32 v51, v67, v51
	v_cndmask_b32_e32 v67, v51, v80, vcc
	v_and_b32_e32 v51, 0x7f800000, v67
	v_cmp_ne_u32_e64 s[24:25], s87, v51
                                        ; implicit-def: $vgpr51
	s_and_saveexec_b64 s[40:41], s[24:25]
	s_xor_b64 s[24:25], exec, s[40:41]
; %bb.1025:                             ;   in Loop: Header=BB33_804 Depth=3
	v_bfe_u32 v51, v67, 16, 1
	v_add3_u32 v51, v67, v51, s96
                                        ; implicit-def: $vgpr67
; %bb.1026:                             ;   in Loop: Header=BB33_804 Depth=3
	s_andn2_saveexec_b64 s[40:41], s[24:25]
; %bb.1027:                             ;   in Loop: Header=BB33_804 Depth=3
	v_or_b32_e32 v51, 0x10000, v67
	v_cmp_eq_u32_sdwa s[24:25], v67, v3 src0_sel:WORD_0 src1_sel:DWORD
	s_nop 1
	v_cndmask_b32_e64 v51, v51, v67, s[24:25]
; %bb.1028:                             ;   in Loop: Header=BB33_804 Depth=3
	s_or_b64 exec, exec, s[40:41]
	v_lshrrev_b32_e32 v35, 16, v35
	v_and_or_b32 v48, v48, s97, v35
	v_lshrrev_b32_e32 v35, 16, v65
	v_lshrrev_b32_e32 v64, 16, v64
	v_and_or_b32 v50, v50, s97, v35
	v_lshrrev_b32_e32 v35, 16, v66
	v_and_or_b32 v49, v49, s97, v64
	v_and_or_b32 v51, v51, s97, v35
	global_store_dwordx4 v[112:113], v[48:51], off offset:2048
	v_and_b32_e32 v35, 0xffff0000, v39
	v_max_f32_e32 v35, v35, v35
	v_lshlrev_b32_e32 v48, 16, v8
	v_max_f32_e32 v48, v48, v48
	v_min_f32_e32 v49, v35, v48
	v_max_f32_e32 v35, v35, v48
	v_cndmask_b32_e32 v48, v35, v49, vcc
	v_and_b32_e32 v35, 0x7f800000, v48
	v_cmp_ne_u32_e64 s[24:25], s87, v35
                                        ; implicit-def: $vgpr35
	s_and_saveexec_b64 s[40:41], s[24:25]
	s_xor_b64 s[24:25], exec, s[40:41]
; %bb.1029:                             ;   in Loop: Header=BB33_804 Depth=3
	v_bfe_u32 v35, v48, 16, 1
	v_add3_u32 v35, v48, v35, s96
                                        ; implicit-def: $vgpr48
; %bb.1030:                             ;   in Loop: Header=BB33_804 Depth=3
	s_andn2_saveexec_b64 s[40:41], s[24:25]
; %bb.1031:                             ;   in Loop: Header=BB33_804 Depth=3
	v_or_b32_e32 v35, 0x10000, v48
	v_cmp_eq_u32_sdwa s[24:25], v48, v3 src0_sel:WORD_0 src1_sel:DWORD
	s_nop 1
	v_cndmask_b32_e64 v35, v35, v48, s[24:25]
; %bb.1032:                             ;   in Loop: Header=BB33_804 Depth=3
	s_or_b64 exec, exec, s[40:41]
	v_and_b32_e32 v8, 0xffff0000, v8
	v_and_b32_e32 v32, 0xffff0000, v32
	v_max_f32_e32 v8, v8, v8
	v_max_f32_e32 v48, v32, v32
	v_min_f32_e32 v49, v48, v8
	v_max_f32_e32 v8, v48, v8
	v_cndmask_b32_e32 v48, v8, v49, vcc
	v_and_b32_e32 v8, 0x7f800000, v48
	v_cmp_ne_u32_e64 s[24:25], s87, v8
                                        ; implicit-def: $vgpr8
	s_and_saveexec_b64 s[40:41], s[24:25]
	s_xor_b64 s[24:25], exec, s[40:41]
; %bb.1033:                             ;   in Loop: Header=BB33_804 Depth=3
	v_bfe_u32 v8, v48, 16, 1
	v_add3_u32 v8, v48, v8, s96
                                        ; implicit-def: $vgpr48
; %bb.1034:                             ;   in Loop: Header=BB33_804 Depth=3
	s_andn2_saveexec_b64 s[40:41], s[24:25]
; %bb.1035:                             ;   in Loop: Header=BB33_804 Depth=3
	v_or_b32_e32 v8, 0x10000, v48
	v_cmp_eq_u32_sdwa s[24:25], v48, v3 src0_sel:WORD_0 src1_sel:DWORD
	s_nop 1
	v_cndmask_b32_e64 v8, v8, v48, s[24:25]
; %bb.1036:                             ;   in Loop: Header=BB33_804 Depth=3
	s_or_b64 exec, exec, s[40:41]
	v_and_b32_e32 v48, 0xffff0000, v24
	v_lshlrev_b32_e32 v49, 16, v9
	v_max_f32_e32 v48, v48, v48
	v_max_f32_e32 v49, v49, v49
	v_min_f32_e32 v50, v48, v49
	v_max_f32_e32 v48, v48, v49
	v_cndmask_b32_e32 v49, v48, v50, vcc
	v_and_b32_e32 v48, 0x7f800000, v49
	v_cmp_ne_u32_e64 s[24:25], s87, v48
                                        ; implicit-def: $vgpr48
	s_and_saveexec_b64 s[40:41], s[24:25]
	s_xor_b64 s[24:25], exec, s[40:41]
; %bb.1037:                             ;   in Loop: Header=BB33_804 Depth=3
	v_bfe_u32 v48, v49, 16, 1
	v_add3_u32 v48, v49, v48, s96
                                        ; implicit-def: $vgpr49
; %bb.1038:                             ;   in Loop: Header=BB33_804 Depth=3
	s_andn2_saveexec_b64 s[40:41], s[24:25]
; %bb.1039:                             ;   in Loop: Header=BB33_804 Depth=3
	v_or_b32_e32 v48, 0x10000, v49
	v_cmp_eq_u32_sdwa s[24:25], v49, v3 src0_sel:WORD_0 src1_sel:DWORD
	s_nop 1
	v_cndmask_b32_e64 v48, v48, v49, s[24:25]
; %bb.1040:                             ;   in Loop: Header=BB33_804 Depth=3
	s_or_b64 exec, exec, s[40:41]
	v_and_b32_e32 v9, 0xffff0000, v9
	v_and_b32_e32 v33, 0xffff0000, v33
	v_max_f32_e32 v9, v9, v9
	v_max_f32_e32 v49, v33, v33
	v_min_f32_e32 v50, v49, v9
	v_max_f32_e32 v9, v49, v9
	v_cndmask_b32_e32 v49, v9, v50, vcc
	v_and_b32_e32 v9, 0x7f800000, v49
	v_cmp_ne_u32_e64 s[24:25], s87, v9
                                        ; implicit-def: $vgpr9
	s_and_saveexec_b64 s[40:41], s[24:25]
	s_xor_b64 s[24:25], exec, s[40:41]
; %bb.1041:                             ;   in Loop: Header=BB33_804 Depth=3
	v_bfe_u32 v9, v49, 16, 1
	v_add3_u32 v9, v49, v9, s96
                                        ; implicit-def: $vgpr49
; %bb.1042:                             ;   in Loop: Header=BB33_804 Depth=3
	s_andn2_saveexec_b64 s[40:41], s[24:25]
; %bb.1043:                             ;   in Loop: Header=BB33_804 Depth=3
	v_or_b32_e32 v9, 0x10000, v49
	v_cmp_eq_u32_sdwa s[24:25], v49, v3 src0_sel:WORD_0 src1_sel:DWORD
	s_nop 1
	v_cndmask_b32_e64 v9, v9, v49, s[24:25]
; %bb.1044:                             ;   in Loop: Header=BB33_804 Depth=3
	s_or_b64 exec, exec, s[40:41]
	v_and_b32_e32 v49, 0xffff0000, v25
	v_lshlrev_b32_e32 v50, 16, v10
	v_max_f32_e32 v49, v49, v49
	v_max_f32_e32 v50, v50, v50
	v_min_f32_e32 v51, v49, v50
	v_max_f32_e32 v49, v49, v50
	v_cndmask_b32_e32 v50, v49, v51, vcc
	v_and_b32_e32 v49, 0x7f800000, v50
	v_cmp_ne_u32_e64 s[24:25], s87, v49
                                        ; implicit-def: $vgpr49
	s_and_saveexec_b64 s[40:41], s[24:25]
	s_xor_b64 s[24:25], exec, s[40:41]
; %bb.1045:                             ;   in Loop: Header=BB33_804 Depth=3
	v_bfe_u32 v49, v50, 16, 1
	v_add3_u32 v49, v50, v49, s96
                                        ; implicit-def: $vgpr50
; %bb.1046:                             ;   in Loop: Header=BB33_804 Depth=3
	s_andn2_saveexec_b64 s[40:41], s[24:25]
; %bb.1047:                             ;   in Loop: Header=BB33_804 Depth=3
	v_or_b32_e32 v49, 0x10000, v50
	v_cmp_eq_u32_sdwa s[24:25], v50, v3 src0_sel:WORD_0 src1_sel:DWORD
	s_nop 1
	v_cndmask_b32_e64 v49, v49, v50, s[24:25]
; %bb.1048:                             ;   in Loop: Header=BB33_804 Depth=3
	s_or_b64 exec, exec, s[40:41]
	v_and_b32_e32 v10, 0xffff0000, v10
	v_and_b32_e32 v34, 0xffff0000, v34
	v_max_f32_e32 v10, v10, v10
	v_max_f32_e32 v50, v34, v34
	v_min_f32_e32 v51, v50, v10
	v_max_f32_e32 v10, v50, v10
	v_cndmask_b32_e32 v50, v10, v51, vcc
	v_and_b32_e32 v10, 0x7f800000, v50
	v_cmp_ne_u32_e64 s[24:25], s87, v10
                                        ; implicit-def: $vgpr10
	s_and_saveexec_b64 s[40:41], s[24:25]
	s_xor_b64 s[24:25], exec, s[40:41]
; %bb.1049:                             ;   in Loop: Header=BB33_804 Depth=3
	v_bfe_u32 v10, v50, 16, 1
	v_add3_u32 v10, v50, v10, s96
                                        ; implicit-def: $vgpr50
; %bb.1050:                             ;   in Loop: Header=BB33_804 Depth=3
	s_andn2_saveexec_b64 s[40:41], s[24:25]
; %bb.1051:                             ;   in Loop: Header=BB33_804 Depth=3
	v_or_b32_e32 v10, 0x10000, v50
	v_cmp_eq_u32_sdwa s[24:25], v50, v3 src0_sel:WORD_0 src1_sel:DWORD
	s_nop 1
	v_cndmask_b32_e64 v10, v10, v50, s[24:25]
; %bb.1052:                             ;   in Loop: Header=BB33_804 Depth=3
	s_or_b64 exec, exec, s[40:41]
	v_and_b32_e32 v50, 0xffff0000, v26
	v_lshlrev_b32_e32 v51, 16, v11
	v_max_f32_e32 v50, v50, v50
	v_max_f32_e32 v51, v51, v51
	v_min_f32_e32 v64, v50, v51
	v_max_f32_e32 v50, v50, v51
	v_cndmask_b32_e32 v51, v50, v64, vcc
	v_and_b32_e32 v50, 0x7f800000, v51
	v_cmp_ne_u32_e64 s[24:25], s87, v50
                                        ; implicit-def: $vgpr50
	s_and_saveexec_b64 s[40:41], s[24:25]
	s_xor_b64 s[24:25], exec, s[40:41]
; %bb.1053:                             ;   in Loop: Header=BB33_804 Depth=3
	v_bfe_u32 v50, v51, 16, 1
	v_add3_u32 v50, v51, v50, s96
                                        ; implicit-def: $vgpr51
; %bb.1054:                             ;   in Loop: Header=BB33_804 Depth=3
	s_andn2_saveexec_b64 s[40:41], s[24:25]
; %bb.1055:                             ;   in Loop: Header=BB33_804 Depth=3
	v_or_b32_e32 v50, 0x10000, v51
	v_cmp_eq_u32_sdwa s[24:25], v51, v3 src0_sel:WORD_0 src1_sel:DWORD
	s_nop 1
	v_cndmask_b32_e64 v50, v50, v51, s[24:25]
; %bb.1056:                             ;   in Loop: Header=BB33_804 Depth=3
	s_or_b64 exec, exec, s[40:41]
	v_and_b32_e32 v11, 0xffff0000, v11
	v_and_b32_e32 v27, 0xffff0000, v27
	v_max_f32_e32 v11, v11, v11
	v_max_f32_e32 v51, v27, v27
	v_min_f32_e32 v64, v51, v11
	v_max_f32_e32 v11, v51, v11
	v_cndmask_b32_e32 v51, v11, v64, vcc
	v_and_b32_e32 v11, 0x7f800000, v51
	v_cmp_ne_u32_e64 s[24:25], s87, v11
                                        ; implicit-def: $vgpr11
	s_and_saveexec_b64 s[40:41], s[24:25]
	s_xor_b64 s[24:25], exec, s[40:41]
; %bb.1057:                             ;   in Loop: Header=BB33_804 Depth=3
	v_bfe_u32 v11, v51, 16, 1
	v_add3_u32 v11, v51, v11, s96
                                        ; implicit-def: $vgpr51
; %bb.1058:                             ;   in Loop: Header=BB33_804 Depth=3
	s_andn2_saveexec_b64 s[40:41], s[24:25]
	s_cbranch_execz .LBB33_803
; %bb.1059:                             ;   in Loop: Header=BB33_804 Depth=3
	v_or_b32_e32 v11, 0x10000, v51
	v_cmp_eq_u32_sdwa s[24:25], v51, v3 src0_sel:WORD_0 src1_sel:DWORD
	s_nop 1
	v_cndmask_b32_e64 v11, v11, v51, s[24:25]
	s_branch .LBB33_803
.LBB33_1060:                            ;   in Loop: Header=BB33_719 Depth=2
	s_or_b64 exec, exec, s[28:29]
	v_mov_b32_e32 v102, 0xc8
	v_mov_b32_e32 v103, 0x90
	;; [unrolled: 1-line block ×4, first 2 shown]
.LBB33_1061:                            ;   in Loop: Header=BB33_719 Depth=2
	s_or_b64 exec, exec, s[26:27]
	v_lshlrev_b32_e32 v34, 12, v2
	v_cmp_ne_u32_e32 vcc, v31, v34
	s_mov_b64 s[24:25], 0
	v_mov_b32_e32 v2, 0
                                        ; implicit-def: $vgpr18
	s_and_saveexec_b64 s[52:53], vcc
	s_cbranch_execz .LBB33_1101
; %bb.1062:                             ;   in Loop: Header=BB33_719 Depth=2
	v_lshlrev_b32_e32 v0, 6, v0
	v_sub_u32_e32 v0, v110, v0
	v_sub_u32_e32 v8, v31, v34
	v_ashrrev_i32_e32 v2, 31, v0
	v_lshrrev_b32_e32 v2, 26, v2
	v_ashrrev_i32_e32 v10, 31, v8
	v_add_u32_e32 v2, v0, v2
	v_lshrrev_b32_e32 v10, 22, v10
	v_ashrrev_i32_e32 v9, 6, v2
	v_and_b32_e32 v2, 0xffffffc0, v2
	v_add_u32_e32 v10, v8, v10
	v_sub_u32_e32 v0, v0, v2
	v_and_b32_e32 v35, 0xfffffc00, v10
	v_lshlrev_b32_e32 v2, 4, v0
	v_sub_u32_e32 v36, v8, v35
	v_lshl_add_u32 v2, v9, 10, v2
	v_ashrrev_i32_e32 v11, 10, v10
	v_cmp_lt_i32_e64 s[24:25], 15, v36
	v_sub_u32_e32 v38, v8, v2
	s_nop 0
	v_addc_co_u32_e64 v8, vcc, 0, v11, s[24:25]
	v_sub_u32_e32 v37, v8, v9
	v_cmp_lt_i32_e32 vcc, 15, v38
	s_and_saveexec_b64 s[54:55], vcc
	s_cbranch_execz .LBB33_1100
; %bb.1063:                             ;   in Loop: Header=BB33_719 Depth=2
	s_trap 2
	ds_read_b64 v[10:11], v0
	v_add_u32_e32 v8, v2, v34
	s_and_b32 s74, s62, 1
	v_ashrrev_i32_e32 v9, 31, v8
	s_cmp_eq_u64 s[74:75], 0
	s_waitcnt lgkmcnt(0)
	v_lshl_add_u64 v[20:21], v[8:9], 0, v[28:29]
	v_lshl_add_u64 v[22:23], v[8:9], 0, v[98:99]
	v_lshl_add_u64 v[24:25], v[8:9], 0, v[4:5]
	v_lshl_add_u64 v[26:27], v[8:9], 0, v[100:101]
	v_lshl_add_u64 v[32:33], v[10:11], 0, v[8:9]
	s_mov_b64 s[64:65], 0
	s_cselect_b64 s[26:27], -1, 0
.LBB33_1064:                            ;   Parent Loop BB33_47 Depth=1
                                        ;     Parent Loop BB33_719 Depth=2
                                        ; =>    This Loop Header: Depth=3
                                        ;         Child Loop BB33_1097 Depth 4
	global_load_dwordx4 v[12:15], v[32:33], off nt
	global_load_dwordx4 v[16:19], v[26:27], off nt
	;; [unrolled: 1-line block ×3, first 2 shown]
	s_waitcnt vmcnt(0)
	v_lshlrev_b32_e32 v2, 16, v12
	v_lshlrev_b32_e32 v39, 16, v16
	v_max_f32_e32 v2, v2, v2
	v_max_f32_e32 v39, v39, v39
	v_min_f32_e32 v48, v39, v2
	v_max_f32_e32 v2, v39, v2
	v_cndmask_b32_e64 v2, v2, v48, s[26:27]
	v_and_b32_e32 v39, 0x7f800000, v2
	v_cmp_ne_u32_e32 vcc, s87, v39
                                        ; implicit-def: $vgpr39
	s_and_saveexec_b64 s[28:29], vcc
	s_xor_b64 s[28:29], exec, s[28:29]
; %bb.1065:                             ;   in Loop: Header=BB33_1064 Depth=3
	v_bfe_u32 v39, v2, 16, 1
	v_add3_u32 v39, v2, v39, s96
                                        ; implicit-def: $vgpr2
; %bb.1066:                             ;   in Loop: Header=BB33_1064 Depth=3
	s_andn2_saveexec_b64 s[28:29], s[28:29]
; %bb.1067:                             ;   in Loop: Header=BB33_1064 Depth=3
	v_or_b32_e32 v39, 0x10000, v2
	v_cmp_eq_u32_sdwa vcc, v2, v3 src0_sel:WORD_0 src1_sel:DWORD
	s_nop 1
	v_cndmask_b32_e32 v39, v39, v2, vcc
; %bb.1068:                             ;   in Loop: Header=BB33_1064 Depth=3
	s_or_b64 exec, exec, s[28:29]
	v_and_b32_e32 v2, 0xffff0000, v12
	v_and_b32_e32 v12, 0xffff0000, v16
	v_max_f32_e32 v2, v2, v2
	v_max_f32_e32 v12, v12, v12
	v_min_f32_e32 v16, v12, v2
	v_max_f32_e32 v2, v12, v2
	v_cndmask_b32_e64 v12, v2, v16, s[26:27]
	v_and_b32_e32 v2, 0x7f800000, v12
	v_cmp_ne_u32_e32 vcc, s87, v2
                                        ; implicit-def: $vgpr2
	s_and_saveexec_b64 s[28:29], vcc
	s_xor_b64 s[28:29], exec, s[28:29]
; %bb.1069:                             ;   in Loop: Header=BB33_1064 Depth=3
	v_bfe_u32 v2, v12, 16, 1
	v_add3_u32 v2, v12, v2, s96
                                        ; implicit-def: $vgpr12
; %bb.1070:                             ;   in Loop: Header=BB33_1064 Depth=3
	s_andn2_saveexec_b64 s[28:29], s[28:29]
; %bb.1071:                             ;   in Loop: Header=BB33_1064 Depth=3
	v_or_b32_e32 v2, 0x10000, v12
	v_cmp_eq_u32_sdwa vcc, v12, v3 src0_sel:WORD_0 src1_sel:DWORD
	s_nop 1
	v_cndmask_b32_e32 v2, v2, v12, vcc
; %bb.1072:                             ;   in Loop: Header=BB33_1064 Depth=3
	s_or_b64 exec, exec, s[28:29]
	v_lshlrev_b32_e32 v12, 16, v13
	v_lshlrev_b32_e32 v16, 16, v17
	v_max_f32_e32 v12, v12, v12
	v_max_f32_e32 v16, v16, v16
	v_min_f32_e32 v48, v16, v12
	v_max_f32_e32 v12, v16, v12
	v_cndmask_b32_e64 v12, v12, v48, s[26:27]
	v_and_b32_e32 v16, 0x7f800000, v12
	v_cmp_ne_u32_e32 vcc, s87, v16
                                        ; implicit-def: $vgpr16
	s_and_saveexec_b64 s[28:29], vcc
	s_xor_b64 s[28:29], exec, s[28:29]
; %bb.1073:                             ;   in Loop: Header=BB33_1064 Depth=3
	v_bfe_u32 v16, v12, 16, 1
	v_add3_u32 v16, v12, v16, s96
                                        ; implicit-def: $vgpr12
; %bb.1074:                             ;   in Loop: Header=BB33_1064 Depth=3
	s_andn2_saveexec_b64 s[28:29], s[28:29]
; %bb.1075:                             ;   in Loop: Header=BB33_1064 Depth=3
	v_or_b32_e32 v16, 0x10000, v12
	v_cmp_eq_u32_sdwa vcc, v12, v3 src0_sel:WORD_0 src1_sel:DWORD
	s_nop 1
	v_cndmask_b32_e32 v16, v16, v12, vcc
; %bb.1076:                             ;   in Loop: Header=BB33_1064 Depth=3
	s_or_b64 exec, exec, s[28:29]
	v_and_b32_e32 v12, 0xffff0000, v17
	v_and_b32_e32 v13, 0xffff0000, v13
	v_max_f32_e32 v13, v13, v13
	v_max_f32_e32 v12, v12, v12
	v_min_f32_e32 v17, v12, v13
	v_max_f32_e32 v12, v12, v13
	v_cndmask_b32_e64 v13, v12, v17, s[26:27]
	v_and_b32_e32 v12, 0x7f800000, v13
	v_cmp_ne_u32_e32 vcc, s87, v12
                                        ; implicit-def: $vgpr12
	s_and_saveexec_b64 s[28:29], vcc
	s_xor_b64 s[28:29], exec, s[28:29]
; %bb.1077:                             ;   in Loop: Header=BB33_1064 Depth=3
	v_bfe_u32 v12, v13, 16, 1
	v_add3_u32 v12, v13, v12, s96
                                        ; implicit-def: $vgpr13
; %bb.1078:                             ;   in Loop: Header=BB33_1064 Depth=3
	s_andn2_saveexec_b64 s[28:29], s[28:29]
; %bb.1079:                             ;   in Loop: Header=BB33_1064 Depth=3
	v_or_b32_e32 v12, 0x10000, v13
	v_cmp_eq_u32_sdwa vcc, v13, v3 src0_sel:WORD_0 src1_sel:DWORD
	s_nop 1
	v_cndmask_b32_e32 v12, v12, v13, vcc
; %bb.1080:                             ;   in Loop: Header=BB33_1064 Depth=3
	s_or_b64 exec, exec, s[28:29]
	v_lshlrev_b32_e32 v13, 16, v14
	v_lshlrev_b32_e32 v17, 16, v18
	v_max_f32_e32 v13, v13, v13
	v_max_f32_e32 v17, v17, v17
	v_min_f32_e32 v48, v17, v13
	v_max_f32_e32 v13, v17, v13
	v_cndmask_b32_e64 v13, v13, v48, s[26:27]
	v_and_b32_e32 v17, 0x7f800000, v13
	v_cmp_ne_u32_e32 vcc, s87, v17
                                        ; implicit-def: $vgpr17
	s_and_saveexec_b64 s[28:29], vcc
	s_xor_b64 s[28:29], exec, s[28:29]
; %bb.1081:                             ;   in Loop: Header=BB33_1064 Depth=3
	v_bfe_u32 v17, v13, 16, 1
	v_add3_u32 v17, v13, v17, s96
                                        ; implicit-def: $vgpr13
; %bb.1082:                             ;   in Loop: Header=BB33_1064 Depth=3
	s_andn2_saveexec_b64 s[28:29], s[28:29]
; %bb.1083:                             ;   in Loop: Header=BB33_1064 Depth=3
	v_or_b32_e32 v17, 0x10000, v13
	v_cmp_eq_u32_sdwa vcc, v13, v3 src0_sel:WORD_0 src1_sel:DWORD
	s_nop 1
	v_cndmask_b32_e32 v17, v17, v13, vcc
; %bb.1084:                             ;   in Loop: Header=BB33_1064 Depth=3
	s_or_b64 exec, exec, s[28:29]
	v_and_b32_e32 v13, 0xffff0000, v18
	v_and_b32_e32 v14, 0xffff0000, v14
	v_max_f32_e32 v14, v14, v14
	v_max_f32_e32 v13, v13, v13
	v_min_f32_e32 v18, v13, v14
	v_max_f32_e32 v13, v13, v14
	v_cndmask_b32_e64 v13, v13, v18, s[26:27]
	v_and_b32_e32 v14, 0x7f800000, v13
	v_cmp_ne_u32_e32 vcc, s87, v14
                                        ; implicit-def: $vgpr18
	s_and_saveexec_b64 s[28:29], vcc
	s_xor_b64 s[28:29], exec, s[28:29]
; %bb.1085:                             ;   in Loop: Header=BB33_1064 Depth=3
	v_bfe_u32 v14, v13, 16, 1
	v_add3_u32 v18, v13, v14, s96
                                        ; implicit-def: $vgpr13
; %bb.1086:                             ;   in Loop: Header=BB33_1064 Depth=3
	s_andn2_saveexec_b64 s[28:29], s[28:29]
; %bb.1087:                             ;   in Loop: Header=BB33_1064 Depth=3
	v_or_b32_e32 v14, 0x10000, v13
	v_cmp_eq_u32_sdwa vcc, v13, v3 src0_sel:WORD_0 src1_sel:DWORD
	s_nop 1
	v_cndmask_b32_e32 v18, v14, v13, vcc
; %bb.1088:                             ;   in Loop: Header=BB33_1064 Depth=3
	s_or_b64 exec, exec, s[28:29]
	v_lshlrev_b32_e32 v13, 16, v15
	v_lshlrev_b32_e32 v14, 16, v19
	v_max_f32_e32 v13, v13, v13
	v_max_f32_e32 v14, v14, v14
	v_min_f32_e32 v48, v14, v13
	v_max_f32_e32 v13, v14, v13
	v_cndmask_b32_e64 v13, v13, v48, s[26:27]
	v_and_b32_e32 v14, 0x7f800000, v13
	v_cmp_ne_u32_e32 vcc, s87, v14
                                        ; implicit-def: $vgpr14
	s_and_saveexec_b64 s[28:29], vcc
	s_xor_b64 s[28:29], exec, s[28:29]
; %bb.1089:                             ;   in Loop: Header=BB33_1064 Depth=3
	v_bfe_u32 v14, v13, 16, 1
	v_add3_u32 v14, v13, v14, s96
                                        ; implicit-def: $vgpr13
; %bb.1090:                             ;   in Loop: Header=BB33_1064 Depth=3
	s_andn2_saveexec_b64 s[28:29], s[28:29]
; %bb.1091:                             ;   in Loop: Header=BB33_1064 Depth=3
	v_or_b32_e32 v14, 0x10000, v13
	v_cmp_eq_u32_sdwa vcc, v13, v3 src0_sel:WORD_0 src1_sel:DWORD
	s_nop 1
	v_cndmask_b32_e32 v14, v14, v13, vcc
; %bb.1092:                             ;   in Loop: Header=BB33_1064 Depth=3
	s_or_b64 exec, exec, s[28:29]
	v_and_b32_e32 v13, 0xffff0000, v19
	v_and_b32_e32 v15, 0xffff0000, v15
	v_max_f32_e32 v15, v15, v15
	v_max_f32_e32 v13, v13, v13
	v_min_f32_e32 v19, v13, v15
	v_max_f32_e32 v13, v13, v15
	v_cndmask_b32_e64 v13, v13, v19, s[26:27]
	v_and_b32_e32 v15, 0x7f800000, v13
	v_cmp_ne_u32_e32 vcc, s87, v15
                                        ; implicit-def: $vgpr15
	s_and_saveexec_b64 s[28:29], vcc
	s_xor_b64 s[28:29], exec, s[28:29]
; %bb.1093:                             ;   in Loop: Header=BB33_1064 Depth=3
	v_bfe_u32 v15, v13, 16, 1
	v_add3_u32 v15, v13, v15, s96
                                        ; implicit-def: $vgpr13
; %bb.1094:                             ;   in Loop: Header=BB33_1064 Depth=3
	s_andn2_saveexec_b64 s[28:29], s[28:29]
; %bb.1095:                             ;   in Loop: Header=BB33_1064 Depth=3
	v_or_b32_e32 v15, 0x10000, v13
	v_cmp_eq_u32_sdwa vcc, v13, v3 src0_sel:WORD_0 src1_sel:DWORD
	s_nop 1
	v_cndmask_b32_e32 v15, v15, v13, vcc
; %bb.1096:                             ;   in Loop: Header=BB33_1064 Depth=3
	s_or_b64 exec, exec, s[28:29]
	v_and_b32_e32 v48, 0xffff0000, v2
	v_or_b32_sdwa v2, v48, v39 dst_sel:DWORD dst_unused:UNUSED_PAD src0_sel:DWORD src1_sel:WORD_1
	v_and_b32_e32 v50, 0xffff0000, v8
	v_and_b32_e32 v39, 0xffff0000, v39
	v_lshlrev_b32_e32 v8, 16, v8
	v_max_f32_e32 v39, v39, v39
	v_max_f32_e32 v8, v8, v8
	v_min_f32_e32 v51, v39, v8
	v_max_f32_e32 v8, v39, v8
	v_cndmask_b32_e64 v8, v8, v51, s[26:27]
	v_and_b32_e32 v39, 0x7f800000, v8
	v_cmp_eq_u32_e32 vcc, s87, v39
	v_bfe_u32 v39, v8, 16, 1
	v_cmp_eq_u32_sdwa s[28:29], v8, v3 src0_sel:WORD_0 src1_sel:DWORD
	v_or_b32_e32 v51, 0x10000, v8
	v_max_f32_e32 v48, v48, v48
	v_max_f32_e32 v50, v50, v50
	v_add3_u32 v39, v8, v39, s96
	v_cndmask_b32_e64 v8, v51, v8, s[28:29]
	v_min_f32_e32 v51, v48, v50
	v_max_f32_e32 v48, v48, v50
	v_cndmask_b32_e64 v48, v48, v51, s[26:27]
	v_and_b32_e32 v50, 0x7f800000, v48
	v_and_b32_e32 v19, 0xffff0000, v12
	v_cmp_eq_u32_e64 s[28:29], s87, v50
	v_bfe_u32 v50, v48, 16, 1
	v_cmp_eq_u32_sdwa s[40:41], v48, v3 src0_sel:WORD_0 src1_sel:DWORD
	v_or_b32_e32 v51, 0x10000, v48
	v_or_b32_sdwa v13, v19, v16 dst_sel:DWORD dst_unused:UNUSED_PAD src0_sel:DWORD src1_sel:WORD_1
	v_add3_u32 v50, v48, v50, s96
	v_cndmask_b32_e64 v48, v51, v48, s[40:41]
	v_and_b32_e32 v51, 0xffff0000, v9
	v_and_b32_e32 v16, 0xffff0000, v16
	v_lshlrev_b32_e32 v9, 16, v9
	v_max_f32_e32 v16, v16, v16
	v_max_f32_e32 v9, v9, v9
	v_min_f32_e32 v52, v16, v9
	v_max_f32_e32 v9, v16, v9
	v_cndmask_b32_e64 v9, v9, v52, s[26:27]
	v_and_b32_e32 v16, 0x7f800000, v9
	v_cmp_eq_u32_e64 s[40:41], s87, v16
	v_bfe_u32 v16, v9, 16, 1
	v_cmp_eq_u32_sdwa s[42:43], v9, v3 src0_sel:WORD_0 src1_sel:DWORD
	v_or_b32_e32 v52, 0x10000, v9
	v_max_f32_e32 v19, v19, v19
	v_max_f32_e32 v51, v51, v51
	v_add3_u32 v16, v9, v16, s96
	v_cndmask_b32_e64 v9, v52, v9, s[42:43]
	v_min_f32_e32 v52, v19, v51
	v_max_f32_e32 v19, v19, v51
	v_cndmask_b32_e64 v19, v19, v52, s[26:27]
	v_and_b32_e32 v51, 0x7f800000, v19
	v_and_b32_e32 v18, 0xffff0000, v18
	v_cmp_eq_u32_e64 s[42:43], s87, v51
	v_bfe_u32 v51, v19, 16, 1
	v_cmp_eq_u32_sdwa s[44:45], v19, v3 src0_sel:WORD_0 src1_sel:DWORD
	v_or_b32_e32 v52, 0x10000, v19
	v_or_b32_sdwa v12, v18, v17 dst_sel:DWORD dst_unused:UNUSED_PAD src0_sel:DWORD src1_sel:WORD_1
	v_add3_u32 v51, v19, v51, s96
	v_cndmask_b32_e64 v19, v52, v19, s[44:45]
	v_and_b32_e32 v52, 0xffff0000, v10
	v_and_b32_e32 v17, 0xffff0000, v17
	v_lshlrev_b32_e32 v10, 16, v10
	v_max_f32_e32 v17, v17, v17
	v_max_f32_e32 v10, v10, v10
	v_min_f32_e32 v53, v17, v10
	v_max_f32_e32 v10, v17, v10
	v_cndmask_b32_e64 v10, v10, v53, s[26:27]
	v_and_b32_e32 v17, 0x7f800000, v10
	v_cmp_eq_u32_e64 s[44:45], s87, v17
	v_bfe_u32 v17, v10, 16, 1
	v_cmp_eq_u32_sdwa s[46:47], v10, v3 src0_sel:WORD_0 src1_sel:DWORD
	v_or_b32_e32 v53, 0x10000, v10
	v_max_f32_e32 v18, v18, v18
	v_max_f32_e32 v52, v52, v52
	v_add3_u32 v17, v10, v17, s96
	v_cndmask_b32_e64 v10, v53, v10, s[46:47]
	v_min_f32_e32 v53, v18, v52
	v_max_f32_e32 v18, v18, v52
	v_cndmask_b32_e64 v18, v18, v53, s[26:27]
	v_and_b32_e32 v52, 0x7f800000, v18
	v_and_b32_e32 v49, 0xffff0000, v15
	v_cmp_eq_u32_e64 s[46:47], s87, v52
	v_bfe_u32 v52, v18, 16, 1
	v_cmp_eq_u32_sdwa s[56:57], v18, v3 src0_sel:WORD_0 src1_sel:DWORD
	v_or_b32_e32 v53, 0x10000, v18
	v_or_b32_sdwa v15, v49, v14 dst_sel:DWORD dst_unused:UNUSED_PAD src0_sel:DWORD src1_sel:WORD_1
	v_add3_u32 v52, v18, v52, s96
	v_cndmask_b32_e64 v18, v53, v18, s[56:57]
	v_and_b32_e32 v53, 0xffff0000, v11
	v_and_b32_e32 v14, 0xffff0000, v14
	v_lshlrev_b32_e32 v11, 16, v11
	v_max_f32_e32 v14, v14, v14
	v_max_f32_e32 v11, v11, v11
	v_min_f32_e32 v54, v14, v11
	v_max_f32_e32 v11, v14, v11
	v_cndmask_b32_e64 v11, v11, v54, s[26:27]
	v_and_b32_e32 v14, 0x7f800000, v11
	v_cmp_eq_u32_e64 s[56:57], s87, v14
	v_bfe_u32 v14, v11, 16, 1
	v_cmp_eq_u32_sdwa s[58:59], v11, v3 src0_sel:WORD_0 src1_sel:DWORD
	v_or_b32_e32 v54, 0x10000, v11
	v_max_f32_e32 v49, v49, v49
	v_max_f32_e32 v53, v53, v53
	v_add3_u32 v14, v11, v14, s96
	v_cndmask_b32_e64 v11, v54, v11, s[58:59]
	v_min_f32_e32 v54, v49, v53
	v_max_f32_e32 v49, v49, v53
	v_cndmask_b32_e64 v49, v49, v54, s[26:27]
	v_and_b32_e32 v53, 0x7f800000, v49
	v_cmp_eq_u32_e64 s[58:59], s87, v53
	v_bfe_u32 v53, v49, 16, 1
	v_cmp_eq_u32_sdwa s[60:61], v49, v3 src0_sel:WORD_0 src1_sel:DWORD
	v_or_b32_e32 v54, 0x10000, v49
	v_add3_u32 v53, v49, v53, s96
	v_cndmask_b32_e64 v49, v54, v49, s[60:61]
	v_cndmask_b32_e32 v8, v39, v8, vcc
	v_cndmask_b32_e64 v9, v16, v9, s[40:41]
	v_cndmask_b32_e64 v10, v17, v10, s[44:45]
	;; [unrolled: 1-line block ×7, first 2 shown]
	v_lshrrev_b32_e32 v9, 16, v9
	v_lshrrev_b32_e32 v8, 16, v8
	v_lshrrev_b32_e32 v10, 16, v10
	v_lshrrev_b32_e32 v11, 16, v11
	v_and_or_b32 v9, v16, s97, v9
	v_and_or_b32 v8, v39, s97, v8
	;; [unrolled: 1-line block ×4, first 2 shown]
	s_mov_b64 s[44:45], 0
	s_mov_b64 s[42:43], -1
.LBB33_1097:                            ;   Parent Loop BB33_47 Depth=1
                                        ;     Parent Loop BB33_719 Depth=2
                                        ;       Parent Loop BB33_1064 Depth=3
                                        ; =>      This Inner Loop Header: Depth=4
	v_cndmask_b32_e64 v14, 0, 1, s[42:43]
	s_cmp_eq_u32 s44, 1
	v_cmp_ne_u32_e32 vcc, 1, v14
	s_cselect_b64 s[28:29], -1, 0
	v_cndmask_b32_e64 v17, v13, v9, s[42:43]
	v_cndmask_b32_e64 v16, v2, v8, s[42:43]
	;; [unrolled: 1-line block ×4, first 2 shown]
	v_cndmask_b32_e32 v49, v23, v25, vcc
	v_cndmask_b32_e64 v51, v23, v25, s[28:29]
	s_cmp_eq_u32 s44, 0
	v_cndmask_b32_e32 v48, v22, v24, vcc
	v_cndmask_b32_e64 v50, v22, v24, s[28:29]
	global_store_dwordx4 v[48:49], v[16:19], off
	s_cselect_b64 vcc, -1, 0
	s_and_b64 s[40:41], exec, s[42:43]
	v_lshl_add_u64 v[16:17], v[50:51], 0, s[88:89]
	s_mov_b64 s[44:45], 1
	s_mov_b64 s[42:43], 0
	v_cndmask_b32_e64 v25, v25, v17, s[28:29]
	v_cndmask_b32_e64 v24, v24, v16, s[28:29]
	v_cndmask_b32_e32 v23, v23, v17, vcc
	v_cndmask_b32_e32 v22, v22, v16, vcc
	s_mov_b64 vcc, s[40:41]
	s_cbranch_vccnz .LBB33_1097
; %bb.1098:                             ;   in Loop: Header=BB33_1064 Depth=3
	v_sub_u32_e32 v38, v38, v76
	v_cmp_gt_i32_e32 vcc, 16, v38
	v_lshl_add_u64 v[26:27], v[26:27], 0, v[124:125]
	v_lshl_add_u64 v[32:33], v[32:33], 0, v[124:125]
	;; [unrolled: 1-line block ×5, first 2 shown]
	s_or_b64 s[64:65], vcc, s[64:65]
	v_sub_u32_e32 v37, v37, v60
	s_andn2_b64 exec, exec, s[64:65]
	s_cbranch_execnz .LBB33_1064
; %bb.1099:                             ;   in Loop: Header=BB33_719 Depth=2
	s_or_b64 exec, exec, s[64:65]
.LBB33_1100:                            ;   in Loop: Header=BB33_719 Depth=2
	s_or_b64 exec, exec, s[54:55]
	v_and_b32_e32 v8, 14, v31
	v_cmp_lt_i32_e32 vcc, 0, v37
	v_sub_u32_e32 v2, v36, v8
	v_cndmask_b32_e64 v31, v36, v8, s[24:25]
	v_cndmask_b32_e32 v8, 0, v60, vcc
	v_cndmask_b32_e64 v2, 0, v2, s[24:25]
	v_sub_u32_e32 v8, v8, v37
	v_cmp_ne_u32_e32 vcc, 0, v31
	v_add3_u32 v2, v35, v34, v2
	v_lshl_add_u32 v18, v8, 6, v0
	s_and_b64 s[24:25], vcc, exec
.LBB33_1101:                            ;   in Loop: Header=BB33_719 Depth=2
	s_or_b64 exec, exec, s[52:53]
	s_and_saveexec_b64 s[40:41], s[24:25]
	s_cbranch_execz .LBB33_1244
.LBB33_1102:                            ;   in Loop: Header=BB33_719 Depth=2
	v_ashrrev_i32_e32 v0, 31, v18
	v_ashrrev_i32_e32 v9, 31, v31
	v_lshrrev_b32_e32 v0, 26, v0
	v_lshrrev_b32_e32 v9, 21, v9
	v_add_u32_e32 v8, v18, v0
	v_add_u32_e32 v9, v31, v9
	v_ashrrev_i32_e32 v0, 6, v8
	v_ashrrev_i32_e32 v20, 11, v9
	v_sub_u32_e32 v19, v20, v0
	v_cmp_lt_i32_e32 vcc, 0, v19
	s_and_saveexec_b64 s[26:27], vcc
	s_cbranch_execz .LBB33_1234
; %bb.1103:                             ;   in Loop: Header=BB33_719 Depth=2
	v_and_b32_e32 v8, 0x7fffffc0, v8
	s_trap 2
	ds_read_b64 v[14:15], v0
	v_sub_u32_e32 v8, v18, v8
	v_lshlrev_b32_e32 v8, 1, v8
	v_lshlrev_b32_e32 v9, 11, v0
	v_add3_u32 v16, v8, v2, v9
	s_and_b32 s74, s62, 1
	v_ashrrev_i32_e32 v17, 31, v16
	s_cmp_eq_u64 s[74:75], 0
	s_waitcnt lgkmcnt(0)
	v_lshl_add_u64 v[22:23], v[28:29], 0, s[36:37]
	v_mov_b32_e32 v108, 0x90
	v_mov_b32_e32 v107, 0xc8
	v_lshl_add_u64 v[8:9], v[16:17], 0, v[98:99]
	v_lshl_add_u64 v[10:11], v[16:17], 0, v[4:5]
	;; [unrolled: 1-line block ×4, first 2 shown]
	s_mov_b64 s[28:29], 0
	s_cselect_b64 s[24:25], -1, 0
	v_lshl_add_u64 v[16:17], v[22:23], 0, v[16:17]
	s_branch .LBB33_1105
.LBB33_1104:                            ;   in Loop: Header=BB33_1105 Depth=3
	s_or_b64 exec, exec, s[42:43]
	v_sub_u32_e32 v19, v19, v60
	v_cmp_gt_i32_e32 vcc, 1, v19
	flat_store_short_d16_hi v[8:9], v23 offset:1920 nt
	flat_store_short_d16_hi v[10:11], v22 nt
	flat_store_short_d16_hi v[10:11], v24 offset:128 nt
	flat_store_short_d16_hi v[10:11], v26 offset:256 nt
	;; [unrolled: 1-line block ×15, first 2 shown]
	v_lshl_add_u64 v[12:13], v[12:13], 0, v[78:79]
	v_lshl_add_u64 v[14:15], v[14:15], 0, v[78:79]
	;; [unrolled: 1-line block ×4, first 2 shown]
	s_or_b64 s[28:29], vcc, s[28:29]
	v_lshl_add_u64 v[16:17], v[16:17], 0, v[78:79]
	s_andn2_b64 exec, exec, s[28:29]
	s_cbranch_execz .LBB33_1233
.LBB33_1105:                            ;   Parent Loop BB33_47 Depth=1
                                        ;     Parent Loop BB33_719 Depth=2
                                        ; =>    This Inner Loop Header: Depth=3
	v_add_co_u32_e32 v22, vcc, 0xfffff880, v16
	s_nop 1
	v_addc_co_u32_e32 v23, vcc, -1, v17, vcc
	flat_load_ushort v68, v[22:23] nt
	v_add_co_u32_e32 v22, vcc, 0xfffff900, v16
	s_nop 1
	v_addc_co_u32_e32 v23, vcc, -1, v17, vcc
	flat_load_ushort v66, v[22:23] nt
	;; [unrolled: 4-line block ×15, first 2 shown]
	s_nop 0
	flat_load_ushort v52, v[12:13] offset:1024 nt
	flat_load_ushort v54, v[12:13] offset:1152 nt
	;; [unrolled: 1-line block ×8, first 2 shown]
	flat_load_ushort v21, v[16:17] nt
	flat_load_ushort v24, v[12:13] offset:128 nt
	flat_load_ushort v26, v[12:13] offset:256 nt
	flat_load_ushort v33, v[12:13] offset:384 nt
	flat_load_ushort v35, v[12:13] offset:512 nt
	flat_load_ushort v37, v[12:13] offset:640 nt
	flat_load_ushort v39, v[12:13] offset:768 nt
	flat_load_ushort v50, v[12:13] offset:896 nt
	flat_load_ushort v22, v[12:13] nt
	flat_load_ushort v63, v[14:15] offset:128 nt
	flat_load_ushort v62, v[14:15] offset:256 nt
	flat_load_ushort v59, v[14:15] offset:384 nt
	flat_load_ushort v119, v[14:15] offset:512 nt
	flat_load_ushort v118, v[14:15] offset:640 nt
	flat_load_ushort v115, v[14:15] offset:768 nt
	flat_load_ushort v114, v[14:15] offset:896 nt
	;; [unrolled: 8-line block ×3, first 2 shown]
	flat_load_ushort v81, v[14:15] offset:1920 nt
	s_waitcnt vmcnt(0) lgkmcnt(0)
	v_lshlrev_b32_e32 v22, 16, v22
	v_max_f32_e32 v22, v22, v22
	v_lshlrev_b32_e32 v73, 16, v73
	v_max_f32_e32 v73, v73, v73
	v_min_f32_e32 v106, v22, v73
	v_max_f32_e32 v22, v22, v73
	v_cndmask_b32_e64 v73, v22, v106, s[24:25]
	v_and_b32_e32 v22, 0x7f800000, v73
	v_cmp_ne_u32_e32 vcc, s87, v22
                                        ; implicit-def: $vgpr22
	s_and_saveexec_b64 s[42:43], vcc
	s_xor_b64 s[42:43], exec, s[42:43]
; %bb.1106:                             ;   in Loop: Header=BB33_1105 Depth=3
	v_bfe_u32 v22, v73, 16, 1
	v_add3_u32 v22, v73, v22, s96
                                        ; implicit-def: $vgpr73
; %bb.1107:                             ;   in Loop: Header=BB33_1105 Depth=3
	s_andn2_saveexec_b64 s[42:43], s[42:43]
; %bb.1108:                             ;   in Loop: Header=BB33_1105 Depth=3
	v_or_b32_e32 v22, 0x10000, v73
	v_cmp_eq_u32_sdwa vcc, v73, v3 src0_sel:WORD_0 src1_sel:DWORD
	s_nop 1
	v_cndmask_b32_e32 v22, v22, v73, vcc
; %bb.1109:                             ;   in Loop: Header=BB33_1105 Depth=3
	s_or_b64 exec, exec, s[42:43]
	v_lshlrev_b32_e32 v24, 16, v24
	v_lshlrev_b32_e32 v63, 16, v63
	v_max_f32_e32 v63, v63, v63
	v_max_f32_e32 v24, v24, v24
	v_min_f32_e32 v73, v24, v63
	v_max_f32_e32 v24, v24, v63
	v_cndmask_b32_e64 v63, v24, v73, s[24:25]
	v_and_b32_e32 v24, 0x7f800000, v63
	v_cmp_ne_u32_e32 vcc, s87, v24
                                        ; implicit-def: $vgpr24
	s_and_saveexec_b64 s[42:43], vcc
	s_xor_b64 s[42:43], exec, s[42:43]
; %bb.1110:                             ;   in Loop: Header=BB33_1105 Depth=3
	v_bfe_u32 v24, v63, 16, 1
	v_add3_u32 v24, v63, v24, s96
                                        ; implicit-def: $vgpr63
; %bb.1111:                             ;   in Loop: Header=BB33_1105 Depth=3
	s_andn2_saveexec_b64 s[42:43], s[42:43]
; %bb.1112:                             ;   in Loop: Header=BB33_1105 Depth=3
	v_or_b32_e32 v24, 0x10000, v63
	v_cmp_eq_u32_sdwa vcc, v63, v3 src0_sel:WORD_0 src1_sel:DWORD
	s_nop 1
	v_cndmask_b32_e32 v24, v24, v63, vcc
; %bb.1113:                             ;   in Loop: Header=BB33_1105 Depth=3
	s_or_b64 exec, exec, s[42:43]
	v_lshlrev_b32_e32 v26, 16, v26
	v_lshlrev_b32_e32 v62, 16, v62
	v_max_f32_e32 v62, v62, v62
	v_max_f32_e32 v26, v26, v26
	v_min_f32_e32 v63, v26, v62
	v_max_f32_e32 v26, v26, v62
	v_cndmask_b32_e64 v62, v26, v63, s[24:25]
	v_and_b32_e32 v26, 0x7f800000, v62
	v_cmp_ne_u32_e32 vcc, s87, v26
                                        ; implicit-def: $vgpr26
	s_and_saveexec_b64 s[42:43], vcc
	s_xor_b64 s[42:43], exec, s[42:43]
; %bb.1114:                             ;   in Loop: Header=BB33_1105 Depth=3
	v_bfe_u32 v26, v62, 16, 1
	v_add3_u32 v26, v62, v26, s96
                                        ; implicit-def: $vgpr62
; %bb.1115:                             ;   in Loop: Header=BB33_1105 Depth=3
	s_andn2_saveexec_b64 s[42:43], s[42:43]
; %bb.1116:                             ;   in Loop: Header=BB33_1105 Depth=3
	v_or_b32_e32 v26, 0x10000, v62
	v_cmp_eq_u32_sdwa vcc, v62, v3 src0_sel:WORD_0 src1_sel:DWORD
	s_nop 1
	v_cndmask_b32_e32 v26, v26, v62, vcc
; %bb.1117:                             ;   in Loop: Header=BB33_1105 Depth=3
	s_or_b64 exec, exec, s[42:43]
	v_lshlrev_b32_e32 v33, 16, v33
	v_lshlrev_b32_e32 v59, 16, v59
	v_max_f32_e32 v59, v59, v59
	v_max_f32_e32 v33, v33, v33
	v_min_f32_e32 v62, v33, v59
	v_max_f32_e32 v33, v33, v59
	v_cndmask_b32_e64 v59, v33, v62, s[24:25]
	v_and_b32_e32 v33, 0x7f800000, v59
	v_cmp_ne_u32_e32 vcc, s87, v33
                                        ; implicit-def: $vgpr33
	s_and_saveexec_b64 s[42:43], vcc
	s_xor_b64 s[42:43], exec, s[42:43]
; %bb.1118:                             ;   in Loop: Header=BB33_1105 Depth=3
	v_bfe_u32 v33, v59, 16, 1
	v_add3_u32 v33, v59, v33, s96
                                        ; implicit-def: $vgpr59
; %bb.1119:                             ;   in Loop: Header=BB33_1105 Depth=3
	s_andn2_saveexec_b64 s[42:43], s[42:43]
; %bb.1120:                             ;   in Loop: Header=BB33_1105 Depth=3
	v_or_b32_e32 v33, 0x10000, v59
	v_cmp_eq_u32_sdwa vcc, v59, v3 src0_sel:WORD_0 src1_sel:DWORD
	s_nop 1
	v_cndmask_b32_e32 v33, v33, v59, vcc
; %bb.1121:                             ;   in Loop: Header=BB33_1105 Depth=3
	s_or_b64 exec, exec, s[42:43]
	v_lshlrev_b32_e32 v35, 16, v35
	v_lshlrev_b32_e32 v119, 16, v119
	v_max_f32_e32 v119, v119, v119
	v_max_f32_e32 v35, v35, v35
	v_min_f32_e32 v59, v35, v119
	v_max_f32_e32 v35, v35, v119
	v_cndmask_b32_e64 v119, v35, v59, s[24:25]
	v_and_b32_e32 v35, 0x7f800000, v119
	v_cmp_ne_u32_e32 vcc, s87, v35
                                        ; implicit-def: $vgpr35
	s_and_saveexec_b64 s[42:43], vcc
	s_xor_b64 s[42:43], exec, s[42:43]
; %bb.1122:                             ;   in Loop: Header=BB33_1105 Depth=3
	v_bfe_u32 v35, v119, 16, 1
	v_add3_u32 v35, v119, v35, s96
                                        ; implicit-def: $vgpr119
; %bb.1123:                             ;   in Loop: Header=BB33_1105 Depth=3
	s_andn2_saveexec_b64 s[42:43], s[42:43]
; %bb.1124:                             ;   in Loop: Header=BB33_1105 Depth=3
	v_or_b32_e32 v35, 0x10000, v119
	v_cmp_eq_u32_sdwa vcc, v119, v3 src0_sel:WORD_0 src1_sel:DWORD
	s_nop 1
	v_cndmask_b32_e32 v35, v35, v119, vcc
; %bb.1125:                             ;   in Loop: Header=BB33_1105 Depth=3
	s_or_b64 exec, exec, s[42:43]
	v_lshlrev_b32_e32 v37, 16, v37
	v_lshlrev_b32_e32 v118, 16, v118
	v_max_f32_e32 v118, v118, v118
	v_max_f32_e32 v37, v37, v37
	v_min_f32_e32 v119, v37, v118
	v_max_f32_e32 v37, v37, v118
	v_cndmask_b32_e64 v118, v37, v119, s[24:25]
	v_and_b32_e32 v37, 0x7f800000, v118
	v_cmp_ne_u32_e32 vcc, s87, v37
                                        ; implicit-def: $vgpr37
	s_and_saveexec_b64 s[42:43], vcc
	s_xor_b64 s[42:43], exec, s[42:43]
; %bb.1126:                             ;   in Loop: Header=BB33_1105 Depth=3
	v_bfe_u32 v37, v118, 16, 1
	v_add3_u32 v37, v118, v37, s96
                                        ; implicit-def: $vgpr118
; %bb.1127:                             ;   in Loop: Header=BB33_1105 Depth=3
	s_andn2_saveexec_b64 s[42:43], s[42:43]
; %bb.1128:                             ;   in Loop: Header=BB33_1105 Depth=3
	v_or_b32_e32 v37, 0x10000, v118
	v_cmp_eq_u32_sdwa vcc, v118, v3 src0_sel:WORD_0 src1_sel:DWORD
	s_nop 1
	v_cndmask_b32_e32 v37, v37, v118, vcc
; %bb.1129:                             ;   in Loop: Header=BB33_1105 Depth=3
	s_or_b64 exec, exec, s[42:43]
	v_lshlrev_b32_e32 v39, 16, v39
	v_lshlrev_b32_e32 v115, 16, v115
	v_max_f32_e32 v115, v115, v115
	v_max_f32_e32 v39, v39, v39
	v_min_f32_e32 v118, v39, v115
	v_max_f32_e32 v39, v39, v115
	v_cndmask_b32_e64 v115, v39, v118, s[24:25]
	v_and_b32_e32 v39, 0x7f800000, v115
	v_cmp_ne_u32_e32 vcc, s87, v39
                                        ; implicit-def: $vgpr39
	s_and_saveexec_b64 s[42:43], vcc
	s_xor_b64 s[42:43], exec, s[42:43]
; %bb.1130:                             ;   in Loop: Header=BB33_1105 Depth=3
	v_bfe_u32 v39, v115, 16, 1
	v_add3_u32 v39, v115, v39, s96
                                        ; implicit-def: $vgpr115
; %bb.1131:                             ;   in Loop: Header=BB33_1105 Depth=3
	s_andn2_saveexec_b64 s[42:43], s[42:43]
; %bb.1132:                             ;   in Loop: Header=BB33_1105 Depth=3
	v_or_b32_e32 v39, 0x10000, v115
	v_cmp_eq_u32_sdwa vcc, v115, v3 src0_sel:WORD_0 src1_sel:DWORD
	s_nop 1
	v_cndmask_b32_e32 v39, v39, v115, vcc
; %bb.1133:                             ;   in Loop: Header=BB33_1105 Depth=3
	s_or_b64 exec, exec, s[42:43]
	v_lshlrev_b32_e32 v50, 16, v50
	v_lshlrev_b32_e32 v114, 16, v114
	v_max_f32_e32 v114, v114, v114
	v_max_f32_e32 v50, v50, v50
	v_min_f32_e32 v115, v50, v114
	v_max_f32_e32 v50, v50, v114
	v_cndmask_b32_e64 v114, v50, v115, s[24:25]
	v_and_b32_e32 v50, 0x7f800000, v114
	v_cmp_ne_u32_e32 vcc, s87, v50
                                        ; implicit-def: $vgpr50
	s_and_saveexec_b64 s[42:43], vcc
	s_xor_b64 s[42:43], exec, s[42:43]
; %bb.1134:                             ;   in Loop: Header=BB33_1105 Depth=3
	v_bfe_u32 v50, v114, 16, 1
	v_add3_u32 v50, v114, v50, s96
                                        ; implicit-def: $vgpr114
; %bb.1135:                             ;   in Loop: Header=BB33_1105 Depth=3
	s_andn2_saveexec_b64 s[42:43], s[42:43]
; %bb.1136:                             ;   in Loop: Header=BB33_1105 Depth=3
	v_or_b32_e32 v50, 0x10000, v114
	v_cmp_eq_u32_sdwa vcc, v114, v3 src0_sel:WORD_0 src1_sel:DWORD
	s_nop 1
	v_cndmask_b32_e32 v50, v50, v114, vcc
; %bb.1137:                             ;   in Loop: Header=BB33_1105 Depth=3
	s_or_b64 exec, exec, s[42:43]
	v_lshlrev_b32_e32 v52, 16, v52
	v_lshlrev_b32_e32 v113, 16, v113
	v_max_f32_e32 v113, v113, v113
	v_max_f32_e32 v52, v52, v52
	v_min_f32_e32 v114, v52, v113
	v_max_f32_e32 v52, v52, v113
	v_cndmask_b32_e64 v113, v52, v114, s[24:25]
	v_and_b32_e32 v52, 0x7f800000, v113
	v_cmp_ne_u32_e32 vcc, s87, v52
                                        ; implicit-def: $vgpr52
	s_and_saveexec_b64 s[42:43], vcc
	s_xor_b64 s[42:43], exec, s[42:43]
; %bb.1138:                             ;   in Loop: Header=BB33_1105 Depth=3
	v_bfe_u32 v52, v113, 16, 1
	v_add3_u32 v52, v113, v52, s96
                                        ; implicit-def: $vgpr113
; %bb.1139:                             ;   in Loop: Header=BB33_1105 Depth=3
	s_andn2_saveexec_b64 s[42:43], s[42:43]
; %bb.1140:                             ;   in Loop: Header=BB33_1105 Depth=3
	v_or_b32_e32 v52, 0x10000, v113
	v_cmp_eq_u32_sdwa vcc, v113, v3 src0_sel:WORD_0 src1_sel:DWORD
	s_nop 1
	v_cndmask_b32_e32 v52, v52, v113, vcc
; %bb.1141:                             ;   in Loop: Header=BB33_1105 Depth=3
	s_or_b64 exec, exec, s[42:43]
	v_lshlrev_b32_e32 v54, 16, v54
	v_lshlrev_b32_e32 v112, 16, v112
	v_max_f32_e32 v112, v112, v112
	v_max_f32_e32 v54, v54, v54
	v_min_f32_e32 v113, v54, v112
	v_max_f32_e32 v54, v54, v112
	v_cndmask_b32_e64 v112, v54, v113, s[24:25]
	v_and_b32_e32 v54, 0x7f800000, v112
	v_cmp_ne_u32_e32 vcc, s87, v54
                                        ; implicit-def: $vgpr54
	s_and_saveexec_b64 s[42:43], vcc
	s_xor_b64 s[42:43], exec, s[42:43]
; %bb.1142:                             ;   in Loop: Header=BB33_1105 Depth=3
	v_bfe_u32 v54, v112, 16, 1
	v_add3_u32 v54, v112, v54, s96
                                        ; implicit-def: $vgpr112
; %bb.1143:                             ;   in Loop: Header=BB33_1105 Depth=3
	s_andn2_saveexec_b64 s[42:43], s[42:43]
; %bb.1144:                             ;   in Loop: Header=BB33_1105 Depth=3
	v_or_b32_e32 v54, 0x10000, v112
	v_cmp_eq_u32_sdwa vcc, v112, v3 src0_sel:WORD_0 src1_sel:DWORD
	s_nop 1
	v_cndmask_b32_e32 v54, v54, v112, vcc
; %bb.1145:                             ;   in Loop: Header=BB33_1105 Depth=3
	s_or_b64 exec, exec, s[42:43]
	v_lshlrev_b32_e32 v64, 16, v64
	v_lshlrev_b32_e32 v103, 16, v103
	v_max_f32_e32 v103, v103, v103
	v_max_f32_e32 v64, v64, v64
	v_min_f32_e32 v112, v64, v103
	v_max_f32_e32 v64, v64, v103
	v_cndmask_b32_e64 v103, v64, v112, s[24:25]
	v_and_b32_e32 v64, 0x7f800000, v103
	v_cmp_ne_u32_e32 vcc, s87, v64
                                        ; implicit-def: $vgpr64
	s_and_saveexec_b64 s[42:43], vcc
	s_xor_b64 s[42:43], exec, s[42:43]
; %bb.1146:                             ;   in Loop: Header=BB33_1105 Depth=3
	v_bfe_u32 v64, v103, 16, 1
	v_add3_u32 v64, v103, v64, s96
                                        ; implicit-def: $vgpr103
; %bb.1147:                             ;   in Loop: Header=BB33_1105 Depth=3
	s_andn2_saveexec_b64 s[42:43], s[42:43]
; %bb.1148:                             ;   in Loop: Header=BB33_1105 Depth=3
	v_or_b32_e32 v64, 0x10000, v103
	v_cmp_eq_u32_sdwa vcc, v103, v3 src0_sel:WORD_0 src1_sel:DWORD
	s_nop 1
	v_cndmask_b32_e32 v64, v64, v103, vcc
; %bb.1149:                             ;   in Loop: Header=BB33_1105 Depth=3
	s_or_b64 exec, exec, s[42:43]
	v_lshlrev_b32_e32 v67, 16, v67
	v_lshlrev_b32_e32 v102, 16, v102
	v_max_f32_e32 v102, v102, v102
	v_max_f32_e32 v67, v67, v67
	v_min_f32_e32 v103, v67, v102
	v_max_f32_e32 v67, v67, v102
	v_cndmask_b32_e64 v102, v67, v103, s[24:25]
	v_and_b32_e32 v67, 0x7f800000, v102
	v_cmp_ne_u32_e32 vcc, s87, v67
                                        ; implicit-def: $vgpr67
	s_and_saveexec_b64 s[42:43], vcc
	s_xor_b64 s[42:43], exec, s[42:43]
; %bb.1150:                             ;   in Loop: Header=BB33_1105 Depth=3
	v_bfe_u32 v67, v102, 16, 1
	v_add3_u32 v67, v102, v67, s96
                                        ; implicit-def: $vgpr102
; %bb.1151:                             ;   in Loop: Header=BB33_1105 Depth=3
	s_andn2_saveexec_b64 s[42:43], s[42:43]
; %bb.1152:                             ;   in Loop: Header=BB33_1105 Depth=3
	v_or_b32_e32 v67, 0x10000, v102
	v_cmp_eq_u32_sdwa vcc, v102, v3 src0_sel:WORD_0 src1_sel:DWORD
	s_nop 1
	v_cndmask_b32_e32 v67, v67, v102, vcc
; %bb.1153:                             ;   in Loop: Header=BB33_1105 Depth=3
	s_or_b64 exec, exec, s[42:43]
	v_lshlrev_b32_e32 v69, 16, v69
	v_lshlrev_b32_e32 v87, 16, v87
	v_max_f32_e32 v87, v87, v87
	v_max_f32_e32 v69, v69, v69
	v_min_f32_e32 v102, v69, v87
	v_max_f32_e32 v69, v69, v87
	v_cndmask_b32_e64 v87, v69, v102, s[24:25]
	v_and_b32_e32 v69, 0x7f800000, v87
	v_cmp_ne_u32_e32 vcc, s87, v69
                                        ; implicit-def: $vgpr69
	s_and_saveexec_b64 s[42:43], vcc
	s_xor_b64 s[42:43], exec, s[42:43]
; %bb.1154:                             ;   in Loop: Header=BB33_1105 Depth=3
	v_bfe_u32 v69, v87, 16, 1
	v_add3_u32 v69, v87, v69, s96
                                        ; implicit-def: $vgpr87
; %bb.1155:                             ;   in Loop: Header=BB33_1105 Depth=3
	s_andn2_saveexec_b64 s[42:43], s[42:43]
; %bb.1156:                             ;   in Loop: Header=BB33_1105 Depth=3
	v_or_b32_e32 v69, 0x10000, v87
	v_cmp_eq_u32_sdwa vcc, v87, v3 src0_sel:WORD_0 src1_sel:DWORD
	s_nop 1
	v_cndmask_b32_e32 v69, v69, v87, vcc
; %bb.1157:                             ;   in Loop: Header=BB33_1105 Depth=3
	s_or_b64 exec, exec, s[42:43]
	v_lshlrev_b32_e32 v70, 16, v70
	v_lshlrev_b32_e32 v83, 16, v83
	v_max_f32_e32 v83, v83, v83
	v_max_f32_e32 v70, v70, v70
	v_min_f32_e32 v87, v70, v83
	v_max_f32_e32 v70, v70, v83
	v_cndmask_b32_e64 v83, v70, v87, s[24:25]
	v_and_b32_e32 v70, 0x7f800000, v83
	v_cmp_ne_u32_e32 vcc, s87, v70
                                        ; implicit-def: $vgpr70
	s_and_saveexec_b64 s[42:43], vcc
	s_xor_b64 s[42:43], exec, s[42:43]
; %bb.1158:                             ;   in Loop: Header=BB33_1105 Depth=3
	v_bfe_u32 v70, v83, 16, 1
	v_add3_u32 v70, v83, v70, s96
                                        ; implicit-def: $vgpr83
; %bb.1159:                             ;   in Loop: Header=BB33_1105 Depth=3
	s_andn2_saveexec_b64 s[42:43], s[42:43]
; %bb.1160:                             ;   in Loop: Header=BB33_1105 Depth=3
	v_or_b32_e32 v70, 0x10000, v83
	v_cmp_eq_u32_sdwa vcc, v83, v3 src0_sel:WORD_0 src1_sel:DWORD
	s_nop 1
	v_cndmask_b32_e32 v70, v70, v83, vcc
; %bb.1161:                             ;   in Loop: Header=BB33_1105 Depth=3
	s_or_b64 exec, exec, s[42:43]
	v_lshlrev_b32_e32 v71, 16, v71
	v_lshlrev_b32_e32 v82, 16, v82
	v_max_f32_e32 v82, v82, v82
	v_max_f32_e32 v71, v71, v71
	v_min_f32_e32 v83, v71, v82
	v_max_f32_e32 v71, v71, v82
	v_cndmask_b32_e64 v82, v71, v83, s[24:25]
	v_and_b32_e32 v71, 0x7f800000, v82
	v_cmp_ne_u32_e32 vcc, s87, v71
                                        ; implicit-def: $vgpr71
	s_and_saveexec_b64 s[42:43], vcc
	s_xor_b64 s[42:43], exec, s[42:43]
; %bb.1162:                             ;   in Loop: Header=BB33_1105 Depth=3
	v_bfe_u32 v71, v82, 16, 1
	v_add3_u32 v71, v82, v71, s96
                                        ; implicit-def: $vgpr82
; %bb.1163:                             ;   in Loop: Header=BB33_1105 Depth=3
	s_andn2_saveexec_b64 s[42:43], s[42:43]
; %bb.1164:                             ;   in Loop: Header=BB33_1105 Depth=3
	v_or_b32_e32 v71, 0x10000, v82
	v_cmp_eq_u32_sdwa vcc, v82, v3 src0_sel:WORD_0 src1_sel:DWORD
	s_nop 1
	v_cndmask_b32_e32 v71, v71, v82, vcc
; %bb.1165:                             ;   in Loop: Header=BB33_1105 Depth=3
	s_or_b64 exec, exec, s[42:43]
	v_lshlrev_b32_e32 v80, 16, v80
	v_lshlrev_b32_e32 v81, 16, v81
	v_max_f32_e32 v81, v81, v81
	v_max_f32_e32 v80, v80, v80
	v_min_f32_e32 v82, v80, v81
	v_max_f32_e32 v80, v80, v81
	v_cndmask_b32_e64 v81, v80, v82, s[24:25]
	v_and_b32_e32 v80, 0x7f800000, v81
	v_cmp_ne_u32_e32 vcc, s87, v80
                                        ; implicit-def: $vgpr80
	s_and_saveexec_b64 s[42:43], vcc
	s_xor_b64 s[42:43], exec, s[42:43]
; %bb.1166:                             ;   in Loop: Header=BB33_1105 Depth=3
	v_bfe_u32 v80, v81, 16, 1
	v_add3_u32 v80, v81, v80, s96
                                        ; implicit-def: $vgpr81
; %bb.1167:                             ;   in Loop: Header=BB33_1105 Depth=3
	s_andn2_saveexec_b64 s[42:43], s[42:43]
; %bb.1168:                             ;   in Loop: Header=BB33_1105 Depth=3
	v_or_b32_e32 v80, 0x10000, v81
	v_cmp_eq_u32_sdwa vcc, v81, v3 src0_sel:WORD_0 src1_sel:DWORD
	s_nop 1
	v_cndmask_b32_e32 v80, v80, v81, vcc
; %bb.1169:                             ;   in Loop: Header=BB33_1105 Depth=3
	s_or_b64 exec, exec, s[42:43]
	v_and_b32_e32 v81, 0xffff0000, v22
	v_lshlrev_b32_e32 v68, 16, v68
	v_max_f32_e32 v81, v81, v81
	v_max_f32_e32 v68, v68, v68
	v_min_f32_e32 v82, v81, v68
	v_max_f32_e32 v68, v81, v68
	v_cndmask_b32_e64 v68, v68, v82, s[24:25]
	v_and_b32_e32 v81, 0x7f800000, v68
	v_cmp_ne_u32_e32 vcc, s87, v81
                                        ; implicit-def: $vgpr81
	s_and_saveexec_b64 s[42:43], vcc
	s_xor_b64 s[42:43], exec, s[42:43]
; %bb.1170:                             ;   in Loop: Header=BB33_1105 Depth=3
	v_bfe_u32 v81, v68, 16, 1
	v_add3_u32 v81, v68, v81, s96
                                        ; implicit-def: $vgpr68
; %bb.1171:                             ;   in Loop: Header=BB33_1105 Depth=3
	s_andn2_saveexec_b64 s[42:43], s[42:43]
; %bb.1172:                             ;   in Loop: Header=BB33_1105 Depth=3
	v_or_b32_e32 v81, 0x10000, v68
	v_cmp_eq_u32_sdwa vcc, v68, v3 src0_sel:WORD_0 src1_sel:DWORD
	s_nop 1
	v_cndmask_b32_e32 v81, v81, v68, vcc
; %bb.1173:                             ;   in Loop: Header=BB33_1105 Depth=3
	s_or_b64 exec, exec, s[42:43]
	v_and_b32_e32 v68, 0xffff0000, v24
	v_lshlrev_b32_e32 v66, 16, v66
	v_max_f32_e32 v68, v68, v68
	v_max_f32_e32 v66, v66, v66
	flat_store_short_d16_hi v[8:9], v81 nt
	v_min_f32_e32 v81, v68, v66
	v_max_f32_e32 v66, v68, v66
	v_cndmask_b32_e64 v66, v66, v81, s[24:25]
	v_and_b32_e32 v68, 0x7f800000, v66
	v_cmp_ne_u32_e32 vcc, s87, v68
                                        ; implicit-def: $vgpr68
	s_and_saveexec_b64 s[42:43], vcc
	s_xor_b64 s[42:43], exec, s[42:43]
; %bb.1174:                             ;   in Loop: Header=BB33_1105 Depth=3
	v_bfe_u32 v68, v66, 16, 1
	v_add3_u32 v68, v66, v68, s96
                                        ; implicit-def: $vgpr66
; %bb.1175:                             ;   in Loop: Header=BB33_1105 Depth=3
	s_andn2_saveexec_b64 s[42:43], s[42:43]
; %bb.1176:                             ;   in Loop: Header=BB33_1105 Depth=3
	v_or_b32_e32 v68, 0x10000, v66
	v_cmp_eq_u32_sdwa vcc, v66, v3 src0_sel:WORD_0 src1_sel:DWORD
	s_nop 1
	v_cndmask_b32_e32 v68, v68, v66, vcc
; %bb.1177:                             ;   in Loop: Header=BB33_1105 Depth=3
	s_or_b64 exec, exec, s[42:43]
	v_and_b32_e32 v66, 0xffff0000, v26
	v_lshlrev_b32_e32 v65, 16, v65
	v_max_f32_e32 v66, v66, v66
	v_max_f32_e32 v65, v65, v65
	flat_store_short_d16_hi v[8:9], v68 offset:128 nt
	v_min_f32_e32 v68, v66, v65
	v_max_f32_e32 v65, v66, v65
	v_cndmask_b32_e64 v65, v65, v68, s[24:25]
	v_and_b32_e32 v66, 0x7f800000, v65
	v_cmp_ne_u32_e32 vcc, s87, v66
                                        ; implicit-def: $vgpr66
	s_and_saveexec_b64 s[42:43], vcc
	s_xor_b64 s[42:43], exec, s[42:43]
; %bb.1178:                             ;   in Loop: Header=BB33_1105 Depth=3
	v_bfe_u32 v66, v65, 16, 1
	v_add3_u32 v66, v65, v66, s96
                                        ; implicit-def: $vgpr65
; %bb.1179:                             ;   in Loop: Header=BB33_1105 Depth=3
	s_andn2_saveexec_b64 s[42:43], s[42:43]
; %bb.1180:                             ;   in Loop: Header=BB33_1105 Depth=3
	v_or_b32_e32 v66, 0x10000, v65
	v_cmp_eq_u32_sdwa vcc, v65, v3 src0_sel:WORD_0 src1_sel:DWORD
	s_nop 1
	v_cndmask_b32_e32 v66, v66, v65, vcc
; %bb.1181:                             ;   in Loop: Header=BB33_1105 Depth=3
	s_or_b64 exec, exec, s[42:43]
	v_and_b32_e32 v65, 0xffff0000, v33
	v_lshlrev_b32_e32 v55, 16, v55
	v_max_f32_e32 v65, v65, v65
	v_max_f32_e32 v55, v55, v55
	flat_store_short_d16_hi v[8:9], v66 offset:256 nt
	v_min_f32_e32 v66, v65, v55
	v_max_f32_e32 v55, v65, v55
	v_cndmask_b32_e64 v55, v55, v66, s[24:25]
	v_and_b32_e32 v65, 0x7f800000, v55
	v_cmp_ne_u32_e32 vcc, s87, v65
                                        ; implicit-def: $vgpr65
	s_and_saveexec_b64 s[42:43], vcc
	s_xor_b64 s[42:43], exec, s[42:43]
; %bb.1182:                             ;   in Loop: Header=BB33_1105 Depth=3
	v_bfe_u32 v65, v55, 16, 1
	v_add3_u32 v65, v55, v65, s96
                                        ; implicit-def: $vgpr55
; %bb.1183:                             ;   in Loop: Header=BB33_1105 Depth=3
	s_andn2_saveexec_b64 s[42:43], s[42:43]
; %bb.1184:                             ;   in Loop: Header=BB33_1105 Depth=3
	v_or_b32_e32 v65, 0x10000, v55
	v_cmp_eq_u32_sdwa vcc, v55, v3 src0_sel:WORD_0 src1_sel:DWORD
	s_nop 1
	v_cndmask_b32_e32 v65, v65, v55, vcc
; %bb.1185:                             ;   in Loop: Header=BB33_1105 Depth=3
	s_or_b64 exec, exec, s[42:43]
	v_and_b32_e32 v55, 0xffff0000, v35
	v_lshlrev_b32_e32 v53, 16, v53
	v_max_f32_e32 v55, v55, v55
	v_max_f32_e32 v53, v53, v53
	flat_store_short_d16_hi v[8:9], v65 offset:384 nt
	v_min_f32_e32 v65, v55, v53
	v_max_f32_e32 v53, v55, v53
	v_cndmask_b32_e64 v53, v53, v65, s[24:25]
	v_and_b32_e32 v55, 0x7f800000, v53
	v_cmp_ne_u32_e32 vcc, s87, v55
                                        ; implicit-def: $vgpr55
	s_and_saveexec_b64 s[42:43], vcc
	s_xor_b64 s[42:43], exec, s[42:43]
; %bb.1186:                             ;   in Loop: Header=BB33_1105 Depth=3
	v_bfe_u32 v55, v53, 16, 1
	v_add3_u32 v55, v53, v55, s96
                                        ; implicit-def: $vgpr53
; %bb.1187:                             ;   in Loop: Header=BB33_1105 Depth=3
	s_andn2_saveexec_b64 s[42:43], s[42:43]
; %bb.1188:                             ;   in Loop: Header=BB33_1105 Depth=3
	v_or_b32_e32 v55, 0x10000, v53
	v_cmp_eq_u32_sdwa vcc, v53, v3 src0_sel:WORD_0 src1_sel:DWORD
	s_nop 1
	v_cndmask_b32_e32 v55, v55, v53, vcc
; %bb.1189:                             ;   in Loop: Header=BB33_1105 Depth=3
	s_or_b64 exec, exec, s[42:43]
	v_and_b32_e32 v53, 0xffff0000, v37
	v_lshlrev_b32_e32 v51, 16, v51
	v_max_f32_e32 v53, v53, v53
	v_max_f32_e32 v51, v51, v51
	flat_store_short_d16_hi v[8:9], v55 offset:512 nt
	v_min_f32_e32 v55, v53, v51
	v_max_f32_e32 v51, v53, v51
	v_cndmask_b32_e64 v51, v51, v55, s[24:25]
	v_and_b32_e32 v53, 0x7f800000, v51
	v_cmp_ne_u32_e32 vcc, s87, v53
                                        ; implicit-def: $vgpr53
	s_and_saveexec_b64 s[42:43], vcc
	s_xor_b64 s[42:43], exec, s[42:43]
; %bb.1190:                             ;   in Loop: Header=BB33_1105 Depth=3
	v_bfe_u32 v53, v51, 16, 1
	v_add3_u32 v53, v51, v53, s96
                                        ; implicit-def: $vgpr51
; %bb.1191:                             ;   in Loop: Header=BB33_1105 Depth=3
	s_andn2_saveexec_b64 s[42:43], s[42:43]
; %bb.1192:                             ;   in Loop: Header=BB33_1105 Depth=3
	v_or_b32_e32 v53, 0x10000, v51
	v_cmp_eq_u32_sdwa vcc, v51, v3 src0_sel:WORD_0 src1_sel:DWORD
	s_nop 1
	v_cndmask_b32_e32 v53, v53, v51, vcc
; %bb.1193:                             ;   in Loop: Header=BB33_1105 Depth=3
	s_or_b64 exec, exec, s[42:43]
	v_and_b32_e32 v51, 0xffff0000, v39
	v_lshlrev_b32_e32 v49, 16, v49
	v_max_f32_e32 v51, v51, v51
	v_max_f32_e32 v49, v49, v49
	flat_store_short_d16_hi v[8:9], v53 offset:640 nt
	v_min_f32_e32 v53, v51, v49
	v_max_f32_e32 v49, v51, v49
	v_cndmask_b32_e64 v49, v49, v53, s[24:25]
	v_and_b32_e32 v51, 0x7f800000, v49
	v_cmp_ne_u32_e32 vcc, s87, v51
                                        ; implicit-def: $vgpr51
	s_and_saveexec_b64 s[42:43], vcc
	s_xor_b64 s[42:43], exec, s[42:43]
; %bb.1194:                             ;   in Loop: Header=BB33_1105 Depth=3
	v_bfe_u32 v51, v49, 16, 1
	v_add3_u32 v51, v49, v51, s96
                                        ; implicit-def: $vgpr49
; %bb.1195:                             ;   in Loop: Header=BB33_1105 Depth=3
	s_andn2_saveexec_b64 s[42:43], s[42:43]
; %bb.1196:                             ;   in Loop: Header=BB33_1105 Depth=3
	v_or_b32_e32 v51, 0x10000, v49
	v_cmp_eq_u32_sdwa vcc, v49, v3 src0_sel:WORD_0 src1_sel:DWORD
	s_nop 1
	v_cndmask_b32_e32 v51, v51, v49, vcc
; %bb.1197:                             ;   in Loop: Header=BB33_1105 Depth=3
	s_or_b64 exec, exec, s[42:43]
	v_and_b32_e32 v49, 0xffff0000, v50
	v_lshlrev_b32_e32 v48, 16, v48
	v_max_f32_e32 v49, v49, v49
	v_max_f32_e32 v48, v48, v48
	flat_store_short_d16_hi v[8:9], v51 offset:768 nt
	v_min_f32_e32 v51, v49, v48
	v_max_f32_e32 v48, v49, v48
	v_cndmask_b32_e64 v48, v48, v51, s[24:25]
	v_and_b32_e32 v49, 0x7f800000, v48
	v_cmp_ne_u32_e32 vcc, s87, v49
                                        ; implicit-def: $vgpr49
	s_and_saveexec_b64 s[42:43], vcc
	s_xor_b64 s[42:43], exec, s[42:43]
; %bb.1198:                             ;   in Loop: Header=BB33_1105 Depth=3
	v_bfe_u32 v49, v48, 16, 1
	v_add3_u32 v49, v48, v49, s96
                                        ; implicit-def: $vgpr48
; %bb.1199:                             ;   in Loop: Header=BB33_1105 Depth=3
	s_andn2_saveexec_b64 s[42:43], s[42:43]
; %bb.1200:                             ;   in Loop: Header=BB33_1105 Depth=3
	v_or_b32_e32 v49, 0x10000, v48
	v_cmp_eq_u32_sdwa vcc, v48, v3 src0_sel:WORD_0 src1_sel:DWORD
	s_nop 1
	v_cndmask_b32_e32 v49, v49, v48, vcc
; %bb.1201:                             ;   in Loop: Header=BB33_1105 Depth=3
	s_or_b64 exec, exec, s[42:43]
	v_and_b32_e32 v48, 0xffff0000, v52
	v_lshlrev_b32_e32 v38, 16, v38
	v_max_f32_e32 v48, v48, v48
	v_max_f32_e32 v38, v38, v38
	flat_store_short_d16_hi v[8:9], v49 offset:896 nt
	v_min_f32_e32 v49, v48, v38
	v_max_f32_e32 v38, v48, v38
	v_cndmask_b32_e64 v38, v38, v49, s[24:25]
	v_and_b32_e32 v48, 0x7f800000, v38
	v_cmp_ne_u32_e32 vcc, s87, v48
                                        ; implicit-def: $vgpr48
	s_and_saveexec_b64 s[42:43], vcc
	s_xor_b64 s[42:43], exec, s[42:43]
; %bb.1202:                             ;   in Loop: Header=BB33_1105 Depth=3
	v_bfe_u32 v48, v38, 16, 1
	v_add3_u32 v48, v38, v48, s96
                                        ; implicit-def: $vgpr38
; %bb.1203:                             ;   in Loop: Header=BB33_1105 Depth=3
	s_andn2_saveexec_b64 s[42:43], s[42:43]
; %bb.1204:                             ;   in Loop: Header=BB33_1105 Depth=3
	v_or_b32_e32 v48, 0x10000, v38
	v_cmp_eq_u32_sdwa vcc, v38, v3 src0_sel:WORD_0 src1_sel:DWORD
	s_nop 1
	v_cndmask_b32_e32 v48, v48, v38, vcc
; %bb.1205:                             ;   in Loop: Header=BB33_1105 Depth=3
	s_or_b64 exec, exec, s[42:43]
	v_and_b32_e32 v38, 0xffff0000, v54
	v_lshlrev_b32_e32 v36, 16, v36
	v_max_f32_e32 v38, v38, v38
	v_max_f32_e32 v36, v36, v36
	flat_store_short_d16_hi v[8:9], v48 offset:1024 nt
	v_min_f32_e32 v48, v38, v36
	v_max_f32_e32 v36, v38, v36
	v_cndmask_b32_e64 v36, v36, v48, s[24:25]
	v_and_b32_e32 v38, 0x7f800000, v36
	v_cmp_ne_u32_e32 vcc, s87, v38
                                        ; implicit-def: $vgpr38
	s_and_saveexec_b64 s[42:43], vcc
	s_xor_b64 s[42:43], exec, s[42:43]
; %bb.1206:                             ;   in Loop: Header=BB33_1105 Depth=3
	v_bfe_u32 v38, v36, 16, 1
	v_add3_u32 v38, v36, v38, s96
                                        ; implicit-def: $vgpr36
; %bb.1207:                             ;   in Loop: Header=BB33_1105 Depth=3
	s_andn2_saveexec_b64 s[42:43], s[42:43]
; %bb.1208:                             ;   in Loop: Header=BB33_1105 Depth=3
	v_or_b32_e32 v38, 0x10000, v36
	v_cmp_eq_u32_sdwa vcc, v36, v3 src0_sel:WORD_0 src1_sel:DWORD
	s_nop 1
	v_cndmask_b32_e32 v38, v38, v36, vcc
; %bb.1209:                             ;   in Loop: Header=BB33_1105 Depth=3
	s_or_b64 exec, exec, s[42:43]
	v_and_b32_e32 v36, 0xffff0000, v64
	v_lshlrev_b32_e32 v34, 16, v34
	v_max_f32_e32 v36, v36, v36
	v_max_f32_e32 v34, v34, v34
	flat_store_short_d16_hi v[8:9], v38 offset:1152 nt
	v_min_f32_e32 v38, v36, v34
	v_max_f32_e32 v34, v36, v34
	v_cndmask_b32_e64 v34, v34, v38, s[24:25]
	v_and_b32_e32 v36, 0x7f800000, v34
	v_cmp_ne_u32_e32 vcc, s87, v36
                                        ; implicit-def: $vgpr36
	s_and_saveexec_b64 s[42:43], vcc
	s_xor_b64 s[42:43], exec, s[42:43]
; %bb.1210:                             ;   in Loop: Header=BB33_1105 Depth=3
	v_bfe_u32 v36, v34, 16, 1
	v_add3_u32 v36, v34, v36, s96
                                        ; implicit-def: $vgpr34
; %bb.1211:                             ;   in Loop: Header=BB33_1105 Depth=3
	s_andn2_saveexec_b64 s[42:43], s[42:43]
; %bb.1212:                             ;   in Loop: Header=BB33_1105 Depth=3
	v_or_b32_e32 v36, 0x10000, v34
	v_cmp_eq_u32_sdwa vcc, v34, v3 src0_sel:WORD_0 src1_sel:DWORD
	s_nop 1
	v_cndmask_b32_e32 v36, v36, v34, vcc
; %bb.1213:                             ;   in Loop: Header=BB33_1105 Depth=3
	s_or_b64 exec, exec, s[42:43]
	v_and_b32_e32 v34, 0xffff0000, v67
	v_lshlrev_b32_e32 v32, 16, v32
	v_max_f32_e32 v34, v34, v34
	v_max_f32_e32 v32, v32, v32
	flat_store_short_d16_hi v[8:9], v36 offset:1280 nt
	v_min_f32_e32 v36, v34, v32
	v_max_f32_e32 v32, v34, v32
	v_cndmask_b32_e64 v32, v32, v36, s[24:25]
	v_and_b32_e32 v34, 0x7f800000, v32
	v_cmp_ne_u32_e32 vcc, s87, v34
                                        ; implicit-def: $vgpr34
	s_and_saveexec_b64 s[42:43], vcc
	s_xor_b64 s[42:43], exec, s[42:43]
; %bb.1214:                             ;   in Loop: Header=BB33_1105 Depth=3
	v_bfe_u32 v34, v32, 16, 1
	v_add3_u32 v34, v32, v34, s96
                                        ; implicit-def: $vgpr32
; %bb.1215:                             ;   in Loop: Header=BB33_1105 Depth=3
	s_andn2_saveexec_b64 s[42:43], s[42:43]
; %bb.1216:                             ;   in Loop: Header=BB33_1105 Depth=3
	v_or_b32_e32 v34, 0x10000, v32
	v_cmp_eq_u32_sdwa vcc, v32, v3 src0_sel:WORD_0 src1_sel:DWORD
	s_nop 1
	v_cndmask_b32_e32 v34, v34, v32, vcc
; %bb.1217:                             ;   in Loop: Header=BB33_1105 Depth=3
	s_or_b64 exec, exec, s[42:43]
	v_and_b32_e32 v32, 0xffff0000, v69
	v_lshlrev_b32_e32 v27, 16, v27
	v_max_f32_e32 v32, v32, v32
	v_max_f32_e32 v27, v27, v27
	flat_store_short_d16_hi v[8:9], v34 offset:1408 nt
	v_min_f32_e32 v34, v32, v27
	v_max_f32_e32 v27, v32, v27
	v_cndmask_b32_e64 v27, v27, v34, s[24:25]
	v_and_b32_e32 v32, 0x7f800000, v27
	v_cmp_ne_u32_e32 vcc, s87, v32
                                        ; implicit-def: $vgpr32
	s_and_saveexec_b64 s[42:43], vcc
	s_xor_b64 s[42:43], exec, s[42:43]
; %bb.1218:                             ;   in Loop: Header=BB33_1105 Depth=3
	v_bfe_u32 v32, v27, 16, 1
	v_add3_u32 v32, v27, v32, s96
                                        ; implicit-def: $vgpr27
; %bb.1219:                             ;   in Loop: Header=BB33_1105 Depth=3
	s_andn2_saveexec_b64 s[42:43], s[42:43]
; %bb.1220:                             ;   in Loop: Header=BB33_1105 Depth=3
	v_or_b32_e32 v32, 0x10000, v27
	v_cmp_eq_u32_sdwa vcc, v27, v3 src0_sel:WORD_0 src1_sel:DWORD
	s_nop 1
	v_cndmask_b32_e32 v32, v32, v27, vcc
; %bb.1221:                             ;   in Loop: Header=BB33_1105 Depth=3
	s_or_b64 exec, exec, s[42:43]
	v_and_b32_e32 v27, 0xffff0000, v70
	v_lshlrev_b32_e32 v25, 16, v25
	v_max_f32_e32 v27, v27, v27
	v_max_f32_e32 v25, v25, v25
	flat_store_short_d16_hi v[8:9], v32 offset:1536 nt
	v_min_f32_e32 v32, v27, v25
	v_max_f32_e32 v25, v27, v25
	v_cndmask_b32_e64 v25, v25, v32, s[24:25]
	v_and_b32_e32 v27, 0x7f800000, v25
	v_cmp_ne_u32_e32 vcc, s87, v27
                                        ; implicit-def: $vgpr27
	s_and_saveexec_b64 s[42:43], vcc
	s_xor_b64 s[42:43], exec, s[42:43]
; %bb.1222:                             ;   in Loop: Header=BB33_1105 Depth=3
	v_bfe_u32 v27, v25, 16, 1
	v_add3_u32 v27, v25, v27, s96
                                        ; implicit-def: $vgpr25
; %bb.1223:                             ;   in Loop: Header=BB33_1105 Depth=3
	s_andn2_saveexec_b64 s[42:43], s[42:43]
; %bb.1224:                             ;   in Loop: Header=BB33_1105 Depth=3
	v_or_b32_e32 v27, 0x10000, v25
	v_cmp_eq_u32_sdwa vcc, v25, v3 src0_sel:WORD_0 src1_sel:DWORD
	s_nop 1
	v_cndmask_b32_e32 v27, v27, v25, vcc
; %bb.1225:                             ;   in Loop: Header=BB33_1105 Depth=3
	s_or_b64 exec, exec, s[42:43]
	v_and_b32_e32 v25, 0xffff0000, v71
	v_lshlrev_b32_e32 v23, 16, v23
	v_max_f32_e32 v25, v25, v25
	v_max_f32_e32 v23, v23, v23
	flat_store_short_d16_hi v[8:9], v27 offset:1664 nt
	v_min_f32_e32 v27, v25, v23
	v_max_f32_e32 v23, v25, v23
	v_cndmask_b32_e64 v23, v23, v27, s[24:25]
	v_and_b32_e32 v25, 0x7f800000, v23
	v_cmp_ne_u32_e32 vcc, s87, v25
                                        ; implicit-def: $vgpr25
	s_and_saveexec_b64 s[42:43], vcc
	s_xor_b64 s[42:43], exec, s[42:43]
; %bb.1226:                             ;   in Loop: Header=BB33_1105 Depth=3
	v_bfe_u32 v25, v23, 16, 1
	v_add3_u32 v25, v23, v25, s96
                                        ; implicit-def: $vgpr23
; %bb.1227:                             ;   in Loop: Header=BB33_1105 Depth=3
	s_andn2_saveexec_b64 s[42:43], s[42:43]
; %bb.1228:                             ;   in Loop: Header=BB33_1105 Depth=3
	v_or_b32_e32 v25, 0x10000, v23
	v_cmp_eq_u32_sdwa vcc, v23, v3 src0_sel:WORD_0 src1_sel:DWORD
	s_nop 1
	v_cndmask_b32_e32 v25, v25, v23, vcc
; %bb.1229:                             ;   in Loop: Header=BB33_1105 Depth=3
	s_or_b64 exec, exec, s[42:43]
	v_and_b32_e32 v23, 0xffff0000, v80
	v_lshlrev_b32_e32 v21, 16, v21
	v_max_f32_e32 v23, v23, v23
	v_max_f32_e32 v21, v21, v21
	flat_store_short_d16_hi v[8:9], v25 offset:1792 nt
	v_min_f32_e32 v25, v23, v21
	v_max_f32_e32 v21, v23, v21
	v_cndmask_b32_e64 v21, v21, v25, s[24:25]
	v_and_b32_e32 v23, 0x7f800000, v21
	v_cmp_ne_u32_e32 vcc, s87, v23
                                        ; implicit-def: $vgpr23
	s_and_saveexec_b64 s[42:43], vcc
	s_xor_b64 s[42:43], exec, s[42:43]
; %bb.1230:                             ;   in Loop: Header=BB33_1105 Depth=3
	v_bfe_u32 v23, v21, 16, 1
	v_add3_u32 v23, v21, v23, s96
                                        ; implicit-def: $vgpr21
; %bb.1231:                             ;   in Loop: Header=BB33_1105 Depth=3
	s_andn2_saveexec_b64 s[42:43], s[42:43]
	s_cbranch_execz .LBB33_1104
; %bb.1232:                             ;   in Loop: Header=BB33_1105 Depth=3
	v_or_b32_e32 v23, 0x10000, v21
	v_cmp_eq_u32_sdwa vcc, v21, v3 src0_sel:WORD_0 src1_sel:DWORD
	s_nop 1
	v_cndmask_b32_e32 v23, v23, v21, vcc
	s_branch .LBB33_1104
.LBB33_1233:                            ;   in Loop: Header=BB33_719 Depth=2
	s_or_b64 exec, exec, s[28:29]
	v_mov_b32_e32 v102, v107
	v_mov_b32_e32 v103, v108
	;; [unrolled: 1-line block ×4, first 2 shown]
.LBB33_1234:                            ;   in Loop: Header=BB33_719 Depth=2
	s_or_b64 exec, exec, s[26:27]
	v_lshlrev_b32_e32 v8, 11, v20
	v_cmp_ne_u32_e32 vcc, v31, v8
	s_and_b64 exec, exec, vcc
	s_cbranch_execz .LBB33_1244
; %bb.1235:                             ;   in Loop: Header=BB33_719 Depth=2
	v_lshlrev_b32_e32 v0, 6, v0
	v_sub_u32_e32 v0, v18, v0
	v_lshlrev_b32_e32 v9, 6, v19
	v_sub_u32_e32 v0, v0, v9
	v_ashrrev_i32_e32 v9, 31, v0
	v_lshrrev_b32_e32 v9, 26, v9
	v_add_u32_e32 v9, v0, v9
	v_and_b32_e32 v10, 0x7fffffc0, v9
	v_sub_u32_e32 v0, v0, v10
	v_lshlrev_b32_e32 v9, 1, v9
	v_and_b32_e32 v9, 0xffffff80, v9
	v_lshlrev_b32_e32 v0, 1, v0
	v_add3_u32 v8, v9, v0, v8
	v_sub_u32_e32 v0, v31, v8
	v_cmp_lt_i32_e32 vcc, 1, v0
	s_and_b64 exec, exec, vcc
	s_cbranch_execz .LBB33_1244
; %bb.1236:                             ;   in Loop: Header=BB33_719 Depth=2
	s_trap 2
	ds_read_b64 v[16:17], v0
	v_add_u32_e32 v14, v8, v2
	s_and_b32 s74, s62, 1
	v_ashrrev_i32_e32 v15, 31, v14
	s_cmp_eq_u64 s[74:75], 0
	s_waitcnt lgkmcnt(0)
	v_lshl_add_u64 v[8:9], v[14:15], 0, v[28:29]
	v_lshl_add_u64 v[10:11], v[14:15], 0, v[98:99]
	v_lshl_add_u64 v[4:5], v[14:15], 0, v[4:5]
	v_lshl_add_u64 v[12:13], v[14:15], 0, v[100:101]
	v_lshl_add_u64 v[14:15], v[16:17], 0, v[14:15]
	s_mov_b64 s[42:43], 0
	s_cselect_b64 s[24:25], -1, 0
.LBB33_1237:                            ;   Parent Loop BB33_47 Depth=1
                                        ;     Parent Loop BB33_719 Depth=2
                                        ; =>    This Loop Header: Depth=3
                                        ;         Child Loop BB33_1242 Depth 4
	flat_load_ushort v2, v[14:15] nt
	flat_load_ushort v17, v[12:13] nt
	;; [unrolled: 1-line block ×3, first 2 shown]
	s_waitcnt vmcnt(0) lgkmcnt(0)
	v_lshlrev_b32_e32 v2, 16, v2
	v_lshlrev_b32_e32 v17, 16, v17
	v_max_f32_e32 v2, v2, v2
	v_max_f32_e32 v17, v17, v17
	v_min_f32_e32 v18, v17, v2
	v_max_f32_e32 v2, v17, v2
	v_cndmask_b32_e64 v17, v2, v18, s[24:25]
	v_and_b32_e32 v2, 0x7f800000, v17
	v_cmp_ne_u32_e32 vcc, s87, v2
                                        ; implicit-def: $vgpr2
	s_and_saveexec_b64 s[26:27], vcc
	s_xor_b64 s[26:27], exec, s[26:27]
; %bb.1238:                             ;   in Loop: Header=BB33_1237 Depth=3
	v_bfe_u32 v2, v17, 16, 1
	v_add3_u32 v2, v17, v2, s96
                                        ; implicit-def: $vgpr17
; %bb.1239:                             ;   in Loop: Header=BB33_1237 Depth=3
	s_andn2_saveexec_b64 s[26:27], s[26:27]
; %bb.1240:                             ;   in Loop: Header=BB33_1237 Depth=3
	v_or_b32_e32 v2, 0x10000, v17
	v_cmp_eq_u32_sdwa vcc, v17, v3 src0_sel:WORD_0 src1_sel:DWORD
	s_nop 1
	v_cndmask_b32_e32 v2, v2, v17, vcc
; %bb.1241:                             ;   in Loop: Header=BB33_1237 Depth=3
	s_or_b64 exec, exec, s[26:27]
	v_and_b32_e32 v17, 0xffff0000, v2
	v_lshlrev_b32_e32 v16, 16, v16
	v_max_f32_e32 v17, v17, v17
	v_max_f32_e32 v16, v16, v16
	v_min_f32_e32 v18, v17, v16
	v_max_f32_e32 v16, v17, v16
	v_cndmask_b32_e64 v16, v16, v18, s[24:25]
	v_and_b32_e32 v17, 0x7f800000, v16
	v_bfe_u32 v18, v16, 16, 1
	v_or_b32_e32 v19, 0x10000, v16
	v_cmp_eq_u32_sdwa vcc, v16, v3 src0_sel:WORD_0 src1_sel:DWORD
	v_add3_u32 v18, v16, v18, s96
	s_mov_b64 s[46:47], 0
	v_cndmask_b32_e32 v16, v19, v16, vcc
	v_cmp_eq_u32_e32 vcc, s87, v17
	s_mov_b64 s[44:45], -1
	s_nop 0
	v_cndmask_b32_e32 v16, v18, v16, vcc
.LBB33_1242:                            ;   Parent Loop BB33_47 Depth=1
                                        ;     Parent Loop BB33_719 Depth=2
                                        ;       Parent Loop BB33_1237 Depth=3
                                        ; =>      This Inner Loop Header: Depth=4
	v_cndmask_b32_e64 v18, 0, 1, s[44:45]
	s_cmp_eq_u32 s46, 1
	v_cmp_ne_u32_e32 vcc, 1, v18
	s_cselect_b64 s[26:27], -1, 0
	v_cndmask_b32_e64 v17, v2, v16, s[44:45]
	v_cndmask_b32_e32 v19, v11, v5, vcc
	v_cndmask_b32_e64 v21, v11, v5, s[26:27]
	s_cmp_eq_u32 s46, 0
	v_cndmask_b32_e32 v18, v10, v4, vcc
	v_cndmask_b32_e64 v20, v10, v4, s[26:27]
	flat_store_short_d16_hi v[18:19], v17 nt
	v_lshl_add_u64 v[18:19], v[20:21], 0, s[90:91]
	s_cselect_b64 vcc, -1, 0
	s_and_b64 s[28:29], exec, s[44:45]
	s_mov_b64 s[46:47], 1
	s_mov_b64 s[44:45], 0
	v_cndmask_b32_e64 v5, v5, v19, s[26:27]
	v_cndmask_b32_e64 v4, v4, v18, s[26:27]
	v_cndmask_b32_e32 v11, v11, v19, vcc
	v_cndmask_b32_e32 v10, v10, v18, vcc
	s_mov_b64 vcc, s[28:29]
	s_cbranch_vccnz .LBB33_1242
; %bb.1243:                             ;   in Loop: Header=BB33_1237 Depth=3
	v_sub_u32_e32 v0, v0, v88
	v_cmp_gt_i32_e32 vcc, 2, v0
	v_lshl_add_u64 v[12:13], v[12:13], 0, v[122:123]
	v_lshl_add_u64 v[14:15], v[14:15], 0, v[122:123]
	;; [unrolled: 1-line block ×4, first 2 shown]
	s_or_b64 s[42:43], vcc, s[42:43]
	v_lshl_add_u64 v[8:9], v[8:9], 0, v[122:123]
	s_andn2_b64 exec, exec, s[42:43]
	s_cbranch_execnz .LBB33_1237
.LBB33_1244:                            ;   in Loop: Header=BB33_719 Depth=2
	s_or_b64 exec, exec, s[40:41]
	s_branch .LBB33_800
.LBB33_1245:                            ;   in Loop: Header=BB33_719 Depth=2
	s_mov_b64 s[26:27], -1
	s_and_saveexec_b64 s[24:25], s[18:19]
	s_cbranch_execz .LBB33_1247
; %bb.1246:                             ;   in Loop: Header=BB33_719 Depth=2
	ds_read_b32 v0, v0 offset:720
	s_waitcnt lgkmcnt(0)
	v_and_b32_e32 v0, 15, v0
	v_cmp_eq_u32_e32 vcc, 0, v0
	s_orn2_b64 s[26:27], vcc, exec
.LBB33_1247:                            ;   in Loop: Header=BB33_719 Depth=2
	s_or_b64 exec, exec, s[24:25]
	s_and_saveexec_b64 s[24:25], s[14:15]
	s_cbranch_execz .LBB33_1249
; %bb.1248:                             ;   in Loop: Header=BB33_719 Depth=2
	ds_read_b32 v0, v0 offset:784
	s_waitcnt lgkmcnt(0)
	v_and_b32_e32 v0, 15, v0
	v_cmp_eq_u32_e32 vcc, 0, v0
	s_and_b64 s[28:29], s[26:27], vcc
	s_andn2_b64 s[26:27], s[26:27], exec
	s_and_b64 s[28:29], s[28:29], exec
	s_or_b64 s[26:27], s[26:27], s[28:29]
.LBB33_1249:                            ;   in Loop: Header=BB33_719 Depth=2
	s_or_b64 exec, exec, s[24:25]
	s_xor_b64 s[26:27], s[26:27], -1
	v_cndmask_b32_e64 v0, 0, 1, s[26:27]
	v_lshlrev_b32_e32 v2, 1, v85
	s_mov_b64 s[24:25], -1
	v_mov_b32_e32 v14, 0
	v_cmp_ne_u32_e32 vcc, 0, v0
	s_cbranch_vccz .LBB33_1251
; %bb.1250:                             ;   in Loop: Header=BB33_719 Depth=2
	v_mov_b32_e32 v15, v109
	s_and_saveexec_b64 s[26:27], s[24:25]
	s_cbranch_execnz .LBB33_1550
	s_branch .LBB33_1690
.LBB33_1251:                            ;   in Loop: Header=BB33_719 Depth=2
	v_ashrrev_i32_e32 v0, 31, v2
	v_lshrrev_b32_e32 v0, 20, v0
	v_add_u32_e32 v0, v2, v0
	v_ashrrev_i32_e32 v31, 12, v0
	v_sub_u32_e32 v0, v31, v111
	v_cmp_lt_i32_e32 vcc, 0, v0
	s_and_saveexec_b64 s[26:27], vcc
	s_cbranch_execz .LBB33_1511
; %bb.1252:                             ;   in Loop: Header=BB33_719 Depth=2
	s_trap 2
	scratch_load_dwordx2 v[102:103], off, s33 offset:296 ; 8-byte Folded Reload
	ds_read_b64 v[8:9], v0
	s_and_b32 s74, s62, 1
	s_cmp_eq_u64 s[74:75], 0
	v_mov_b32_e32 v62, 0x88
	v_mov_b32_e32 v59, 0xd0
	;; [unrolled: 1-line block ×4, first 2 shown]
	v_lshl_add_u64 v[4:5], v[100:101], 0, v[90:91]
	s_mov_b64 s[28:29], 0
	s_waitcnt lgkmcnt(0)
	v_lshl_add_u64 v[28:29], v[8:9], 0, v[90:91]
	s_cselect_b64 vcc, -1, 0
	s_branch .LBB33_1254
.LBB33_1253:                            ;   in Loop: Header=BB33_1254 Depth=3
	s_or_b64 exec, exec, s[40:41]
	v_lshrrev_b32_e32 v12, 16, v12
	v_and_or_b32 v8, v8, s97, v12
	v_lshrrev_b32_e32 v12, 16, v14
	v_sub_u32_e32 v0, v0, v60
	v_lshrrev_b32_e32 v13, 16, v13
	v_and_or_b32 v10, v10, s97, v12
	v_lshrrev_b32_e32 v12, 16, v15
	v_cmp_gt_i32_e64 s[24:25], 1, v0
	v_and_or_b32 v9, v9, s97, v13
	v_and_or_b32 v11, v11, s97, v12
	v_lshl_add_u64 v[4:5], v[4:5], 0, v[92:93]
	v_lshl_add_u64 v[28:29], v[28:29], 0, v[92:93]
	s_or_b64 s[28:29], s[24:25], s[28:29]
	v_lshl_add_u64 v[102:103], v[102:103], 0, v[92:93]
	global_store_dwordx4 v[20:21], v[8:11], off
	s_andn2_b64 exec, exec, s[28:29]
	s_cbranch_execz .LBB33_1510
.LBB33_1254:                            ;   Parent Loop BB33_47 Depth=1
                                        ;     Parent Loop BB33_719 Depth=2
                                        ; =>    This Inner Loop Header: Depth=3
	global_load_dwordx4 v[68:71], v[4:5], off nt
	global_load_dwordx4 v[52:55], v[4:5], off offset:1024 nt
	global_load_dwordx4 v[80:83], v[28:29], off nt
	s_waitcnt vmcnt(0)
	global_load_dwordx4 v[20:23], v[102:103], off offset:-3072 nt
	global_load_dwordx4 v[16:19], v[102:103], off offset:-2048 nt
	global_load_dwordx4 v[36:39], v[4:5], off offset:2048 nt
	global_load_dwordx4 v[24:27], v[4:5], off offset:3072 nt
	global_load_dwordx4 v[12:15], v[102:103], off offset:-1024 nt
	global_load_dwordx4 v[8:11], v[102:103], off nt
	global_load_dwordx4 v[64:67], v[28:29], off offset:1024 nt
	global_load_dwordx4 v[48:51], v[28:29], off offset:2048 nt
	global_load_dwordx4 v[32:35], v[28:29], off offset:3072 nt
	v_lshlrev_b32_e32 v87, 16, v68
	v_max_f32_e32 v87, v87, v87
	v_lshlrev_b32_e32 v112, 16, v80
	v_max_f32_e32 v112, v112, v112
	v_min_f32_e32 v113, v87, v112
	v_max_f32_e32 v87, v87, v112
	v_cndmask_b32_e32 v112, v87, v113, vcc
	v_and_b32_e32 v87, 0x7f800000, v112
	v_cmp_ne_u32_e64 s[24:25], s87, v87
                                        ; implicit-def: $vgpr87
	s_and_saveexec_b64 s[40:41], s[24:25]
	s_xor_b64 s[24:25], exec, s[40:41]
; %bb.1255:                             ;   in Loop: Header=BB33_1254 Depth=3
	v_bfe_u32 v87, v112, 16, 1
	v_add3_u32 v87, v112, v87, s96
                                        ; implicit-def: $vgpr112
; %bb.1256:                             ;   in Loop: Header=BB33_1254 Depth=3
	s_andn2_saveexec_b64 s[40:41], s[24:25]
; %bb.1257:                             ;   in Loop: Header=BB33_1254 Depth=3
	v_or_b32_e32 v87, 0x10000, v112
	v_cmp_eq_u32_sdwa s[24:25], v112, v3 src0_sel:WORD_0 src1_sel:DWORD
	s_nop 1
	v_cndmask_b32_e64 v87, v87, v112, s[24:25]
; %bb.1258:                             ;   in Loop: Header=BB33_1254 Depth=3
	s_or_b64 exec, exec, s[40:41]
	v_and_b32_e32 v68, 0xffff0000, v68
	v_and_b32_e32 v80, 0xffff0000, v80
	v_max_f32_e32 v80, v80, v80
	v_max_f32_e32 v68, v68, v68
	v_min_f32_e32 v112, v68, v80
	v_max_f32_e32 v68, v68, v80
	v_cndmask_b32_e32 v80, v68, v112, vcc
	v_and_b32_e32 v68, 0x7f800000, v80
	v_cmp_ne_u32_e64 s[24:25], s87, v68
                                        ; implicit-def: $vgpr68
	s_and_saveexec_b64 s[40:41], s[24:25]
	s_xor_b64 s[24:25], exec, s[40:41]
; %bb.1259:                             ;   in Loop: Header=BB33_1254 Depth=3
	v_bfe_u32 v68, v80, 16, 1
	v_add3_u32 v68, v80, v68, s96
                                        ; implicit-def: $vgpr80
; %bb.1260:                             ;   in Loop: Header=BB33_1254 Depth=3
	s_andn2_saveexec_b64 s[40:41], s[24:25]
; %bb.1261:                             ;   in Loop: Header=BB33_1254 Depth=3
	v_or_b32_e32 v68, 0x10000, v80
	v_cmp_eq_u32_sdwa s[24:25], v80, v3 src0_sel:WORD_0 src1_sel:DWORD
	s_nop 1
	v_cndmask_b32_e64 v68, v68, v80, s[24:25]
; %bb.1262:                             ;   in Loop: Header=BB33_1254 Depth=3
	s_or_b64 exec, exec, s[40:41]
	v_lshlrev_b32_e32 v80, 16, v69
	v_lshlrev_b32_e32 v112, 16, v81
	v_max_f32_e32 v112, v112, v112
	v_max_f32_e32 v80, v80, v80
	v_min_f32_e32 v113, v80, v112
	v_max_f32_e32 v80, v80, v112
	v_cndmask_b32_e32 v112, v80, v113, vcc
	v_and_b32_e32 v80, 0x7f800000, v112
	v_cmp_ne_u32_e64 s[24:25], s87, v80
                                        ; implicit-def: $vgpr80
	s_and_saveexec_b64 s[40:41], s[24:25]
	s_xor_b64 s[24:25], exec, s[40:41]
; %bb.1263:                             ;   in Loop: Header=BB33_1254 Depth=3
	v_bfe_u32 v80, v112, 16, 1
	v_add3_u32 v80, v112, v80, s96
                                        ; implicit-def: $vgpr112
; %bb.1264:                             ;   in Loop: Header=BB33_1254 Depth=3
	s_andn2_saveexec_b64 s[40:41], s[24:25]
; %bb.1265:                             ;   in Loop: Header=BB33_1254 Depth=3
	v_or_b32_e32 v80, 0x10000, v112
	v_cmp_eq_u32_sdwa s[24:25], v112, v3 src0_sel:WORD_0 src1_sel:DWORD
	s_nop 1
	v_cndmask_b32_e64 v80, v80, v112, s[24:25]
; %bb.1266:                             ;   in Loop: Header=BB33_1254 Depth=3
	s_or_b64 exec, exec, s[40:41]
	v_and_b32_e32 v69, 0xffff0000, v69
	v_and_b32_e32 v81, 0xffff0000, v81
	v_max_f32_e32 v81, v81, v81
	v_max_f32_e32 v69, v69, v69
	v_min_f32_e32 v112, v69, v81
	v_max_f32_e32 v69, v69, v81
	v_cndmask_b32_e32 v81, v69, v112, vcc
	v_and_b32_e32 v69, 0x7f800000, v81
	v_cmp_ne_u32_e64 s[24:25], s87, v69
                                        ; implicit-def: $vgpr69
	s_and_saveexec_b64 s[40:41], s[24:25]
	s_xor_b64 s[24:25], exec, s[40:41]
; %bb.1267:                             ;   in Loop: Header=BB33_1254 Depth=3
	v_bfe_u32 v69, v81, 16, 1
	v_add3_u32 v69, v81, v69, s96
                                        ; implicit-def: $vgpr81
; %bb.1268:                             ;   in Loop: Header=BB33_1254 Depth=3
	s_andn2_saveexec_b64 s[40:41], s[24:25]
; %bb.1269:                             ;   in Loop: Header=BB33_1254 Depth=3
	v_or_b32_e32 v69, 0x10000, v81
	v_cmp_eq_u32_sdwa s[24:25], v81, v3 src0_sel:WORD_0 src1_sel:DWORD
	s_nop 1
	v_cndmask_b32_e64 v69, v69, v81, s[24:25]
; %bb.1270:                             ;   in Loop: Header=BB33_1254 Depth=3
	s_or_b64 exec, exec, s[40:41]
	v_lshlrev_b32_e32 v81, 16, v70
	v_lshlrev_b32_e32 v112, 16, v82
	v_max_f32_e32 v112, v112, v112
	v_max_f32_e32 v81, v81, v81
	v_min_f32_e32 v113, v81, v112
	v_max_f32_e32 v81, v81, v112
	v_cndmask_b32_e32 v112, v81, v113, vcc
	v_and_b32_e32 v81, 0x7f800000, v112
	v_cmp_ne_u32_e64 s[24:25], s87, v81
                                        ; implicit-def: $vgpr81
	s_and_saveexec_b64 s[40:41], s[24:25]
	s_xor_b64 s[24:25], exec, s[40:41]
; %bb.1271:                             ;   in Loop: Header=BB33_1254 Depth=3
	v_bfe_u32 v81, v112, 16, 1
	v_add3_u32 v81, v112, v81, s96
                                        ; implicit-def: $vgpr112
; %bb.1272:                             ;   in Loop: Header=BB33_1254 Depth=3
	s_andn2_saveexec_b64 s[40:41], s[24:25]
; %bb.1273:                             ;   in Loop: Header=BB33_1254 Depth=3
	v_or_b32_e32 v81, 0x10000, v112
	v_cmp_eq_u32_sdwa s[24:25], v112, v3 src0_sel:WORD_0 src1_sel:DWORD
	s_nop 1
	v_cndmask_b32_e64 v81, v81, v112, s[24:25]
; %bb.1274:                             ;   in Loop: Header=BB33_1254 Depth=3
	s_or_b64 exec, exec, s[40:41]
	v_and_b32_e32 v70, 0xffff0000, v70
	v_and_b32_e32 v82, 0xffff0000, v82
	v_max_f32_e32 v82, v82, v82
	v_max_f32_e32 v70, v70, v70
	v_min_f32_e32 v112, v70, v82
	v_max_f32_e32 v70, v70, v82
	v_cndmask_b32_e32 v82, v70, v112, vcc
	v_and_b32_e32 v70, 0x7f800000, v82
	v_cmp_ne_u32_e64 s[24:25], s87, v70
                                        ; implicit-def: $vgpr70
	s_and_saveexec_b64 s[40:41], s[24:25]
	s_xor_b64 s[24:25], exec, s[40:41]
; %bb.1275:                             ;   in Loop: Header=BB33_1254 Depth=3
	v_bfe_u32 v70, v82, 16, 1
	v_add3_u32 v70, v82, v70, s96
                                        ; implicit-def: $vgpr82
; %bb.1276:                             ;   in Loop: Header=BB33_1254 Depth=3
	s_andn2_saveexec_b64 s[40:41], s[24:25]
; %bb.1277:                             ;   in Loop: Header=BB33_1254 Depth=3
	v_or_b32_e32 v70, 0x10000, v82
	v_cmp_eq_u32_sdwa s[24:25], v82, v3 src0_sel:WORD_0 src1_sel:DWORD
	s_nop 1
	v_cndmask_b32_e64 v70, v70, v82, s[24:25]
; %bb.1278:                             ;   in Loop: Header=BB33_1254 Depth=3
	s_or_b64 exec, exec, s[40:41]
	v_lshlrev_b32_e32 v82, 16, v71
	v_lshlrev_b32_e32 v112, 16, v83
	v_max_f32_e32 v112, v112, v112
	v_max_f32_e32 v82, v82, v82
	v_min_f32_e32 v113, v82, v112
	v_max_f32_e32 v82, v82, v112
	v_cndmask_b32_e32 v112, v82, v113, vcc
	v_and_b32_e32 v82, 0x7f800000, v112
	v_cmp_ne_u32_e64 s[24:25], s87, v82
                                        ; implicit-def: $vgpr82
	s_and_saveexec_b64 s[40:41], s[24:25]
	s_xor_b64 s[24:25], exec, s[40:41]
; %bb.1279:                             ;   in Loop: Header=BB33_1254 Depth=3
	v_bfe_u32 v82, v112, 16, 1
	v_add3_u32 v82, v112, v82, s96
                                        ; implicit-def: $vgpr112
; %bb.1280:                             ;   in Loop: Header=BB33_1254 Depth=3
	s_andn2_saveexec_b64 s[40:41], s[24:25]
; %bb.1281:                             ;   in Loop: Header=BB33_1254 Depth=3
	v_or_b32_e32 v82, 0x10000, v112
	v_cmp_eq_u32_sdwa s[24:25], v112, v3 src0_sel:WORD_0 src1_sel:DWORD
	s_nop 1
	v_cndmask_b32_e64 v82, v82, v112, s[24:25]
; %bb.1282:                             ;   in Loop: Header=BB33_1254 Depth=3
	s_or_b64 exec, exec, s[40:41]
	v_and_b32_e32 v71, 0xffff0000, v71
	v_and_b32_e32 v83, 0xffff0000, v83
	v_max_f32_e32 v83, v83, v83
	v_max_f32_e32 v71, v71, v71
	v_min_f32_e32 v112, v71, v83
	v_max_f32_e32 v71, v71, v83
	v_cndmask_b32_e32 v83, v71, v112, vcc
	v_and_b32_e32 v71, 0x7f800000, v83
	v_cmp_ne_u32_e64 s[24:25], s87, v71
                                        ; implicit-def: $vgpr71
	s_and_saveexec_b64 s[40:41], s[24:25]
	s_xor_b64 s[24:25], exec, s[40:41]
; %bb.1283:                             ;   in Loop: Header=BB33_1254 Depth=3
	v_bfe_u32 v71, v83, 16, 1
	v_add3_u32 v71, v83, v71, s96
                                        ; implicit-def: $vgpr83
; %bb.1284:                             ;   in Loop: Header=BB33_1254 Depth=3
	s_andn2_saveexec_b64 s[40:41], s[24:25]
; %bb.1285:                             ;   in Loop: Header=BB33_1254 Depth=3
	v_or_b32_e32 v71, 0x10000, v83
	v_cmp_eq_u32_sdwa s[24:25], v83, v3 src0_sel:WORD_0 src1_sel:DWORD
	s_nop 1
	v_cndmask_b32_e64 v71, v71, v83, s[24:25]
; %bb.1286:                             ;   in Loop: Header=BB33_1254 Depth=3
	s_or_b64 exec, exec, s[40:41]
	v_lshlrev_b32_e32 v83, 16, v52
	s_waitcnt vmcnt(2)
	v_lshlrev_b32_e32 v112, 16, v64
	v_max_f32_e32 v112, v112, v112
	v_max_f32_e32 v83, v83, v83
	v_min_f32_e32 v113, v83, v112
	v_max_f32_e32 v83, v83, v112
	v_cndmask_b32_e32 v112, v83, v113, vcc
	v_and_b32_e32 v83, 0x7f800000, v112
	v_cmp_ne_u32_e64 s[24:25], s87, v83
                                        ; implicit-def: $vgpr83
	s_and_saveexec_b64 s[40:41], s[24:25]
	s_xor_b64 s[24:25], exec, s[40:41]
; %bb.1287:                             ;   in Loop: Header=BB33_1254 Depth=3
	v_bfe_u32 v83, v112, 16, 1
	v_add3_u32 v83, v112, v83, s96
                                        ; implicit-def: $vgpr112
; %bb.1288:                             ;   in Loop: Header=BB33_1254 Depth=3
	s_andn2_saveexec_b64 s[40:41], s[24:25]
; %bb.1289:                             ;   in Loop: Header=BB33_1254 Depth=3
	v_or_b32_e32 v83, 0x10000, v112
	v_cmp_eq_u32_sdwa s[24:25], v112, v3 src0_sel:WORD_0 src1_sel:DWORD
	s_nop 1
	v_cndmask_b32_e64 v83, v83, v112, s[24:25]
; %bb.1290:                             ;   in Loop: Header=BB33_1254 Depth=3
	s_or_b64 exec, exec, s[40:41]
	v_and_b32_e32 v52, 0xffff0000, v52
	v_and_b32_e32 v64, 0xffff0000, v64
	v_max_f32_e32 v64, v64, v64
	v_max_f32_e32 v52, v52, v52
	v_min_f32_e32 v112, v52, v64
	v_max_f32_e32 v52, v52, v64
	v_cndmask_b32_e32 v64, v52, v112, vcc
	v_and_b32_e32 v52, 0x7f800000, v64
	v_cmp_ne_u32_e64 s[24:25], s87, v52
                                        ; implicit-def: $vgpr52
	s_and_saveexec_b64 s[40:41], s[24:25]
	s_xor_b64 s[24:25], exec, s[40:41]
; %bb.1291:                             ;   in Loop: Header=BB33_1254 Depth=3
	v_bfe_u32 v52, v64, 16, 1
	v_add3_u32 v52, v64, v52, s96
                                        ; implicit-def: $vgpr64
; %bb.1292:                             ;   in Loop: Header=BB33_1254 Depth=3
	s_andn2_saveexec_b64 s[40:41], s[24:25]
; %bb.1293:                             ;   in Loop: Header=BB33_1254 Depth=3
	v_or_b32_e32 v52, 0x10000, v64
	v_cmp_eq_u32_sdwa s[24:25], v64, v3 src0_sel:WORD_0 src1_sel:DWORD
	s_nop 1
	v_cndmask_b32_e64 v52, v52, v64, s[24:25]
; %bb.1294:                             ;   in Loop: Header=BB33_1254 Depth=3
	s_or_b64 exec, exec, s[40:41]
	v_lshlrev_b32_e32 v64, 16, v53
	v_lshlrev_b32_e32 v112, 16, v65
	v_max_f32_e32 v112, v112, v112
	v_max_f32_e32 v64, v64, v64
	v_min_f32_e32 v113, v64, v112
	v_max_f32_e32 v64, v64, v112
	v_cndmask_b32_e32 v112, v64, v113, vcc
	v_and_b32_e32 v64, 0x7f800000, v112
	v_cmp_ne_u32_e64 s[24:25], s87, v64
                                        ; implicit-def: $vgpr64
	s_and_saveexec_b64 s[40:41], s[24:25]
	s_xor_b64 s[24:25], exec, s[40:41]
; %bb.1295:                             ;   in Loop: Header=BB33_1254 Depth=3
	v_bfe_u32 v64, v112, 16, 1
	v_add3_u32 v64, v112, v64, s96
                                        ; implicit-def: $vgpr112
; %bb.1296:                             ;   in Loop: Header=BB33_1254 Depth=3
	s_andn2_saveexec_b64 s[40:41], s[24:25]
; %bb.1297:                             ;   in Loop: Header=BB33_1254 Depth=3
	v_or_b32_e32 v64, 0x10000, v112
	v_cmp_eq_u32_sdwa s[24:25], v112, v3 src0_sel:WORD_0 src1_sel:DWORD
	s_nop 1
	v_cndmask_b32_e64 v64, v64, v112, s[24:25]
; %bb.1298:                             ;   in Loop: Header=BB33_1254 Depth=3
	s_or_b64 exec, exec, s[40:41]
	v_and_b32_e32 v53, 0xffff0000, v53
	v_and_b32_e32 v65, 0xffff0000, v65
	v_max_f32_e32 v65, v65, v65
	v_max_f32_e32 v53, v53, v53
	v_min_f32_e32 v112, v53, v65
	v_max_f32_e32 v53, v53, v65
	v_cndmask_b32_e32 v65, v53, v112, vcc
	v_and_b32_e32 v53, 0x7f800000, v65
	v_cmp_ne_u32_e64 s[24:25], s87, v53
                                        ; implicit-def: $vgpr53
	s_and_saveexec_b64 s[40:41], s[24:25]
	s_xor_b64 s[24:25], exec, s[40:41]
; %bb.1299:                             ;   in Loop: Header=BB33_1254 Depth=3
	v_bfe_u32 v53, v65, 16, 1
	v_add3_u32 v53, v65, v53, s96
                                        ; implicit-def: $vgpr65
; %bb.1300:                             ;   in Loop: Header=BB33_1254 Depth=3
	s_andn2_saveexec_b64 s[40:41], s[24:25]
; %bb.1301:                             ;   in Loop: Header=BB33_1254 Depth=3
	v_or_b32_e32 v53, 0x10000, v65
	v_cmp_eq_u32_sdwa s[24:25], v65, v3 src0_sel:WORD_0 src1_sel:DWORD
	s_nop 1
	v_cndmask_b32_e64 v53, v53, v65, s[24:25]
; %bb.1302:                             ;   in Loop: Header=BB33_1254 Depth=3
	s_or_b64 exec, exec, s[40:41]
	v_lshlrev_b32_e32 v65, 16, v54
	v_lshlrev_b32_e32 v112, 16, v66
	v_max_f32_e32 v112, v112, v112
	v_max_f32_e32 v65, v65, v65
	v_min_f32_e32 v113, v65, v112
	v_max_f32_e32 v65, v65, v112
	v_cndmask_b32_e32 v112, v65, v113, vcc
	v_and_b32_e32 v65, 0x7f800000, v112
	v_cmp_ne_u32_e64 s[24:25], s87, v65
                                        ; implicit-def: $vgpr65
	s_and_saveexec_b64 s[40:41], s[24:25]
	s_xor_b64 s[24:25], exec, s[40:41]
; %bb.1303:                             ;   in Loop: Header=BB33_1254 Depth=3
	v_bfe_u32 v65, v112, 16, 1
	v_add3_u32 v65, v112, v65, s96
                                        ; implicit-def: $vgpr112
; %bb.1304:                             ;   in Loop: Header=BB33_1254 Depth=3
	s_andn2_saveexec_b64 s[40:41], s[24:25]
; %bb.1305:                             ;   in Loop: Header=BB33_1254 Depth=3
	v_or_b32_e32 v65, 0x10000, v112
	v_cmp_eq_u32_sdwa s[24:25], v112, v3 src0_sel:WORD_0 src1_sel:DWORD
	s_nop 1
	v_cndmask_b32_e64 v65, v65, v112, s[24:25]
; %bb.1306:                             ;   in Loop: Header=BB33_1254 Depth=3
	s_or_b64 exec, exec, s[40:41]
	v_and_b32_e32 v54, 0xffff0000, v54
	v_and_b32_e32 v66, 0xffff0000, v66
	v_max_f32_e32 v66, v66, v66
	v_max_f32_e32 v54, v54, v54
	v_min_f32_e32 v112, v54, v66
	v_max_f32_e32 v54, v54, v66
	v_cndmask_b32_e32 v66, v54, v112, vcc
	v_and_b32_e32 v54, 0x7f800000, v66
	v_cmp_ne_u32_e64 s[24:25], s87, v54
                                        ; implicit-def: $vgpr54
	s_and_saveexec_b64 s[40:41], s[24:25]
	s_xor_b64 s[24:25], exec, s[40:41]
; %bb.1307:                             ;   in Loop: Header=BB33_1254 Depth=3
	v_bfe_u32 v54, v66, 16, 1
	v_add3_u32 v54, v66, v54, s96
                                        ; implicit-def: $vgpr66
; %bb.1308:                             ;   in Loop: Header=BB33_1254 Depth=3
	s_andn2_saveexec_b64 s[40:41], s[24:25]
; %bb.1309:                             ;   in Loop: Header=BB33_1254 Depth=3
	v_or_b32_e32 v54, 0x10000, v66
	v_cmp_eq_u32_sdwa s[24:25], v66, v3 src0_sel:WORD_0 src1_sel:DWORD
	s_nop 1
	v_cndmask_b32_e64 v54, v54, v66, s[24:25]
; %bb.1310:                             ;   in Loop: Header=BB33_1254 Depth=3
	s_or_b64 exec, exec, s[40:41]
	v_lshlrev_b32_e32 v66, 16, v55
	v_lshlrev_b32_e32 v112, 16, v67
	v_max_f32_e32 v112, v112, v112
	v_max_f32_e32 v66, v66, v66
	v_min_f32_e32 v113, v66, v112
	v_max_f32_e32 v66, v66, v112
	v_cndmask_b32_e32 v112, v66, v113, vcc
	v_and_b32_e32 v66, 0x7f800000, v112
	v_cmp_ne_u32_e64 s[24:25], s87, v66
                                        ; implicit-def: $vgpr66
	s_and_saveexec_b64 s[40:41], s[24:25]
	s_xor_b64 s[24:25], exec, s[40:41]
; %bb.1311:                             ;   in Loop: Header=BB33_1254 Depth=3
	v_bfe_u32 v66, v112, 16, 1
	v_add3_u32 v66, v112, v66, s96
                                        ; implicit-def: $vgpr112
; %bb.1312:                             ;   in Loop: Header=BB33_1254 Depth=3
	s_andn2_saveexec_b64 s[40:41], s[24:25]
; %bb.1313:                             ;   in Loop: Header=BB33_1254 Depth=3
	v_or_b32_e32 v66, 0x10000, v112
	v_cmp_eq_u32_sdwa s[24:25], v112, v3 src0_sel:WORD_0 src1_sel:DWORD
	s_nop 1
	v_cndmask_b32_e64 v66, v66, v112, s[24:25]
; %bb.1314:                             ;   in Loop: Header=BB33_1254 Depth=3
	s_or_b64 exec, exec, s[40:41]
	v_and_b32_e32 v55, 0xffff0000, v55
	v_and_b32_e32 v67, 0xffff0000, v67
	v_max_f32_e32 v67, v67, v67
	v_max_f32_e32 v55, v55, v55
	v_min_f32_e32 v112, v55, v67
	v_max_f32_e32 v55, v55, v67
	v_cndmask_b32_e32 v67, v55, v112, vcc
	v_and_b32_e32 v55, 0x7f800000, v67
	v_cmp_ne_u32_e64 s[24:25], s87, v55
                                        ; implicit-def: $vgpr55
	s_and_saveexec_b64 s[40:41], s[24:25]
	s_xor_b64 s[24:25], exec, s[40:41]
; %bb.1315:                             ;   in Loop: Header=BB33_1254 Depth=3
	v_bfe_u32 v55, v67, 16, 1
	v_add3_u32 v55, v67, v55, s96
                                        ; implicit-def: $vgpr67
; %bb.1316:                             ;   in Loop: Header=BB33_1254 Depth=3
	s_andn2_saveexec_b64 s[40:41], s[24:25]
; %bb.1317:                             ;   in Loop: Header=BB33_1254 Depth=3
	v_or_b32_e32 v55, 0x10000, v67
	v_cmp_eq_u32_sdwa s[24:25], v67, v3 src0_sel:WORD_0 src1_sel:DWORD
	s_nop 1
	v_cndmask_b32_e64 v55, v55, v67, s[24:25]
; %bb.1318:                             ;   in Loop: Header=BB33_1254 Depth=3
	s_or_b64 exec, exec, s[40:41]
	v_lshlrev_b32_e32 v67, 16, v36
	s_waitcnt vmcnt(1)
	v_lshlrev_b32_e32 v112, 16, v48
	v_max_f32_e32 v112, v112, v112
	v_max_f32_e32 v67, v67, v67
	v_min_f32_e32 v113, v67, v112
	v_max_f32_e32 v67, v67, v112
	v_cndmask_b32_e32 v112, v67, v113, vcc
	v_and_b32_e32 v67, 0x7f800000, v112
	v_cmp_ne_u32_e64 s[24:25], s87, v67
                                        ; implicit-def: $vgpr67
	s_and_saveexec_b64 s[40:41], s[24:25]
	s_xor_b64 s[24:25], exec, s[40:41]
; %bb.1319:                             ;   in Loop: Header=BB33_1254 Depth=3
	v_bfe_u32 v67, v112, 16, 1
	v_add3_u32 v67, v112, v67, s96
                                        ; implicit-def: $vgpr112
; %bb.1320:                             ;   in Loop: Header=BB33_1254 Depth=3
	s_andn2_saveexec_b64 s[40:41], s[24:25]
; %bb.1321:                             ;   in Loop: Header=BB33_1254 Depth=3
	v_or_b32_e32 v67, 0x10000, v112
	v_cmp_eq_u32_sdwa s[24:25], v112, v3 src0_sel:WORD_0 src1_sel:DWORD
	s_nop 1
	v_cndmask_b32_e64 v67, v67, v112, s[24:25]
; %bb.1322:                             ;   in Loop: Header=BB33_1254 Depth=3
	s_or_b64 exec, exec, s[40:41]
	v_and_b32_e32 v36, 0xffff0000, v36
	v_and_b32_e32 v48, 0xffff0000, v48
	v_max_f32_e32 v48, v48, v48
	v_max_f32_e32 v36, v36, v36
	v_min_f32_e32 v112, v36, v48
	v_max_f32_e32 v36, v36, v48
	v_cndmask_b32_e32 v48, v36, v112, vcc
	v_and_b32_e32 v36, 0x7f800000, v48
	v_cmp_ne_u32_e64 s[24:25], s87, v36
                                        ; implicit-def: $vgpr36
	s_and_saveexec_b64 s[40:41], s[24:25]
	s_xor_b64 s[24:25], exec, s[40:41]
; %bb.1323:                             ;   in Loop: Header=BB33_1254 Depth=3
	v_bfe_u32 v36, v48, 16, 1
	v_add3_u32 v36, v48, v36, s96
                                        ; implicit-def: $vgpr48
; %bb.1324:                             ;   in Loop: Header=BB33_1254 Depth=3
	s_andn2_saveexec_b64 s[40:41], s[24:25]
; %bb.1325:                             ;   in Loop: Header=BB33_1254 Depth=3
	v_or_b32_e32 v36, 0x10000, v48
	v_cmp_eq_u32_sdwa s[24:25], v48, v3 src0_sel:WORD_0 src1_sel:DWORD
	s_nop 1
	v_cndmask_b32_e64 v36, v36, v48, s[24:25]
; %bb.1326:                             ;   in Loop: Header=BB33_1254 Depth=3
	s_or_b64 exec, exec, s[40:41]
	v_lshlrev_b32_e32 v48, 16, v37
	v_lshlrev_b32_e32 v112, 16, v49
	v_max_f32_e32 v112, v112, v112
	v_max_f32_e32 v48, v48, v48
	v_min_f32_e32 v113, v48, v112
	v_max_f32_e32 v48, v48, v112
	v_cndmask_b32_e32 v112, v48, v113, vcc
	v_and_b32_e32 v48, 0x7f800000, v112
	v_cmp_ne_u32_e64 s[24:25], s87, v48
                                        ; implicit-def: $vgpr48
	s_and_saveexec_b64 s[40:41], s[24:25]
	s_xor_b64 s[24:25], exec, s[40:41]
; %bb.1327:                             ;   in Loop: Header=BB33_1254 Depth=3
	v_bfe_u32 v48, v112, 16, 1
	v_add3_u32 v48, v112, v48, s96
                                        ; implicit-def: $vgpr112
; %bb.1328:                             ;   in Loop: Header=BB33_1254 Depth=3
	s_andn2_saveexec_b64 s[40:41], s[24:25]
; %bb.1329:                             ;   in Loop: Header=BB33_1254 Depth=3
	v_or_b32_e32 v48, 0x10000, v112
	v_cmp_eq_u32_sdwa s[24:25], v112, v3 src0_sel:WORD_0 src1_sel:DWORD
	s_nop 1
	v_cndmask_b32_e64 v48, v48, v112, s[24:25]
; %bb.1330:                             ;   in Loop: Header=BB33_1254 Depth=3
	s_or_b64 exec, exec, s[40:41]
	v_and_b32_e32 v37, 0xffff0000, v37
	v_and_b32_e32 v49, 0xffff0000, v49
	v_max_f32_e32 v49, v49, v49
	v_max_f32_e32 v37, v37, v37
	v_min_f32_e32 v112, v37, v49
	v_max_f32_e32 v37, v37, v49
	v_cndmask_b32_e32 v49, v37, v112, vcc
	v_and_b32_e32 v37, 0x7f800000, v49
	v_cmp_ne_u32_e64 s[24:25], s87, v37
                                        ; implicit-def: $vgpr37
	s_and_saveexec_b64 s[40:41], s[24:25]
	s_xor_b64 s[24:25], exec, s[40:41]
; %bb.1331:                             ;   in Loop: Header=BB33_1254 Depth=3
	v_bfe_u32 v37, v49, 16, 1
	v_add3_u32 v37, v49, v37, s96
                                        ; implicit-def: $vgpr49
; %bb.1332:                             ;   in Loop: Header=BB33_1254 Depth=3
	s_andn2_saveexec_b64 s[40:41], s[24:25]
; %bb.1333:                             ;   in Loop: Header=BB33_1254 Depth=3
	v_or_b32_e32 v37, 0x10000, v49
	v_cmp_eq_u32_sdwa s[24:25], v49, v3 src0_sel:WORD_0 src1_sel:DWORD
	s_nop 1
	v_cndmask_b32_e64 v37, v37, v49, s[24:25]
; %bb.1334:                             ;   in Loop: Header=BB33_1254 Depth=3
	s_or_b64 exec, exec, s[40:41]
	v_lshlrev_b32_e32 v49, 16, v38
	v_lshlrev_b32_e32 v112, 16, v50
	v_max_f32_e32 v112, v112, v112
	v_max_f32_e32 v49, v49, v49
	v_min_f32_e32 v113, v49, v112
	v_max_f32_e32 v49, v49, v112
	v_cndmask_b32_e32 v112, v49, v113, vcc
	v_and_b32_e32 v49, 0x7f800000, v112
	v_cmp_ne_u32_e64 s[24:25], s87, v49
                                        ; implicit-def: $vgpr49
	s_and_saveexec_b64 s[40:41], s[24:25]
	s_xor_b64 s[24:25], exec, s[40:41]
; %bb.1335:                             ;   in Loop: Header=BB33_1254 Depth=3
	v_bfe_u32 v49, v112, 16, 1
	v_add3_u32 v49, v112, v49, s96
                                        ; implicit-def: $vgpr112
; %bb.1336:                             ;   in Loop: Header=BB33_1254 Depth=3
	s_andn2_saveexec_b64 s[40:41], s[24:25]
; %bb.1337:                             ;   in Loop: Header=BB33_1254 Depth=3
	v_or_b32_e32 v49, 0x10000, v112
	v_cmp_eq_u32_sdwa s[24:25], v112, v3 src0_sel:WORD_0 src1_sel:DWORD
	s_nop 1
	v_cndmask_b32_e64 v49, v49, v112, s[24:25]
; %bb.1338:                             ;   in Loop: Header=BB33_1254 Depth=3
	s_or_b64 exec, exec, s[40:41]
	v_and_b32_e32 v38, 0xffff0000, v38
	v_and_b32_e32 v50, 0xffff0000, v50
	v_max_f32_e32 v50, v50, v50
	v_max_f32_e32 v38, v38, v38
	v_min_f32_e32 v112, v38, v50
	v_max_f32_e32 v38, v38, v50
	v_cndmask_b32_e32 v50, v38, v112, vcc
	v_and_b32_e32 v38, 0x7f800000, v50
	v_cmp_ne_u32_e64 s[24:25], s87, v38
                                        ; implicit-def: $vgpr38
	s_and_saveexec_b64 s[40:41], s[24:25]
	s_xor_b64 s[24:25], exec, s[40:41]
; %bb.1339:                             ;   in Loop: Header=BB33_1254 Depth=3
	v_bfe_u32 v38, v50, 16, 1
	v_add3_u32 v38, v50, v38, s96
                                        ; implicit-def: $vgpr50
; %bb.1340:                             ;   in Loop: Header=BB33_1254 Depth=3
	s_andn2_saveexec_b64 s[40:41], s[24:25]
; %bb.1341:                             ;   in Loop: Header=BB33_1254 Depth=3
	v_or_b32_e32 v38, 0x10000, v50
	v_cmp_eq_u32_sdwa s[24:25], v50, v3 src0_sel:WORD_0 src1_sel:DWORD
	s_nop 1
	v_cndmask_b32_e64 v38, v38, v50, s[24:25]
; %bb.1342:                             ;   in Loop: Header=BB33_1254 Depth=3
	s_or_b64 exec, exec, s[40:41]
	v_lshlrev_b32_e32 v50, 16, v39
	v_lshlrev_b32_e32 v112, 16, v51
	v_max_f32_e32 v112, v112, v112
	v_max_f32_e32 v50, v50, v50
	v_min_f32_e32 v113, v50, v112
	v_max_f32_e32 v50, v50, v112
	v_cndmask_b32_e32 v112, v50, v113, vcc
	v_and_b32_e32 v50, 0x7f800000, v112
	v_cmp_ne_u32_e64 s[24:25], s87, v50
                                        ; implicit-def: $vgpr50
	s_and_saveexec_b64 s[40:41], s[24:25]
	s_xor_b64 s[24:25], exec, s[40:41]
; %bb.1343:                             ;   in Loop: Header=BB33_1254 Depth=3
	v_bfe_u32 v50, v112, 16, 1
	v_add3_u32 v50, v112, v50, s96
                                        ; implicit-def: $vgpr112
; %bb.1344:                             ;   in Loop: Header=BB33_1254 Depth=3
	s_andn2_saveexec_b64 s[40:41], s[24:25]
; %bb.1345:                             ;   in Loop: Header=BB33_1254 Depth=3
	v_or_b32_e32 v50, 0x10000, v112
	v_cmp_eq_u32_sdwa s[24:25], v112, v3 src0_sel:WORD_0 src1_sel:DWORD
	s_nop 1
	v_cndmask_b32_e64 v50, v50, v112, s[24:25]
; %bb.1346:                             ;   in Loop: Header=BB33_1254 Depth=3
	s_or_b64 exec, exec, s[40:41]
	v_and_b32_e32 v39, 0xffff0000, v39
	v_and_b32_e32 v51, 0xffff0000, v51
	v_max_f32_e32 v51, v51, v51
	v_max_f32_e32 v39, v39, v39
	v_min_f32_e32 v112, v39, v51
	v_max_f32_e32 v39, v39, v51
	v_cndmask_b32_e32 v51, v39, v112, vcc
	v_and_b32_e32 v39, 0x7f800000, v51
	v_cmp_ne_u32_e64 s[24:25], s87, v39
                                        ; implicit-def: $vgpr39
	s_and_saveexec_b64 s[40:41], s[24:25]
	s_xor_b64 s[24:25], exec, s[40:41]
; %bb.1347:                             ;   in Loop: Header=BB33_1254 Depth=3
	v_bfe_u32 v39, v51, 16, 1
	v_add3_u32 v39, v51, v39, s96
                                        ; implicit-def: $vgpr51
; %bb.1348:                             ;   in Loop: Header=BB33_1254 Depth=3
	s_andn2_saveexec_b64 s[40:41], s[24:25]
; %bb.1349:                             ;   in Loop: Header=BB33_1254 Depth=3
	v_or_b32_e32 v39, 0x10000, v51
	v_cmp_eq_u32_sdwa s[24:25], v51, v3 src0_sel:WORD_0 src1_sel:DWORD
	s_nop 1
	v_cndmask_b32_e64 v39, v39, v51, s[24:25]
; %bb.1350:                             ;   in Loop: Header=BB33_1254 Depth=3
	s_or_b64 exec, exec, s[40:41]
	v_lshlrev_b32_e32 v51, 16, v24
	s_waitcnt vmcnt(0)
	v_lshlrev_b32_e32 v112, 16, v32
	v_max_f32_e32 v112, v112, v112
	v_max_f32_e32 v51, v51, v51
	v_min_f32_e32 v113, v51, v112
	v_max_f32_e32 v51, v51, v112
	v_cndmask_b32_e32 v112, v51, v113, vcc
	v_and_b32_e32 v51, 0x7f800000, v112
	v_cmp_ne_u32_e64 s[24:25], s87, v51
                                        ; implicit-def: $vgpr51
	s_and_saveexec_b64 s[40:41], s[24:25]
	s_xor_b64 s[24:25], exec, s[40:41]
; %bb.1351:                             ;   in Loop: Header=BB33_1254 Depth=3
	v_bfe_u32 v51, v112, 16, 1
	v_add3_u32 v51, v112, v51, s96
                                        ; implicit-def: $vgpr112
; %bb.1352:                             ;   in Loop: Header=BB33_1254 Depth=3
	s_andn2_saveexec_b64 s[40:41], s[24:25]
; %bb.1353:                             ;   in Loop: Header=BB33_1254 Depth=3
	v_or_b32_e32 v51, 0x10000, v112
	v_cmp_eq_u32_sdwa s[24:25], v112, v3 src0_sel:WORD_0 src1_sel:DWORD
	s_nop 1
	v_cndmask_b32_e64 v51, v51, v112, s[24:25]
; %bb.1354:                             ;   in Loop: Header=BB33_1254 Depth=3
	s_or_b64 exec, exec, s[40:41]
	v_and_b32_e32 v24, 0xffff0000, v24
	v_and_b32_e32 v32, 0xffff0000, v32
	v_max_f32_e32 v32, v32, v32
	v_max_f32_e32 v24, v24, v24
	v_min_f32_e32 v112, v24, v32
	v_max_f32_e32 v24, v24, v32
	v_cndmask_b32_e32 v32, v24, v112, vcc
	v_and_b32_e32 v24, 0x7f800000, v32
	v_cmp_ne_u32_e64 s[24:25], s87, v24
                                        ; implicit-def: $vgpr24
	s_and_saveexec_b64 s[40:41], s[24:25]
	s_xor_b64 s[24:25], exec, s[40:41]
; %bb.1355:                             ;   in Loop: Header=BB33_1254 Depth=3
	v_bfe_u32 v24, v32, 16, 1
	v_add3_u32 v24, v32, v24, s96
                                        ; implicit-def: $vgpr32
; %bb.1356:                             ;   in Loop: Header=BB33_1254 Depth=3
	s_andn2_saveexec_b64 s[40:41], s[24:25]
; %bb.1357:                             ;   in Loop: Header=BB33_1254 Depth=3
	v_or_b32_e32 v24, 0x10000, v32
	v_cmp_eq_u32_sdwa s[24:25], v32, v3 src0_sel:WORD_0 src1_sel:DWORD
	s_nop 1
	v_cndmask_b32_e64 v24, v24, v32, s[24:25]
; %bb.1358:                             ;   in Loop: Header=BB33_1254 Depth=3
	s_or_b64 exec, exec, s[40:41]
	v_lshlrev_b32_e32 v32, 16, v25
	v_lshlrev_b32_e32 v112, 16, v33
	v_max_f32_e32 v112, v112, v112
	v_max_f32_e32 v32, v32, v32
	v_min_f32_e32 v113, v32, v112
	v_max_f32_e32 v32, v32, v112
	v_cndmask_b32_e32 v112, v32, v113, vcc
	v_and_b32_e32 v32, 0x7f800000, v112
	v_cmp_ne_u32_e64 s[24:25], s87, v32
                                        ; implicit-def: $vgpr32
	s_and_saveexec_b64 s[40:41], s[24:25]
	s_xor_b64 s[24:25], exec, s[40:41]
; %bb.1359:                             ;   in Loop: Header=BB33_1254 Depth=3
	v_bfe_u32 v32, v112, 16, 1
	v_add3_u32 v32, v112, v32, s96
                                        ; implicit-def: $vgpr112
; %bb.1360:                             ;   in Loop: Header=BB33_1254 Depth=3
	s_andn2_saveexec_b64 s[40:41], s[24:25]
; %bb.1361:                             ;   in Loop: Header=BB33_1254 Depth=3
	v_or_b32_e32 v32, 0x10000, v112
	v_cmp_eq_u32_sdwa s[24:25], v112, v3 src0_sel:WORD_0 src1_sel:DWORD
	s_nop 1
	v_cndmask_b32_e64 v32, v32, v112, s[24:25]
; %bb.1362:                             ;   in Loop: Header=BB33_1254 Depth=3
	s_or_b64 exec, exec, s[40:41]
	v_and_b32_e32 v25, 0xffff0000, v25
	v_and_b32_e32 v33, 0xffff0000, v33
	v_max_f32_e32 v33, v33, v33
	v_max_f32_e32 v25, v25, v25
	v_min_f32_e32 v112, v25, v33
	v_max_f32_e32 v25, v25, v33
	v_cndmask_b32_e32 v33, v25, v112, vcc
	v_and_b32_e32 v25, 0x7f800000, v33
	v_cmp_ne_u32_e64 s[24:25], s87, v25
                                        ; implicit-def: $vgpr25
	s_and_saveexec_b64 s[40:41], s[24:25]
	s_xor_b64 s[24:25], exec, s[40:41]
; %bb.1363:                             ;   in Loop: Header=BB33_1254 Depth=3
	v_bfe_u32 v25, v33, 16, 1
	v_add3_u32 v25, v33, v25, s96
                                        ; implicit-def: $vgpr33
; %bb.1364:                             ;   in Loop: Header=BB33_1254 Depth=3
	s_andn2_saveexec_b64 s[40:41], s[24:25]
; %bb.1365:                             ;   in Loop: Header=BB33_1254 Depth=3
	v_or_b32_e32 v25, 0x10000, v33
	v_cmp_eq_u32_sdwa s[24:25], v33, v3 src0_sel:WORD_0 src1_sel:DWORD
	s_nop 1
	v_cndmask_b32_e64 v25, v25, v33, s[24:25]
; %bb.1366:                             ;   in Loop: Header=BB33_1254 Depth=3
	s_or_b64 exec, exec, s[40:41]
	v_lshlrev_b32_e32 v33, 16, v26
	v_lshlrev_b32_e32 v112, 16, v34
	v_max_f32_e32 v112, v112, v112
	v_max_f32_e32 v33, v33, v33
	v_min_f32_e32 v113, v33, v112
	v_max_f32_e32 v33, v33, v112
	v_cndmask_b32_e32 v112, v33, v113, vcc
	v_and_b32_e32 v33, 0x7f800000, v112
	v_cmp_ne_u32_e64 s[24:25], s87, v33
                                        ; implicit-def: $vgpr33
	s_and_saveexec_b64 s[40:41], s[24:25]
	s_xor_b64 s[24:25], exec, s[40:41]
; %bb.1367:                             ;   in Loop: Header=BB33_1254 Depth=3
	v_bfe_u32 v33, v112, 16, 1
	v_add3_u32 v33, v112, v33, s96
                                        ; implicit-def: $vgpr112
; %bb.1368:                             ;   in Loop: Header=BB33_1254 Depth=3
	s_andn2_saveexec_b64 s[40:41], s[24:25]
; %bb.1369:                             ;   in Loop: Header=BB33_1254 Depth=3
	v_or_b32_e32 v33, 0x10000, v112
	v_cmp_eq_u32_sdwa s[24:25], v112, v3 src0_sel:WORD_0 src1_sel:DWORD
	s_nop 1
	v_cndmask_b32_e64 v33, v33, v112, s[24:25]
; %bb.1370:                             ;   in Loop: Header=BB33_1254 Depth=3
	s_or_b64 exec, exec, s[40:41]
	v_and_b32_e32 v26, 0xffff0000, v26
	v_and_b32_e32 v34, 0xffff0000, v34
	v_max_f32_e32 v34, v34, v34
	v_max_f32_e32 v26, v26, v26
	v_min_f32_e32 v112, v26, v34
	v_max_f32_e32 v26, v26, v34
	v_cndmask_b32_e32 v34, v26, v112, vcc
	v_and_b32_e32 v26, 0x7f800000, v34
	v_cmp_ne_u32_e64 s[24:25], s87, v26
                                        ; implicit-def: $vgpr26
	s_and_saveexec_b64 s[40:41], s[24:25]
	s_xor_b64 s[24:25], exec, s[40:41]
; %bb.1371:                             ;   in Loop: Header=BB33_1254 Depth=3
	v_bfe_u32 v26, v34, 16, 1
	v_add3_u32 v26, v34, v26, s96
                                        ; implicit-def: $vgpr34
; %bb.1372:                             ;   in Loop: Header=BB33_1254 Depth=3
	s_andn2_saveexec_b64 s[40:41], s[24:25]
; %bb.1373:                             ;   in Loop: Header=BB33_1254 Depth=3
	v_or_b32_e32 v26, 0x10000, v34
	v_cmp_eq_u32_sdwa s[24:25], v34, v3 src0_sel:WORD_0 src1_sel:DWORD
	s_nop 1
	v_cndmask_b32_e64 v26, v26, v34, s[24:25]
; %bb.1374:                             ;   in Loop: Header=BB33_1254 Depth=3
	s_or_b64 exec, exec, s[40:41]
	v_lshlrev_b32_e32 v34, 16, v27
	v_lshlrev_b32_e32 v112, 16, v35
	v_max_f32_e32 v112, v112, v112
	v_max_f32_e32 v34, v34, v34
	v_min_f32_e32 v113, v34, v112
	v_max_f32_e32 v34, v34, v112
	v_cndmask_b32_e32 v112, v34, v113, vcc
	v_and_b32_e32 v34, 0x7f800000, v112
	v_cmp_ne_u32_e64 s[24:25], s87, v34
                                        ; implicit-def: $vgpr34
	s_and_saveexec_b64 s[40:41], s[24:25]
	s_xor_b64 s[24:25], exec, s[40:41]
; %bb.1375:                             ;   in Loop: Header=BB33_1254 Depth=3
	v_bfe_u32 v34, v112, 16, 1
	v_add3_u32 v34, v112, v34, s96
                                        ; implicit-def: $vgpr112
; %bb.1376:                             ;   in Loop: Header=BB33_1254 Depth=3
	s_andn2_saveexec_b64 s[40:41], s[24:25]
; %bb.1377:                             ;   in Loop: Header=BB33_1254 Depth=3
	v_or_b32_e32 v34, 0x10000, v112
	v_cmp_eq_u32_sdwa s[24:25], v112, v3 src0_sel:WORD_0 src1_sel:DWORD
	s_nop 1
	v_cndmask_b32_e64 v34, v34, v112, s[24:25]
; %bb.1378:                             ;   in Loop: Header=BB33_1254 Depth=3
	s_or_b64 exec, exec, s[40:41]
	v_and_b32_e32 v27, 0xffff0000, v27
	v_and_b32_e32 v35, 0xffff0000, v35
	v_max_f32_e32 v35, v35, v35
	v_max_f32_e32 v27, v27, v27
	v_min_f32_e32 v112, v27, v35
	v_max_f32_e32 v27, v27, v35
	v_cndmask_b32_e32 v35, v27, v112, vcc
	v_and_b32_e32 v27, 0x7f800000, v35
	v_cmp_ne_u32_e64 s[24:25], s87, v27
                                        ; implicit-def: $vgpr27
	s_and_saveexec_b64 s[40:41], s[24:25]
	s_xor_b64 s[24:25], exec, s[40:41]
; %bb.1379:                             ;   in Loop: Header=BB33_1254 Depth=3
	v_bfe_u32 v27, v35, 16, 1
	v_add3_u32 v27, v35, v27, s96
                                        ; implicit-def: $vgpr35
; %bb.1380:                             ;   in Loop: Header=BB33_1254 Depth=3
	s_andn2_saveexec_b64 s[40:41], s[24:25]
; %bb.1381:                             ;   in Loop: Header=BB33_1254 Depth=3
	v_or_b32_e32 v27, 0x10000, v35
	v_cmp_eq_u32_sdwa s[24:25], v35, v3 src0_sel:WORD_0 src1_sel:DWORD
	s_nop 1
	v_cndmask_b32_e64 v27, v27, v35, s[24:25]
; %bb.1382:                             ;   in Loop: Header=BB33_1254 Depth=3
	s_or_b64 exec, exec, s[40:41]
	v_and_b32_e32 v35, 0xffff0000, v87
	v_lshlrev_b32_e32 v87, 16, v20
	v_max_f32_e32 v35, v35, v35
	v_max_f32_e32 v87, v87, v87
	v_min_f32_e32 v112, v35, v87
	v_max_f32_e32 v35, v35, v87
	v_cndmask_b32_e32 v87, v35, v112, vcc
	v_and_b32_e32 v35, 0x7f800000, v87
	v_cmp_ne_u32_e64 s[24:25], s87, v35
                                        ; implicit-def: $vgpr35
	s_and_saveexec_b64 s[40:41], s[24:25]
	s_xor_b64 s[24:25], exec, s[40:41]
; %bb.1383:                             ;   in Loop: Header=BB33_1254 Depth=3
	v_bfe_u32 v35, v87, 16, 1
	v_add3_u32 v35, v87, v35, s96
                                        ; implicit-def: $vgpr87
; %bb.1384:                             ;   in Loop: Header=BB33_1254 Depth=3
	s_andn2_saveexec_b64 s[40:41], s[24:25]
; %bb.1385:                             ;   in Loop: Header=BB33_1254 Depth=3
	v_or_b32_e32 v35, 0x10000, v87
	v_cmp_eq_u32_sdwa s[24:25], v87, v3 src0_sel:WORD_0 src1_sel:DWORD
	s_nop 1
	v_cndmask_b32_e64 v35, v35, v87, s[24:25]
; %bb.1386:                             ;   in Loop: Header=BB33_1254 Depth=3
	s_or_b64 exec, exec, s[40:41]
	v_and_b32_e32 v20, 0xffff0000, v20
	v_and_b32_e32 v68, 0xffff0000, v68
	v_max_f32_e32 v20, v20, v20
	v_max_f32_e32 v68, v68, v68
	v_min_f32_e32 v87, v68, v20
	v_max_f32_e32 v20, v68, v20
	v_cndmask_b32_e32 v20, v20, v87, vcc
	v_and_b32_e32 v68, 0x7f800000, v20
	v_cmp_ne_u32_e64 s[24:25], s87, v68
                                        ; implicit-def: $vgpr68
	s_and_saveexec_b64 s[40:41], s[24:25]
	s_xor_b64 s[24:25], exec, s[40:41]
; %bb.1387:                             ;   in Loop: Header=BB33_1254 Depth=3
	v_bfe_u32 v68, v20, 16, 1
	v_add3_u32 v68, v20, v68, s96
                                        ; implicit-def: $vgpr20
; %bb.1388:                             ;   in Loop: Header=BB33_1254 Depth=3
	s_andn2_saveexec_b64 s[40:41], s[24:25]
; %bb.1389:                             ;   in Loop: Header=BB33_1254 Depth=3
	v_or_b32_e32 v68, 0x10000, v20
	v_cmp_eq_u32_sdwa s[24:25], v20, v3 src0_sel:WORD_0 src1_sel:DWORD
	s_nop 1
	v_cndmask_b32_e64 v68, v68, v20, s[24:25]
; %bb.1390:                             ;   in Loop: Header=BB33_1254 Depth=3
	s_or_b64 exec, exec, s[40:41]
	v_and_b32_e32 v20, 0xffff0000, v80
	v_lshlrev_b32_e32 v80, 16, v21
	v_max_f32_e32 v20, v20, v20
	v_max_f32_e32 v80, v80, v80
	v_min_f32_e32 v87, v20, v80
	v_max_f32_e32 v20, v20, v80
	v_cndmask_b32_e32 v20, v20, v87, vcc
	v_and_b32_e32 v80, 0x7f800000, v20
	v_cmp_ne_u32_e64 s[24:25], s87, v80
                                        ; implicit-def: $vgpr80
	s_and_saveexec_b64 s[40:41], s[24:25]
	s_xor_b64 s[24:25], exec, s[40:41]
; %bb.1391:                             ;   in Loop: Header=BB33_1254 Depth=3
	v_bfe_u32 v80, v20, 16, 1
	v_add3_u32 v80, v20, v80, s96
                                        ; implicit-def: $vgpr20
; %bb.1392:                             ;   in Loop: Header=BB33_1254 Depth=3
	s_andn2_saveexec_b64 s[40:41], s[24:25]
; %bb.1393:                             ;   in Loop: Header=BB33_1254 Depth=3
	v_or_b32_e32 v80, 0x10000, v20
	v_cmp_eq_u32_sdwa s[24:25], v20, v3 src0_sel:WORD_0 src1_sel:DWORD
	s_nop 1
	v_cndmask_b32_e64 v80, v80, v20, s[24:25]
; %bb.1394:                             ;   in Loop: Header=BB33_1254 Depth=3
	s_or_b64 exec, exec, s[40:41]
	v_and_b32_e32 v20, 0xffff0000, v21
	v_and_b32_e32 v21, 0xffff0000, v69
	v_max_f32_e32 v20, v20, v20
	v_max_f32_e32 v21, v21, v21
	v_min_f32_e32 v69, v21, v20
	v_max_f32_e32 v20, v21, v20
	v_cndmask_b32_e32 v20, v20, v69, vcc
	v_and_b32_e32 v21, 0x7f800000, v20
	v_cmp_ne_u32_e64 s[24:25], s87, v21
                                        ; implicit-def: $vgpr69
	s_and_saveexec_b64 s[40:41], s[24:25]
	s_xor_b64 s[24:25], exec, s[40:41]
; %bb.1395:                             ;   in Loop: Header=BB33_1254 Depth=3
	v_bfe_u32 v21, v20, 16, 1
	v_add3_u32 v69, v20, v21, s96
                                        ; implicit-def: $vgpr20
; %bb.1396:                             ;   in Loop: Header=BB33_1254 Depth=3
	s_andn2_saveexec_b64 s[40:41], s[24:25]
; %bb.1397:                             ;   in Loop: Header=BB33_1254 Depth=3
	v_or_b32_e32 v21, 0x10000, v20
	v_cmp_eq_u32_sdwa s[24:25], v20, v3 src0_sel:WORD_0 src1_sel:DWORD
	s_nop 1
	v_cndmask_b32_e64 v69, v21, v20, s[24:25]
; %bb.1398:                             ;   in Loop: Header=BB33_1254 Depth=3
	s_or_b64 exec, exec, s[40:41]
	v_and_b32_e32 v20, 0xffff0000, v81
	v_lshlrev_b32_e32 v21, 16, v22
	v_max_f32_e32 v20, v20, v20
	v_max_f32_e32 v21, v21, v21
	v_min_f32_e32 v81, v20, v21
	v_max_f32_e32 v20, v20, v21
	v_cndmask_b32_e32 v20, v20, v81, vcc
	v_and_b32_e32 v21, 0x7f800000, v20
	v_cmp_ne_u32_e64 s[24:25], s87, v21
                                        ; implicit-def: $vgpr81
	s_and_saveexec_b64 s[40:41], s[24:25]
	s_xor_b64 s[24:25], exec, s[40:41]
; %bb.1399:                             ;   in Loop: Header=BB33_1254 Depth=3
	v_bfe_u32 v21, v20, 16, 1
	v_add3_u32 v81, v20, v21, s96
                                        ; implicit-def: $vgpr20
; %bb.1400:                             ;   in Loop: Header=BB33_1254 Depth=3
	s_andn2_saveexec_b64 s[40:41], s[24:25]
; %bb.1401:                             ;   in Loop: Header=BB33_1254 Depth=3
	v_or_b32_e32 v21, 0x10000, v20
	v_cmp_eq_u32_sdwa s[24:25], v20, v3 src0_sel:WORD_0 src1_sel:DWORD
	s_nop 1
	v_cndmask_b32_e64 v81, v21, v20, s[24:25]
; %bb.1402:                             ;   in Loop: Header=BB33_1254 Depth=3
	s_or_b64 exec, exec, s[40:41]
	v_and_b32_e32 v20, 0xffff0000, v22
	v_and_b32_e32 v21, 0xffff0000, v70
	v_max_f32_e32 v20, v20, v20
	v_max_f32_e32 v21, v21, v21
	v_min_f32_e32 v22, v21, v20
	v_max_f32_e32 v20, v21, v20
	v_cndmask_b32_e32 v20, v20, v22, vcc
	v_and_b32_e32 v21, 0x7f800000, v20
	v_cmp_ne_u32_e64 s[24:25], s87, v21
                                        ; implicit-def: $vgpr22
	s_and_saveexec_b64 s[40:41], s[24:25]
	s_xor_b64 s[24:25], exec, s[40:41]
; %bb.1403:                             ;   in Loop: Header=BB33_1254 Depth=3
	v_bfe_u32 v21, v20, 16, 1
	v_add3_u32 v22, v20, v21, s96
                                        ; implicit-def: $vgpr20
; %bb.1404:                             ;   in Loop: Header=BB33_1254 Depth=3
	s_andn2_saveexec_b64 s[40:41], s[24:25]
; %bb.1405:                             ;   in Loop: Header=BB33_1254 Depth=3
	v_or_b32_e32 v21, 0x10000, v20
	v_cmp_eq_u32_sdwa s[24:25], v20, v3 src0_sel:WORD_0 src1_sel:DWORD
	s_nop 1
	v_cndmask_b32_e64 v22, v21, v20, s[24:25]
; %bb.1406:                             ;   in Loop: Header=BB33_1254 Depth=3
	s_or_b64 exec, exec, s[40:41]
	v_and_b32_e32 v20, 0xffff0000, v82
	v_lshlrev_b32_e32 v21, 16, v23
	v_max_f32_e32 v20, v20, v20
	v_max_f32_e32 v21, v21, v21
	v_min_f32_e32 v70, v20, v21
	v_max_f32_e32 v20, v20, v21
	v_cndmask_b32_e32 v20, v20, v70, vcc
	v_and_b32_e32 v21, 0x7f800000, v20
	v_cmp_ne_u32_e64 s[24:25], s87, v21
                                        ; implicit-def: $vgpr70
	s_and_saveexec_b64 s[40:41], s[24:25]
	s_xor_b64 s[24:25], exec, s[40:41]
; %bb.1407:                             ;   in Loop: Header=BB33_1254 Depth=3
	v_bfe_u32 v21, v20, 16, 1
	v_add3_u32 v70, v20, v21, s96
                                        ; implicit-def: $vgpr20
; %bb.1408:                             ;   in Loop: Header=BB33_1254 Depth=3
	s_andn2_saveexec_b64 s[40:41], s[24:25]
; %bb.1409:                             ;   in Loop: Header=BB33_1254 Depth=3
	v_or_b32_e32 v21, 0x10000, v20
	v_cmp_eq_u32_sdwa s[24:25], v20, v3 src0_sel:WORD_0 src1_sel:DWORD
	s_nop 1
	v_cndmask_b32_e64 v70, v21, v20, s[24:25]
; %bb.1410:                             ;   in Loop: Header=BB33_1254 Depth=3
	s_or_b64 exec, exec, s[40:41]
	v_and_b32_e32 v20, 0xffff0000, v23
	v_and_b32_e32 v21, 0xffff0000, v71
	v_max_f32_e32 v20, v20, v20
	v_max_f32_e32 v21, v21, v21
	v_min_f32_e32 v23, v21, v20
	v_max_f32_e32 v20, v21, v20
	v_cndmask_b32_e32 v20, v20, v23, vcc
	v_and_b32_e32 v21, 0x7f800000, v20
	v_cmp_ne_u32_e64 s[24:25], s87, v21
                                        ; implicit-def: $vgpr23
	s_and_saveexec_b64 s[40:41], s[24:25]
	s_xor_b64 s[24:25], exec, s[40:41]
; %bb.1411:                             ;   in Loop: Header=BB33_1254 Depth=3
	v_bfe_u32 v21, v20, 16, 1
	v_add3_u32 v23, v20, v21, s96
                                        ; implicit-def: $vgpr20
; %bb.1412:                             ;   in Loop: Header=BB33_1254 Depth=3
	s_andn2_saveexec_b64 s[40:41], s[24:25]
; %bb.1413:                             ;   in Loop: Header=BB33_1254 Depth=3
	v_or_b32_e32 v21, 0x10000, v20
	v_cmp_eq_u32_sdwa s[24:25], v20, v3 src0_sel:WORD_0 src1_sel:DWORD
	s_nop 1
	v_cndmask_b32_e64 v23, v21, v20, s[24:25]
; %bb.1414:                             ;   in Loop: Header=BB33_1254 Depth=3
	s_or_b64 exec, exec, s[40:41]
	v_lshrrev_b32_e32 v35, 16, v35
	v_and_or_b32 v112, v68, s97, v35
	v_lshrrev_b32_e32 v35, 16, v81
	v_and_or_b32 v114, v22, s97, v35
	v_lshrrev_b32_e32 v22, 16, v70
	v_and_b32_e32 v71, 0xffff0000, v83
	v_and_or_b32 v115, v23, s97, v22
	v_lshlrev_b32_e32 v22, 16, v16
	v_max_f32_e32 v23, v71, v71
	v_max_f32_e32 v22, v22, v22
	v_min_f32_e32 v35, v23, v22
	v_max_f32_e32 v22, v23, v22
	v_cndmask_b32_e32 v23, v22, v35, vcc
	v_lshrrev_b32_e32 v80, 16, v80
	v_and_b32_e32 v22, 0x7f800000, v23
	v_lshl_add_u64 v[20:21], v[98:99], 0, v[102:103]
	v_and_or_b32 v113, v69, s97, v80
	v_cmp_ne_u32_e64 s[24:25], s87, v22
	global_store_dwordx4 v[20:21], v[112:115], off offset:-3072
                                        ; implicit-def: $vgpr22
	s_and_saveexec_b64 s[40:41], s[24:25]
	s_xor_b64 s[24:25], exec, s[40:41]
; %bb.1415:                             ;   in Loop: Header=BB33_1254 Depth=3
	v_bfe_u32 v22, v23, 16, 1
	v_add3_u32 v22, v23, v22, s96
                                        ; implicit-def: $vgpr23
; %bb.1416:                             ;   in Loop: Header=BB33_1254 Depth=3
	s_andn2_saveexec_b64 s[40:41], s[24:25]
; %bb.1417:                             ;   in Loop: Header=BB33_1254 Depth=3
	v_or_b32_e32 v22, 0x10000, v23
	v_cmp_eq_u32_sdwa s[24:25], v23, v3 src0_sel:WORD_0 src1_sel:DWORD
	s_nop 1
	v_cndmask_b32_e64 v22, v22, v23, s[24:25]
; %bb.1418:                             ;   in Loop: Header=BB33_1254 Depth=3
	s_or_b64 exec, exec, s[40:41]
	v_and_b32_e32 v16, 0xffff0000, v16
	v_and_b32_e32 v23, 0xffff0000, v52
	v_max_f32_e32 v16, v16, v16
	v_max_f32_e32 v23, v23, v23
	v_min_f32_e32 v35, v23, v16
	v_max_f32_e32 v16, v23, v16
	v_cndmask_b32_e32 v23, v16, v35, vcc
	v_and_b32_e32 v16, 0x7f800000, v23
	v_cmp_ne_u32_e64 s[24:25], s87, v16
                                        ; implicit-def: $vgpr16
	s_and_saveexec_b64 s[40:41], s[24:25]
	s_xor_b64 s[24:25], exec, s[40:41]
; %bb.1419:                             ;   in Loop: Header=BB33_1254 Depth=3
	v_bfe_u32 v16, v23, 16, 1
	v_add3_u32 v16, v23, v16, s96
                                        ; implicit-def: $vgpr23
; %bb.1420:                             ;   in Loop: Header=BB33_1254 Depth=3
	s_andn2_saveexec_b64 s[40:41], s[24:25]
; %bb.1421:                             ;   in Loop: Header=BB33_1254 Depth=3
	v_or_b32_e32 v16, 0x10000, v23
	v_cmp_eq_u32_sdwa s[24:25], v23, v3 src0_sel:WORD_0 src1_sel:DWORD
	s_nop 1
	v_cndmask_b32_e64 v16, v16, v23, s[24:25]
; %bb.1422:                             ;   in Loop: Header=BB33_1254 Depth=3
	s_or_b64 exec, exec, s[40:41]
	v_and_b32_e32 v23, 0xffff0000, v64
	v_lshlrev_b32_e32 v35, 16, v17
	v_max_f32_e32 v23, v23, v23
	v_max_f32_e32 v35, v35, v35
	v_min_f32_e32 v52, v23, v35
	v_max_f32_e32 v23, v23, v35
	v_cndmask_b32_e32 v35, v23, v52, vcc
	v_and_b32_e32 v23, 0x7f800000, v35
	v_cmp_ne_u32_e64 s[24:25], s87, v23
                                        ; implicit-def: $vgpr23
	s_and_saveexec_b64 s[40:41], s[24:25]
	s_xor_b64 s[24:25], exec, s[40:41]
; %bb.1423:                             ;   in Loop: Header=BB33_1254 Depth=3
	v_bfe_u32 v23, v35, 16, 1
	v_add3_u32 v23, v35, v23, s96
                                        ; implicit-def: $vgpr35
; %bb.1424:                             ;   in Loop: Header=BB33_1254 Depth=3
	s_andn2_saveexec_b64 s[40:41], s[24:25]
; %bb.1425:                             ;   in Loop: Header=BB33_1254 Depth=3
	v_or_b32_e32 v23, 0x10000, v35
	v_cmp_eq_u32_sdwa s[24:25], v35, v3 src0_sel:WORD_0 src1_sel:DWORD
	s_nop 1
	v_cndmask_b32_e64 v23, v23, v35, s[24:25]
; %bb.1426:                             ;   in Loop: Header=BB33_1254 Depth=3
	s_or_b64 exec, exec, s[40:41]
	v_and_b32_e32 v17, 0xffff0000, v17
	v_and_b32_e32 v35, 0xffff0000, v53
	v_max_f32_e32 v17, v17, v17
	v_max_f32_e32 v35, v35, v35
	v_min_f32_e32 v52, v35, v17
	v_max_f32_e32 v17, v35, v17
	v_cndmask_b32_e32 v35, v17, v52, vcc
	v_and_b32_e32 v17, 0x7f800000, v35
	v_cmp_ne_u32_e64 s[24:25], s87, v17
                                        ; implicit-def: $vgpr17
	s_and_saveexec_b64 s[40:41], s[24:25]
	s_xor_b64 s[24:25], exec, s[40:41]
; %bb.1427:                             ;   in Loop: Header=BB33_1254 Depth=3
	v_bfe_u32 v17, v35, 16, 1
	v_add3_u32 v17, v35, v17, s96
                                        ; implicit-def: $vgpr35
; %bb.1428:                             ;   in Loop: Header=BB33_1254 Depth=3
	s_andn2_saveexec_b64 s[40:41], s[24:25]
; %bb.1429:                             ;   in Loop: Header=BB33_1254 Depth=3
	v_or_b32_e32 v17, 0x10000, v35
	v_cmp_eq_u32_sdwa s[24:25], v35, v3 src0_sel:WORD_0 src1_sel:DWORD
	s_nop 1
	v_cndmask_b32_e64 v17, v17, v35, s[24:25]
; %bb.1430:                             ;   in Loop: Header=BB33_1254 Depth=3
	s_or_b64 exec, exec, s[40:41]
	v_and_b32_e32 v35, 0xffff0000, v65
	v_lshlrev_b32_e32 v52, 16, v18
	v_max_f32_e32 v35, v35, v35
	v_max_f32_e32 v52, v52, v52
	v_min_f32_e32 v53, v35, v52
	v_max_f32_e32 v35, v35, v52
	v_cndmask_b32_e32 v52, v35, v53, vcc
	v_and_b32_e32 v35, 0x7f800000, v52
	v_cmp_ne_u32_e64 s[24:25], s87, v35
                                        ; implicit-def: $vgpr35
	s_and_saveexec_b64 s[40:41], s[24:25]
	s_xor_b64 s[24:25], exec, s[40:41]
; %bb.1431:                             ;   in Loop: Header=BB33_1254 Depth=3
	v_bfe_u32 v35, v52, 16, 1
	v_add3_u32 v35, v52, v35, s96
                                        ; implicit-def: $vgpr52
; %bb.1432:                             ;   in Loop: Header=BB33_1254 Depth=3
	s_andn2_saveexec_b64 s[40:41], s[24:25]
; %bb.1433:                             ;   in Loop: Header=BB33_1254 Depth=3
	v_or_b32_e32 v35, 0x10000, v52
	v_cmp_eq_u32_sdwa s[24:25], v52, v3 src0_sel:WORD_0 src1_sel:DWORD
	s_nop 1
	v_cndmask_b32_e64 v35, v35, v52, s[24:25]
; %bb.1434:                             ;   in Loop: Header=BB33_1254 Depth=3
	s_or_b64 exec, exec, s[40:41]
	v_and_b32_e32 v18, 0xffff0000, v18
	v_and_b32_e32 v52, 0xffff0000, v54
	v_max_f32_e32 v18, v18, v18
	v_max_f32_e32 v52, v52, v52
	v_min_f32_e32 v53, v52, v18
	v_max_f32_e32 v18, v52, v18
	v_cndmask_b32_e32 v52, v18, v53, vcc
	v_and_b32_e32 v18, 0x7f800000, v52
	v_cmp_ne_u32_e64 s[24:25], s87, v18
                                        ; implicit-def: $vgpr18
	s_and_saveexec_b64 s[40:41], s[24:25]
	s_xor_b64 s[24:25], exec, s[40:41]
; %bb.1435:                             ;   in Loop: Header=BB33_1254 Depth=3
	v_bfe_u32 v18, v52, 16, 1
	v_add3_u32 v18, v52, v18, s96
                                        ; implicit-def: $vgpr52
; %bb.1436:                             ;   in Loop: Header=BB33_1254 Depth=3
	s_andn2_saveexec_b64 s[40:41], s[24:25]
; %bb.1437:                             ;   in Loop: Header=BB33_1254 Depth=3
	v_or_b32_e32 v18, 0x10000, v52
	v_cmp_eq_u32_sdwa s[24:25], v52, v3 src0_sel:WORD_0 src1_sel:DWORD
	s_nop 1
	v_cndmask_b32_e64 v18, v18, v52, s[24:25]
; %bb.1438:                             ;   in Loop: Header=BB33_1254 Depth=3
	s_or_b64 exec, exec, s[40:41]
	v_and_b32_e32 v52, 0xffff0000, v66
	v_lshlrev_b32_e32 v53, 16, v19
	v_max_f32_e32 v52, v52, v52
	v_max_f32_e32 v53, v53, v53
	v_min_f32_e32 v54, v52, v53
	v_max_f32_e32 v52, v52, v53
	v_cndmask_b32_e32 v53, v52, v54, vcc
	v_and_b32_e32 v52, 0x7f800000, v53
	v_cmp_ne_u32_e64 s[24:25], s87, v52
                                        ; implicit-def: $vgpr52
	s_and_saveexec_b64 s[40:41], s[24:25]
	s_xor_b64 s[24:25], exec, s[40:41]
; %bb.1439:                             ;   in Loop: Header=BB33_1254 Depth=3
	v_bfe_u32 v52, v53, 16, 1
	v_add3_u32 v52, v53, v52, s96
                                        ; implicit-def: $vgpr53
; %bb.1440:                             ;   in Loop: Header=BB33_1254 Depth=3
	s_andn2_saveexec_b64 s[40:41], s[24:25]
; %bb.1441:                             ;   in Loop: Header=BB33_1254 Depth=3
	v_or_b32_e32 v52, 0x10000, v53
	v_cmp_eq_u32_sdwa s[24:25], v53, v3 src0_sel:WORD_0 src1_sel:DWORD
	s_nop 1
	v_cndmask_b32_e64 v52, v52, v53, s[24:25]
; %bb.1442:                             ;   in Loop: Header=BB33_1254 Depth=3
	s_or_b64 exec, exec, s[40:41]
	v_and_b32_e32 v19, 0xffff0000, v19
	v_and_b32_e32 v53, 0xffff0000, v55
	v_max_f32_e32 v19, v19, v19
	v_max_f32_e32 v53, v53, v53
	v_min_f32_e32 v54, v53, v19
	v_max_f32_e32 v19, v53, v19
	v_cndmask_b32_e32 v53, v19, v54, vcc
	v_and_b32_e32 v19, 0x7f800000, v53
	v_cmp_ne_u32_e64 s[24:25], s87, v19
                                        ; implicit-def: $vgpr19
	s_and_saveexec_b64 s[40:41], s[24:25]
	s_xor_b64 s[24:25], exec, s[40:41]
; %bb.1443:                             ;   in Loop: Header=BB33_1254 Depth=3
	v_bfe_u32 v19, v53, 16, 1
	v_add3_u32 v19, v53, v19, s96
                                        ; implicit-def: $vgpr53
; %bb.1444:                             ;   in Loop: Header=BB33_1254 Depth=3
	s_andn2_saveexec_b64 s[40:41], s[24:25]
; %bb.1445:                             ;   in Loop: Header=BB33_1254 Depth=3
	v_or_b32_e32 v19, 0x10000, v53
	v_cmp_eq_u32_sdwa s[24:25], v53, v3 src0_sel:WORD_0 src1_sel:DWORD
	s_nop 1
	v_cndmask_b32_e64 v19, v19, v53, s[24:25]
; %bb.1446:                             ;   in Loop: Header=BB33_1254 Depth=3
	s_or_b64 exec, exec, s[40:41]
	v_lshrrev_b32_e32 v22, 16, v22
	v_and_or_b32 v16, v16, s97, v22
	v_lshrrev_b32_e32 v22, 16, v35
	v_lshrrev_b32_e32 v23, 16, v23
	v_and_or_b32 v18, v18, s97, v22
	v_lshrrev_b32_e32 v22, 16, v52
	v_and_or_b32 v17, v17, s97, v23
	v_and_or_b32 v19, v19, s97, v22
	v_and_b32_e32 v53, 0xffff0000, v67
	global_store_dwordx4 v[20:21], v[16:19], off offset:-2048
	s_nop 1
	v_lshlrev_b32_e32 v16, 16, v12
	v_max_f32_e32 v17, v53, v53
	v_max_f32_e32 v16, v16, v16
	v_min_f32_e32 v18, v17, v16
	v_max_f32_e32 v16, v17, v16
	v_cndmask_b32_e32 v17, v16, v18, vcc
	v_and_b32_e32 v16, 0x7f800000, v17
	v_cmp_ne_u32_e64 s[24:25], s87, v16
                                        ; implicit-def: $vgpr16
	s_and_saveexec_b64 s[40:41], s[24:25]
	s_xor_b64 s[24:25], exec, s[40:41]
; %bb.1447:                             ;   in Loop: Header=BB33_1254 Depth=3
	v_bfe_u32 v16, v17, 16, 1
	v_add3_u32 v16, v17, v16, s96
                                        ; implicit-def: $vgpr17
; %bb.1448:                             ;   in Loop: Header=BB33_1254 Depth=3
	s_andn2_saveexec_b64 s[40:41], s[24:25]
; %bb.1449:                             ;   in Loop: Header=BB33_1254 Depth=3
	v_or_b32_e32 v16, 0x10000, v17
	v_cmp_eq_u32_sdwa s[24:25], v17, v3 src0_sel:WORD_0 src1_sel:DWORD
	s_nop 1
	v_cndmask_b32_e64 v16, v16, v17, s[24:25]
; %bb.1450:                             ;   in Loop: Header=BB33_1254 Depth=3
	s_or_b64 exec, exec, s[40:41]
	v_and_b32_e32 v12, 0xffff0000, v12
	v_and_b32_e32 v17, 0xffff0000, v36
	v_max_f32_e32 v12, v12, v12
	v_max_f32_e32 v17, v17, v17
	v_min_f32_e32 v18, v17, v12
	v_max_f32_e32 v12, v17, v12
	v_cndmask_b32_e32 v17, v12, v18, vcc
	v_and_b32_e32 v12, 0x7f800000, v17
	v_cmp_ne_u32_e64 s[24:25], s87, v12
                                        ; implicit-def: $vgpr12
	s_and_saveexec_b64 s[40:41], s[24:25]
	s_xor_b64 s[24:25], exec, s[40:41]
; %bb.1451:                             ;   in Loop: Header=BB33_1254 Depth=3
	v_bfe_u32 v12, v17, 16, 1
	v_add3_u32 v12, v17, v12, s96
                                        ; implicit-def: $vgpr17
; %bb.1452:                             ;   in Loop: Header=BB33_1254 Depth=3
	s_andn2_saveexec_b64 s[40:41], s[24:25]
; %bb.1453:                             ;   in Loop: Header=BB33_1254 Depth=3
	v_or_b32_e32 v12, 0x10000, v17
	v_cmp_eq_u32_sdwa s[24:25], v17, v3 src0_sel:WORD_0 src1_sel:DWORD
	s_nop 1
	v_cndmask_b32_e64 v12, v12, v17, s[24:25]
; %bb.1454:                             ;   in Loop: Header=BB33_1254 Depth=3
	s_or_b64 exec, exec, s[40:41]
	v_and_b32_e32 v17, 0xffff0000, v48
	v_lshlrev_b32_e32 v18, 16, v13
	v_max_f32_e32 v17, v17, v17
	v_max_f32_e32 v18, v18, v18
	v_min_f32_e32 v19, v17, v18
	v_max_f32_e32 v17, v17, v18
	v_cndmask_b32_e32 v18, v17, v19, vcc
	v_and_b32_e32 v17, 0x7f800000, v18
	v_cmp_ne_u32_e64 s[24:25], s87, v17
                                        ; implicit-def: $vgpr17
	s_and_saveexec_b64 s[40:41], s[24:25]
	s_xor_b64 s[24:25], exec, s[40:41]
; %bb.1455:                             ;   in Loop: Header=BB33_1254 Depth=3
	v_bfe_u32 v17, v18, 16, 1
	v_add3_u32 v17, v18, v17, s96
                                        ; implicit-def: $vgpr18
; %bb.1456:                             ;   in Loop: Header=BB33_1254 Depth=3
	s_andn2_saveexec_b64 s[40:41], s[24:25]
; %bb.1457:                             ;   in Loop: Header=BB33_1254 Depth=3
	v_or_b32_e32 v17, 0x10000, v18
	v_cmp_eq_u32_sdwa s[24:25], v18, v3 src0_sel:WORD_0 src1_sel:DWORD
	s_nop 1
	v_cndmask_b32_e64 v17, v17, v18, s[24:25]
; %bb.1458:                             ;   in Loop: Header=BB33_1254 Depth=3
	s_or_b64 exec, exec, s[40:41]
	v_and_b32_e32 v13, 0xffff0000, v13
	v_and_b32_e32 v18, 0xffff0000, v37
	v_max_f32_e32 v13, v13, v13
	v_max_f32_e32 v18, v18, v18
	v_min_f32_e32 v19, v18, v13
	v_max_f32_e32 v13, v18, v13
	v_cndmask_b32_e32 v18, v13, v19, vcc
	v_and_b32_e32 v13, 0x7f800000, v18
	v_cmp_ne_u32_e64 s[24:25], s87, v13
                                        ; implicit-def: $vgpr13
	s_and_saveexec_b64 s[40:41], s[24:25]
	s_xor_b64 s[24:25], exec, s[40:41]
; %bb.1459:                             ;   in Loop: Header=BB33_1254 Depth=3
	v_bfe_u32 v13, v18, 16, 1
	v_add3_u32 v13, v18, v13, s96
                                        ; implicit-def: $vgpr18
; %bb.1460:                             ;   in Loop: Header=BB33_1254 Depth=3
	s_andn2_saveexec_b64 s[40:41], s[24:25]
; %bb.1461:                             ;   in Loop: Header=BB33_1254 Depth=3
	v_or_b32_e32 v13, 0x10000, v18
	v_cmp_eq_u32_sdwa s[24:25], v18, v3 src0_sel:WORD_0 src1_sel:DWORD
	s_nop 1
	v_cndmask_b32_e64 v13, v13, v18, s[24:25]
; %bb.1462:                             ;   in Loop: Header=BB33_1254 Depth=3
	s_or_b64 exec, exec, s[40:41]
	v_and_b32_e32 v18, 0xffff0000, v49
	v_lshlrev_b32_e32 v19, 16, v14
	v_max_f32_e32 v18, v18, v18
	v_max_f32_e32 v19, v19, v19
	v_min_f32_e32 v22, v18, v19
	v_max_f32_e32 v18, v18, v19
	v_cndmask_b32_e32 v19, v18, v22, vcc
	v_and_b32_e32 v18, 0x7f800000, v19
	v_cmp_ne_u32_e64 s[24:25], s87, v18
                                        ; implicit-def: $vgpr18
	s_and_saveexec_b64 s[40:41], s[24:25]
	s_xor_b64 s[24:25], exec, s[40:41]
; %bb.1463:                             ;   in Loop: Header=BB33_1254 Depth=3
	v_bfe_u32 v18, v19, 16, 1
	v_add3_u32 v18, v19, v18, s96
                                        ; implicit-def: $vgpr19
; %bb.1464:                             ;   in Loop: Header=BB33_1254 Depth=3
	s_andn2_saveexec_b64 s[40:41], s[24:25]
; %bb.1465:                             ;   in Loop: Header=BB33_1254 Depth=3
	v_or_b32_e32 v18, 0x10000, v19
	v_cmp_eq_u32_sdwa s[24:25], v19, v3 src0_sel:WORD_0 src1_sel:DWORD
	s_nop 1
	v_cndmask_b32_e64 v18, v18, v19, s[24:25]
; %bb.1466:                             ;   in Loop: Header=BB33_1254 Depth=3
	s_or_b64 exec, exec, s[40:41]
	v_and_b32_e32 v14, 0xffff0000, v14
	v_and_b32_e32 v19, 0xffff0000, v38
	v_max_f32_e32 v14, v14, v14
	v_max_f32_e32 v19, v19, v19
	v_min_f32_e32 v22, v19, v14
	v_max_f32_e32 v14, v19, v14
	v_cndmask_b32_e32 v19, v14, v22, vcc
	v_and_b32_e32 v14, 0x7f800000, v19
	v_cmp_ne_u32_e64 s[24:25], s87, v14
                                        ; implicit-def: $vgpr14
	s_and_saveexec_b64 s[40:41], s[24:25]
	s_xor_b64 s[24:25], exec, s[40:41]
; %bb.1467:                             ;   in Loop: Header=BB33_1254 Depth=3
	v_bfe_u32 v14, v19, 16, 1
	v_add3_u32 v14, v19, v14, s96
                                        ; implicit-def: $vgpr19
; %bb.1468:                             ;   in Loop: Header=BB33_1254 Depth=3
	s_andn2_saveexec_b64 s[40:41], s[24:25]
; %bb.1469:                             ;   in Loop: Header=BB33_1254 Depth=3
	v_or_b32_e32 v14, 0x10000, v19
	v_cmp_eq_u32_sdwa s[24:25], v19, v3 src0_sel:WORD_0 src1_sel:DWORD
	s_nop 1
	v_cndmask_b32_e64 v14, v14, v19, s[24:25]
; %bb.1470:                             ;   in Loop: Header=BB33_1254 Depth=3
	s_or_b64 exec, exec, s[40:41]
	v_and_b32_e32 v19, 0xffff0000, v50
	v_lshlrev_b32_e32 v22, 16, v15
	v_max_f32_e32 v19, v19, v19
	v_max_f32_e32 v22, v22, v22
	v_min_f32_e32 v23, v19, v22
	v_max_f32_e32 v19, v19, v22
	v_cndmask_b32_e32 v22, v19, v23, vcc
	v_and_b32_e32 v19, 0x7f800000, v22
	v_cmp_ne_u32_e64 s[24:25], s87, v19
                                        ; implicit-def: $vgpr19
	s_and_saveexec_b64 s[40:41], s[24:25]
	s_xor_b64 s[24:25], exec, s[40:41]
; %bb.1471:                             ;   in Loop: Header=BB33_1254 Depth=3
	v_bfe_u32 v19, v22, 16, 1
	v_add3_u32 v19, v22, v19, s96
                                        ; implicit-def: $vgpr22
; %bb.1472:                             ;   in Loop: Header=BB33_1254 Depth=3
	s_andn2_saveexec_b64 s[40:41], s[24:25]
; %bb.1473:                             ;   in Loop: Header=BB33_1254 Depth=3
	v_or_b32_e32 v19, 0x10000, v22
	v_cmp_eq_u32_sdwa s[24:25], v22, v3 src0_sel:WORD_0 src1_sel:DWORD
	s_nop 1
	v_cndmask_b32_e64 v19, v19, v22, s[24:25]
; %bb.1474:                             ;   in Loop: Header=BB33_1254 Depth=3
	s_or_b64 exec, exec, s[40:41]
	v_and_b32_e32 v15, 0xffff0000, v15
	v_and_b32_e32 v22, 0xffff0000, v39
	v_max_f32_e32 v15, v15, v15
	v_max_f32_e32 v22, v22, v22
	v_min_f32_e32 v23, v22, v15
	v_max_f32_e32 v15, v22, v15
	v_cndmask_b32_e32 v22, v15, v23, vcc
	v_and_b32_e32 v15, 0x7f800000, v22
	v_cmp_ne_u32_e64 s[24:25], s87, v15
                                        ; implicit-def: $vgpr15
	s_and_saveexec_b64 s[40:41], s[24:25]
	s_xor_b64 s[24:25], exec, s[40:41]
; %bb.1475:                             ;   in Loop: Header=BB33_1254 Depth=3
	v_bfe_u32 v15, v22, 16, 1
	v_add3_u32 v15, v22, v15, s96
                                        ; implicit-def: $vgpr22
; %bb.1476:                             ;   in Loop: Header=BB33_1254 Depth=3
	s_andn2_saveexec_b64 s[40:41], s[24:25]
; %bb.1477:                             ;   in Loop: Header=BB33_1254 Depth=3
	v_or_b32_e32 v15, 0x10000, v22
	v_cmp_eq_u32_sdwa s[24:25], v22, v3 src0_sel:WORD_0 src1_sel:DWORD
	s_nop 1
	v_cndmask_b32_e64 v15, v15, v22, s[24:25]
; %bb.1478:                             ;   in Loop: Header=BB33_1254 Depth=3
	s_or_b64 exec, exec, s[40:41]
	v_lshrrev_b32_e32 v16, 16, v16
	v_and_or_b32 v12, v12, s97, v16
	v_lshrrev_b32_e32 v16, 16, v18
	v_lshrrev_b32_e32 v17, 16, v17
	v_and_or_b32 v14, v14, s97, v16
	v_lshrrev_b32_e32 v16, 16, v19
	v_and_or_b32 v13, v13, s97, v17
	v_and_or_b32 v15, v15, s97, v16
	v_and_b32_e32 v22, 0xffff0000, v51
	global_store_dwordx4 v[20:21], v[12:15], off offset:-1024
	s_nop 1
	v_lshlrev_b32_e32 v12, 16, v8
	v_max_f32_e32 v13, v22, v22
	v_max_f32_e32 v12, v12, v12
	v_min_f32_e32 v14, v13, v12
	v_max_f32_e32 v12, v13, v12
	v_cndmask_b32_e32 v13, v12, v14, vcc
	v_and_b32_e32 v12, 0x7f800000, v13
	v_cmp_ne_u32_e64 s[24:25], s87, v12
                                        ; implicit-def: $vgpr12
	s_and_saveexec_b64 s[40:41], s[24:25]
	s_xor_b64 s[24:25], exec, s[40:41]
; %bb.1479:                             ;   in Loop: Header=BB33_1254 Depth=3
	v_bfe_u32 v12, v13, 16, 1
	v_add3_u32 v12, v13, v12, s96
                                        ; implicit-def: $vgpr13
; %bb.1480:                             ;   in Loop: Header=BB33_1254 Depth=3
	s_andn2_saveexec_b64 s[40:41], s[24:25]
; %bb.1481:                             ;   in Loop: Header=BB33_1254 Depth=3
	v_or_b32_e32 v12, 0x10000, v13
	v_cmp_eq_u32_sdwa s[24:25], v13, v3 src0_sel:WORD_0 src1_sel:DWORD
	s_nop 1
	v_cndmask_b32_e64 v12, v12, v13, s[24:25]
; %bb.1482:                             ;   in Loop: Header=BB33_1254 Depth=3
	s_or_b64 exec, exec, s[40:41]
	v_and_b32_e32 v8, 0xffff0000, v8
	v_and_b32_e32 v13, 0xffff0000, v24
	v_max_f32_e32 v8, v8, v8
	v_max_f32_e32 v13, v13, v13
	v_min_f32_e32 v14, v13, v8
	v_max_f32_e32 v8, v13, v8
	v_cndmask_b32_e32 v13, v8, v14, vcc
	v_and_b32_e32 v8, 0x7f800000, v13
	v_cmp_ne_u32_e64 s[24:25], s87, v8
                                        ; implicit-def: $vgpr8
	s_and_saveexec_b64 s[40:41], s[24:25]
	s_xor_b64 s[24:25], exec, s[40:41]
; %bb.1483:                             ;   in Loop: Header=BB33_1254 Depth=3
	v_bfe_u32 v8, v13, 16, 1
	v_add3_u32 v8, v13, v8, s96
                                        ; implicit-def: $vgpr13
; %bb.1484:                             ;   in Loop: Header=BB33_1254 Depth=3
	s_andn2_saveexec_b64 s[40:41], s[24:25]
; %bb.1485:                             ;   in Loop: Header=BB33_1254 Depth=3
	v_or_b32_e32 v8, 0x10000, v13
	v_cmp_eq_u32_sdwa s[24:25], v13, v3 src0_sel:WORD_0 src1_sel:DWORD
	s_nop 1
	v_cndmask_b32_e64 v8, v8, v13, s[24:25]
; %bb.1486:                             ;   in Loop: Header=BB33_1254 Depth=3
	s_or_b64 exec, exec, s[40:41]
	v_and_b32_e32 v13, 0xffff0000, v32
	v_lshlrev_b32_e32 v14, 16, v9
	v_max_f32_e32 v13, v13, v13
	v_max_f32_e32 v14, v14, v14
	v_min_f32_e32 v15, v13, v14
	v_max_f32_e32 v13, v13, v14
	v_cndmask_b32_e32 v14, v13, v15, vcc
	v_and_b32_e32 v13, 0x7f800000, v14
	v_cmp_ne_u32_e64 s[24:25], s87, v13
                                        ; implicit-def: $vgpr13
	s_and_saveexec_b64 s[40:41], s[24:25]
	s_xor_b64 s[24:25], exec, s[40:41]
; %bb.1487:                             ;   in Loop: Header=BB33_1254 Depth=3
	v_bfe_u32 v13, v14, 16, 1
	v_add3_u32 v13, v14, v13, s96
                                        ; implicit-def: $vgpr14
; %bb.1488:                             ;   in Loop: Header=BB33_1254 Depth=3
	s_andn2_saveexec_b64 s[40:41], s[24:25]
; %bb.1489:                             ;   in Loop: Header=BB33_1254 Depth=3
	v_or_b32_e32 v13, 0x10000, v14
	v_cmp_eq_u32_sdwa s[24:25], v14, v3 src0_sel:WORD_0 src1_sel:DWORD
	s_nop 1
	v_cndmask_b32_e64 v13, v13, v14, s[24:25]
; %bb.1490:                             ;   in Loop: Header=BB33_1254 Depth=3
	s_or_b64 exec, exec, s[40:41]
	v_and_b32_e32 v9, 0xffff0000, v9
	v_and_b32_e32 v14, 0xffff0000, v25
	v_max_f32_e32 v9, v9, v9
	v_max_f32_e32 v14, v14, v14
	v_min_f32_e32 v15, v14, v9
	v_max_f32_e32 v9, v14, v9
	v_cndmask_b32_e32 v14, v9, v15, vcc
	v_and_b32_e32 v9, 0x7f800000, v14
	v_cmp_ne_u32_e64 s[24:25], s87, v9
                                        ; implicit-def: $vgpr9
	s_and_saveexec_b64 s[40:41], s[24:25]
	s_xor_b64 s[24:25], exec, s[40:41]
; %bb.1491:                             ;   in Loop: Header=BB33_1254 Depth=3
	v_bfe_u32 v9, v14, 16, 1
	v_add3_u32 v9, v14, v9, s96
                                        ; implicit-def: $vgpr14
; %bb.1492:                             ;   in Loop: Header=BB33_1254 Depth=3
	s_andn2_saveexec_b64 s[40:41], s[24:25]
; %bb.1493:                             ;   in Loop: Header=BB33_1254 Depth=3
	v_or_b32_e32 v9, 0x10000, v14
	v_cmp_eq_u32_sdwa s[24:25], v14, v3 src0_sel:WORD_0 src1_sel:DWORD
	s_nop 1
	v_cndmask_b32_e64 v9, v9, v14, s[24:25]
; %bb.1494:                             ;   in Loop: Header=BB33_1254 Depth=3
	s_or_b64 exec, exec, s[40:41]
	v_and_b32_e32 v14, 0xffff0000, v33
	v_lshlrev_b32_e32 v15, 16, v10
	v_max_f32_e32 v14, v14, v14
	v_max_f32_e32 v15, v15, v15
	v_min_f32_e32 v16, v14, v15
	v_max_f32_e32 v14, v14, v15
	v_cndmask_b32_e32 v15, v14, v16, vcc
	v_and_b32_e32 v14, 0x7f800000, v15
	v_cmp_ne_u32_e64 s[24:25], s87, v14
                                        ; implicit-def: $vgpr14
	s_and_saveexec_b64 s[40:41], s[24:25]
	s_xor_b64 s[24:25], exec, s[40:41]
; %bb.1495:                             ;   in Loop: Header=BB33_1254 Depth=3
	v_bfe_u32 v14, v15, 16, 1
	v_add3_u32 v14, v15, v14, s96
                                        ; implicit-def: $vgpr15
; %bb.1496:                             ;   in Loop: Header=BB33_1254 Depth=3
	s_andn2_saveexec_b64 s[40:41], s[24:25]
; %bb.1497:                             ;   in Loop: Header=BB33_1254 Depth=3
	v_or_b32_e32 v14, 0x10000, v15
	v_cmp_eq_u32_sdwa s[24:25], v15, v3 src0_sel:WORD_0 src1_sel:DWORD
	s_nop 1
	v_cndmask_b32_e64 v14, v14, v15, s[24:25]
; %bb.1498:                             ;   in Loop: Header=BB33_1254 Depth=3
	s_or_b64 exec, exec, s[40:41]
	v_and_b32_e32 v10, 0xffff0000, v10
	v_and_b32_e32 v15, 0xffff0000, v26
	v_max_f32_e32 v10, v10, v10
	v_max_f32_e32 v15, v15, v15
	v_min_f32_e32 v16, v15, v10
	v_max_f32_e32 v10, v15, v10
	v_cndmask_b32_e32 v15, v10, v16, vcc
	v_and_b32_e32 v10, 0x7f800000, v15
	v_cmp_ne_u32_e64 s[24:25], s87, v10
                                        ; implicit-def: $vgpr10
	s_and_saveexec_b64 s[40:41], s[24:25]
	s_xor_b64 s[24:25], exec, s[40:41]
; %bb.1499:                             ;   in Loop: Header=BB33_1254 Depth=3
	v_bfe_u32 v10, v15, 16, 1
	v_add3_u32 v10, v15, v10, s96
                                        ; implicit-def: $vgpr15
; %bb.1500:                             ;   in Loop: Header=BB33_1254 Depth=3
	s_andn2_saveexec_b64 s[40:41], s[24:25]
; %bb.1501:                             ;   in Loop: Header=BB33_1254 Depth=3
	v_or_b32_e32 v10, 0x10000, v15
	v_cmp_eq_u32_sdwa s[24:25], v15, v3 src0_sel:WORD_0 src1_sel:DWORD
	s_nop 1
	v_cndmask_b32_e64 v10, v10, v15, s[24:25]
; %bb.1502:                             ;   in Loop: Header=BB33_1254 Depth=3
	s_or_b64 exec, exec, s[40:41]
	v_and_b32_e32 v15, 0xffff0000, v34
	v_lshlrev_b32_e32 v16, 16, v11
	v_max_f32_e32 v15, v15, v15
	v_max_f32_e32 v16, v16, v16
	v_min_f32_e32 v17, v15, v16
	v_max_f32_e32 v15, v15, v16
	v_cndmask_b32_e32 v16, v15, v17, vcc
	v_and_b32_e32 v15, 0x7f800000, v16
	v_cmp_ne_u32_e64 s[24:25], s87, v15
                                        ; implicit-def: $vgpr15
	s_and_saveexec_b64 s[40:41], s[24:25]
	s_xor_b64 s[24:25], exec, s[40:41]
; %bb.1503:                             ;   in Loop: Header=BB33_1254 Depth=3
	v_bfe_u32 v15, v16, 16, 1
	v_add3_u32 v15, v16, v15, s96
                                        ; implicit-def: $vgpr16
; %bb.1504:                             ;   in Loop: Header=BB33_1254 Depth=3
	s_andn2_saveexec_b64 s[40:41], s[24:25]
; %bb.1505:                             ;   in Loop: Header=BB33_1254 Depth=3
	v_or_b32_e32 v15, 0x10000, v16
	v_cmp_eq_u32_sdwa s[24:25], v16, v3 src0_sel:WORD_0 src1_sel:DWORD
	s_nop 1
	v_cndmask_b32_e64 v15, v15, v16, s[24:25]
; %bb.1506:                             ;   in Loop: Header=BB33_1254 Depth=3
	s_or_b64 exec, exec, s[40:41]
	v_and_b32_e32 v11, 0xffff0000, v11
	v_and_b32_e32 v16, 0xffff0000, v27
	v_max_f32_e32 v11, v11, v11
	v_max_f32_e32 v16, v16, v16
	v_min_f32_e32 v17, v16, v11
	v_max_f32_e32 v11, v16, v11
	v_cndmask_b32_e32 v16, v11, v17, vcc
	v_and_b32_e32 v11, 0x7f800000, v16
	v_cmp_ne_u32_e64 s[24:25], s87, v11
                                        ; implicit-def: $vgpr11
	s_and_saveexec_b64 s[40:41], s[24:25]
	s_xor_b64 s[24:25], exec, s[40:41]
; %bb.1507:                             ;   in Loop: Header=BB33_1254 Depth=3
	v_bfe_u32 v11, v16, 16, 1
	v_add3_u32 v11, v16, v11, s96
                                        ; implicit-def: $vgpr16
; %bb.1508:                             ;   in Loop: Header=BB33_1254 Depth=3
	s_andn2_saveexec_b64 s[40:41], s[24:25]
	s_cbranch_execz .LBB33_1253
; %bb.1509:                             ;   in Loop: Header=BB33_1254 Depth=3
	v_or_b32_e32 v11, 0x10000, v16
	v_cmp_eq_u32_sdwa s[24:25], v16, v3 src0_sel:WORD_0 src1_sel:DWORD
	s_nop 1
	v_cndmask_b32_e64 v11, v11, v16, s[24:25]
	s_branch .LBB33_1253
.LBB33_1510:                            ;   in Loop: Header=BB33_719 Depth=2
	s_or_b64 exec, exec, s[28:29]
	v_mov_b32_e32 v102, v118
	v_mov_b32_e32 v103, v119
	v_mov_b32_e32 v112, v59
	v_mov_b32_e32 v113, v62
.LBB33_1511:                            ;   in Loop: Header=BB33_719 Depth=2
	s_or_b64 exec, exec, s[26:27]
	v_lshlrev_b32_e32 v24, 12, v31
	v_cmp_ne_u32_e32 vcc, v2, v24
	s_mov_b64 s[24:25], 0
	v_mov_b32_e32 v14, 0
                                        ; implicit-def: $vgpr15
	s_and_saveexec_b64 s[28:29], vcc
	s_cbranch_execz .LBB33_1549
; %bb.1512:                             ;   in Loop: Header=BB33_719 Depth=2
	v_lshlrev_b32_e32 v0, 6, v0
	v_sub_u32_e32 v0, v110, v0
	v_sub_u32_e32 v5, v2, v24
	v_ashrrev_i32_e32 v4, 31, v0
	v_lshrrev_b32_e32 v4, 26, v4
	v_ashrrev_i32_e32 v9, 31, v5
	v_add_u32_e32 v4, v0, v4
	v_lshrrev_b32_e32 v9, 22, v9
	v_ashrrev_i32_e32 v8, 6, v4
	v_and_b32_e32 v4, 0xffffffc0, v4
	v_add_u32_e32 v9, v5, v9
	v_sub_u32_e32 v0, v0, v4
	v_and_b32_e32 v25, 0xfffffc00, v9
	v_lshlrev_b32_e32 v4, 4, v0
	v_sub_u32_e32 v26, v5, v25
	v_lshl_add_u32 v4, v8, 10, v4
	v_ashrrev_i32_e32 v10, 10, v9
	v_cmp_lt_i32_e32 vcc, 15, v26
	s_waitcnt lgkmcnt(0)
	v_sub_u32_e32 v28, v5, v4
	v_addc_co_u32_e64 v5, s[24:25], 0, v10, vcc
	v_sub_u32_e32 v27, v5, v8
	v_cmp_lt_i32_e64 s[24:25], 15, v28
	s_and_saveexec_b64 s[40:41], s[24:25]
	s_cbranch_execz .LBB33_1548
; %bb.1513:                             ;   in Loop: Header=BB33_719 Depth=2
	s_trap 2
	ds_read_b64 v[8:9], v0
	v_add_u32_e32 v4, v4, v24
	s_and_b32 s74, s62, 1
	v_ashrrev_i32_e32 v5, 31, v4
	s_cmp_eq_u64 s[74:75], 0
	v_lshl_add_u64 v[20:21], v[4:5], 0, v[100:101]
	s_waitcnt lgkmcnt(0)
	v_lshl_add_u64 v[22:23], v[8:9], 0, v[4:5]
	s_mov_b64 s[42:43], 0
	s_cselect_b64 s[24:25], -1, 0
	s_branch .LBB33_1515
.LBB33_1514:                            ;   in Loop: Header=BB33_1515 Depth=3
	s_or_b64 exec, exec, s[44:45]
	v_and_b32_e32 v19, 0xffff0000, v31
	v_and_b32_e32 v29, 0xffff0000, v29
	;; [unrolled: 1-line block ×4, first 2 shown]
	v_lshlrev_b32_e32 v8, 16, v8
	v_max_f32_e32 v29, v29, v29
	v_max_f32_e32 v8, v8, v8
	v_min_f32_e32 v33, v29, v8
	v_max_f32_e32 v8, v29, v8
	v_and_b32_e32 v16, 0xffff0000, v16
	v_cndmask_b32_e64 v8, v8, v33, s[24:25]
	v_bfe_u32 v33, v8, 16, 1
	v_or_b32_e32 v34, 0x10000, v8
	v_cmp_eq_u32_sdwa s[26:27], v8, v3 src0_sel:WORD_0 src1_sel:DWORD
	v_max_f32_e32 v16, v16, v16
	v_max_f32_e32 v32, v32, v32
	v_and_b32_e32 v29, 0x7f800000, v8
	v_add3_u32 v33, v8, v33, s96
	v_cndmask_b32_e64 v8, v34, v8, s[26:27]
	v_min_f32_e32 v34, v16, v32
	v_max_f32_e32 v16, v16, v32
	v_cndmask_b32_e64 v16, v16, v34, s[24:25]
	v_bfe_u32 v34, v16, 16, 1
	v_or_b32_e32 v35, 0x10000, v16
	v_cmp_eq_u32_sdwa s[26:27], v16, v3 src0_sel:WORD_0 src1_sel:DWORD
	v_and_b32_e32 v32, 0x7f800000, v16
	v_add3_u32 v34, v16, v34, s96
	v_cndmask_b32_e64 v16, v35, v16, s[26:27]
	v_and_b32_e32 v35, 0xffff0000, v9
	v_lshlrev_b32_e32 v9, 16, v9
	v_max_f32_e32 v19, v19, v19
	v_max_f32_e32 v9, v9, v9
	v_min_f32_e32 v36, v19, v9
	v_max_f32_e32 v9, v19, v9
	v_and_b32_e32 v17, 0xffff0000, v17
	v_cndmask_b32_e64 v9, v9, v36, s[24:25]
	v_bfe_u32 v36, v9, 16, 1
	v_or_b32_e32 v37, 0x10000, v9
	v_cmp_eq_u32_sdwa s[26:27], v9, v3 src0_sel:WORD_0 src1_sel:DWORD
	v_max_f32_e32 v17, v17, v17
	v_max_f32_e32 v35, v35, v35
	v_and_b32_e32 v19, 0x7f800000, v9
	v_add3_u32 v36, v9, v36, s96
	v_cndmask_b32_e64 v9, v37, v9, s[26:27]
	v_min_f32_e32 v37, v17, v35
	v_max_f32_e32 v17, v17, v35
	v_cndmask_b32_e64 v17, v17, v37, s[24:25]
	v_bfe_u32 v37, v17, 16, 1
	v_or_b32_e32 v38, 0x10000, v17
	v_cmp_eq_u32_sdwa s[26:27], v17, v3 src0_sel:WORD_0 src1_sel:DWORD
	v_and_b32_e32 v35, 0x7f800000, v17
	v_add3_u32 v37, v17, v37, s96
	v_cndmask_b32_e64 v17, v38, v17, s[26:27]
	v_and_b32_e32 v38, 0xffff0000, v10
	v_lshlrev_b32_e32 v10, 16, v10
	v_max_f32_e32 v31, v31, v31
	v_max_f32_e32 v10, v10, v10
	v_min_f32_e32 v39, v31, v10
	v_max_f32_e32 v10, v31, v10
	v_and_b32_e32 v14, 0xffff0000, v14
	v_cndmask_b32_e64 v10, v10, v39, s[24:25]
	v_bfe_u32 v39, v10, 16, 1
	v_or_b32_e32 v48, 0x10000, v10
	v_cmp_eq_u32_sdwa s[26:27], v10, v3 src0_sel:WORD_0 src1_sel:DWORD
	v_max_f32_e32 v14, v14, v14
	v_max_f32_e32 v38, v38, v38
	v_and_b32_e32 v31, 0x7f800000, v10
	v_add3_u32 v39, v10, v39, s96
	v_cndmask_b32_e64 v10, v48, v10, s[26:27]
	v_min_f32_e32 v48, v14, v38
	v_max_f32_e32 v14, v14, v38
	v_cndmask_b32_e64 v14, v14, v48, s[24:25]
	v_bfe_u32 v48, v14, 16, 1
	v_or_b32_e32 v49, 0x10000, v14
	v_cmp_eq_u32_sdwa s[26:27], v14, v3 src0_sel:WORD_0 src1_sel:DWORD
	v_and_b32_e32 v18, 0xffff0000, v18
	v_and_b32_e32 v38, 0x7f800000, v14
	v_add3_u32 v48, v14, v48, s96
	v_cndmask_b32_e64 v14, v49, v14, s[26:27]
	v_and_b32_e32 v49, 0xffff0000, v11
	v_lshlrev_b32_e32 v11, 16, v11
	v_max_f32_e32 v18, v18, v18
	v_max_f32_e32 v11, v11, v11
	v_min_f32_e32 v50, v18, v11
	v_max_f32_e32 v11, v18, v11
	v_and_b32_e32 v15, 0xffff0000, v15
	v_cndmask_b32_e64 v11, v11, v50, s[24:25]
	v_bfe_u32 v50, v11, 16, 1
	v_or_b32_e32 v51, 0x10000, v11
	v_cmp_eq_u32_sdwa s[26:27], v11, v3 src0_sel:WORD_0 src1_sel:DWORD
	v_max_f32_e32 v15, v15, v15
	v_max_f32_e32 v49, v49, v49
	v_and_b32_e32 v18, 0x7f800000, v11
	v_add3_u32 v50, v11, v50, s96
	v_cndmask_b32_e64 v11, v51, v11, s[26:27]
	v_min_f32_e32 v51, v15, v49
	v_max_f32_e32 v15, v15, v49
	v_cndmask_b32_e64 v15, v15, v51, s[24:25]
	v_bfe_u32 v51, v15, 16, 1
	v_or_b32_e32 v52, 0x10000, v15
	v_cmp_eq_u32_sdwa s[26:27], v15, v3 src0_sel:WORD_0 src1_sel:DWORD
	v_and_b32_e32 v49, 0x7f800000, v15
	v_add3_u32 v51, v15, v51, s96
	v_cndmask_b32_e64 v15, v52, v15, s[26:27]
	v_cmp_eq_u32_e64 s[26:27], s87, v29
	v_sub_u32_e32 v28, v28, v76
	v_lshl_add_u64 v[12:13], v[98:99], 0, v[4:5]
	v_cndmask_b32_e64 v8, v33, v8, s[26:27]
	v_cmp_eq_u32_e64 s[26:27], s87, v32
	v_lshrrev_b32_e32 v8, 16, v8
	v_lshl_add_u64 v[20:21], v[20:21], 0, v[76:77]
	v_cndmask_b32_e64 v16, v34, v16, s[26:27]
	v_cmp_eq_u32_e64 s[26:27], s87, v19
	v_and_or_b32 v8, v16, s97, v8
	v_lshl_add_u64 v[22:23], v[22:23], 0, v[76:77]
	v_cndmask_b32_e64 v9, v36, v9, s[26:27]
	v_cmp_eq_u32_e64 s[26:27], s87, v35
	v_lshrrev_b32_e32 v9, 16, v9
	v_lshl_add_u64 v[4:5], v[4:5], 0, v[76:77]
	v_cndmask_b32_e64 v17, v37, v17, s[26:27]
	v_cmp_eq_u32_e64 s[26:27], s87, v31
	v_and_or_b32 v9, v17, s97, v9
	v_sub_u32_e32 v27, v27, v60
	v_cndmask_b32_e64 v10, v39, v10, s[26:27]
	v_cmp_eq_u32_e64 s[26:27], s87, v38
	v_lshrrev_b32_e32 v10, 16, v10
	s_nop 0
	v_cndmask_b32_e64 v14, v48, v14, s[26:27]
	v_cmp_eq_u32_e64 s[26:27], s87, v18
	v_and_or_b32 v10, v14, s97, v10
	s_nop 0
	v_cndmask_b32_e64 v11, v50, v11, s[26:27]
	v_cmp_eq_u32_e64 s[26:27], s87, v49
	v_lshrrev_b32_e32 v11, 16, v11
	s_nop 0
	v_cndmask_b32_e64 v15, v51, v15, s[26:27]
	v_cmp_gt_i32_e64 s[26:27], 16, v28
	v_and_or_b32 v11, v15, s97, v11
	s_or_b64 s[42:43], s[26:27], s[42:43]
	global_store_dwordx4 v[12:13], v[8:11], off
	s_andn2_b64 exec, exec, s[42:43]
	s_cbranch_execz .LBB33_1547
.LBB33_1515:                            ;   Parent Loop BB33_47 Depth=1
                                        ;     Parent Loop BB33_719 Depth=2
                                        ; =>    This Inner Loop Header: Depth=3
	global_load_dwordx4 v[12:15], v[22:23], off nt
	global_load_dwordx4 v[16:19], v[20:21], off nt
	;; [unrolled: 1-line block ×3, first 2 shown]
	s_waitcnt vmcnt(0)
	v_lshlrev_b32_e32 v29, 16, v12
	v_lshlrev_b32_e32 v31, 16, v16
	v_max_f32_e32 v29, v29, v29
	v_max_f32_e32 v31, v31, v31
	v_min_f32_e32 v32, v31, v29
	v_max_f32_e32 v29, v31, v29
	v_cndmask_b32_e64 v31, v29, v32, s[24:25]
	v_and_b32_e32 v29, 0x7f800000, v31
	v_cmp_ne_u32_e64 s[26:27], s87, v29
                                        ; implicit-def: $vgpr29
	s_and_saveexec_b64 s[44:45], s[26:27]
	s_xor_b64 s[26:27], exec, s[44:45]
; %bb.1516:                             ;   in Loop: Header=BB33_1515 Depth=3
	v_bfe_u32 v29, v31, 16, 1
	v_add3_u32 v29, v31, v29, s96
                                        ; implicit-def: $vgpr31
; %bb.1517:                             ;   in Loop: Header=BB33_1515 Depth=3
	s_andn2_saveexec_b64 s[44:45], s[26:27]
; %bb.1518:                             ;   in Loop: Header=BB33_1515 Depth=3
	v_or_b32_e32 v29, 0x10000, v31
	v_cmp_eq_u32_sdwa s[26:27], v31, v3 src0_sel:WORD_0 src1_sel:DWORD
	s_nop 1
	v_cndmask_b32_e64 v29, v29, v31, s[26:27]
; %bb.1519:                             ;   in Loop: Header=BB33_1515 Depth=3
	s_or_b64 exec, exec, s[44:45]
	v_and_b32_e32 v12, 0xffff0000, v12
	v_and_b32_e32 v16, 0xffff0000, v16
	v_max_f32_e32 v12, v12, v12
	v_max_f32_e32 v16, v16, v16
	v_min_f32_e32 v31, v16, v12
	v_max_f32_e32 v12, v16, v12
	v_cndmask_b32_e64 v12, v12, v31, s[24:25]
	v_and_b32_e32 v16, 0x7f800000, v12
	v_cmp_ne_u32_e64 s[26:27], s87, v16
                                        ; implicit-def: $vgpr16
	s_and_saveexec_b64 s[44:45], s[26:27]
	s_xor_b64 s[26:27], exec, s[44:45]
; %bb.1520:                             ;   in Loop: Header=BB33_1515 Depth=3
	v_bfe_u32 v16, v12, 16, 1
	v_add3_u32 v16, v12, v16, s96
                                        ; implicit-def: $vgpr12
; %bb.1521:                             ;   in Loop: Header=BB33_1515 Depth=3
	s_andn2_saveexec_b64 s[44:45], s[26:27]
; %bb.1522:                             ;   in Loop: Header=BB33_1515 Depth=3
	v_or_b32_e32 v16, 0x10000, v12
	v_cmp_eq_u32_sdwa s[26:27], v12, v3 src0_sel:WORD_0 src1_sel:DWORD
	s_nop 1
	v_cndmask_b32_e64 v16, v16, v12, s[26:27]
; %bb.1523:                             ;   in Loop: Header=BB33_1515 Depth=3
	s_or_b64 exec, exec, s[44:45]
	v_lshlrev_b32_e32 v12, 16, v13
	v_lshlrev_b32_e32 v31, 16, v17
	v_max_f32_e32 v12, v12, v12
	v_max_f32_e32 v31, v31, v31
	v_min_f32_e32 v32, v31, v12
	v_max_f32_e32 v12, v31, v12
	v_cndmask_b32_e64 v12, v12, v32, s[24:25]
	v_and_b32_e32 v31, 0x7f800000, v12
	v_cmp_ne_u32_e64 s[26:27], s87, v31
                                        ; implicit-def: $vgpr31
	s_and_saveexec_b64 s[44:45], s[26:27]
	s_xor_b64 s[26:27], exec, s[44:45]
; %bb.1524:                             ;   in Loop: Header=BB33_1515 Depth=3
	v_bfe_u32 v31, v12, 16, 1
	v_add3_u32 v31, v12, v31, s96
                                        ; implicit-def: $vgpr12
; %bb.1525:                             ;   in Loop: Header=BB33_1515 Depth=3
	s_andn2_saveexec_b64 s[44:45], s[26:27]
; %bb.1526:                             ;   in Loop: Header=BB33_1515 Depth=3
	v_or_b32_e32 v31, 0x10000, v12
	v_cmp_eq_u32_sdwa s[26:27], v12, v3 src0_sel:WORD_0 src1_sel:DWORD
	s_nop 1
	v_cndmask_b32_e64 v31, v31, v12, s[26:27]
; %bb.1527:                             ;   in Loop: Header=BB33_1515 Depth=3
	s_or_b64 exec, exec, s[44:45]
	v_and_b32_e32 v12, 0xffff0000, v17
	v_and_b32_e32 v13, 0xffff0000, v13
	v_max_f32_e32 v13, v13, v13
	v_max_f32_e32 v12, v12, v12
	v_min_f32_e32 v17, v12, v13
	v_max_f32_e32 v12, v12, v13
	v_cndmask_b32_e64 v12, v12, v17, s[24:25]
	v_and_b32_e32 v13, 0x7f800000, v12
	v_cmp_ne_u32_e64 s[26:27], s87, v13
                                        ; implicit-def: $vgpr17
	s_and_saveexec_b64 s[44:45], s[26:27]
	s_xor_b64 s[26:27], exec, s[44:45]
; %bb.1528:                             ;   in Loop: Header=BB33_1515 Depth=3
	v_bfe_u32 v13, v12, 16, 1
	v_add3_u32 v17, v12, v13, s96
                                        ; implicit-def: $vgpr12
; %bb.1529:                             ;   in Loop: Header=BB33_1515 Depth=3
	s_andn2_saveexec_b64 s[44:45], s[26:27]
; %bb.1530:                             ;   in Loop: Header=BB33_1515 Depth=3
	v_or_b32_e32 v13, 0x10000, v12
	v_cmp_eq_u32_sdwa s[26:27], v12, v3 src0_sel:WORD_0 src1_sel:DWORD
	s_nop 1
	v_cndmask_b32_e64 v17, v13, v12, s[26:27]
; %bb.1531:                             ;   in Loop: Header=BB33_1515 Depth=3
	s_or_b64 exec, exec, s[44:45]
	v_lshlrev_b32_e32 v12, 16, v14
	v_lshlrev_b32_e32 v13, 16, v18
	v_max_f32_e32 v12, v12, v12
	v_max_f32_e32 v13, v13, v13
	v_min_f32_e32 v32, v13, v12
	v_max_f32_e32 v12, v13, v12
	v_cndmask_b32_e64 v12, v12, v32, s[24:25]
	v_and_b32_e32 v13, 0x7f800000, v12
	v_cmp_ne_u32_e64 s[26:27], s87, v13
                                        ; implicit-def: $vgpr32
	s_and_saveexec_b64 s[44:45], s[26:27]
	s_xor_b64 s[26:27], exec, s[44:45]
; %bb.1532:                             ;   in Loop: Header=BB33_1515 Depth=3
	v_bfe_u32 v13, v12, 16, 1
	v_add3_u32 v32, v12, v13, s96
                                        ; implicit-def: $vgpr12
; %bb.1533:                             ;   in Loop: Header=BB33_1515 Depth=3
	s_andn2_saveexec_b64 s[44:45], s[26:27]
; %bb.1534:                             ;   in Loop: Header=BB33_1515 Depth=3
	v_or_b32_e32 v13, 0x10000, v12
	v_cmp_eq_u32_sdwa s[26:27], v12, v3 src0_sel:WORD_0 src1_sel:DWORD
	s_nop 1
	v_cndmask_b32_e64 v32, v13, v12, s[26:27]
; %bb.1535:                             ;   in Loop: Header=BB33_1515 Depth=3
	s_or_b64 exec, exec, s[44:45]
	v_and_b32_e32 v12, 0xffff0000, v18
	v_and_b32_e32 v13, 0xffff0000, v14
	v_max_f32_e32 v13, v13, v13
	v_max_f32_e32 v12, v12, v12
	v_min_f32_e32 v14, v12, v13
	v_max_f32_e32 v12, v12, v13
	v_cndmask_b32_e64 v12, v12, v14, s[24:25]
	v_and_b32_e32 v13, 0x7f800000, v12
	v_cmp_ne_u32_e64 s[26:27], s87, v13
                                        ; implicit-def: $vgpr14
	s_and_saveexec_b64 s[44:45], s[26:27]
	s_xor_b64 s[26:27], exec, s[44:45]
; %bb.1536:                             ;   in Loop: Header=BB33_1515 Depth=3
	v_bfe_u32 v13, v12, 16, 1
	v_add3_u32 v14, v12, v13, s96
                                        ; implicit-def: $vgpr12
; %bb.1537:                             ;   in Loop: Header=BB33_1515 Depth=3
	s_andn2_saveexec_b64 s[44:45], s[26:27]
; %bb.1538:                             ;   in Loop: Header=BB33_1515 Depth=3
	v_or_b32_e32 v13, 0x10000, v12
	v_cmp_eq_u32_sdwa s[26:27], v12, v3 src0_sel:WORD_0 src1_sel:DWORD
	s_nop 1
	v_cndmask_b32_e64 v14, v13, v12, s[26:27]
; %bb.1539:                             ;   in Loop: Header=BB33_1515 Depth=3
	s_or_b64 exec, exec, s[44:45]
	v_lshlrev_b32_e32 v12, 16, v15
	v_lshlrev_b32_e32 v13, 16, v19
	v_max_f32_e32 v12, v12, v12
	v_max_f32_e32 v13, v13, v13
	v_min_f32_e32 v18, v13, v12
	v_max_f32_e32 v12, v13, v12
	v_cndmask_b32_e64 v12, v12, v18, s[24:25]
	v_and_b32_e32 v13, 0x7f800000, v12
	v_cmp_ne_u32_e64 s[26:27], s87, v13
                                        ; implicit-def: $vgpr18
	s_and_saveexec_b64 s[44:45], s[26:27]
	s_xor_b64 s[26:27], exec, s[44:45]
; %bb.1540:                             ;   in Loop: Header=BB33_1515 Depth=3
	v_bfe_u32 v13, v12, 16, 1
	v_add3_u32 v18, v12, v13, s96
                                        ; implicit-def: $vgpr12
; %bb.1541:                             ;   in Loop: Header=BB33_1515 Depth=3
	s_andn2_saveexec_b64 s[44:45], s[26:27]
; %bb.1542:                             ;   in Loop: Header=BB33_1515 Depth=3
	v_or_b32_e32 v13, 0x10000, v12
	v_cmp_eq_u32_sdwa s[26:27], v12, v3 src0_sel:WORD_0 src1_sel:DWORD
	s_nop 1
	v_cndmask_b32_e64 v18, v13, v12, s[26:27]
; %bb.1543:                             ;   in Loop: Header=BB33_1515 Depth=3
	s_or_b64 exec, exec, s[44:45]
	v_and_b32_e32 v12, 0xffff0000, v19
	v_and_b32_e32 v13, 0xffff0000, v15
	v_max_f32_e32 v13, v13, v13
	v_max_f32_e32 v12, v12, v12
	v_min_f32_e32 v15, v12, v13
	v_max_f32_e32 v12, v12, v13
	v_cndmask_b32_e64 v12, v12, v15, s[24:25]
	v_and_b32_e32 v13, 0x7f800000, v12
	v_cmp_ne_u32_e64 s[26:27], s87, v13
                                        ; implicit-def: $vgpr15
	s_and_saveexec_b64 s[44:45], s[26:27]
	s_xor_b64 s[26:27], exec, s[44:45]
; %bb.1544:                             ;   in Loop: Header=BB33_1515 Depth=3
	v_bfe_u32 v13, v12, 16, 1
	v_add3_u32 v15, v12, v13, s96
                                        ; implicit-def: $vgpr12
; %bb.1545:                             ;   in Loop: Header=BB33_1515 Depth=3
	s_andn2_saveexec_b64 s[44:45], s[26:27]
	s_cbranch_execz .LBB33_1514
; %bb.1546:                             ;   in Loop: Header=BB33_1515 Depth=3
	v_or_b32_e32 v13, 0x10000, v12
	v_cmp_eq_u32_sdwa s[26:27], v12, v3 src0_sel:WORD_0 src1_sel:DWORD
	s_nop 1
	v_cndmask_b32_e64 v15, v13, v12, s[26:27]
	s_branch .LBB33_1514
.LBB33_1547:                            ;   in Loop: Header=BB33_719 Depth=2
	s_or_b64 exec, exec, s[42:43]
.LBB33_1548:                            ;   in Loop: Header=BB33_719 Depth=2
	s_or_b64 exec, exec, s[40:41]
	v_and_b32_e32 v2, 14, v2
	v_sub_u32_e32 v4, v26, v2
	v_cndmask_b32_e32 v4, 0, v4, vcc
	v_cndmask_b32_e32 v2, v26, v2, vcc
	v_cmp_lt_i32_e32 vcc, 0, v27
	v_add3_u32 v14, v25, v24, v4
	s_nop 0
	v_cndmask_b32_e32 v4, 0, v60, vcc
	v_sub_u32_e32 v4, v4, v27
	v_cmp_ne_u32_e32 vcc, 0, v2
	v_lshl_add_u32 v15, v4, 6, v0
	s_and_b64 s[24:25], vcc, exec
.LBB33_1549:                            ;   in Loop: Header=BB33_719 Depth=2
	s_or_b64 exec, exec, s[28:29]
	s_and_saveexec_b64 s[26:27], s[24:25]
	s_cbranch_execz .LBB33_1690
.LBB33_1550:                            ;   in Loop: Header=BB33_719 Depth=2
	v_ashrrev_i32_e32 v0, 31, v15
	v_ashrrev_i32_e32 v5, 31, v2
	v_lshrrev_b32_e32 v0, 26, v0
	v_lshrrev_b32_e32 v5, 21, v5
	v_add_u32_e32 v4, v15, v0
	v_add_u32_e32 v5, v2, v5
	v_ashrrev_i32_e32 v0, 6, v4
	v_ashrrev_i32_e32 v17, 11, v5
	v_sub_u32_e32 v16, v17, v0
	v_cmp_lt_i32_e32 vcc, 0, v16
	s_and_saveexec_b64 s[28:29], vcc
	s_cbranch_execz .LBB33_1682
; %bb.1551:                             ;   in Loop: Header=BB33_719 Depth=2
	v_and_b32_e32 v4, 0x7fffffc0, v4
	s_trap 2
	ds_read_b64 v[8:9], v0
	v_sub_u32_e32 v4, v15, v4
	v_lshlrev_b32_e32 v4, 1, v4
	v_lshlrev_b32_e32 v5, 11, v0
	v_add3_u32 v10, v4, v14, v5
	s_and_b32 s74, s62, 1
	v_ashrrev_i32_e32 v11, 31, v10
	s_cmp_eq_u64 s[74:75], 0
	v_mov_b32_e32 v59, 0x88
	v_mov_b32_e32 v119, 0xd0
	;; [unrolled: 1-line block ×4, first 2 shown]
	v_lshl_add_u64 v[4:5], v[10:11], 0, v[100:101]
	s_waitcnt lgkmcnt(0)
	v_lshl_add_u64 v[8:9], v[8:9], 0, v[10:11]
	s_mov_b64 s[40:41], 0
	s_cselect_b64 s[24:25], -1, 0
	v_lshl_add_u64 v[10:11], v[10:11], 0, s[36:37]
	s_branch .LBB33_1553
.LBB33_1552:                            ;   in Loop: Header=BB33_1553 Depth=3
	s_or_b64 exec, exec, s[42:43]
	v_sub_u32_e32 v16, v16, v60
	v_cmp_gt_i32_e32 vcc, 1, v16
	v_lshl_add_u64 v[4:5], v[4:5], 0, v[78:79]
	v_lshl_add_u64 v[8:9], v[8:9], 0, v[78:79]
	s_or_b64 s[40:41], vcc, s[40:41]
	v_lshl_add_u64 v[10:11], v[10:11], 0, v[78:79]
	flat_store_short_d16_hi v[12:13], v19 nt
	s_andn2_b64 exec, exec, s[40:41]
	s_cbranch_execz .LBB33_1681
.LBB33_1553:                            ;   Parent Loop BB33_47 Depth=1
                                        ;     Parent Loop BB33_719 Depth=2
                                        ; =>    This Inner Loop Header: Depth=3
	v_add_co_u32_e32 v12, vcc, 0xfffff880, v10
	s_nop 1
	v_addc_co_u32_e32 v13, vcc, -1, v11, vcc
	v_add_co_u32_e32 v18, vcc, 0xfffff900, v10
	flat_load_ushort v12, v[12:13] nt
	s_nop 0
	v_addc_co_u32_e32 v19, vcc, -1, v11, vcc
	flat_load_ushort v33, v[18:19] nt
	v_add_co_u32_e32 v18, vcc, 0xfffff980, v10
	s_nop 1
	v_addc_co_u32_e32 v19, vcc, -1, v11, vcc
	flat_load_ushort v32, v[18:19] nt
	v_add_co_u32_e32 v18, vcc, 0xfffffa00, v10
	;; [unrolled: 4-line block ×13, first 2 shown]
	s_nop 1
	v_addc_co_u32_e32 v19, vcc, -1, v11, vcc
	flat_load_ushort v19, v[18:19] nt
	s_nop 0
	flat_load_ushort v48, v[4:5] offset:1024 nt
	flat_load_ushort v39, v[4:5] offset:1152 nt
	;; [unrolled: 1-line block ×8, first 2 shown]
	flat_load_ushort v18, v[10:11] nt
	flat_load_ushort v65, v[4:5] offset:128 nt
	flat_load_ushort v55, v[4:5] offset:256 nt
	flat_load_ushort v54, v[4:5] offset:384 nt
	flat_load_ushort v53, v[4:5] offset:512 nt
	flat_load_ushort v52, v[4:5] offset:640 nt
	flat_load_ushort v51, v[4:5] offset:768 nt
	flat_load_ushort v50, v[4:5] offset:896 nt
	flat_load_ushort v64, v[4:5] nt
	flat_load_ushort v112, v[8:9] offset:128 nt
	flat_load_ushort v103, v[8:9] offset:256 nt
	flat_load_ushort v102, v[8:9] offset:384 nt
	flat_load_ushort v87, v[8:9] offset:512 nt
	flat_load_ushort v83, v[8:9] offset:640 nt
	flat_load_ushort v82, v[8:9] offset:768 nt
	flat_load_ushort v81, v[8:9] offset:896 nt
	;; [unrolled: 8-line block ×3, first 2 shown]
	flat_load_ushort v66, v[8:9] offset:1920 nt
	s_waitcnt vmcnt(0) lgkmcnt(0)
	v_lshlrev_b32_e32 v64, 16, v64
	v_max_f32_e32 v64, v64, v64
	v_lshlrev_b32_e32 v113, 16, v113
	v_max_f32_e32 v113, v113, v113
	v_min_f32_e32 v114, v64, v113
	v_max_f32_e32 v64, v64, v113
	v_cndmask_b32_e64 v113, v64, v114, s[24:25]
	v_and_b32_e32 v64, 0x7f800000, v113
	v_cmp_ne_u32_e32 vcc, s87, v64
                                        ; implicit-def: $vgpr64
	s_and_saveexec_b64 s[42:43], vcc
	s_xor_b64 s[42:43], exec, s[42:43]
; %bb.1554:                             ;   in Loop: Header=BB33_1553 Depth=3
	v_bfe_u32 v64, v113, 16, 1
	v_add3_u32 v64, v113, v64, s96
                                        ; implicit-def: $vgpr113
; %bb.1555:                             ;   in Loop: Header=BB33_1553 Depth=3
	s_andn2_saveexec_b64 s[42:43], s[42:43]
; %bb.1556:                             ;   in Loop: Header=BB33_1553 Depth=3
	v_or_b32_e32 v64, 0x10000, v113
	v_cmp_eq_u32_sdwa vcc, v113, v3 src0_sel:WORD_0 src1_sel:DWORD
	s_nop 1
	v_cndmask_b32_e32 v64, v64, v113, vcc
; %bb.1557:                             ;   in Loop: Header=BB33_1553 Depth=3
	s_or_b64 exec, exec, s[42:43]
	v_lshlrev_b32_e32 v65, 16, v65
	v_lshlrev_b32_e32 v112, 16, v112
	v_max_f32_e32 v112, v112, v112
	v_max_f32_e32 v65, v65, v65
	v_min_f32_e32 v113, v65, v112
	v_max_f32_e32 v65, v65, v112
	v_cndmask_b32_e64 v112, v65, v113, s[24:25]
	v_and_b32_e32 v65, 0x7f800000, v112
	v_cmp_ne_u32_e32 vcc, s87, v65
                                        ; implicit-def: $vgpr65
	s_and_saveexec_b64 s[42:43], vcc
	s_xor_b64 s[42:43], exec, s[42:43]
; %bb.1558:                             ;   in Loop: Header=BB33_1553 Depth=3
	v_bfe_u32 v65, v112, 16, 1
	v_add3_u32 v65, v112, v65, s96
                                        ; implicit-def: $vgpr112
; %bb.1559:                             ;   in Loop: Header=BB33_1553 Depth=3
	s_andn2_saveexec_b64 s[42:43], s[42:43]
; %bb.1560:                             ;   in Loop: Header=BB33_1553 Depth=3
	v_or_b32_e32 v65, 0x10000, v112
	v_cmp_eq_u32_sdwa vcc, v112, v3 src0_sel:WORD_0 src1_sel:DWORD
	s_nop 1
	v_cndmask_b32_e32 v65, v65, v112, vcc
; %bb.1561:                             ;   in Loop: Header=BB33_1553 Depth=3
	s_or_b64 exec, exec, s[42:43]
	v_lshlrev_b32_e32 v55, 16, v55
	v_lshlrev_b32_e32 v103, 16, v103
	v_max_f32_e32 v103, v103, v103
	v_max_f32_e32 v55, v55, v55
	v_min_f32_e32 v112, v55, v103
	v_max_f32_e32 v55, v55, v103
	v_cndmask_b32_e64 v103, v55, v112, s[24:25]
	v_and_b32_e32 v55, 0x7f800000, v103
	v_cmp_ne_u32_e32 vcc, s87, v55
                                        ; implicit-def: $vgpr55
	s_and_saveexec_b64 s[42:43], vcc
	s_xor_b64 s[42:43], exec, s[42:43]
; %bb.1562:                             ;   in Loop: Header=BB33_1553 Depth=3
	v_bfe_u32 v55, v103, 16, 1
	v_add3_u32 v55, v103, v55, s96
                                        ; implicit-def: $vgpr103
; %bb.1563:                             ;   in Loop: Header=BB33_1553 Depth=3
	s_andn2_saveexec_b64 s[42:43], s[42:43]
; %bb.1564:                             ;   in Loop: Header=BB33_1553 Depth=3
	v_or_b32_e32 v55, 0x10000, v103
	v_cmp_eq_u32_sdwa vcc, v103, v3 src0_sel:WORD_0 src1_sel:DWORD
	s_nop 1
	v_cndmask_b32_e32 v55, v55, v103, vcc
; %bb.1565:                             ;   in Loop: Header=BB33_1553 Depth=3
	s_or_b64 exec, exec, s[42:43]
	v_lshlrev_b32_e32 v54, 16, v54
	v_lshlrev_b32_e32 v102, 16, v102
	v_max_f32_e32 v102, v102, v102
	v_max_f32_e32 v54, v54, v54
	v_min_f32_e32 v103, v54, v102
	v_max_f32_e32 v54, v54, v102
	v_cndmask_b32_e64 v102, v54, v103, s[24:25]
	v_and_b32_e32 v54, 0x7f800000, v102
	v_cmp_ne_u32_e32 vcc, s87, v54
                                        ; implicit-def: $vgpr54
	s_and_saveexec_b64 s[42:43], vcc
	s_xor_b64 s[42:43], exec, s[42:43]
; %bb.1566:                             ;   in Loop: Header=BB33_1553 Depth=3
	v_bfe_u32 v54, v102, 16, 1
	v_add3_u32 v54, v102, v54, s96
                                        ; implicit-def: $vgpr102
; %bb.1567:                             ;   in Loop: Header=BB33_1553 Depth=3
	s_andn2_saveexec_b64 s[42:43], s[42:43]
; %bb.1568:                             ;   in Loop: Header=BB33_1553 Depth=3
	v_or_b32_e32 v54, 0x10000, v102
	v_cmp_eq_u32_sdwa vcc, v102, v3 src0_sel:WORD_0 src1_sel:DWORD
	s_nop 1
	v_cndmask_b32_e32 v54, v54, v102, vcc
; %bb.1569:                             ;   in Loop: Header=BB33_1553 Depth=3
	s_or_b64 exec, exec, s[42:43]
	v_lshlrev_b32_e32 v53, 16, v53
	v_lshlrev_b32_e32 v87, 16, v87
	v_max_f32_e32 v87, v87, v87
	v_max_f32_e32 v53, v53, v53
	v_min_f32_e32 v102, v53, v87
	v_max_f32_e32 v53, v53, v87
	v_cndmask_b32_e64 v87, v53, v102, s[24:25]
	v_and_b32_e32 v53, 0x7f800000, v87
	v_cmp_ne_u32_e32 vcc, s87, v53
                                        ; implicit-def: $vgpr53
	s_and_saveexec_b64 s[42:43], vcc
	s_xor_b64 s[42:43], exec, s[42:43]
; %bb.1570:                             ;   in Loop: Header=BB33_1553 Depth=3
	v_bfe_u32 v53, v87, 16, 1
	v_add3_u32 v53, v87, v53, s96
                                        ; implicit-def: $vgpr87
; %bb.1571:                             ;   in Loop: Header=BB33_1553 Depth=3
	s_andn2_saveexec_b64 s[42:43], s[42:43]
; %bb.1572:                             ;   in Loop: Header=BB33_1553 Depth=3
	v_or_b32_e32 v53, 0x10000, v87
	v_cmp_eq_u32_sdwa vcc, v87, v3 src0_sel:WORD_0 src1_sel:DWORD
	s_nop 1
	v_cndmask_b32_e32 v53, v53, v87, vcc
; %bb.1573:                             ;   in Loop: Header=BB33_1553 Depth=3
	s_or_b64 exec, exec, s[42:43]
	v_lshlrev_b32_e32 v52, 16, v52
	v_lshlrev_b32_e32 v83, 16, v83
	v_max_f32_e32 v83, v83, v83
	v_max_f32_e32 v52, v52, v52
	v_min_f32_e32 v87, v52, v83
	v_max_f32_e32 v52, v52, v83
	v_cndmask_b32_e64 v83, v52, v87, s[24:25]
	v_and_b32_e32 v52, 0x7f800000, v83
	v_cmp_ne_u32_e32 vcc, s87, v52
                                        ; implicit-def: $vgpr52
	s_and_saveexec_b64 s[42:43], vcc
	s_xor_b64 s[42:43], exec, s[42:43]
; %bb.1574:                             ;   in Loop: Header=BB33_1553 Depth=3
	v_bfe_u32 v52, v83, 16, 1
	v_add3_u32 v52, v83, v52, s96
                                        ; implicit-def: $vgpr83
; %bb.1575:                             ;   in Loop: Header=BB33_1553 Depth=3
	s_andn2_saveexec_b64 s[42:43], s[42:43]
; %bb.1576:                             ;   in Loop: Header=BB33_1553 Depth=3
	v_or_b32_e32 v52, 0x10000, v83
	v_cmp_eq_u32_sdwa vcc, v83, v3 src0_sel:WORD_0 src1_sel:DWORD
	s_nop 1
	v_cndmask_b32_e32 v52, v52, v83, vcc
; %bb.1577:                             ;   in Loop: Header=BB33_1553 Depth=3
	s_or_b64 exec, exec, s[42:43]
	v_lshlrev_b32_e32 v51, 16, v51
	v_lshlrev_b32_e32 v82, 16, v82
	v_max_f32_e32 v82, v82, v82
	v_max_f32_e32 v51, v51, v51
	v_min_f32_e32 v83, v51, v82
	v_max_f32_e32 v51, v51, v82
	v_cndmask_b32_e64 v82, v51, v83, s[24:25]
	v_and_b32_e32 v51, 0x7f800000, v82
	v_cmp_ne_u32_e32 vcc, s87, v51
                                        ; implicit-def: $vgpr51
	s_and_saveexec_b64 s[42:43], vcc
	s_xor_b64 s[42:43], exec, s[42:43]
; %bb.1578:                             ;   in Loop: Header=BB33_1553 Depth=3
	v_bfe_u32 v51, v82, 16, 1
	v_add3_u32 v51, v82, v51, s96
                                        ; implicit-def: $vgpr82
; %bb.1579:                             ;   in Loop: Header=BB33_1553 Depth=3
	s_andn2_saveexec_b64 s[42:43], s[42:43]
; %bb.1580:                             ;   in Loop: Header=BB33_1553 Depth=3
	v_or_b32_e32 v51, 0x10000, v82
	v_cmp_eq_u32_sdwa vcc, v82, v3 src0_sel:WORD_0 src1_sel:DWORD
	s_nop 1
	v_cndmask_b32_e32 v51, v51, v82, vcc
; %bb.1581:                             ;   in Loop: Header=BB33_1553 Depth=3
	s_or_b64 exec, exec, s[42:43]
	v_lshlrev_b32_e32 v50, 16, v50
	v_lshlrev_b32_e32 v81, 16, v81
	v_max_f32_e32 v81, v81, v81
	v_max_f32_e32 v50, v50, v50
	v_min_f32_e32 v82, v50, v81
	v_max_f32_e32 v50, v50, v81
	v_cndmask_b32_e64 v81, v50, v82, s[24:25]
	v_and_b32_e32 v50, 0x7f800000, v81
	v_cmp_ne_u32_e32 vcc, s87, v50
                                        ; implicit-def: $vgpr50
	s_and_saveexec_b64 s[42:43], vcc
	s_xor_b64 s[42:43], exec, s[42:43]
; %bb.1582:                             ;   in Loop: Header=BB33_1553 Depth=3
	v_bfe_u32 v50, v81, 16, 1
	v_add3_u32 v50, v81, v50, s96
                                        ; implicit-def: $vgpr81
; %bb.1583:                             ;   in Loop: Header=BB33_1553 Depth=3
	s_andn2_saveexec_b64 s[42:43], s[42:43]
; %bb.1584:                             ;   in Loop: Header=BB33_1553 Depth=3
	v_or_b32_e32 v50, 0x10000, v81
	v_cmp_eq_u32_sdwa vcc, v81, v3 src0_sel:WORD_0 src1_sel:DWORD
	s_nop 1
	v_cndmask_b32_e32 v50, v50, v81, vcc
; %bb.1585:                             ;   in Loop: Header=BB33_1553 Depth=3
	s_or_b64 exec, exec, s[42:43]
	v_lshlrev_b32_e32 v48, 16, v48
	v_lshlrev_b32_e32 v49, 16, v49
	v_max_f32_e32 v49, v49, v49
	v_max_f32_e32 v48, v48, v48
	v_min_f32_e32 v81, v48, v49
	v_max_f32_e32 v48, v48, v49
	v_cndmask_b32_e64 v48, v48, v81, s[24:25]
	v_and_b32_e32 v49, 0x7f800000, v48
	v_cmp_ne_u32_e32 vcc, s87, v49
                                        ; implicit-def: $vgpr49
	s_and_saveexec_b64 s[42:43], vcc
	s_xor_b64 s[42:43], exec, s[42:43]
; %bb.1586:                             ;   in Loop: Header=BB33_1553 Depth=3
	v_bfe_u32 v49, v48, 16, 1
	v_add3_u32 v49, v48, v49, s96
                                        ; implicit-def: $vgpr48
; %bb.1587:                             ;   in Loop: Header=BB33_1553 Depth=3
	s_andn2_saveexec_b64 s[42:43], s[42:43]
; %bb.1588:                             ;   in Loop: Header=BB33_1553 Depth=3
	v_or_b32_e32 v49, 0x10000, v48
	v_cmp_eq_u32_sdwa vcc, v48, v3 src0_sel:WORD_0 src1_sel:DWORD
	s_nop 1
	v_cndmask_b32_e32 v49, v49, v48, vcc
; %bb.1589:                             ;   in Loop: Header=BB33_1553 Depth=3
	s_or_b64 exec, exec, s[42:43]
	v_lshlrev_b32_e32 v39, 16, v39
	v_lshlrev_b32_e32 v48, 16, v80
	v_max_f32_e32 v48, v48, v48
	v_max_f32_e32 v39, v39, v39
	v_min_f32_e32 v80, v39, v48
	v_max_f32_e32 v39, v39, v48
	v_cndmask_b32_e64 v39, v39, v80, s[24:25]
	v_and_b32_e32 v48, 0x7f800000, v39
	v_cmp_ne_u32_e32 vcc, s87, v48
                                        ; implicit-def: $vgpr48
	s_and_saveexec_b64 s[42:43], vcc
	s_xor_b64 s[42:43], exec, s[42:43]
; %bb.1590:                             ;   in Loop: Header=BB33_1553 Depth=3
	v_bfe_u32 v48, v39, 16, 1
	v_add3_u32 v48, v39, v48, s96
                                        ; implicit-def: $vgpr39
; %bb.1591:                             ;   in Loop: Header=BB33_1553 Depth=3
	s_andn2_saveexec_b64 s[42:43], s[42:43]
; %bb.1592:                             ;   in Loop: Header=BB33_1553 Depth=3
	v_or_b32_e32 v48, 0x10000, v39
	v_cmp_eq_u32_sdwa vcc, v39, v3 src0_sel:WORD_0 src1_sel:DWORD
	s_nop 1
	v_cndmask_b32_e32 v48, v48, v39, vcc
; %bb.1593:                             ;   in Loop: Header=BB33_1553 Depth=3
	s_or_b64 exec, exec, s[42:43]
	v_lshlrev_b32_e32 v38, 16, v38
	v_lshlrev_b32_e32 v39, 16, v71
	v_max_f32_e32 v39, v39, v39
	v_max_f32_e32 v38, v38, v38
	v_min_f32_e32 v71, v38, v39
	v_max_f32_e32 v38, v38, v39
	v_cndmask_b32_e64 v38, v38, v71, s[24:25]
	v_and_b32_e32 v39, 0x7f800000, v38
	v_cmp_ne_u32_e32 vcc, s87, v39
                                        ; implicit-def: $vgpr39
	s_and_saveexec_b64 s[42:43], vcc
	s_xor_b64 s[42:43], exec, s[42:43]
; %bb.1594:                             ;   in Loop: Header=BB33_1553 Depth=3
	v_bfe_u32 v39, v38, 16, 1
	v_add3_u32 v39, v38, v39, s96
                                        ; implicit-def: $vgpr38
; %bb.1595:                             ;   in Loop: Header=BB33_1553 Depth=3
	s_andn2_saveexec_b64 s[42:43], s[42:43]
; %bb.1596:                             ;   in Loop: Header=BB33_1553 Depth=3
	v_or_b32_e32 v39, 0x10000, v38
	v_cmp_eq_u32_sdwa vcc, v38, v3 src0_sel:WORD_0 src1_sel:DWORD
	s_nop 1
	v_cndmask_b32_e32 v39, v39, v38, vcc
; %bb.1597:                             ;   in Loop: Header=BB33_1553 Depth=3
	s_or_b64 exec, exec, s[42:43]
	v_lshlrev_b32_e32 v37, 16, v37
	v_lshlrev_b32_e32 v38, 16, v70
	v_max_f32_e32 v38, v38, v38
	v_max_f32_e32 v37, v37, v37
	v_min_f32_e32 v70, v37, v38
	v_max_f32_e32 v37, v37, v38
	v_cndmask_b32_e64 v37, v37, v70, s[24:25]
	v_and_b32_e32 v38, 0x7f800000, v37
	v_cmp_ne_u32_e32 vcc, s87, v38
                                        ; implicit-def: $vgpr38
	s_and_saveexec_b64 s[42:43], vcc
	s_xor_b64 s[42:43], exec, s[42:43]
; %bb.1598:                             ;   in Loop: Header=BB33_1553 Depth=3
	v_bfe_u32 v38, v37, 16, 1
	v_add3_u32 v38, v37, v38, s96
                                        ; implicit-def: $vgpr37
; %bb.1599:                             ;   in Loop: Header=BB33_1553 Depth=3
	s_andn2_saveexec_b64 s[42:43], s[42:43]
; %bb.1600:                             ;   in Loop: Header=BB33_1553 Depth=3
	v_or_b32_e32 v38, 0x10000, v37
	v_cmp_eq_u32_sdwa vcc, v37, v3 src0_sel:WORD_0 src1_sel:DWORD
	s_nop 1
	v_cndmask_b32_e32 v38, v38, v37, vcc
; %bb.1601:                             ;   in Loop: Header=BB33_1553 Depth=3
	s_or_b64 exec, exec, s[42:43]
	v_lshlrev_b32_e32 v36, 16, v36
	v_lshlrev_b32_e32 v37, 16, v69
	v_max_f32_e32 v37, v37, v37
	v_max_f32_e32 v36, v36, v36
	v_min_f32_e32 v69, v36, v37
	v_max_f32_e32 v36, v36, v37
	v_cndmask_b32_e64 v36, v36, v69, s[24:25]
	v_and_b32_e32 v37, 0x7f800000, v36
	v_cmp_ne_u32_e32 vcc, s87, v37
                                        ; implicit-def: $vgpr37
	s_and_saveexec_b64 s[42:43], vcc
	s_xor_b64 s[42:43], exec, s[42:43]
; %bb.1602:                             ;   in Loop: Header=BB33_1553 Depth=3
	v_bfe_u32 v37, v36, 16, 1
	v_add3_u32 v37, v36, v37, s96
                                        ; implicit-def: $vgpr36
; %bb.1603:                             ;   in Loop: Header=BB33_1553 Depth=3
	s_andn2_saveexec_b64 s[42:43], s[42:43]
; %bb.1604:                             ;   in Loop: Header=BB33_1553 Depth=3
	v_or_b32_e32 v37, 0x10000, v36
	v_cmp_eq_u32_sdwa vcc, v36, v3 src0_sel:WORD_0 src1_sel:DWORD
	s_nop 1
	v_cndmask_b32_e32 v37, v37, v36, vcc
; %bb.1605:                             ;   in Loop: Header=BB33_1553 Depth=3
	s_or_b64 exec, exec, s[42:43]
	v_lshlrev_b32_e32 v35, 16, v35
	v_lshlrev_b32_e32 v36, 16, v68
	v_max_f32_e32 v36, v36, v36
	v_max_f32_e32 v35, v35, v35
	v_min_f32_e32 v68, v35, v36
	v_max_f32_e32 v35, v35, v36
	v_cndmask_b32_e64 v35, v35, v68, s[24:25]
	v_and_b32_e32 v36, 0x7f800000, v35
	v_cmp_ne_u32_e32 vcc, s87, v36
                                        ; implicit-def: $vgpr36
	s_and_saveexec_b64 s[42:43], vcc
	s_xor_b64 s[42:43], exec, s[42:43]
; %bb.1606:                             ;   in Loop: Header=BB33_1553 Depth=3
	v_bfe_u32 v36, v35, 16, 1
	v_add3_u32 v36, v35, v36, s96
                                        ; implicit-def: $vgpr35
; %bb.1607:                             ;   in Loop: Header=BB33_1553 Depth=3
	s_andn2_saveexec_b64 s[42:43], s[42:43]
; %bb.1608:                             ;   in Loop: Header=BB33_1553 Depth=3
	v_or_b32_e32 v36, 0x10000, v35
	v_cmp_eq_u32_sdwa vcc, v35, v3 src0_sel:WORD_0 src1_sel:DWORD
	s_nop 1
	v_cndmask_b32_e32 v36, v36, v35, vcc
; %bb.1609:                             ;   in Loop: Header=BB33_1553 Depth=3
	s_or_b64 exec, exec, s[42:43]
	v_lshlrev_b32_e32 v34, 16, v34
	v_lshlrev_b32_e32 v35, 16, v67
	v_max_f32_e32 v35, v35, v35
	v_max_f32_e32 v34, v34, v34
	v_min_f32_e32 v67, v34, v35
	v_max_f32_e32 v34, v34, v35
	v_cndmask_b32_e64 v34, v34, v67, s[24:25]
	v_and_b32_e32 v35, 0x7f800000, v34
	v_cmp_ne_u32_e32 vcc, s87, v35
                                        ; implicit-def: $vgpr35
	s_and_saveexec_b64 s[42:43], vcc
	s_xor_b64 s[42:43], exec, s[42:43]
; %bb.1610:                             ;   in Loop: Header=BB33_1553 Depth=3
	v_bfe_u32 v35, v34, 16, 1
	v_add3_u32 v35, v34, v35, s96
                                        ; implicit-def: $vgpr34
; %bb.1611:                             ;   in Loop: Header=BB33_1553 Depth=3
	s_andn2_saveexec_b64 s[42:43], s[42:43]
; %bb.1612:                             ;   in Loop: Header=BB33_1553 Depth=3
	v_or_b32_e32 v35, 0x10000, v34
	v_cmp_eq_u32_sdwa vcc, v34, v3 src0_sel:WORD_0 src1_sel:DWORD
	s_nop 1
	v_cndmask_b32_e32 v35, v35, v34, vcc
; %bb.1613:                             ;   in Loop: Header=BB33_1553 Depth=3
	s_or_b64 exec, exec, s[42:43]
	v_lshlrev_b32_e32 v13, 16, v13
	v_lshlrev_b32_e32 v34, 16, v66
	v_max_f32_e32 v34, v34, v34
	v_max_f32_e32 v13, v13, v13
	v_min_f32_e32 v66, v13, v34
	v_max_f32_e32 v13, v13, v34
	v_cndmask_b32_e64 v13, v13, v66, s[24:25]
	v_and_b32_e32 v34, 0x7f800000, v13
	v_cmp_ne_u32_e32 vcc, s87, v34
                                        ; implicit-def: $vgpr34
	s_and_saveexec_b64 s[42:43], vcc
	s_xor_b64 s[42:43], exec, s[42:43]
; %bb.1614:                             ;   in Loop: Header=BB33_1553 Depth=3
	v_bfe_u32 v34, v13, 16, 1
	v_add3_u32 v34, v13, v34, s96
                                        ; implicit-def: $vgpr13
; %bb.1615:                             ;   in Loop: Header=BB33_1553 Depth=3
	s_andn2_saveexec_b64 s[42:43], s[42:43]
; %bb.1616:                             ;   in Loop: Header=BB33_1553 Depth=3
	v_or_b32_e32 v34, 0x10000, v13
	v_cmp_eq_u32_sdwa vcc, v13, v3 src0_sel:WORD_0 src1_sel:DWORD
	s_nop 1
	v_cndmask_b32_e32 v34, v34, v13, vcc
; %bb.1617:                             ;   in Loop: Header=BB33_1553 Depth=3
	s_or_b64 exec, exec, s[42:43]
	v_and_b32_e32 v13, 0xffff0000, v64
	v_lshlrev_b32_e32 v12, 16, v12
	v_max_f32_e32 v13, v13, v13
	v_max_f32_e32 v12, v12, v12
	v_min_f32_e32 v64, v13, v12
	v_max_f32_e32 v12, v13, v12
	v_cndmask_b32_e64 v12, v12, v64, s[24:25]
	v_and_b32_e32 v13, 0x7f800000, v12
	v_cmp_ne_u32_e32 vcc, s87, v13
                                        ; implicit-def: $vgpr64
	s_and_saveexec_b64 s[42:43], vcc
	s_xor_b64 s[42:43], exec, s[42:43]
; %bb.1618:                             ;   in Loop: Header=BB33_1553 Depth=3
	v_bfe_u32 v13, v12, 16, 1
	v_add3_u32 v64, v12, v13, s96
                                        ; implicit-def: $vgpr12
; %bb.1619:                             ;   in Loop: Header=BB33_1553 Depth=3
	s_andn2_saveexec_b64 s[42:43], s[42:43]
; %bb.1620:                             ;   in Loop: Header=BB33_1553 Depth=3
	v_or_b32_e32 v13, 0x10000, v12
	v_cmp_eq_u32_sdwa vcc, v12, v3 src0_sel:WORD_0 src1_sel:DWORD
	s_nop 1
	v_cndmask_b32_e32 v64, v13, v12, vcc
; %bb.1621:                             ;   in Loop: Header=BB33_1553 Depth=3
	s_or_b64 exec, exec, s[42:43]
	v_lshl_add_u64 v[12:13], v[98:99], 0, v[10:11]
	v_add_co_u32_e32 v66, vcc, 0xfffff880, v12
	v_and_b32_e32 v65, 0xffff0000, v65
	s_nop 0
	v_addc_co_u32_e32 v67, vcc, -1, v13, vcc
	v_lshlrev_b32_e32 v33, 16, v33
	flat_store_short_d16_hi v[66:67], v64 nt
	v_max_f32_e32 v64, v65, v65
	v_max_f32_e32 v33, v33, v33
	v_min_f32_e32 v65, v64, v33
	v_max_f32_e32 v33, v64, v33
	v_cndmask_b32_e64 v64, v33, v65, s[24:25]
	v_and_b32_e32 v33, 0x7f800000, v64
	v_cmp_ne_u32_e32 vcc, s87, v33
                                        ; implicit-def: $vgpr33
	s_and_saveexec_b64 s[42:43], vcc
	s_xor_b64 s[42:43], exec, s[42:43]
; %bb.1622:                             ;   in Loop: Header=BB33_1553 Depth=3
	v_bfe_u32 v33, v64, 16, 1
	v_add3_u32 v33, v64, v33, s96
                                        ; implicit-def: $vgpr64
; %bb.1623:                             ;   in Loop: Header=BB33_1553 Depth=3
	s_andn2_saveexec_b64 s[42:43], s[42:43]
; %bb.1624:                             ;   in Loop: Header=BB33_1553 Depth=3
	v_or_b32_e32 v33, 0x10000, v64
	v_cmp_eq_u32_sdwa vcc, v64, v3 src0_sel:WORD_0 src1_sel:DWORD
	s_nop 1
	v_cndmask_b32_e32 v33, v33, v64, vcc
; %bb.1625:                             ;   in Loop: Header=BB33_1553 Depth=3
	s_or_b64 exec, exec, s[42:43]
	v_add_co_u32_e32 v64, vcc, 0xfffff900, v12
	v_and_b32_e32 v55, 0xffff0000, v55
	s_nop 0
	v_addc_co_u32_e32 v65, vcc, -1, v13, vcc
	v_lshlrev_b32_e32 v32, 16, v32
	flat_store_short_d16_hi v[64:65], v33 nt
	v_max_f32_e32 v33, v55, v55
	v_max_f32_e32 v32, v32, v32
	v_min_f32_e32 v55, v33, v32
	v_max_f32_e32 v32, v33, v32
	v_cndmask_b32_e64 v33, v32, v55, s[24:25]
	v_and_b32_e32 v32, 0x7f800000, v33
	v_cmp_ne_u32_e32 vcc, s87, v32
                                        ; implicit-def: $vgpr32
	s_and_saveexec_b64 s[42:43], vcc
	s_xor_b64 s[42:43], exec, s[42:43]
; %bb.1626:                             ;   in Loop: Header=BB33_1553 Depth=3
	v_bfe_u32 v32, v33, 16, 1
	v_add3_u32 v32, v33, v32, s96
                                        ; implicit-def: $vgpr33
; %bb.1627:                             ;   in Loop: Header=BB33_1553 Depth=3
	s_andn2_saveexec_b64 s[42:43], s[42:43]
; %bb.1628:                             ;   in Loop: Header=BB33_1553 Depth=3
	v_or_b32_e32 v32, 0x10000, v33
	v_cmp_eq_u32_sdwa vcc, v33, v3 src0_sel:WORD_0 src1_sel:DWORD
	s_nop 1
	v_cndmask_b32_e32 v32, v32, v33, vcc
; %bb.1629:                             ;   in Loop: Header=BB33_1553 Depth=3
	s_or_b64 exec, exec, s[42:43]
	v_and_b32_e32 v33, 0xffff0000, v54
	v_add_co_u32_e32 v54, vcc, 0xfffff980, v12
	v_lshlrev_b32_e32 v31, 16, v31
	s_nop 0
	v_addc_co_u32_e32 v55, vcc, -1, v13, vcc
	flat_store_short_d16_hi v[54:55], v32 nt
	v_max_f32_e32 v32, v33, v33
	v_max_f32_e32 v31, v31, v31
	v_min_f32_e32 v33, v32, v31
	v_max_f32_e32 v31, v32, v31
	v_cndmask_b32_e64 v32, v31, v33, s[24:25]
	v_and_b32_e32 v31, 0x7f800000, v32
	v_cmp_ne_u32_e32 vcc, s87, v31
                                        ; implicit-def: $vgpr31
	s_and_saveexec_b64 s[42:43], vcc
	s_xor_b64 s[42:43], exec, s[42:43]
; %bb.1630:                             ;   in Loop: Header=BB33_1553 Depth=3
	v_bfe_u32 v31, v32, 16, 1
	v_add3_u32 v31, v32, v31, s96
                                        ; implicit-def: $vgpr32
; %bb.1631:                             ;   in Loop: Header=BB33_1553 Depth=3
	s_andn2_saveexec_b64 s[42:43], s[42:43]
; %bb.1632:                             ;   in Loop: Header=BB33_1553 Depth=3
	v_or_b32_e32 v31, 0x10000, v32
	v_cmp_eq_u32_sdwa vcc, v32, v3 src0_sel:WORD_0 src1_sel:DWORD
	s_nop 1
	v_cndmask_b32_e32 v31, v31, v32, vcc
; %bb.1633:                             ;   in Loop: Header=BB33_1553 Depth=3
	s_or_b64 exec, exec, s[42:43]
	v_add_co_u32_e32 v32, vcc, 0xfffffa00, v12
	v_and_b32_e32 v53, 0xffff0000, v53
	s_nop 0
	v_addc_co_u32_e32 v33, vcc, -1, v13, vcc
	v_lshlrev_b32_e32 v29, 16, v29
	flat_store_short_d16_hi v[32:33], v31 nt
	v_max_f32_e32 v31, v53, v53
	v_max_f32_e32 v29, v29, v29
	v_min_f32_e32 v32, v31, v29
	v_max_f32_e32 v29, v31, v29
	v_cndmask_b32_e64 v31, v29, v32, s[24:25]
	v_and_b32_e32 v29, 0x7f800000, v31
	v_cmp_ne_u32_e32 vcc, s87, v29
                                        ; implicit-def: $vgpr29
	s_and_saveexec_b64 s[42:43], vcc
	s_xor_b64 s[42:43], exec, s[42:43]
; %bb.1634:                             ;   in Loop: Header=BB33_1553 Depth=3
	v_bfe_u32 v29, v31, 16, 1
	v_add3_u32 v29, v31, v29, s96
                                        ; implicit-def: $vgpr31
; %bb.1635:                             ;   in Loop: Header=BB33_1553 Depth=3
	s_andn2_saveexec_b64 s[42:43], s[42:43]
; %bb.1636:                             ;   in Loop: Header=BB33_1553 Depth=3
	v_or_b32_e32 v29, 0x10000, v31
	v_cmp_eq_u32_sdwa vcc, v31, v3 src0_sel:WORD_0 src1_sel:DWORD
	s_nop 1
	v_cndmask_b32_e32 v29, v29, v31, vcc
; %bb.1637:                             ;   in Loop: Header=BB33_1553 Depth=3
	s_or_b64 exec, exec, s[42:43]
	v_add_co_u32_e32 v32, vcc, 0xfffffa80, v12
	v_and_b32_e32 v31, 0xffff0000, v52
	s_nop 0
	v_addc_co_u32_e32 v33, vcc, -1, v13, vcc
	v_lshlrev_b32_e32 v28, 16, v28
	flat_store_short_d16_hi v[32:33], v29 nt
	v_max_f32_e32 v29, v31, v31
	v_max_f32_e32 v28, v28, v28
	v_min_f32_e32 v31, v29, v28
	v_max_f32_e32 v28, v29, v28
	v_cndmask_b32_e64 v29, v28, v31, s[24:25]
	v_and_b32_e32 v28, 0x7f800000, v29
	v_cmp_ne_u32_e32 vcc, s87, v28
                                        ; implicit-def: $vgpr28
	s_and_saveexec_b64 s[42:43], vcc
	s_xor_b64 s[42:43], exec, s[42:43]
; %bb.1638:                             ;   in Loop: Header=BB33_1553 Depth=3
	v_bfe_u32 v28, v29, 16, 1
	v_add3_u32 v28, v29, v28, s96
                                        ; implicit-def: $vgpr29
; %bb.1639:                             ;   in Loop: Header=BB33_1553 Depth=3
	s_andn2_saveexec_b64 s[42:43], s[42:43]
; %bb.1640:                             ;   in Loop: Header=BB33_1553 Depth=3
	v_or_b32_e32 v28, 0x10000, v29
	v_cmp_eq_u32_sdwa vcc, v29, v3 src0_sel:WORD_0 src1_sel:DWORD
	s_nop 1
	v_cndmask_b32_e32 v28, v28, v29, vcc
; %bb.1641:                             ;   in Loop: Header=BB33_1553 Depth=3
	s_or_b64 exec, exec, s[42:43]
	v_add_co_u32_e32 v32, vcc, 0xfffffb00, v12
	v_and_b32_e32 v29, 0xffff0000, v51
	s_nop 0
	v_addc_co_u32_e32 v33, vcc, -1, v13, vcc
	v_lshlrev_b32_e32 v27, 16, v27
	flat_store_short_d16_hi v[32:33], v28 nt
	v_max_f32_e32 v28, v29, v29
	v_max_f32_e32 v27, v27, v27
	v_min_f32_e32 v29, v28, v27
	v_max_f32_e32 v27, v28, v27
	v_cndmask_b32_e64 v28, v27, v29, s[24:25]
	v_and_b32_e32 v27, 0x7f800000, v28
	v_cmp_ne_u32_e32 vcc, s87, v27
                                        ; implicit-def: $vgpr27
	s_and_saveexec_b64 s[42:43], vcc
	s_xor_b64 s[42:43], exec, s[42:43]
; %bb.1642:                             ;   in Loop: Header=BB33_1553 Depth=3
	v_bfe_u32 v27, v28, 16, 1
	v_add3_u32 v27, v28, v27, s96
                                        ; implicit-def: $vgpr28
; %bb.1643:                             ;   in Loop: Header=BB33_1553 Depth=3
	s_andn2_saveexec_b64 s[42:43], s[42:43]
; %bb.1644:                             ;   in Loop: Header=BB33_1553 Depth=3
	v_or_b32_e32 v27, 0x10000, v28
	v_cmp_eq_u32_sdwa vcc, v28, v3 src0_sel:WORD_0 src1_sel:DWORD
	s_nop 1
	v_cndmask_b32_e32 v27, v27, v28, vcc
; %bb.1645:                             ;   in Loop: Header=BB33_1553 Depth=3
	s_or_b64 exec, exec, s[42:43]
	v_add_co_u32_e32 v28, vcc, 0xfffffb80, v12
	v_and_b32_e32 v31, 0xffff0000, v50
	s_nop 0
	v_addc_co_u32_e32 v29, vcc, -1, v13, vcc
	v_lshlrev_b32_e32 v26, 16, v26
	flat_store_short_d16_hi v[28:29], v27 nt
	v_max_f32_e32 v27, v31, v31
	v_max_f32_e32 v26, v26, v26
	v_min_f32_e32 v28, v27, v26
	v_max_f32_e32 v26, v27, v26
	v_cndmask_b32_e64 v27, v26, v28, s[24:25]
	v_and_b32_e32 v26, 0x7f800000, v27
	v_cmp_ne_u32_e32 vcc, s87, v26
                                        ; implicit-def: $vgpr26
	s_and_saveexec_b64 s[42:43], vcc
	s_xor_b64 s[42:43], exec, s[42:43]
; %bb.1646:                             ;   in Loop: Header=BB33_1553 Depth=3
	v_bfe_u32 v26, v27, 16, 1
	v_add3_u32 v26, v27, v26, s96
                                        ; implicit-def: $vgpr27
; %bb.1647:                             ;   in Loop: Header=BB33_1553 Depth=3
	s_andn2_saveexec_b64 s[42:43], s[42:43]
; %bb.1648:                             ;   in Loop: Header=BB33_1553 Depth=3
	v_or_b32_e32 v26, 0x10000, v27
	v_cmp_eq_u32_sdwa vcc, v27, v3 src0_sel:WORD_0 src1_sel:DWORD
	s_nop 1
	v_cndmask_b32_e32 v26, v26, v27, vcc
; %bb.1649:                             ;   in Loop: Header=BB33_1553 Depth=3
	s_or_b64 exec, exec, s[42:43]
	v_add_co_u32_e32 v28, vcc, 0xfffffc00, v12
	v_and_b32_e32 v27, 0xffff0000, v49
	s_nop 0
	v_addc_co_u32_e32 v29, vcc, -1, v13, vcc
	v_lshlrev_b32_e32 v25, 16, v25
	flat_store_short_d16_hi v[28:29], v26 nt
	v_max_f32_e32 v26, v27, v27
	v_max_f32_e32 v25, v25, v25
	v_min_f32_e32 v27, v26, v25
	v_max_f32_e32 v25, v26, v25
	v_cndmask_b32_e64 v26, v25, v27, s[24:25]
	v_and_b32_e32 v25, 0x7f800000, v26
	v_cmp_ne_u32_e32 vcc, s87, v25
                                        ; implicit-def: $vgpr25
	s_and_saveexec_b64 s[42:43], vcc
	s_xor_b64 s[42:43], exec, s[42:43]
; %bb.1650:                             ;   in Loop: Header=BB33_1553 Depth=3
	v_bfe_u32 v25, v26, 16, 1
	v_add3_u32 v25, v26, v25, s96
                                        ; implicit-def: $vgpr26
; %bb.1651:                             ;   in Loop: Header=BB33_1553 Depth=3
	s_andn2_saveexec_b64 s[42:43], s[42:43]
; %bb.1652:                             ;   in Loop: Header=BB33_1553 Depth=3
	v_or_b32_e32 v25, 0x10000, v26
	v_cmp_eq_u32_sdwa vcc, v26, v3 src0_sel:WORD_0 src1_sel:DWORD
	s_nop 1
	v_cndmask_b32_e32 v25, v25, v26, vcc
; %bb.1653:                             ;   in Loop: Header=BB33_1553 Depth=3
	s_or_b64 exec, exec, s[42:43]
	v_add_co_u32_e32 v26, vcc, 0xfffffc80, v12
	v_and_b32_e32 v28, 0xffff0000, v48
	s_nop 0
	v_addc_co_u32_e32 v27, vcc, -1, v13, vcc
	v_lshlrev_b32_e32 v24, 16, v24
	flat_store_short_d16_hi v[26:27], v25 nt
	v_max_f32_e32 v25, v28, v28
	v_max_f32_e32 v24, v24, v24
	v_min_f32_e32 v26, v25, v24
	v_max_f32_e32 v24, v25, v24
	v_cndmask_b32_e64 v25, v24, v26, s[24:25]
	v_and_b32_e32 v24, 0x7f800000, v25
	v_cmp_ne_u32_e32 vcc, s87, v24
                                        ; implicit-def: $vgpr24
	s_and_saveexec_b64 s[42:43], vcc
	s_xor_b64 s[42:43], exec, s[42:43]
; %bb.1654:                             ;   in Loop: Header=BB33_1553 Depth=3
	v_bfe_u32 v24, v25, 16, 1
	v_add3_u32 v24, v25, v24, s96
                                        ; implicit-def: $vgpr25
; %bb.1655:                             ;   in Loop: Header=BB33_1553 Depth=3
	s_andn2_saveexec_b64 s[42:43], s[42:43]
; %bb.1656:                             ;   in Loop: Header=BB33_1553 Depth=3
	v_or_b32_e32 v24, 0x10000, v25
	v_cmp_eq_u32_sdwa vcc, v25, v3 src0_sel:WORD_0 src1_sel:DWORD
	s_nop 1
	v_cndmask_b32_e32 v24, v24, v25, vcc
; %bb.1657:                             ;   in Loop: Header=BB33_1553 Depth=3
	s_or_b64 exec, exec, s[42:43]
	v_add_co_u32_e32 v26, vcc, 0xfffffd00, v12
	v_and_b32_e32 v25, 0xffff0000, v39
	s_nop 0
	v_addc_co_u32_e32 v27, vcc, -1, v13, vcc
	v_lshlrev_b32_e32 v23, 16, v23
	flat_store_short_d16_hi v[26:27], v24 nt
	v_max_f32_e32 v24, v25, v25
	v_max_f32_e32 v23, v23, v23
	v_min_f32_e32 v25, v24, v23
	v_max_f32_e32 v23, v24, v23
	v_cndmask_b32_e64 v24, v23, v25, s[24:25]
	v_and_b32_e32 v23, 0x7f800000, v24
	v_cmp_ne_u32_e32 vcc, s87, v23
                                        ; implicit-def: $vgpr23
	s_and_saveexec_b64 s[42:43], vcc
	s_xor_b64 s[42:43], exec, s[42:43]
; %bb.1658:                             ;   in Loop: Header=BB33_1553 Depth=3
	v_bfe_u32 v23, v24, 16, 1
	v_add3_u32 v23, v24, v23, s96
                                        ; implicit-def: $vgpr24
; %bb.1659:                             ;   in Loop: Header=BB33_1553 Depth=3
	s_andn2_saveexec_b64 s[42:43], s[42:43]
; %bb.1660:                             ;   in Loop: Header=BB33_1553 Depth=3
	v_or_b32_e32 v23, 0x10000, v24
	v_cmp_eq_u32_sdwa vcc, v24, v3 src0_sel:WORD_0 src1_sel:DWORD
	s_nop 1
	v_cndmask_b32_e32 v23, v23, v24, vcc
; %bb.1661:                             ;   in Loop: Header=BB33_1553 Depth=3
	s_or_b64 exec, exec, s[42:43]
	v_add_co_u32_e32 v24, vcc, 0xfffffd80, v12
	v_and_b32_e32 v26, 0xffff0000, v38
	s_nop 0
	v_addc_co_u32_e32 v25, vcc, -1, v13, vcc
	v_lshlrev_b32_e32 v22, 16, v22
	flat_store_short_d16_hi v[24:25], v23 nt
	v_max_f32_e32 v23, v26, v26
	v_max_f32_e32 v22, v22, v22
	v_min_f32_e32 v24, v23, v22
	v_max_f32_e32 v22, v23, v22
	v_cndmask_b32_e64 v23, v22, v24, s[24:25]
	v_and_b32_e32 v22, 0x7f800000, v23
	v_cmp_ne_u32_e32 vcc, s87, v22
                                        ; implicit-def: $vgpr22
	s_and_saveexec_b64 s[42:43], vcc
	s_xor_b64 s[42:43], exec, s[42:43]
; %bb.1662:                             ;   in Loop: Header=BB33_1553 Depth=3
	v_bfe_u32 v22, v23, 16, 1
	v_add3_u32 v22, v23, v22, s96
                                        ; implicit-def: $vgpr23
; %bb.1663:                             ;   in Loop: Header=BB33_1553 Depth=3
	s_andn2_saveexec_b64 s[42:43], s[42:43]
; %bb.1664:                             ;   in Loop: Header=BB33_1553 Depth=3
	v_or_b32_e32 v22, 0x10000, v23
	v_cmp_eq_u32_sdwa vcc, v23, v3 src0_sel:WORD_0 src1_sel:DWORD
	s_nop 1
	v_cndmask_b32_e32 v22, v22, v23, vcc
; %bb.1665:                             ;   in Loop: Header=BB33_1553 Depth=3
	s_or_b64 exec, exec, s[42:43]
	v_add_co_u32_e32 v24, vcc, 0xfffffe00, v12
	v_and_b32_e32 v23, 0xffff0000, v37
	s_nop 0
	v_addc_co_u32_e32 v25, vcc, -1, v13, vcc
	v_lshlrev_b32_e32 v21, 16, v21
	flat_store_short_d16_hi v[24:25], v22 nt
	v_max_f32_e32 v22, v23, v23
	v_max_f32_e32 v21, v21, v21
	v_min_f32_e32 v23, v22, v21
	v_max_f32_e32 v21, v22, v21
	v_cndmask_b32_e64 v22, v21, v23, s[24:25]
	v_and_b32_e32 v21, 0x7f800000, v22
	v_cmp_ne_u32_e32 vcc, s87, v21
                                        ; implicit-def: $vgpr21
	s_and_saveexec_b64 s[42:43], vcc
	s_xor_b64 s[42:43], exec, s[42:43]
; %bb.1666:                             ;   in Loop: Header=BB33_1553 Depth=3
	v_bfe_u32 v21, v22, 16, 1
	v_add3_u32 v21, v22, v21, s96
                                        ; implicit-def: $vgpr22
; %bb.1667:                             ;   in Loop: Header=BB33_1553 Depth=3
	s_andn2_saveexec_b64 s[42:43], s[42:43]
; %bb.1668:                             ;   in Loop: Header=BB33_1553 Depth=3
	v_or_b32_e32 v21, 0x10000, v22
	v_cmp_eq_u32_sdwa vcc, v22, v3 src0_sel:WORD_0 src1_sel:DWORD
	s_nop 1
	v_cndmask_b32_e32 v21, v21, v22, vcc
; %bb.1669:                             ;   in Loop: Header=BB33_1553 Depth=3
	s_or_b64 exec, exec, s[42:43]
	v_add_co_u32_e32 v22, vcc, 0xfffffe80, v12
	v_and_b32_e32 v24, 0xffff0000, v36
	s_nop 0
	v_addc_co_u32_e32 v23, vcc, -1, v13, vcc
	v_lshlrev_b32_e32 v20, 16, v20
	flat_store_short_d16_hi v[22:23], v21 nt
	v_max_f32_e32 v21, v24, v24
	v_max_f32_e32 v20, v20, v20
	v_min_f32_e32 v22, v21, v20
	v_max_f32_e32 v20, v21, v20
	v_cndmask_b32_e64 v21, v20, v22, s[24:25]
	v_and_b32_e32 v20, 0x7f800000, v21
	v_cmp_ne_u32_e32 vcc, s87, v20
                                        ; implicit-def: $vgpr20
	s_and_saveexec_b64 s[42:43], vcc
	s_xor_b64 s[42:43], exec, s[42:43]
; %bb.1670:                             ;   in Loop: Header=BB33_1553 Depth=3
	v_bfe_u32 v20, v21, 16, 1
	v_add3_u32 v20, v21, v20, s96
                                        ; implicit-def: $vgpr21
; %bb.1671:                             ;   in Loop: Header=BB33_1553 Depth=3
	s_andn2_saveexec_b64 s[42:43], s[42:43]
; %bb.1672:                             ;   in Loop: Header=BB33_1553 Depth=3
	v_or_b32_e32 v20, 0x10000, v21
	v_cmp_eq_u32_sdwa vcc, v21, v3 src0_sel:WORD_0 src1_sel:DWORD
	s_nop 1
	v_cndmask_b32_e32 v20, v20, v21, vcc
; %bb.1673:                             ;   in Loop: Header=BB33_1553 Depth=3
	s_or_b64 exec, exec, s[42:43]
	v_add_co_u32_e32 v22, vcc, 0xffffff00, v12
	v_and_b32_e32 v21, 0xffff0000, v35
	s_nop 0
	v_addc_co_u32_e32 v23, vcc, -1, v13, vcc
	v_lshlrev_b32_e32 v19, 16, v19
	flat_store_short_d16_hi v[22:23], v20 nt
	v_max_f32_e32 v20, v21, v21
	v_max_f32_e32 v19, v19, v19
	v_min_f32_e32 v21, v20, v19
	v_max_f32_e32 v19, v20, v19
	v_cndmask_b32_e64 v20, v19, v21, s[24:25]
	v_and_b32_e32 v19, 0x7f800000, v20
	v_cmp_ne_u32_e32 vcc, s87, v19
                                        ; implicit-def: $vgpr19
	s_and_saveexec_b64 s[42:43], vcc
	s_xor_b64 s[42:43], exec, s[42:43]
; %bb.1674:                             ;   in Loop: Header=BB33_1553 Depth=3
	v_bfe_u32 v19, v20, 16, 1
	v_add3_u32 v19, v20, v19, s96
                                        ; implicit-def: $vgpr20
; %bb.1675:                             ;   in Loop: Header=BB33_1553 Depth=3
	s_andn2_saveexec_b64 s[42:43], s[42:43]
; %bb.1676:                             ;   in Loop: Header=BB33_1553 Depth=3
	v_or_b32_e32 v19, 0x10000, v20
	v_cmp_eq_u32_sdwa vcc, v20, v3 src0_sel:WORD_0 src1_sel:DWORD
	s_nop 1
	v_cndmask_b32_e32 v19, v19, v20, vcc
; %bb.1677:                             ;   in Loop: Header=BB33_1553 Depth=3
	s_or_b64 exec, exec, s[42:43]
	v_add_co_u32_e32 v20, vcc, 0xffffff80, v12
	v_and_b32_e32 v22, 0xffff0000, v34
	s_nop 0
	v_addc_co_u32_e32 v21, vcc, -1, v13, vcc
	v_lshlrev_b32_e32 v18, 16, v18
	flat_store_short_d16_hi v[20:21], v19 nt
	v_max_f32_e32 v19, v22, v22
	v_max_f32_e32 v18, v18, v18
	v_min_f32_e32 v20, v19, v18
	v_max_f32_e32 v18, v19, v18
	v_cndmask_b32_e64 v18, v18, v20, s[24:25]
	v_and_b32_e32 v19, 0x7f800000, v18
	v_cmp_ne_u32_e32 vcc, s87, v19
                                        ; implicit-def: $vgpr19
	s_and_saveexec_b64 s[42:43], vcc
	s_xor_b64 s[42:43], exec, s[42:43]
; %bb.1678:                             ;   in Loop: Header=BB33_1553 Depth=3
	v_bfe_u32 v19, v18, 16, 1
	v_add3_u32 v19, v18, v19, s96
                                        ; implicit-def: $vgpr18
; %bb.1679:                             ;   in Loop: Header=BB33_1553 Depth=3
	s_andn2_saveexec_b64 s[42:43], s[42:43]
	s_cbranch_execz .LBB33_1552
; %bb.1680:                             ;   in Loop: Header=BB33_1553 Depth=3
	v_or_b32_e32 v19, 0x10000, v18
	v_cmp_eq_u32_sdwa vcc, v18, v3 src0_sel:WORD_0 src1_sel:DWORD
	s_nop 1
	v_cndmask_b32_e32 v19, v19, v18, vcc
	s_branch .LBB33_1552
.LBB33_1681:                            ;   in Loop: Header=BB33_719 Depth=2
	s_or_b64 exec, exec, s[40:41]
	v_mov_b32_e32 v102, v115
	v_mov_b32_e32 v103, v118
	;; [unrolled: 1-line block ×4, first 2 shown]
.LBB33_1682:                            ;   in Loop: Header=BB33_719 Depth=2
	s_or_b64 exec, exec, s[28:29]
	v_lshlrev_b32_e32 v4, 11, v17
	v_cmp_ne_u32_e32 vcc, v2, v4
	s_and_b64 exec, exec, vcc
	s_cbranch_execz .LBB33_1690
; %bb.1683:                             ;   in Loop: Header=BB33_719 Depth=2
	v_lshlrev_b32_e32 v0, 6, v0
	v_sub_u32_e32 v0, v15, v0
	v_lshlrev_b32_e32 v5, 6, v16
	v_sub_u32_e32 v0, v0, v5
	v_ashrrev_i32_e32 v5, 31, v0
	v_lshrrev_b32_e32 v5, 26, v5
	v_add_u32_e32 v5, v0, v5
	v_and_b32_e32 v8, 0x7fffffc0, v5
	v_sub_u32_e32 v0, v0, v8
	v_lshlrev_b32_e32 v5, 1, v5
	v_and_b32_e32 v5, 0xffffff80, v5
	v_lshlrev_b32_e32 v0, 1, v0
	v_add3_u32 v4, v5, v0, v4
	v_sub_u32_e32 v0, v2, v4
	v_cmp_lt_i32_e32 vcc, 1, v0
	s_and_b64 exec, exec, vcc
	s_cbranch_execz .LBB33_1690
; %bb.1684:                             ;   in Loop: Header=BB33_719 Depth=2
	s_trap 2
	ds_read_b64 v[10:11], v0
	v_add_u32_e32 v4, v4, v14
	s_and_b32 s74, s62, 1
	v_ashrrev_i32_e32 v5, 31, v4
	s_cmp_eq_u64 s[74:75], 0
	v_lshl_add_u64 v[8:9], v[4:5], 0, v[100:101]
	s_waitcnt lgkmcnt(0)
	v_lshl_add_u64 v[10:11], v[10:11], 0, v[4:5]
	s_mov_b64 s[28:29], 0
	s_cselect_b64 vcc, -1, 0
	s_branch .LBB33_1686
.LBB33_1685:                            ;   in Loop: Header=BB33_1686 Depth=3
	s_or_b64 exec, exec, s[40:41]
	v_and_b32_e32 v12, 0xffff0000, v13
	v_lshlrev_b32_e32 v2, 16, v2
	v_max_f32_e32 v12, v12, v12
	v_max_f32_e32 v2, v2, v2
	v_min_f32_e32 v13, v12, v2
	v_max_f32_e32 v2, v12, v2
	v_cndmask_b32_e32 v2, v2, v13, vcc
	v_and_b32_e32 v12, 0x7f800000, v2
	v_bfe_u32 v13, v2, 16, 1
	v_or_b32_e32 v16, 0x10000, v2
	v_cmp_eq_u32_sdwa s[24:25], v2, v3 src0_sel:WORD_0 src1_sel:DWORD
	v_add3_u32 v13, v2, v13, s96
	v_sub_u32_e32 v0, v0, v88
	v_cndmask_b32_e64 v2, v16, v2, s[24:25]
	v_cmp_eq_u32_e64 s[24:25], s87, v12
	v_lshl_add_u64 v[14:15], v[98:99], 0, v[4:5]
	v_lshl_add_u64 v[8:9], v[8:9], 0, v[88:89]
	v_cndmask_b32_e64 v2, v13, v2, s[24:25]
	v_cmp_gt_i32_e64 s[24:25], 2, v0
	v_lshl_add_u64 v[10:11], v[10:11], 0, v[88:89]
	s_or_b64 s[28:29], s[24:25], s[28:29]
	v_lshl_add_u64 v[4:5], v[4:5], 0, v[88:89]
	flat_store_short_d16_hi v[14:15], v2 nt
	s_andn2_b64 exec, exec, s[28:29]
	s_cbranch_execz .LBB33_1690
.LBB33_1686:                            ;   Parent Loop BB33_47 Depth=1
                                        ;     Parent Loop BB33_719 Depth=2
                                        ; =>    This Inner Loop Header: Depth=3
	flat_load_ushort v12, v[10:11] nt
	flat_load_ushort v13, v[8:9] nt
	;; [unrolled: 1-line block ×3, first 2 shown]
	s_waitcnt vmcnt(0) lgkmcnt(0)
	v_lshlrev_b32_e32 v12, 16, v12
	v_lshlrev_b32_e32 v13, 16, v13
	v_max_f32_e32 v12, v12, v12
	v_max_f32_e32 v13, v13, v13
	v_min_f32_e32 v14, v13, v12
	v_max_f32_e32 v12, v13, v12
	v_cndmask_b32_e32 v12, v12, v14, vcc
	v_and_b32_e32 v13, 0x7f800000, v12
	v_cmp_ne_u32_e64 s[24:25], s87, v13
                                        ; implicit-def: $vgpr13
	s_and_saveexec_b64 s[40:41], s[24:25]
	s_xor_b64 s[24:25], exec, s[40:41]
; %bb.1687:                             ;   in Loop: Header=BB33_1686 Depth=3
	v_bfe_u32 v13, v12, 16, 1
	v_add3_u32 v13, v12, v13, s96
                                        ; implicit-def: $vgpr12
; %bb.1688:                             ;   in Loop: Header=BB33_1686 Depth=3
	s_andn2_saveexec_b64 s[40:41], s[24:25]
	s_cbranch_execz .LBB33_1685
; %bb.1689:                             ;   in Loop: Header=BB33_1686 Depth=3
	v_or_b32_e32 v13, 0x10000, v12
	v_cmp_eq_u32_sdwa s[24:25], v12, v3 src0_sel:WORD_0 src1_sel:DWORD
	s_nop 1
	v_cndmask_b32_e64 v13, v13, v12, s[24:25]
	s_branch .LBB33_1685
.LBB33_1690:                            ;   in Loop: Header=BB33_719 Depth=2
	s_or_b64 exec, exec, s[26:27]
	v_cmp_lt_i32_e64 s[24:25], 0, v85
	s_and_saveexec_b64 s[26:27], s[4:5]
	s_cbranch_execz .LBB33_795
.LBB33_1691:                            ;   in Loop: Header=BB33_719 Depth=2
	s_and_saveexec_b64 s[28:29], s[76:77]
	s_xor_b64 s[28:29], exec, s[28:29]
	s_cbranch_execz .LBB33_1706
; %bb.1692:                             ;   in Loop: Header=BB33_719 Depth=2
	s_and_saveexec_b64 s[40:41], s[12:13]
	s_cbranch_execz .LBB33_1705
; %bb.1693:                             ;   in Loop: Header=BB33_719 Depth=2
	s_mov_b64 s[44:45], exec
	v_mbcnt_lo_u32_b32 v0, s44, 0
	v_mbcnt_hi_u32_b32 v0, s45, v0
	v_cmp_eq_u32_e32 vcc, 0, v0
	s_waitcnt lgkmcnt(0)
	s_and_saveexec_b64 s[42:43], vcc
	s_cbranch_execz .LBB33_1695
; %bb.1694:                             ;   in Loop: Header=BB33_719 Depth=2
	s_bcnt1_i32_b64 s44, s[44:45]
	v_mov_b32_e32 v2, s44
	ds_add_u64 v0, v[2:3]
	s_trap 2
.LBB33_1695:                            ;   in Loop: Header=BB33_719 Depth=2
	s_or_b64 exec, exec, s[42:43]
	s_trap 2
	ds_read_b64 v[4:5], v0
	s_waitcnt lgkmcnt(0)
	v_lshl_add_u64 v[46:47], v[46:47], 0, v[60:61]
	v_cmp_lt_u64_e32 vcc, v[4:5], v[46:47]
	s_and_saveexec_b64 s[42:43], vcc
	s_cbranch_execz .LBB33_1704
; %bb.1696:                             ;   in Loop: Header=BB33_719 Depth=2
	s_mov_b32 s62, 0
	s_mov_b64 s[44:45], 0
                                        ; implicit-def: $sgpr46_sgpr47
                                        ; implicit-def: $sgpr56_sgpr57
	s_branch .LBB33_1698
.LBB33_1697:                            ;   in Loop: Header=BB33_1698 Depth=3
	s_or_b64 exec, exec, s[60:61]
	s_and_b64 s[58:59], exec, vcc
	s_or_b64 s[44:45], s[58:59], s[44:45]
	s_andn2_b64 s[46:47], s[46:47], exec
	s_and_b64 s[58:59], s[56:57], exec
	s_or_b64 s[46:47], s[46:47], s[58:59]
	s_andn2_b64 exec, exec, s[44:45]
	s_cbranch_execz .LBB33_1702
.LBB33_1698:                            ;   Parent Loop BB33_47 Depth=1
                                        ;     Parent Loop BB33_719 Depth=2
                                        ; =>    This Inner Loop Header: Depth=3
	s_add_i32 s62, s62, 1
	s_cmpk_lg_i32 s62, 0x2710
	s_cselect_b64 s[58:59], -1, 0
	s_and_b64 vcc, exec, s[58:59]
	s_cbranch_vccz .LBB33_1700
; %bb.1699:                             ;   in Loop: Header=BB33_1698 Depth=3
	s_mov_b64 vcc, -1
	s_or_b64 s[56:57], s[56:57], exec
	s_and_saveexec_b64 s[60:61], s[58:59]
	s_cbranch_execz .LBB33_1697
	s_branch .LBB33_1701
.LBB33_1700:                            ;   in Loop: Header=BB33_1698 Depth=3
	s_trap 2
	ds_read_b64 v[4:5], v0
	s_andn2_b64 s[58:59], s[58:59], exec
	s_mov_b32 s62, 0
	s_waitcnt vmcnt(0) lgkmcnt(0)
	flat_load_dword v0, v[4:5] sc0 sc1
	s_waitcnt vmcnt(0) lgkmcnt(0)
	buffer_inv sc0 sc1
	v_cmp_eq_u32_e32 vcc, 0, v0
	s_and_b64 s[60:61], vcc, exec
	s_or_b64 s[58:59], s[58:59], s[60:61]
	s_mov_b64 vcc, -1
	s_or_b64 s[56:57], s[56:57], exec
	s_and_saveexec_b64 s[60:61], s[58:59]
	s_cbranch_execz .LBB33_1697
.LBB33_1701:                            ;   in Loop: Header=BB33_1698 Depth=3
	s_sleep 1
	s_trap 2
	ds_read_b64 v[4:5], v0
	s_waitcnt lgkmcnt(0)
	s_andn2_b64 s[56:57], s[56:57], exec
	v_cmp_ge_u64_e32 vcc, v[4:5], v[46:47]
	s_orn2_b64 vcc, vcc, exec
	s_branch .LBB33_1697
.LBB33_1702:                            ;   in Loop: Header=BB33_719 Depth=2
	s_or_b64 exec, exec, s[44:45]
	s_and_saveexec_b64 s[44:45], s[46:47]
	s_xor_b64 s[44:45], exec, s[44:45]
	s_cbranch_execz .LBB33_1704
; %bb.1703:                             ;   in Loop: Header=BB33_719 Depth=2
	ds_write_b32 v0, v1
	s_trap 2
.LBB33_1704:                            ;   in Loop: Header=BB33_719 Depth=2
	s_or_b64 exec, exec, s[42:43]
	;;#ASMSTART
	s_wakeup
	;;#ASMEND
.LBB33_1705:                            ;   in Loop: Header=BB33_719 Depth=2
	s_or_b64 exec, exec, s[40:41]
.LBB33_1706:                            ;   in Loop: Header=BB33_719 Depth=2
	s_andn2_saveexec_b64 s[28:29], s[28:29]
	s_cbranch_execz .LBB33_1708
; %bb.1707:                             ;   in Loop: Header=BB33_719 Depth=2
	s_waitcnt lgkmcnt(0)
	s_barrier
.LBB33_1708:                            ;   in Loop: Header=BB33_719 Depth=2
	s_or_b64 exec, exec, s[28:29]
	s_or_b64 exec, exec, s[26:27]
                                        ; implicit-def: $vgpr0
	s_and_saveexec_b64 s[26:27], s[20:21]
	s_xor_b64 s[26:27], exec, s[26:27]
	s_cbranch_execnz .LBB33_796
.LBB33_1709:                            ;   in Loop: Header=BB33_719 Depth=2
	s_andn2_saveexec_b64 s[24:25], s[26:27]
	s_cbranch_execz .LBB33_1728
.LBB33_1710:                            ;   in Loop: Header=BB33_719 Depth=2
	s_and_saveexec_b64 s[26:27], s[76:77]
	s_xor_b64 s[26:27], exec, s[26:27]
	s_cbranch_execz .LBB33_1725
; %bb.1711:                             ;   in Loop: Header=BB33_719 Depth=2
	s_and_saveexec_b64 s[28:29], s[12:13]
	s_cbranch_execz .LBB33_1724
; %bb.1712:                             ;   in Loop: Header=BB33_719 Depth=2
	s_mov_b64 s[42:43], exec
	v_mbcnt_lo_u32_b32 v0, s42, 0
	v_mbcnt_hi_u32_b32 v0, s43, v0
	v_cmp_eq_u32_e32 vcc, 0, v0
	;;#ASMSTART
	s_waitcnt lgkmcnt(0) vmcnt(0)
	;;#ASMEND
	s_and_saveexec_b64 s[40:41], vcc
	s_cbranch_execz .LBB33_1714
; %bb.1713:                             ;   in Loop: Header=BB33_719 Depth=2
	s_bcnt1_i32_b64 s42, s[42:43]
	v_mov_b32_e32 v2, s42
	s_waitcnt lgkmcnt(0)
	ds_add_u64 v0, v[2:3]
	s_trap 2
.LBB33_1714:                            ;   in Loop: Header=BB33_719 Depth=2
	s_or_b64 exec, exec, s[40:41]
	s_trap 2
	ds_read_b64 v[4:5], v0
	s_waitcnt lgkmcnt(0)
	v_lshl_add_u64 v[46:47], v[46:47], 0, v[60:61]
	v_cmp_lt_u64_e32 vcc, v[4:5], v[46:47]
	s_and_saveexec_b64 s[40:41], vcc
	s_cbranch_execz .LBB33_1723
; %bb.1715:                             ;   in Loop: Header=BB33_719 Depth=2
	s_mov_b32 s62, 0
	s_mov_b64 s[42:43], 0
                                        ; implicit-def: $sgpr44_sgpr45
                                        ; implicit-def: $sgpr46_sgpr47
	s_branch .LBB33_1717
.LBB33_1716:                            ;   in Loop: Header=BB33_1717 Depth=3
	s_or_b64 exec, exec, s[58:59]
	s_and_b64 s[56:57], exec, s[60:61]
	s_or_b64 s[42:43], s[56:57], s[42:43]
	s_andn2_b64 s[44:45], s[44:45], exec
	s_and_b64 s[56:57], s[46:47], exec
	s_or_b64 s[44:45], s[44:45], s[56:57]
	s_andn2_b64 exec, exec, s[42:43]
	s_cbranch_execz .LBB33_1721
.LBB33_1717:                            ;   Parent Loop BB33_47 Depth=1
                                        ;     Parent Loop BB33_719 Depth=2
                                        ; =>    This Inner Loop Header: Depth=3
	s_add_i32 s62, s62, 1
	s_cmpk_lg_i32 s62, 0x2710
	s_cselect_b64 s[56:57], -1, 0
	s_and_b64 vcc, exec, s[56:57]
	s_cbranch_vccz .LBB33_1719
; %bb.1718:                             ;   in Loop: Header=BB33_1717 Depth=3
	s_mov_b64 s[60:61], -1
	s_or_b64 s[46:47], s[46:47], exec
	s_and_saveexec_b64 s[58:59], s[56:57]
	s_cbranch_execz .LBB33_1716
	s_branch .LBB33_1720
.LBB33_1719:                            ;   in Loop: Header=BB33_1717 Depth=3
	s_trap 2
	ds_read_b64 v[4:5], v0
	s_andn2_b64 s[56:57], s[56:57], exec
	s_mov_b32 s62, 0
	s_waitcnt vmcnt(0) lgkmcnt(0)
	flat_load_dword v0, v[4:5] sc0 sc1
	s_waitcnt vmcnt(0) lgkmcnt(0)
	buffer_inv sc0 sc1
	v_cmp_eq_u32_e32 vcc, 0, v0
	s_and_b64 s[58:59], vcc, exec
	s_or_b64 s[56:57], s[56:57], s[58:59]
	s_mov_b64 s[60:61], -1
	s_or_b64 s[46:47], s[46:47], exec
	s_and_saveexec_b64 s[58:59], s[56:57]
	s_cbranch_execz .LBB33_1716
.LBB33_1720:                            ;   in Loop: Header=BB33_1717 Depth=3
	s_sleep 1
	s_trap 2
	ds_read_b64 v[4:5], v0
	s_waitcnt lgkmcnt(0)
	s_andn2_b64 s[46:47], s[46:47], exec
	v_cmp_ge_u64_e32 vcc, v[4:5], v[46:47]
	s_orn2_b64 s[60:61], vcc, exec
	s_branch .LBB33_1716
.LBB33_1721:                            ;   in Loop: Header=BB33_719 Depth=2
	s_or_b64 exec, exec, s[42:43]
	s_and_saveexec_b64 s[42:43], s[44:45]
	s_xor_b64 s[42:43], exec, s[42:43]
	s_cbranch_execz .LBB33_1723
; %bb.1722:                             ;   in Loop: Header=BB33_719 Depth=2
	ds_write_b32 v0, v1
	s_trap 2
.LBB33_1723:                            ;   in Loop: Header=BB33_719 Depth=2
	s_or_b64 exec, exec, s[40:41]
	;;#ASMSTART
	s_wakeup
	;;#ASMEND
.LBB33_1724:                            ;   in Loop: Header=BB33_719 Depth=2
	s_or_b64 exec, exec, s[28:29]
.LBB33_1725:                            ;   in Loop: Header=BB33_719 Depth=2
	s_andn2_saveexec_b64 s[26:27], s[26:27]
	s_cbranch_execz .LBB33_1727
; %bb.1726:                             ;   in Loop: Header=BB33_719 Depth=2
	;;#ASMSTART
	s_waitcnt lgkmcnt(0) vmcnt(0)
	;;#ASMEND
	s_barrier
.LBB33_1727:                            ;   in Loop: Header=BB33_719 Depth=2
	s_or_b64 exec, exec, s[26:27]
	v_and_b32_e32 v0, 16, v58
.LBB33_1728:                            ;   in Loop: Header=BB33_719 Depth=2
	s_or_b64 exec, exec, s[24:25]
	v_cmp_ne_u32_e32 vcc, 0, v0
	s_xor_b64 s[24:25], s[6:7], -1
	s_and_b64 s[26:27], vcc, s[24:25]
	s_and_saveexec_b64 s[24:25], s[26:27]
	s_cbranch_execz .LBB33_1730
; %bb.1729:                             ;   in Loop: Header=BB33_719 Depth=2
	flat_store_dword v[44:45], v1 sc0 sc1
.LBB33_1730:                            ;   in Loop: Header=BB33_719 Depth=2
	s_or_b64 exec, exec, s[24:25]
	v_and_b32_e32 v0, 48, v58
	v_cmp_ne_u32_e32 vcc, 0, v0
	s_and_saveexec_b64 s[24:25], vcc
	s_cbranch_execz .LBB33_718
; %bb.1731:                             ;   in Loop: Header=BB33_719 Depth=2
	v_lshl_add_u64 v[116:117], v[116:117], 0, 2
	flat_store_dwordx2 v[40:41], v[116:117] sc0 sc1
	s_branch .LBB33_718
.LBB33_1732:                            ;   in Loop: Header=BB33_47 Depth=1
	s_or_b64 exec, exec, s[48:49]
	scratch_load_dwordx2 v[96:97], off, s33 offset:208 ; 8-byte Folded Reload
.LBB33_1733:                            ;   in Loop: Header=BB33_47 Depth=1
	s_or_b64 exec, exec, s[38:39]
	v_cmp_gt_i32_e32 vcc, 2, v0
	s_and_saveexec_b64 s[26:27], vcc
	s_cbranch_execz .LBB33_1809
; %bb.1734:                             ;   in Loop: Header=BB33_47 Depth=1
	v_cmp_eq_u32_e64 s[40:41], 0, v0
	s_mov_b64 s[28:29], 0
	s_branch .LBB33_1736
.LBB33_1735:                            ;   in Loop: Header=BB33_1736 Depth=2
	s_or_b64 exec, exec, s[24:25]
	v_add_u32_e32 v86, v84, v86
	s_mov_b64 s[40:41], 0
	s_andn2_b64 exec, exec, s[28:29]
	s_cbranch_execz .LBB33_1808
.LBB33_1736:                            ;   Parent Loop BB33_47 Depth=1
                                        ; =>  This Loop Header: Depth=2
                                        ;       Child Loop BB33_1742 Depth 3
                                        ;       Child Loop BB33_1770 Depth 3
	;; [unrolled: 1-line block ×3, first 2 shown]
	v_sub_u32_e32 v0, v72, v86
	v_min_i32_e32 v84, v84, v0
	v_and_b32_e32 v0, 12, v58
	v_cmp_ne_u32_e32 vcc, 0, v0
	s_and_saveexec_b64 s[42:43], vcc
	s_cbranch_execz .LBB33_1762
; %bb.1737:                             ;   in Loop: Header=BB33_1736 Depth=2
	v_and_b32_e32 v2, 8, v58
	s_waitcnt vmcnt(0) lgkmcnt(0)
	v_lshl_add_u64 v[8:9], v[56:57], 0, v[2:3]
	v_lshl_add_u64 v[4:5], v[116:117], 0, 2
	v_cmp_lt_u64_e32 vcc, v[8:9], v[4:5]
	s_and_saveexec_b64 s[44:45], vcc
	s_cbranch_execz .LBB33_1749
; %bb.1738:                             ;   in Loop: Header=BB33_1736 Depth=2
	v_and_b32_e32 v0, 64, v58
	s_mov_b32 s62, 0
	v_cmp_eq_u32_e32 vcc, 0, v0
	s_mov_b64 s[46:47], 0
                                        ; implicit-def: $sgpr56_sgpr57
                                        ; implicit-def: $sgpr58_sgpr59
                                        ; implicit-def: $sgpr60_sgpr61
	s_branch .LBB33_1742
.LBB33_1739:                            ;   in Loop: Header=BB33_1742 Depth=3
	s_waitcnt vmcnt(0) lgkmcnt(0)
	v_lshl_add_u64 v[8:9], v[56:57], 0, v[2:3]
	v_cmp_ge_u64_e64 s[24:25], v[8:9], v[4:5]
	s_or_b64 s[50:51], s[50:51], exec
	s_orn2_b64 s[48:49], s[24:25], exec
.LBB33_1740:                            ;   in Loop: Header=BB33_1742 Depth=3
	s_or_b64 exec, exec, s[54:55]
	s_andn2_b64 s[24:25], s[60:61], exec
	s_and_b64 s[60:61], s[50:51], exec
	s_or_b64 s[60:61], s[24:25], s[60:61]
	s_andn2_b64 s[24:25], s[58:59], exec
	s_and_b64 s[58:59], s[48:49], exec
	s_or_b64 s[58:59], s[24:25], s[58:59]
.LBB33_1741:                            ;   in Loop: Header=BB33_1742 Depth=3
	s_or_b64 exec, exec, s[38:39]
	s_and_b64 s[24:25], exec, s[58:59]
	s_or_b64 s[46:47], s[24:25], s[46:47]
	s_andn2_b64 s[24:25], s[56:57], exec
	s_and_b64 s[56:57], s[60:61], exec
	s_or_b64 s[56:57], s[24:25], s[56:57]
	s_andn2_b64 exec, exec, s[46:47]
	s_cbranch_execz .LBB33_1746
.LBB33_1742:                            ;   Parent Loop BB33_47 Depth=1
                                        ;     Parent Loop BB33_1736 Depth=2
                                        ; =>    This Inner Loop Header: Depth=3
	s_sleep 1
	s_waitcnt vmcnt(0) lgkmcnt(0)
	flat_load_dwordx2 v[56:57], v[40:41] sc0 sc1
	s_or_b64 s[60:61], s[60:61], exec
	s_or_b64 s[58:59], s[58:59], exec
                                        ; implicit-def: $vgpr0
	s_and_saveexec_b64 s[38:39], vcc
	s_cbranch_execz .LBB33_1741
; %bb.1743:                             ;   in Loop: Header=BB33_1742 Depth=3
	s_cmpk_lt_i32 s62, 0x270f
	s_cselect_b64 s[52:53], -1, 0
	s_cmpk_gt_i32 s62, 0x270e
	s_mov_b64 s[48:49], -1
	s_cbranch_scc0 .LBB33_1745
; %bb.1744:                             ;   in Loop: Header=BB33_1742 Depth=3
	s_trap 2
	ds_read_b64 v[8:9], v0
	s_andn2_b64 s[52:53], s[52:53], exec
	s_mov_b32 s62, 0
	s_mov_b64 s[50:51], 0
	s_waitcnt vmcnt(0) lgkmcnt(0)
	flat_load_dword v0, v[8:9] sc0 sc1
	s_waitcnt vmcnt(0) lgkmcnt(0)
	buffer_inv sc0 sc1
	v_cmp_eq_u32_e64 s[24:25], 0, v0
	s_and_b64 s[24:25], s[24:25], exec
	s_or_b64 s[52:53], s[52:53], s[24:25]
	s_and_saveexec_b64 s[54:55], s[52:53]
	s_cbranch_execz .LBB33_1740
	s_branch .LBB33_1739
.LBB33_1745:                            ;   in Loop: Header=BB33_1742 Depth=3
	s_add_i32 s62, s62, 1
	s_mov_b64 s[50:51], -1
                                        ; implicit-def: $vgpr0
	s_and_saveexec_b64 s[54:55], s[52:53]
	s_cbranch_execz .LBB33_1740
	s_branch .LBB33_1739
.LBB33_1746:                            ;   in Loop: Header=BB33_1736 Depth=2
	s_or_b64 exec, exec, s[46:47]
	s_xor_b64 s[24:25], s[56:57], -1
	s_and_saveexec_b64 s[46:47], s[24:25]
	s_xor_b64 s[24:25], exec, s[46:47]
	s_cbranch_execz .LBB33_1748
; %bb.1747:                             ;   in Loop: Header=BB33_1736 Depth=2
	v_or_b32_e32 v58, 64, v58
	s_waitcnt lgkmcnt(0)
	ds_write_b32 v0, v0
	s_trap 2
.LBB33_1748:                            ;   in Loop: Header=BB33_1736 Depth=2
	s_or_b64 exec, exec, s[24:25]
.LBB33_1749:                            ;   in Loop: Header=BB33_1736 Depth=2
	s_or_b64 exec, exec, s[44:45]
	v_and_b32_e32 v0, 0x108, v58
	v_cmp_ne_u32_e32 vcc, s86, v0
	;;#ASMSTART
	s_wakeup
	;;#ASMEND
                                        ; implicit-def: $vgpr8_vgpr9
	s_and_saveexec_b64 s[24:25], vcc
	s_xor_b64 s[24:25], exec, s[24:25]
; %bb.1750:                             ;   in Loop: Header=BB33_1736 Depth=2
	v_and_b32_e32 v8, 7, v116
	v_mov_b32_e32 v9, v3
                                        ; implicit-def: $vgpr116_vgpr117
; %bb.1751:                             ;   in Loop: Header=BB33_1736 Depth=2
	s_andn2_saveexec_b64 s[24:25], s[24:25]
	s_cbranch_execz .LBB33_1753
; %bb.1752:                             ;   in Loop: Header=BB33_1736 Depth=2
	v_and_b32_e32 v8, 7, v116
	v_ashrrev_i32_e32 v85, 31, v84
	v_mov_b32_e32 v9, v3
	v_mad_u64_u32 v[10:11], s[44:45], v8, 24, v[6:7]
	v_lshlrev_b64 v[12:13], 1, v[84:85]
	flat_store_dwordx2 v[10:11], v[12:13] offset:8
.LBB33_1753:                            ;   in Loop: Header=BB33_1736 Depth=2
	s_or_b64 exec, exec, s[24:25]
	v_and_b32_e32 v0, 0x100, v58
	v_cmp_ne_u32_e32 vcc, 0, v0
	s_mov_b64 s[24:25], -1
                                        ; implicit-def: $vgpr10_vgpr11
	s_and_saveexec_b64 s[44:45], vcc
	s_cbranch_execz .LBB33_1757
; %bb.1754:                             ;   in Loop: Header=BB33_1736 Depth=2
	v_mad_u64_u32 v[12:13], s[24:25], v8, 24, v[6:7]
	v_mov_b32_e32 v0, v13
	v_mad_u64_u32 v[10:11], s[24:25], v9, 24, v[0:1]
	v_mov_b32_e32 v13, v10
	flat_load_dword v0, v[12:13]
                                        ; implicit-def: $vgpr10_vgpr11
	s_waitcnt vmcnt(0) lgkmcnt(0)
	v_cmp_ne_u32_e32 vcc, 1, v0
	v_cmp_eq_u32_e64 s[24:25], 1, v0
	s_and_saveexec_b64 s[46:47], s[24:25]
	s_cbranch_execz .LBB33_1756
; %bb.1755:                             ;   in Loop: Header=BB33_1736 Depth=2
	flat_load_dword v10, v[12:13] offset:4 sc0 sc1
	s_waitcnt vmcnt(0) lgkmcnt(0)
	v_ashrrev_i32_e32 v11, 31, v10
	v_lshrrev_b64 v[10:11], 1, v[10:11]
.LBB33_1756:                            ;   in Loop: Header=BB33_1736 Depth=2
	s_or_b64 exec, exec, s[46:47]
	s_orn2_b64 s[24:25], vcc, exec
.LBB33_1757:                            ;   in Loop: Header=BB33_1736 Depth=2
	s_or_b64 exec, exec, s[44:45]
	s_and_saveexec_b64 s[44:45], s[24:25]
; %bb.1758:                             ;   in Loop: Header=BB33_1736 Depth=2
	v_mul_lo_u32 v0, v9, v30
	v_ashrrev_i32_e32 v9, 31, v30
	v_mul_lo_u32 v9, v8, v9
	v_mad_u64_u32 v[10:11], s[24:25], v8, v30, 0
	v_add3_u32 v11, v11, v9, v0
; %bb.1759:                             ;   in Loop: Header=BB33_1736 Depth=2
	s_or_b64 exec, exec, s[44:45]
	v_cmp_eq_u32_e32 vcc, 0, v2
	v_lshl_add_u64 v[8:9], v[10:11], 1, v[42:43]
	s_nop 0
	v_cndmask_b32_e32 v0, v112, v103, vcc
	v_add_u32_e32 v0, v0, v0
	ds_write_b64 v0, v[8:9] offset:584
	v_and_b32_e32 v0, 0x2000, v58
	v_cmp_ne_u32_e32 vcc, 0, v0
	s_and_saveexec_b64 s[24:25], vcc
	s_cbranch_execz .LBB33_1761
; %bb.1760:                             ;   in Loop: Header=BB33_1736 Depth=2
	ds_read_b64 v[8:9], v0 offset:872
	s_waitcnt lgkmcnt(0)
	v_lshl_add_u64 v[8:9], v[8:9], 0, 1
	ds_write_b64 v0, v[8:9] offset:872
.LBB33_1761:                            ;   in Loop: Header=BB33_1736 Depth=2
	s_or_b64 exec, exec, s[24:25]
	v_mov_b64_e32 v[116:117], v[4:5]
.LBB33_1762:                            ;   in Loop: Header=BB33_1736 Depth=2
	s_or_b64 exec, exec, s[42:43]
	s_xor_b64 s[24:25], s[40:41], -1
	s_and_b64 s[24:25], exec, s[24:25]
	s_or_b64 s[28:29], s[24:25], s[28:29]
	s_and_saveexec_b64 s[24:25], s[4:5]
	s_cbranch_execz .LBB33_1781
; %bb.1763:                             ;   in Loop: Header=BB33_1736 Depth=2
	s_and_saveexec_b64 s[40:41], s[76:77]
	s_xor_b64 s[40:41], exec, s[40:41]
	s_cbranch_execz .LBB33_1778
; %bb.1764:                             ;   in Loop: Header=BB33_1736 Depth=2
	s_and_saveexec_b64 s[42:43], s[12:13]
	s_cbranch_execz .LBB33_1777
; %bb.1765:                             ;   in Loop: Header=BB33_1736 Depth=2
	s_mov_b64 s[46:47], exec
	v_mbcnt_lo_u32_b32 v0, s46, 0
	v_mbcnt_hi_u32_b32 v0, s47, v0
	v_cmp_eq_u32_e32 vcc, 0, v0
	s_waitcnt lgkmcnt(0)
	s_and_saveexec_b64 s[44:45], vcc
	s_cbranch_execz .LBB33_1767
; %bb.1766:                             ;   in Loop: Header=BB33_1736 Depth=2
	s_bcnt1_i32_b64 s46, s[46:47]
	v_mov_b32_e32 v2, s46
	ds_add_u64 v0, v[2:3]
	s_trap 2
.LBB33_1767:                            ;   in Loop: Header=BB33_1736 Depth=2
	s_or_b64 exec, exec, s[44:45]
	s_trap 2
	ds_read_b64 v[4:5], v0
	s_waitcnt lgkmcnt(0)
	v_lshl_add_u64 v[46:47], v[46:47], 0, v[60:61]
	v_cmp_lt_u64_e32 vcc, v[4:5], v[46:47]
	s_and_saveexec_b64 s[44:45], vcc
	s_cbranch_execz .LBB33_1776
; %bb.1768:                             ;   in Loop: Header=BB33_1736 Depth=2
	s_mov_b32 s62, 0
	s_mov_b64 s[46:47], 0
                                        ; implicit-def: $sgpr56_sgpr57
                                        ; implicit-def: $sgpr58_sgpr59
	s_branch .LBB33_1770
.LBB33_1769:                            ;   in Loop: Header=BB33_1770 Depth=3
	s_or_b64 exec, exec, s[38:39]
	s_and_b64 s[60:61], exec, vcc
	s_or_b64 s[46:47], s[60:61], s[46:47]
	s_andn2_b64 s[56:57], s[56:57], exec
	s_and_b64 s[60:61], s[58:59], exec
	s_or_b64 s[56:57], s[56:57], s[60:61]
	s_andn2_b64 exec, exec, s[46:47]
	s_cbranch_execz .LBB33_1774
.LBB33_1770:                            ;   Parent Loop BB33_47 Depth=1
                                        ;     Parent Loop BB33_1736 Depth=2
                                        ; =>    This Inner Loop Header: Depth=3
	s_add_i32 s62, s62, 1
	s_cmpk_lg_i32 s62, 0x2710
	s_cselect_b64 s[60:61], -1, 0
	s_and_b64 vcc, exec, s[60:61]
	s_cbranch_vccz .LBB33_1772
; %bb.1771:                             ;   in Loop: Header=BB33_1770 Depth=3
	s_mov_b64 vcc, -1
	s_or_b64 s[58:59], s[58:59], exec
	s_and_saveexec_b64 s[38:39], s[60:61]
	s_cbranch_execz .LBB33_1769
	s_branch .LBB33_1773
.LBB33_1772:                            ;   in Loop: Header=BB33_1770 Depth=3
	s_trap 2
	ds_read_b64 v[4:5], v0
	s_andn2_b64 s[60:61], s[60:61], exec
	s_mov_b32 s62, 0
	s_waitcnt vmcnt(0) lgkmcnt(0)
	flat_load_dword v0, v[4:5] sc0 sc1
	s_waitcnt vmcnt(0) lgkmcnt(0)
	buffer_inv sc0 sc1
	v_cmp_eq_u32_e32 vcc, 0, v0
	s_and_b64 vcc, vcc, exec
	s_or_b64 s[60:61], s[60:61], vcc
	s_mov_b64 vcc, -1
	s_or_b64 s[58:59], s[58:59], exec
	s_and_saveexec_b64 s[38:39], s[60:61]
	s_cbranch_execz .LBB33_1769
.LBB33_1773:                            ;   in Loop: Header=BB33_1770 Depth=3
	s_sleep 1
	s_trap 2
	ds_read_b64 v[4:5], v0
	s_waitcnt lgkmcnt(0)
	s_andn2_b64 s[58:59], s[58:59], exec
	v_cmp_ge_u64_e32 vcc, v[4:5], v[46:47]
	s_orn2_b64 vcc, vcc, exec
	s_branch .LBB33_1769
.LBB33_1774:                            ;   in Loop: Header=BB33_1736 Depth=2
	s_or_b64 exec, exec, s[46:47]
	s_and_saveexec_b64 s[46:47], s[56:57]
	s_xor_b64 s[46:47], exec, s[46:47]
	s_cbranch_execz .LBB33_1776
; %bb.1775:                             ;   in Loop: Header=BB33_1736 Depth=2
	ds_write_b32 v0, v1
	s_trap 2
.LBB33_1776:                            ;   in Loop: Header=BB33_1736 Depth=2
	s_or_b64 exec, exec, s[44:45]
	;;#ASMSTART
	s_wakeup
	;;#ASMEND
.LBB33_1777:                            ;   in Loop: Header=BB33_1736 Depth=2
	s_or_b64 exec, exec, s[42:43]
.LBB33_1778:                            ;   in Loop: Header=BB33_1736 Depth=2
	s_andn2_saveexec_b64 s[40:41], s[40:41]
	s_cbranch_execz .LBB33_1780
; %bb.1779:                             ;   in Loop: Header=BB33_1736 Depth=2
	s_waitcnt lgkmcnt(0)
	s_barrier
.LBB33_1780:                            ;   in Loop: Header=BB33_1736 Depth=2
	s_or_b64 exec, exec, s[40:41]
.LBB33_1781:                            ;   in Loop: Header=BB33_1736 Depth=2
	s_or_b64 exec, exec, s[24:25]
                                        ; implicit-def: $vgpr0
	s_and_saveexec_b64 s[24:25], s[20:21]
	s_xor_b64 s[24:25], exec, s[24:25]
	s_cbranch_execz .LBB33_1785
; %bb.1782:                             ;   in Loop: Header=BB33_1736 Depth=2
	s_trap 2
	ds_read_b32 v2, v0
	v_cmp_lt_i32_e32 vcc, 0, v84
	v_and_b32_e32 v4, 16, v58
	v_and_b32_e32 v0, 16, v58
	s_waitcnt lgkmcnt(0)
	v_readfirstlane_b32 s40, v2
	s_cmp_eq_u32 s40, 0
	s_cselect_b64 s[40:41], -1, 0
	s_and_b64 s[40:41], vcc, s[40:41]
	v_cmp_ne_u32_e32 vcc, 0, v4
	s_and_b64 s[42:43], vcc, s[40:41]
	s_and_saveexec_b64 s[40:41], s[42:43]
	s_cbranch_execz .LBB33_1784
; %bb.1783:                             ;   in Loop: Header=BB33_1736 Depth=2
	v_mov_b32_e32 v0, 1
	buffer_wbl2 sc1
	s_waitcnt vmcnt(0)
	buffer_inv sc1
.LBB33_1784:                            ;   in Loop: Header=BB33_1736 Depth=2
	s_or_b64 exec, exec, s[40:41]
	s_andn2_saveexec_b64 s[24:25], s[24:25]
	s_cbranch_execz .LBB33_1804
	s_branch .LBB33_1786
.LBB33_1785:                            ;   in Loop: Header=BB33_1736 Depth=2
	s_andn2_saveexec_b64 s[24:25], s[24:25]
	s_cbranch_execz .LBB33_1804
.LBB33_1786:                            ;   in Loop: Header=BB33_1736 Depth=2
	s_and_saveexec_b64 s[40:41], s[76:77]
	s_xor_b64 s[40:41], exec, s[40:41]
	s_cbranch_execz .LBB33_1801
; %bb.1787:                             ;   in Loop: Header=BB33_1736 Depth=2
	s_and_saveexec_b64 s[42:43], s[12:13]
	s_cbranch_execz .LBB33_1800
; %bb.1788:                             ;   in Loop: Header=BB33_1736 Depth=2
	s_mov_b64 s[46:47], exec
	v_mbcnt_lo_u32_b32 v0, s46, 0
	v_mbcnt_hi_u32_b32 v0, s47, v0
	v_cmp_eq_u32_e32 vcc, 0, v0
	;;#ASMSTART
	s_waitcnt lgkmcnt(0) vmcnt(0)
	;;#ASMEND
	s_and_saveexec_b64 s[44:45], vcc
	s_cbranch_execz .LBB33_1790
; %bb.1789:                             ;   in Loop: Header=BB33_1736 Depth=2
	s_bcnt1_i32_b64 s46, s[46:47]
	v_mov_b32_e32 v2, s46
	s_waitcnt lgkmcnt(0)
	ds_add_u64 v0, v[2:3]
	s_trap 2
.LBB33_1790:                            ;   in Loop: Header=BB33_1736 Depth=2
	s_or_b64 exec, exec, s[44:45]
	s_trap 2
	ds_read_b64 v[4:5], v0
	s_waitcnt lgkmcnt(0)
	v_lshl_add_u64 v[46:47], v[46:47], 0, v[60:61]
	v_cmp_lt_u64_e32 vcc, v[4:5], v[46:47]
	s_and_saveexec_b64 s[44:45], vcc
	s_cbranch_execz .LBB33_1799
; %bb.1791:                             ;   in Loop: Header=BB33_1736 Depth=2
	s_mov_b32 s62, 0
	s_mov_b64 s[46:47], 0
                                        ; implicit-def: $sgpr56_sgpr57
                                        ; implicit-def: $sgpr58_sgpr59
	s_branch .LBB33_1793
.LBB33_1792:                            ;   in Loop: Header=BB33_1793 Depth=3
	s_or_b64 exec, exec, s[38:39]
	s_and_b64 s[60:61], exec, vcc
	s_or_b64 s[46:47], s[60:61], s[46:47]
	s_andn2_b64 s[56:57], s[56:57], exec
	s_and_b64 s[60:61], s[58:59], exec
	s_or_b64 s[56:57], s[56:57], s[60:61]
	s_andn2_b64 exec, exec, s[46:47]
	s_cbranch_execz .LBB33_1797
.LBB33_1793:                            ;   Parent Loop BB33_47 Depth=1
                                        ;     Parent Loop BB33_1736 Depth=2
                                        ; =>    This Inner Loop Header: Depth=3
	s_add_i32 s62, s62, 1
	s_cmpk_lg_i32 s62, 0x2710
	s_cselect_b64 s[60:61], -1, 0
	s_and_b64 vcc, exec, s[60:61]
	s_cbranch_vccz .LBB33_1795
; %bb.1794:                             ;   in Loop: Header=BB33_1793 Depth=3
	s_mov_b64 vcc, -1
	s_or_b64 s[58:59], s[58:59], exec
	s_and_saveexec_b64 s[38:39], s[60:61]
	s_cbranch_execz .LBB33_1792
	s_branch .LBB33_1796
.LBB33_1795:                            ;   in Loop: Header=BB33_1793 Depth=3
	s_trap 2
	ds_read_b64 v[4:5], v0
	s_andn2_b64 s[60:61], s[60:61], exec
	s_mov_b32 s62, 0
	s_waitcnt vmcnt(0) lgkmcnt(0)
	flat_load_dword v0, v[4:5] sc0 sc1
	s_waitcnt vmcnt(0) lgkmcnt(0)
	buffer_inv sc0 sc1
	v_cmp_eq_u32_e32 vcc, 0, v0
	s_and_b64 vcc, vcc, exec
	s_or_b64 s[60:61], s[60:61], vcc
	s_mov_b64 vcc, -1
	s_or_b64 s[58:59], s[58:59], exec
	s_and_saveexec_b64 s[38:39], s[60:61]
	s_cbranch_execz .LBB33_1792
.LBB33_1796:                            ;   in Loop: Header=BB33_1793 Depth=3
	s_sleep 1
	s_trap 2
	ds_read_b64 v[4:5], v0
	s_waitcnt lgkmcnt(0)
	s_andn2_b64 s[58:59], s[58:59], exec
	v_cmp_ge_u64_e32 vcc, v[4:5], v[46:47]
	s_orn2_b64 vcc, vcc, exec
	s_branch .LBB33_1792
.LBB33_1797:                            ;   in Loop: Header=BB33_1736 Depth=2
	s_or_b64 exec, exec, s[46:47]
	s_and_saveexec_b64 s[46:47], s[56:57]
	s_xor_b64 s[46:47], exec, s[46:47]
	s_cbranch_execz .LBB33_1799
; %bb.1798:                             ;   in Loop: Header=BB33_1736 Depth=2
	ds_write_b32 v0, v1
	s_trap 2
.LBB33_1799:                            ;   in Loop: Header=BB33_1736 Depth=2
	s_or_b64 exec, exec, s[44:45]
	;;#ASMSTART
	s_wakeup
	;;#ASMEND
.LBB33_1800:                            ;   in Loop: Header=BB33_1736 Depth=2
	s_or_b64 exec, exec, s[42:43]
.LBB33_1801:                            ;   in Loop: Header=BB33_1736 Depth=2
	s_andn2_saveexec_b64 s[40:41], s[40:41]
	s_cbranch_execz .LBB33_1803
; %bb.1802:                             ;   in Loop: Header=BB33_1736 Depth=2
	;;#ASMSTART
	s_waitcnt lgkmcnt(0) vmcnt(0)
	;;#ASMEND
	s_barrier
.LBB33_1803:                            ;   in Loop: Header=BB33_1736 Depth=2
	s_or_b64 exec, exec, s[40:41]
	v_and_b32_e32 v0, 16, v58
.LBB33_1804:                            ;   in Loop: Header=BB33_1736 Depth=2
	s_or_b64 exec, exec, s[24:25]
	v_cmp_ne_u32_e32 vcc, 0, v0
	s_xor_b64 s[24:25], s[6:7], -1
	s_and_b64 s[40:41], vcc, s[24:25]
	s_and_saveexec_b64 s[24:25], s[40:41]
	s_cbranch_execz .LBB33_1806
; %bb.1805:                             ;   in Loop: Header=BB33_1736 Depth=2
	flat_store_dword v[44:45], v1 sc0 sc1
.LBB33_1806:                            ;   in Loop: Header=BB33_1736 Depth=2
	s_or_b64 exec, exec, s[24:25]
	v_and_b32_e32 v0, 48, v58
	v_cmp_ne_u32_e32 vcc, 0, v0
	s_and_saveexec_b64 s[24:25], vcc
	s_cbranch_execz .LBB33_1735
; %bb.1807:                             ;   in Loop: Header=BB33_1736 Depth=2
	v_lshl_add_u64 v[116:117], v[116:117], 0, 2
	flat_store_dwordx2 v[40:41], v[116:117] sc0 sc1
	s_branch .LBB33_1735
.LBB33_1808:                            ;   in Loop: Header=BB33_47 Depth=1
	s_or_b64 exec, exec, s[28:29]
.LBB33_1809:                            ;   in Loop: Header=BB33_47 Depth=1
	s_or_b64 exec, exec, s[26:27]
	scratch_load_dwordx2 v[84:85], off, s33 offset:184 ; 8-byte Folded Reload
	scratch_load_dwordx2 v[12:13], off, s33 offset:200 ; 8-byte Folded Reload
	s_and_b64 vcc, exec, s[22:23]
	s_cbranch_vccnz .LBB33_2578
; %bb.1810:                             ;   in Loop: Header=BB33_47 Depth=1
	s_mov_b32 s62, 1
.LBB33_1811:                            ;   Parent Loop BB33_47 Depth=1
                                        ; =>  This Loop Header: Depth=2
                                        ;       Child Loop BB33_1814 Depth 3
                                        ;         Child Loop BB33_1822 Depth 4
                                        ;         Child Loop BB33_1850 Depth 4
	;; [unrolled: 1-line block ×9, first 2 shown]
                                        ;           Child Loop BB33_2032 Depth 5
                                        ;         Child Loop BB33_2040 Depth 4
                                        ;         Child Loop BB33_2108 Depth 4
                                        ;           Child Loop BB33_2109 Depth 5
                                        ;         Child Loop BB33_2465 Depth 4
                                        ;         Child Loop BB33_2484 Depth 4
                                        ;       Child Loop BB33_2503 Depth 3
                                        ;         Child Loop BB33_2509 Depth 4
                                        ;         Child Loop BB33_2537 Depth 4
	;; [unrolled: 1-line block ×3, first 2 shown]
	scratch_load_dwordx2 v[10:11], off, s33 offset:192 ; 8-byte Folded Reload
	s_sub_i32 s22, s70, s62
	s_cmp_ge_i32 s22, s66
	s_cselect_b32 s23, s66, 0
	s_sub_i32 s22, s22, s23
	s_ashr_i32 s23, s22, 31
	v_mov_b32_e32 v72, 0
	s_waitcnt vmcnt(0)
	v_mul_lo_u32 v0, v10, s23
	v_mul_lo_u32 v2, v11, s22
	v_mad_u64_u32 v[4:5], s[22:23], v10, s22, 0
	v_add3_u32 v5, v5, v0, v2
	v_sub_co_u32_e32 v8, vcc, v12, v4
	s_nop 1
	v_subb_co_u32_e32 v9, vcc, v13, v5, vcc
	v_cmp_lt_i64_e32 vcc, v[10:11], v[8:9]
	s_nop 1
	v_cndmask_b32_e32 v0, v8, v10, vcc
	v_max_i32_e32 v31, 0, v0
	v_add_u32_e32 v2, 31, v31
	v_ashrrev_i32_e32 v8, 31, v2
	v_lshrrev_b32_e32 v8, 27, v8
	v_add_u32_e32 v2, v2, v8
	v_ashrrev_i32_e32 v2, 5, v2
	v_lshlrev_b32_e32 v2, 4, v2
	v_cmp_lt_i32_e32 vcc, 0, v0
	s_waitcnt lgkmcnt(0)
	v_max_i32_e32 v28, s81, v2
	s_and_b64 s[22:23], s[34:35], vcc
	v_mov_b32_e32 v0, 0
	s_and_saveexec_b64 s[60:61], s[22:23]
	s_cbranch_execz .LBB33_2500
; %bb.1812:                             ;   in Loop: Header=BB33_1811 Depth=2
	v_lshl_add_u64 v[4:5], v[4:5], 0, v[104:105]
	s_mov_b32 s63, 1
	s_mov_b64 s[48:49], -1
	v_mov_b32_e32 v72, 0
	s_mov_b64 s[38:39], 0
	v_lshlrev_b64 v[4:5], 1, v[4:5]
	s_branch .LBB33_1814
.LBB33_1813:                            ;   in Loop: Header=BB33_1814 Depth=3
	s_or_b64 exec, exec, s[22:23]
	v_add_u32_e32 v72, v28, v72
	v_cmp_ge_i32_e32 vcc, v72, v31
	s_xor_b64 s[22:23], s[48:49], -1
	s_or_b64 s[22:23], s[22:23], vcc
	s_and_b64 s[22:23], exec, s[22:23]
	s_or_b64 s[38:39], s[22:23], s[38:39]
	s_mov_b64 s[48:49], 0
	v_mov_b32_e32 v0, s63
	s_mov_b32 s63, 2
	s_andn2_b64 exec, exec, s[38:39]
	s_cbranch_execz .LBB33_2499
.LBB33_1814:                            ;   Parent Loop BB33_47 Depth=1
                                        ;     Parent Loop BB33_1811 Depth=2
                                        ; =>    This Loop Header: Depth=3
                                        ;         Child Loop BB33_1822 Depth 4
                                        ;         Child Loop BB33_1850 Depth 4
	;; [unrolled: 1-line block ×9, first 2 shown]
                                        ;           Child Loop BB33_2032 Depth 5
                                        ;         Child Loop BB33_2040 Depth 4
                                        ;         Child Loop BB33_2108 Depth 4
                                        ;           Child Loop BB33_2109 Depth 5
                                        ;         Child Loop BB33_2465 Depth 4
                                        ;         Child Loop BB33_2484 Depth 4
	s_and_saveexec_b64 s[22:23], s[0:1]
	s_cbranch_execz .LBB33_1816
; %bb.1815:                             ;   in Loop: Header=BB33_1814 Depth=3
	s_trap 2
	ds_read_b128 v[8:11], v0
	v_ashrrev_i32_e32 v73, 31, v72
	v_lshlrev_b64 v[12:13], 1, v[72:73]
	s_waitcnt lgkmcnt(0)
	v_lshl_add_u64 v[8:9], v[8:9], 0, v[4:5]
	v_lshl_add_u64 v[14:15], v[10:11], 0, v[4:5]
	;; [unrolled: 1-line block ×3, first 2 shown]
	ds_write_b64 v0, v[8:9]
	v_lshl_add_u64 v[8:9], v[14:15], 0, v[12:13]
	v_cmp_ne_u64_e32 vcc, 0, v[10:11]
	s_nop 1
	v_cndmask_b32_e32 v9, 0, v9, vcc
	v_cndmask_b32_e32 v8, 0, v8, vcc
	ds_write_b64 v0, v[8:9]
.LBB33_1816:                            ;   in Loop: Header=BB33_1814 Depth=3
	s_or_b64 exec, exec, s[22:23]
	v_sub_u32_e32 v0, v31, v72
	v_min_i32_e32 v28, v28, v0
	v_and_b32_e32 v0, 12, v58
	v_cmp_ne_u32_e32 vcc, 0, v0
	s_and_saveexec_b64 s[24:25], vcc
	s_cbranch_execz .LBB33_1842
; %bb.1817:                             ;   in Loop: Header=BB33_1814 Depth=3
	v_and_b32_e32 v2, 8, v58
	s_waitcnt vmcnt(0)
	v_lshl_add_u64 v[10:11], v[56:57], 0, v[2:3]
	v_lshl_add_u64 v[8:9], v[116:117], 0, 2
	v_cmp_lt_u64_e32 vcc, v[10:11], v[8:9]
	s_and_saveexec_b64 s[26:27], vcc
	s_cbranch_execz .LBB33_1829
; %bb.1818:                             ;   in Loop: Header=BB33_1814 Depth=3
	v_and_b32_e32 v0, 64, v58
	s_mov_b32 s73, 0
	v_cmp_eq_u32_e32 vcc, 0, v0
	s_mov_b64 s[28:29], 0
                                        ; implicit-def: $sgpr40_sgpr41
                                        ; implicit-def: $sgpr42_sgpr43
                                        ; implicit-def: $sgpr44_sgpr45
	s_branch .LBB33_1822
.LBB33_1819:                            ;   in Loop: Header=BB33_1822 Depth=4
	s_waitcnt vmcnt(0) lgkmcnt(0)
	v_lshl_add_u64 v[10:11], v[56:57], 0, v[2:3]
	v_cmp_ge_u64_e64 s[22:23], v[10:11], v[8:9]
	s_or_b64 s[58:59], s[58:59], exec
	s_orn2_b64 s[56:57], s[22:23], exec
.LBB33_1820:                            ;   in Loop: Header=BB33_1822 Depth=4
	s_or_b64 exec, exec, s[52:53]
	s_andn2_b64 s[22:23], s[44:45], exec
	s_and_b64 s[44:45], s[58:59], exec
	s_or_b64 s[44:45], s[22:23], s[44:45]
	s_andn2_b64 s[22:23], s[42:43], exec
	s_and_b64 s[42:43], s[56:57], exec
	s_or_b64 s[42:43], s[22:23], s[42:43]
.LBB33_1821:                            ;   in Loop: Header=BB33_1822 Depth=4
	s_or_b64 exec, exec, s[46:47]
	s_and_b64 s[22:23], exec, s[42:43]
	s_or_b64 s[28:29], s[22:23], s[28:29]
	s_andn2_b64 s[22:23], s[40:41], exec
	s_and_b64 s[40:41], s[44:45], exec
	s_or_b64 s[40:41], s[22:23], s[40:41]
	s_andn2_b64 exec, exec, s[28:29]
	s_cbranch_execz .LBB33_1826
.LBB33_1822:                            ;   Parent Loop BB33_47 Depth=1
                                        ;     Parent Loop BB33_1811 Depth=2
                                        ;       Parent Loop BB33_1814 Depth=3
                                        ; =>      This Inner Loop Header: Depth=4
	s_sleep 1
	s_waitcnt vmcnt(0) lgkmcnt(0)
	flat_load_dwordx2 v[56:57], v[40:41] sc0 sc1
	s_or_b64 s[44:45], s[44:45], exec
	s_or_b64 s[42:43], s[42:43], exec
                                        ; implicit-def: $vgpr0
	s_and_saveexec_b64 s[46:47], vcc
	s_cbranch_execz .LBB33_1821
; %bb.1823:                             ;   in Loop: Header=BB33_1822 Depth=4
	s_cmpk_lt_i32 s73, 0x270f
	s_cselect_b64 s[50:51], -1, 0
	s_cmpk_gt_i32 s73, 0x270e
	s_mov_b64 s[56:57], -1
	s_cbranch_scc0 .LBB33_1825
; %bb.1824:                             ;   in Loop: Header=BB33_1822 Depth=4
	s_trap 2
	ds_read_b64 v[10:11], v0
	s_andn2_b64 s[50:51], s[50:51], exec
	s_mov_b32 s73, 0
	s_mov_b64 s[58:59], 0
	s_waitcnt vmcnt(0) lgkmcnt(0)
	flat_load_dword v0, v[10:11] sc0 sc1
	s_waitcnt vmcnt(0) lgkmcnt(0)
	buffer_inv sc0 sc1
	v_cmp_eq_u32_e64 s[22:23], 0, v0
	s_and_b64 s[22:23], s[22:23], exec
	s_or_b64 s[50:51], s[50:51], s[22:23]
	s_and_saveexec_b64 s[52:53], s[50:51]
	s_cbranch_execz .LBB33_1820
	s_branch .LBB33_1819
.LBB33_1825:                            ;   in Loop: Header=BB33_1822 Depth=4
	s_add_i32 s73, s73, 1
	s_mov_b64 s[58:59], -1
                                        ; implicit-def: $vgpr0
	s_and_saveexec_b64 s[52:53], s[50:51]
	s_cbranch_execz .LBB33_1820
	s_branch .LBB33_1819
.LBB33_1826:                            ;   in Loop: Header=BB33_1814 Depth=3
	s_or_b64 exec, exec, s[28:29]
	s_xor_b64 s[22:23], s[40:41], -1
	s_and_saveexec_b64 s[28:29], s[22:23]
	s_xor_b64 s[22:23], exec, s[28:29]
	s_cbranch_execz .LBB33_1828
; %bb.1827:                             ;   in Loop: Header=BB33_1814 Depth=3
	v_or_b32_e32 v58, 64, v58
	s_waitcnt lgkmcnt(0)
	ds_write_b32 v0, v0
	s_trap 2
.LBB33_1828:                            ;   in Loop: Header=BB33_1814 Depth=3
	s_or_b64 exec, exec, s[22:23]
.LBB33_1829:                            ;   in Loop: Header=BB33_1814 Depth=3
	s_or_b64 exec, exec, s[26:27]
	v_and_b32_e32 v0, 0x108, v58
	v_cmp_ne_u32_e32 vcc, s86, v0
	;;#ASMSTART
	s_wakeup
	;;#ASMEND
                                        ; implicit-def: $vgpr10_vgpr11
	s_and_saveexec_b64 s[22:23], vcc
	s_xor_b64 s[22:23], exec, s[22:23]
; %bb.1830:                             ;   in Loop: Header=BB33_1814 Depth=3
	v_and_b32_e32 v10, 7, v116
	v_mov_b32_e32 v11, v3
                                        ; implicit-def: $vgpr116_vgpr117
; %bb.1831:                             ;   in Loop: Header=BB33_1814 Depth=3
	s_andn2_saveexec_b64 s[22:23], s[22:23]
	s_cbranch_execz .LBB33_1833
; %bb.1832:                             ;   in Loop: Header=BB33_1814 Depth=3
	v_and_b32_e32 v10, 7, v116
	v_ashrrev_i32_e32 v29, 31, v28
	v_mov_b32_e32 v11, v3
	v_mad_u64_u32 v[12:13], s[26:27], v10, 24, v[6:7]
	v_lshlrev_b64 v[14:15], 1, v[28:29]
	flat_store_dwordx2 v[12:13], v[14:15] offset:8
.LBB33_1833:                            ;   in Loop: Header=BB33_1814 Depth=3
	s_or_b64 exec, exec, s[22:23]
	v_and_b32_e32 v0, 0x100, v58
	v_cmp_ne_u32_e32 vcc, 0, v0
	s_mov_b64 s[22:23], -1
                                        ; implicit-def: $vgpr12_vgpr13
	s_and_saveexec_b64 s[26:27], vcc
	s_cbranch_execz .LBB33_1837
; %bb.1834:                             ;   in Loop: Header=BB33_1814 Depth=3
	v_mad_u64_u32 v[14:15], s[22:23], v10, 24, v[6:7]
	v_mov_b32_e32 v0, v15
	v_mad_u64_u32 v[12:13], s[22:23], v11, 24, v[0:1]
	v_mov_b32_e32 v15, v12
	flat_load_dword v0, v[14:15]
                                        ; implicit-def: $vgpr12_vgpr13
	s_waitcnt vmcnt(0) lgkmcnt(0)
	v_cmp_ne_u32_e32 vcc, 1, v0
	v_cmp_eq_u32_e64 s[22:23], 1, v0
	s_and_saveexec_b64 s[28:29], s[22:23]
	s_cbranch_execz .LBB33_1836
; %bb.1835:                             ;   in Loop: Header=BB33_1814 Depth=3
	flat_load_dword v12, v[14:15] offset:4 sc0 sc1
	s_waitcnt vmcnt(0) lgkmcnt(0)
	v_ashrrev_i32_e32 v13, 31, v12
	v_lshrrev_b64 v[12:13], 1, v[12:13]
.LBB33_1836:                            ;   in Loop: Header=BB33_1814 Depth=3
	s_or_b64 exec, exec, s[28:29]
	s_orn2_b64 s[22:23], vcc, exec
.LBB33_1837:                            ;   in Loop: Header=BB33_1814 Depth=3
	s_or_b64 exec, exec, s[26:27]
	s_and_saveexec_b64 s[26:27], s[22:23]
; %bb.1838:                             ;   in Loop: Header=BB33_1814 Depth=3
	v_mul_lo_u32 v0, v11, v30
	v_ashrrev_i32_e32 v11, 31, v30
	v_mul_lo_u32 v11, v10, v11
	v_mad_u64_u32 v[12:13], s[22:23], v10, v30, 0
	v_add3_u32 v13, v13, v11, v0
; %bb.1839:                             ;   in Loop: Header=BB33_1814 Depth=3
	s_or_b64 exec, exec, s[26:27]
	v_cmp_eq_u32_e32 vcc, 0, v2
	v_lshl_add_u64 v[10:11], v[12:13], 1, v[42:43]
	s_nop 0
	v_cndmask_b32_e32 v0, v112, v113, vcc
	v_add_u32_e32 v0, v0, v0
	ds_write_b64 v0, v[10:11] offset:584
	v_and_b32_e32 v0, 0x2000, v58
	v_cmp_ne_u32_e32 vcc, 0, v0
	s_and_saveexec_b64 s[22:23], vcc
	s_cbranch_execz .LBB33_1841
; %bb.1840:                             ;   in Loop: Header=BB33_1814 Depth=3
	ds_read_b64 v[10:11], v0 offset:872
	s_waitcnt lgkmcnt(0)
	v_lshl_add_u64 v[10:11], v[10:11], 0, 1
	ds_write_b64 v0, v[10:11] offset:872
.LBB33_1841:                            ;   in Loop: Header=BB33_1814 Depth=3
	s_or_b64 exec, exec, s[22:23]
	v_mov_b64_e32 v[116:117], v[8:9]
.LBB33_1842:                            ;   in Loop: Header=BB33_1814 Depth=3
	s_or_b64 exec, exec, s[24:25]
	s_and_saveexec_b64 s[22:23], s[4:5]
	s_cbranch_execz .LBB33_1861
; %bb.1843:                             ;   in Loop: Header=BB33_1814 Depth=3
	s_and_saveexec_b64 s[24:25], s[76:77]
	s_xor_b64 s[24:25], exec, s[24:25]
	s_cbranch_execz .LBB33_1858
; %bb.1844:                             ;   in Loop: Header=BB33_1814 Depth=3
	s_and_saveexec_b64 s[26:27], s[12:13]
	s_cbranch_execz .LBB33_1857
; %bb.1845:                             ;   in Loop: Header=BB33_1814 Depth=3
	s_mov_b64 s[40:41], exec
	v_mbcnt_lo_u32_b32 v0, s40, 0
	v_mbcnt_hi_u32_b32 v0, s41, v0
	v_cmp_eq_u32_e32 vcc, 0, v0
	s_waitcnt lgkmcnt(0)
	s_and_saveexec_b64 s[28:29], vcc
	s_cbranch_execz .LBB33_1847
; %bb.1846:                             ;   in Loop: Header=BB33_1814 Depth=3
	s_bcnt1_i32_b64 s40, s[40:41]
	v_mov_b32_e32 v2, s40
	ds_add_u64 v0, v[2:3]
	s_trap 2
.LBB33_1847:                            ;   in Loop: Header=BB33_1814 Depth=3
	s_or_b64 exec, exec, s[28:29]
	s_trap 2
	ds_read_b64 v[8:9], v0
	s_waitcnt lgkmcnt(0)
	v_lshl_add_u64 v[46:47], v[46:47], 0, v[60:61]
	v_cmp_lt_u64_e32 vcc, v[8:9], v[46:47]
	s_and_saveexec_b64 s[28:29], vcc
	s_cbranch_execz .LBB33_1856
; %bb.1848:                             ;   in Loop: Header=BB33_1814 Depth=3
	s_mov_b32 s73, 0
	s_mov_b64 s[40:41], 0
                                        ; implicit-def: $sgpr42_sgpr43
                                        ; implicit-def: $sgpr44_sgpr45
	s_branch .LBB33_1850
.LBB33_1849:                            ;   in Loop: Header=BB33_1850 Depth=4
	s_or_b64 exec, exec, s[56:57]
	s_and_b64 s[46:47], exec, s[58:59]
	s_or_b64 s[40:41], s[46:47], s[40:41]
	s_andn2_b64 s[42:43], s[42:43], exec
	s_and_b64 s[46:47], s[44:45], exec
	s_or_b64 s[42:43], s[42:43], s[46:47]
	s_andn2_b64 exec, exec, s[40:41]
	s_cbranch_execz .LBB33_1854
.LBB33_1850:                            ;   Parent Loop BB33_47 Depth=1
                                        ;     Parent Loop BB33_1811 Depth=2
                                        ;       Parent Loop BB33_1814 Depth=3
                                        ; =>      This Inner Loop Header: Depth=4
	s_add_i32 s73, s73, 1
	s_cmpk_lg_i32 s73, 0x2710
	s_cselect_b64 s[46:47], -1, 0
	s_and_b64 vcc, exec, s[46:47]
	s_cbranch_vccz .LBB33_1852
; %bb.1851:                             ;   in Loop: Header=BB33_1850 Depth=4
	s_mov_b64 s[58:59], -1
	s_or_b64 s[44:45], s[44:45], exec
	s_and_saveexec_b64 s[56:57], s[46:47]
	s_cbranch_execz .LBB33_1849
	s_branch .LBB33_1853
.LBB33_1852:                            ;   in Loop: Header=BB33_1850 Depth=4
	s_trap 2
	ds_read_b64 v[8:9], v0
	s_andn2_b64 s[46:47], s[46:47], exec
	s_mov_b32 s73, 0
	s_waitcnt vmcnt(0) lgkmcnt(0)
	flat_load_dword v0, v[8:9] sc0 sc1
	s_waitcnt vmcnt(0) lgkmcnt(0)
	buffer_inv sc0 sc1
	v_cmp_eq_u32_e32 vcc, 0, v0
	s_and_b64 s[56:57], vcc, exec
	s_or_b64 s[46:47], s[46:47], s[56:57]
	s_mov_b64 s[58:59], -1
	s_or_b64 s[44:45], s[44:45], exec
	s_and_saveexec_b64 s[56:57], s[46:47]
	s_cbranch_execz .LBB33_1849
.LBB33_1853:                            ;   in Loop: Header=BB33_1850 Depth=4
	s_sleep 1
	s_trap 2
	ds_read_b64 v[8:9], v0
	s_waitcnt lgkmcnt(0)
	s_andn2_b64 s[44:45], s[44:45], exec
	v_cmp_ge_u64_e32 vcc, v[8:9], v[46:47]
	s_orn2_b64 s[58:59], vcc, exec
	s_branch .LBB33_1849
.LBB33_1854:                            ;   in Loop: Header=BB33_1814 Depth=3
	s_or_b64 exec, exec, s[40:41]
	s_and_saveexec_b64 s[40:41], s[42:43]
	s_xor_b64 s[40:41], exec, s[40:41]
	s_cbranch_execz .LBB33_1856
; %bb.1855:                             ;   in Loop: Header=BB33_1814 Depth=3
	ds_write_b32 v0, v1
	s_trap 2
.LBB33_1856:                            ;   in Loop: Header=BB33_1814 Depth=3
	s_or_b64 exec, exec, s[28:29]
	;;#ASMSTART
	s_wakeup
	;;#ASMEND
.LBB33_1857:                            ;   in Loop: Header=BB33_1814 Depth=3
	s_or_b64 exec, exec, s[26:27]
.LBB33_1858:                            ;   in Loop: Header=BB33_1814 Depth=3
	s_andn2_saveexec_b64 s[24:25], s[24:25]
	s_cbranch_execz .LBB33_1860
; %bb.1859:                             ;   in Loop: Header=BB33_1814 Depth=3
	s_waitcnt lgkmcnt(0)
	s_barrier
.LBB33_1860:                            ;   in Loop: Header=BB33_1814 Depth=3
	s_or_b64 exec, exec, s[24:25]
.LBB33_1861:                            ;   in Loop: Header=BB33_1814 Depth=3
	s_or_b64 exec, exec, s[22:23]
	s_trap 2
	ds_read_b32 v0, v0
	v_and_b32_e32 v2, 0x4000, v58
	v_cmp_ne_u32_e32 vcc, 0, v2
	s_xor_b64 s[22:23], s[2:3], -1
	s_and_b64 s[24:25], s[22:23], vcc
	s_and_saveexec_b64 s[22:23], s[24:25]
	s_cbranch_execz .LBB33_1880
; %bb.1862:                             ;   in Loop: Header=BB33_1814 Depth=3
	s_and_saveexec_b64 s[24:25], s[76:77]
	s_xor_b64 s[24:25], exec, s[24:25]
	s_cbranch_execz .LBB33_1877
; %bb.1863:                             ;   in Loop: Header=BB33_1814 Depth=3
	s_and_saveexec_b64 s[26:27], s[12:13]
	s_cbranch_execz .LBB33_1876
; %bb.1864:                             ;   in Loop: Header=BB33_1814 Depth=3
	s_mov_b64 s[40:41], exec
	v_mbcnt_lo_u32_b32 v2, s40, 0
	v_mbcnt_hi_u32_b32 v2, s41, v2
	v_cmp_eq_u32_e32 vcc, 0, v2
	s_waitcnt lgkmcnt(0)
	s_and_saveexec_b64 s[28:29], vcc
	s_cbranch_execz .LBB33_1866
; %bb.1865:                             ;   in Loop: Header=BB33_1814 Depth=3
	s_bcnt1_i32_b64 s40, s[40:41]
	v_mov_b32_e32 v2, s40
	ds_add_u64 v0, v[2:3]
	s_trap 2
.LBB33_1866:                            ;   in Loop: Header=BB33_1814 Depth=3
	s_or_b64 exec, exec, s[28:29]
	s_trap 2
	ds_read_b64 v[8:9], v0
	s_waitcnt lgkmcnt(0)
	v_lshl_add_u64 v[46:47], v[46:47], 0, v[60:61]
	v_cmp_lt_u64_e32 vcc, v[8:9], v[46:47]
	s_and_saveexec_b64 s[28:29], vcc
	s_cbranch_execz .LBB33_1875
; %bb.1867:                             ;   in Loop: Header=BB33_1814 Depth=3
	s_mov_b32 s73, 0
	s_mov_b64 s[40:41], 0
                                        ; implicit-def: $sgpr42_sgpr43
                                        ; implicit-def: $sgpr44_sgpr45
	s_branch .LBB33_1869
.LBB33_1868:                            ;   in Loop: Header=BB33_1869 Depth=4
	s_or_b64 exec, exec, s[56:57]
	s_and_b64 s[46:47], exec, s[58:59]
	s_or_b64 s[40:41], s[46:47], s[40:41]
	s_andn2_b64 s[42:43], s[42:43], exec
	s_and_b64 s[46:47], s[44:45], exec
	s_or_b64 s[42:43], s[42:43], s[46:47]
	s_andn2_b64 exec, exec, s[40:41]
	s_cbranch_execz .LBB33_1873
.LBB33_1869:                            ;   Parent Loop BB33_47 Depth=1
                                        ;     Parent Loop BB33_1811 Depth=2
                                        ;       Parent Loop BB33_1814 Depth=3
                                        ; =>      This Inner Loop Header: Depth=4
	s_add_i32 s73, s73, 1
	s_cmpk_lg_i32 s73, 0x2710
	s_cselect_b64 s[46:47], -1, 0
	s_and_b64 vcc, exec, s[46:47]
	s_cbranch_vccz .LBB33_1871
; %bb.1870:                             ;   in Loop: Header=BB33_1869 Depth=4
	s_mov_b64 s[58:59], -1
	s_or_b64 s[44:45], s[44:45], exec
	s_and_saveexec_b64 s[56:57], s[46:47]
	s_cbranch_execz .LBB33_1868
	s_branch .LBB33_1872
.LBB33_1871:                            ;   in Loop: Header=BB33_1869 Depth=4
	s_trap 2
	ds_read_b64 v[8:9], v0
	s_andn2_b64 s[46:47], s[46:47], exec
	s_mov_b32 s73, 0
	s_waitcnt vmcnt(0) lgkmcnt(0)
	flat_load_dword v2, v[8:9] sc0 sc1
	s_waitcnt vmcnt(0) lgkmcnt(0)
	buffer_inv sc0 sc1
	v_cmp_eq_u32_e32 vcc, 0, v2
	s_and_b64 s[56:57], vcc, exec
	s_or_b64 s[46:47], s[46:47], s[56:57]
	s_mov_b64 s[58:59], -1
	s_or_b64 s[44:45], s[44:45], exec
	s_and_saveexec_b64 s[56:57], s[46:47]
	s_cbranch_execz .LBB33_1868
.LBB33_1872:                            ;   in Loop: Header=BB33_1869 Depth=4
	s_sleep 1
	s_trap 2
	ds_read_b64 v[8:9], v0
	s_waitcnt lgkmcnt(0)
	s_andn2_b64 s[44:45], s[44:45], exec
	v_cmp_ge_u64_e32 vcc, v[8:9], v[46:47]
	s_orn2_b64 s[58:59], vcc, exec
	s_branch .LBB33_1868
.LBB33_1873:                            ;   in Loop: Header=BB33_1814 Depth=3
	s_or_b64 exec, exec, s[40:41]
	s_and_saveexec_b64 s[40:41], s[42:43]
	s_xor_b64 s[40:41], exec, s[40:41]
	s_cbranch_execz .LBB33_1875
; %bb.1874:                             ;   in Loop: Header=BB33_1814 Depth=3
	ds_write_b32 v0, v1
	s_trap 2
.LBB33_1875:                            ;   in Loop: Header=BB33_1814 Depth=3
	s_or_b64 exec, exec, s[28:29]
	;;#ASMSTART
	s_wakeup
	;;#ASMEND
.LBB33_1876:                            ;   in Loop: Header=BB33_1814 Depth=3
	s_or_b64 exec, exec, s[26:27]
.LBB33_1877:                            ;   in Loop: Header=BB33_1814 Depth=3
	s_andn2_saveexec_b64 s[24:25], s[24:25]
	s_cbranch_execz .LBB33_1879
; %bb.1878:                             ;   in Loop: Header=BB33_1814 Depth=3
	s_waitcnt lgkmcnt(0)
	s_barrier
.LBB33_1879:                            ;   in Loop: Header=BB33_1814 Depth=3
	s_or_b64 exec, exec, s[24:25]
.LBB33_1880:                            ;   in Loop: Header=BB33_1814 Depth=3
	s_or_b64 exec, exec, s[22:23]
	s_trap 2
	s_waitcnt lgkmcnt(0)
	ds_read_b64 v[106:107], v0
	s_waitcnt lgkmcnt(0)
	v_cmp_eq_u64_e32 vcc, 0, v[106:107]
	s_cbranch_vccnz .LBB33_1889
; %bb.1881:                             ;   in Loop: Header=BB33_1814 Depth=3
	s_trap 2
	ds_read_b64 v[62:63], v0
	s_waitcnt lgkmcnt(0)
	v_cmp_eq_u64_e32 vcc, 0, v[62:63]
	s_cbranch_vccnz .LBB33_1889
; %bb.1882:                             ;   in Loop: Header=BB33_1814 Depth=3
	s_trap 2
	ds_read_b64 v[52:53], v0
	v_cmp_eq_u32_e32 vcc, 0, v0
	s_waitcnt lgkmcnt(0)
	v_readfirstlane_b32 s73, v52
	v_cndmask_b32_e32 v29, 0, v28, vcc
	v_cmp_ne_u64_e32 vcc, 0, v[52:53]
	s_cbranch_vccz .LBB33_1894
; %bb.1883:                             ;   in Loop: Header=BB33_1814 Depth=3
	s_trap 2
	ds_read_b64 v[54:55], v0
	s_mov_b64 s[24:25], -1
	s_and_saveexec_b64 s[22:23], s[16:17]
	s_cbranch_execz .LBB33_1885
; %bb.1884:                             ;   in Loop: Header=BB33_1814 Depth=3
	ds_read_b32 v0, v0 offset:720
	s_waitcnt lgkmcnt(0)
	v_and_b32_e32 v0, 15, v0
	v_cmp_eq_u32_e32 vcc, 0, v0
	s_orn2_b64 s[24:25], vcc, exec
.LBB33_1885:                            ;   in Loop: Header=BB33_1814 Depth=3
	s_or_b64 exec, exec, s[22:23]
	s_and_saveexec_b64 s[22:23], s[18:19]
	s_cbranch_execz .LBB33_1887
; %bb.1886:                             ;   in Loop: Header=BB33_1814 Depth=3
	ds_read_b32 v0, v0 offset:784
	s_waitcnt lgkmcnt(0)
	v_and_b32_e32 v0, 15, v0
	v_cmp_eq_u32_e32 vcc, 0, v0
	s_and_b64 s[26:27], s[24:25], vcc
	s_andn2_b64 s[24:25], s[24:25], exec
	s_and_b64 s[26:27], s[26:27], exec
	s_or_b64 s[24:25], s[24:25], s[26:27]
.LBB33_1887:                            ;   in Loop: Header=BB33_1814 Depth=3
	s_or_b64 exec, exec, s[22:23]
	s_xor_b64 s[24:25], s[24:25], -1
	v_cndmask_b32_e64 v0, 0, 1, s[24:25]
	v_lshlrev_b32_e32 v80, 1, v29
	s_mov_b64 s[22:23], -1
	v_mov_b32_e32 v2, 0
	v_cmp_ne_u32_e32 vcc, 0, v0
	s_cbranch_vccz .LBB33_1896
; %bb.1888:                             ;   in Loop: Header=BB33_1814 Depth=3
	s_waitcnt vmcnt(0)
	v_mov_b32_e32 v18, v109
	s_and_saveexec_b64 s[40:41], s[22:23]
	s_cbranch_execnz .LBB33_2037
	s_branch .LBB33_2111
.LBB33_1889:                            ;   in Loop: Header=BB33_1814 Depth=3
	s_mov_b64 s[22:23], 0
	s_and_saveexec_b64 s[24:25], s[4:5]
	s_cbranch_execnz .LBB33_2458
.LBB33_1890:                            ;   in Loop: Header=BB33_1814 Depth=3
	s_or_b64 exec, exec, s[24:25]
                                        ; implicit-def: $vgpr0
	s_and_saveexec_b64 s[24:25], s[20:21]
	s_xor_b64 s[24:25], exec, s[24:25]
	s_cbranch_execz .LBB33_2476
.LBB33_1891:                            ;   in Loop: Header=BB33_1814 Depth=3
	v_and_b32_e32 v2, 16, v58
	v_cmp_ne_u32_e32 vcc, 0, v2
	v_and_b32_e32 v0, 16, v58
	s_and_b64 s[26:27], vcc, s[22:23]
	s_and_saveexec_b64 s[22:23], s[26:27]
	s_cbranch_execz .LBB33_1893
; %bb.1892:                             ;   in Loop: Header=BB33_1814 Depth=3
	v_mov_b32_e32 v0, 1
	buffer_wbl2 sc1
	s_waitcnt vmcnt(0) lgkmcnt(0)
	buffer_inv sc1
.LBB33_1893:                            ;   in Loop: Header=BB33_1814 Depth=3
	s_or_b64 exec, exec, s[22:23]
	s_andn2_saveexec_b64 s[22:23], s[24:25]
	s_cbranch_execz .LBB33_2495
	s_branch .LBB33_2477
.LBB33_1894:                            ;   in Loop: Header=BB33_1814 Depth=3
	s_cbranch_execnz .LBB33_2112
.LBB33_1895:                            ;   in Loop: Header=BB33_1814 Depth=3
	v_cmp_lt_i32_e64 s[22:23], 0, v29
	s_and_saveexec_b64 s[24:25], s[4:5]
	s_cbranch_execnz .LBB33_2458
	s_branch .LBB33_1890
.LBB33_1896:                            ;   in Loop: Header=BB33_1814 Depth=3
	v_ashrrev_i32_e32 v0, 31, v80
	v_lshrrev_b32_e32 v0, 20, v0
	v_add_u32_e32 v0, v80, v0
	v_ashrrev_i32_e32 v2, 12, v0
	s_waitcnt vmcnt(0)
	v_sub_u32_e32 v0, v2, v111
	v_cmp_lt_i32_e32 vcc, 0, v0
	s_and_saveexec_b64 s[24:25], vcc
	s_cbranch_execz .LBB33_2028
; %bb.1897:                             ;   in Loop: Header=BB33_1814 Depth=3
	s_and_b32 s74, s73, 1
	s_cmp_eq_u64 s[74:75], 0
	v_lshl_add_u64 v[64:65], v[62:63], 0, v[90:91]
	v_lshl_add_u64 v[66:67], v[52:53], 0, v[90:91]
	s_mov_b64 s[26:27], 0
	s_cselect_b64 vcc, -1, 0
	v_mov_b64_e32 v[68:69], v[106:107]
	s_waitcnt lgkmcnt(0)
	v_mov_b64_e32 v[70:71], v[54:55]
	s_branch .LBB33_1899
.LBB33_1898:                            ;   in Loop: Header=BB33_1899 Depth=4
	s_or_b64 exec, exec, s[28:29]
	v_lshrrev_b32_e32 v32, 16, v32
	v_and_or_b32 v24, v24, s97, v32
	v_lshrrev_b32_e32 v32, 16, v34
	v_lshrrev_b32_e32 v33, 16, v33
	v_and_or_b32 v26, v26, s97, v32
	v_lshrrev_b32_e32 v32, 16, v35
	v_sub_u32_e32 v0, v0, v60
	v_and_or_b32 v25, v25, s97, v33
	v_and_or_b32 v27, v27, s97, v32
	v_cmp_gt_i32_e64 s[22:23], 1, v0
	global_store_dwordx4 v[64:65], v[24:27], off offset:3072
	global_store_dwordx4 v[66:67], v[20:23], off
	global_store_dwordx4 v[66:67], v[16:19], off offset:1024
	global_store_dwordx4 v[66:67], v[12:15], off offset:2048
	global_store_dwordx4 v[66:67], v[8:11], off offset:3072
	v_lshl_add_u64 v[64:65], v[64:65], 0, v[92:93]
	v_lshl_add_u64 v[66:67], v[66:67], 0, v[92:93]
	;; [unrolled: 1-line block ×3, first 2 shown]
	s_or_b64 s[26:27], s[22:23], s[26:27]
	v_lshl_add_u64 v[68:69], v[68:69], 0, v[92:93]
	s_andn2_b64 exec, exec, s[26:27]
	s_cbranch_execz .LBB33_2027
.LBB33_1899:                            ;   Parent Loop BB33_47 Depth=1
                                        ;     Parent Loop BB33_1811 Depth=2
                                        ;       Parent Loop BB33_1814 Depth=3
                                        ; =>      This Inner Loop Header: Depth=4
	v_lshl_add_u64 v[24:25], v[90:91], 0, v[70:71]
	v_lshl_add_u64 v[8:9], v[90:91], 0, v[68:69]
	global_load_dwordx4 v[20:23], v[8:9], off nt
	global_load_dwordx4 v[48:51], v[24:25], off nt
	global_load_dwordx4 v[16:19], v[8:9], off offset:1024 nt
	global_load_dwordx4 v[36:39], v[24:25], off offset:1024 nt
	;; [unrolled: 1-line block ×3, first 2 shown]
	s_nop 0
	global_load_dwordx4 v[8:11], v[8:9], off offset:3072 nt
	s_nop 0
	global_load_dwordx4 v[32:35], v[24:25], off offset:2048 nt
	;; [unrolled: 2-line block ×3, first 2 shown]
	s_waitcnt vmcnt(0)
	v_lshlrev_b32_e32 v81, 16, v20
	v_lshlrev_b32_e32 v82, 16, v48
	v_max_f32_e32 v82, v82, v82
	v_max_f32_e32 v81, v81, v81
	v_min_f32_e32 v83, v81, v82
	v_max_f32_e32 v81, v81, v82
	v_cndmask_b32_e32 v82, v81, v83, vcc
	v_and_b32_e32 v81, 0x7f800000, v82
	v_cmp_ne_u32_e64 s[22:23], s87, v81
                                        ; implicit-def: $vgpr81
	s_and_saveexec_b64 s[28:29], s[22:23]
	s_xor_b64 s[22:23], exec, s[28:29]
; %bb.1900:                             ;   in Loop: Header=BB33_1899 Depth=4
	v_bfe_u32 v81, v82, 16, 1
	v_add3_u32 v81, v82, v81, s96
                                        ; implicit-def: $vgpr82
; %bb.1901:                             ;   in Loop: Header=BB33_1899 Depth=4
	s_andn2_saveexec_b64 s[28:29], s[22:23]
; %bb.1902:                             ;   in Loop: Header=BB33_1899 Depth=4
	v_or_b32_e32 v81, 0x10000, v82
	v_cmp_eq_u32_sdwa s[22:23], v82, v3 src0_sel:WORD_0 src1_sel:DWORD
	s_nop 1
	v_cndmask_b32_e64 v81, v81, v82, s[22:23]
; %bb.1903:                             ;   in Loop: Header=BB33_1899 Depth=4
	s_or_b64 exec, exec, s[28:29]
	v_and_b32_e32 v82, 0xffff0000, v20
	v_and_b32_e32 v48, 0xffff0000, v48
	v_max_f32_e32 v48, v48, v48
	v_max_f32_e32 v82, v82, v82
	v_min_f32_e32 v83, v82, v48
	v_max_f32_e32 v48, v82, v48
	v_cndmask_b32_e32 v82, v48, v83, vcc
	v_and_b32_e32 v48, 0x7f800000, v82
	v_cmp_ne_u32_e64 s[22:23], s87, v48
                                        ; implicit-def: $vgpr48
	s_and_saveexec_b64 s[28:29], s[22:23]
	s_xor_b64 s[22:23], exec, s[28:29]
; %bb.1904:                             ;   in Loop: Header=BB33_1899 Depth=4
	v_bfe_u32 v48, v82, 16, 1
	v_add3_u32 v48, v82, v48, s96
                                        ; implicit-def: $vgpr82
; %bb.1905:                             ;   in Loop: Header=BB33_1899 Depth=4
	s_andn2_saveexec_b64 s[28:29], s[22:23]
; %bb.1906:                             ;   in Loop: Header=BB33_1899 Depth=4
	v_or_b32_e32 v48, 0x10000, v82
	v_cmp_eq_u32_sdwa s[22:23], v82, v3 src0_sel:WORD_0 src1_sel:DWORD
	s_nop 1
	v_cndmask_b32_e64 v48, v48, v82, s[22:23]
; %bb.1907:                             ;   in Loop: Header=BB33_1899 Depth=4
	s_or_b64 exec, exec, s[28:29]
	v_lshlrev_b32_e32 v82, 16, v21
	v_lshlrev_b32_e32 v83, 16, v49
	v_max_f32_e32 v83, v83, v83
	v_max_f32_e32 v82, v82, v82
	v_min_f32_e32 v84, v82, v83
	v_max_f32_e32 v82, v82, v83
	v_cndmask_b32_e32 v83, v82, v84, vcc
	v_and_b32_e32 v82, 0x7f800000, v83
	v_cmp_ne_u32_e64 s[22:23], s87, v82
                                        ; implicit-def: $vgpr82
	s_and_saveexec_b64 s[28:29], s[22:23]
	s_xor_b64 s[22:23], exec, s[28:29]
; %bb.1908:                             ;   in Loop: Header=BB33_1899 Depth=4
	v_bfe_u32 v82, v83, 16, 1
	v_add3_u32 v82, v83, v82, s96
                                        ; implicit-def: $vgpr83
; %bb.1909:                             ;   in Loop: Header=BB33_1899 Depth=4
	s_andn2_saveexec_b64 s[28:29], s[22:23]
; %bb.1910:                             ;   in Loop: Header=BB33_1899 Depth=4
	v_or_b32_e32 v82, 0x10000, v83
	v_cmp_eq_u32_sdwa s[22:23], v83, v3 src0_sel:WORD_0 src1_sel:DWORD
	s_nop 1
	v_cndmask_b32_e64 v82, v82, v83, s[22:23]
; %bb.1911:                             ;   in Loop: Header=BB33_1899 Depth=4
	s_or_b64 exec, exec, s[28:29]
	v_and_b32_e32 v83, 0xffff0000, v21
	v_and_b32_e32 v49, 0xffff0000, v49
	v_max_f32_e32 v49, v49, v49
	v_max_f32_e32 v83, v83, v83
	v_min_f32_e32 v84, v83, v49
	v_max_f32_e32 v49, v83, v49
	v_cndmask_b32_e32 v83, v49, v84, vcc
	v_and_b32_e32 v49, 0x7f800000, v83
	v_cmp_ne_u32_e64 s[22:23], s87, v49
                                        ; implicit-def: $vgpr49
	s_and_saveexec_b64 s[28:29], s[22:23]
	s_xor_b64 s[22:23], exec, s[28:29]
; %bb.1912:                             ;   in Loop: Header=BB33_1899 Depth=4
	v_bfe_u32 v49, v83, 16, 1
	v_add3_u32 v49, v83, v49, s96
                                        ; implicit-def: $vgpr83
; %bb.1913:                             ;   in Loop: Header=BB33_1899 Depth=4
	s_andn2_saveexec_b64 s[28:29], s[22:23]
; %bb.1914:                             ;   in Loop: Header=BB33_1899 Depth=4
	v_or_b32_e32 v49, 0x10000, v83
	v_cmp_eq_u32_sdwa s[22:23], v83, v3 src0_sel:WORD_0 src1_sel:DWORD
	s_nop 1
	v_cndmask_b32_e64 v49, v49, v83, s[22:23]
; %bb.1915:                             ;   in Loop: Header=BB33_1899 Depth=4
	s_or_b64 exec, exec, s[28:29]
	v_lshlrev_b32_e32 v83, 16, v22
	v_lshlrev_b32_e32 v84, 16, v50
	v_max_f32_e32 v84, v84, v84
	v_max_f32_e32 v83, v83, v83
	v_min_f32_e32 v85, v83, v84
	v_max_f32_e32 v83, v83, v84
	v_cndmask_b32_e32 v84, v83, v85, vcc
	v_and_b32_e32 v83, 0x7f800000, v84
	v_cmp_ne_u32_e64 s[22:23], s87, v83
                                        ; implicit-def: $vgpr83
	s_and_saveexec_b64 s[28:29], s[22:23]
	s_xor_b64 s[22:23], exec, s[28:29]
; %bb.1916:                             ;   in Loop: Header=BB33_1899 Depth=4
	v_bfe_u32 v83, v84, 16, 1
	v_add3_u32 v83, v84, v83, s96
                                        ; implicit-def: $vgpr84
; %bb.1917:                             ;   in Loop: Header=BB33_1899 Depth=4
	s_andn2_saveexec_b64 s[28:29], s[22:23]
; %bb.1918:                             ;   in Loop: Header=BB33_1899 Depth=4
	v_or_b32_e32 v83, 0x10000, v84
	v_cmp_eq_u32_sdwa s[22:23], v84, v3 src0_sel:WORD_0 src1_sel:DWORD
	s_nop 1
	v_cndmask_b32_e64 v83, v83, v84, s[22:23]
; %bb.1919:                             ;   in Loop: Header=BB33_1899 Depth=4
	s_or_b64 exec, exec, s[28:29]
	v_and_b32_e32 v84, 0xffff0000, v22
	v_and_b32_e32 v50, 0xffff0000, v50
	v_max_f32_e32 v50, v50, v50
	v_max_f32_e32 v84, v84, v84
	v_min_f32_e32 v85, v84, v50
	v_max_f32_e32 v50, v84, v50
	v_cndmask_b32_e32 v84, v50, v85, vcc
	v_and_b32_e32 v50, 0x7f800000, v84
	v_cmp_ne_u32_e64 s[22:23], s87, v50
                                        ; implicit-def: $vgpr50
	s_and_saveexec_b64 s[28:29], s[22:23]
	s_xor_b64 s[22:23], exec, s[28:29]
; %bb.1920:                             ;   in Loop: Header=BB33_1899 Depth=4
	v_bfe_u32 v50, v84, 16, 1
	v_add3_u32 v50, v84, v50, s96
                                        ; implicit-def: $vgpr84
; %bb.1921:                             ;   in Loop: Header=BB33_1899 Depth=4
	s_andn2_saveexec_b64 s[28:29], s[22:23]
; %bb.1922:                             ;   in Loop: Header=BB33_1899 Depth=4
	v_or_b32_e32 v50, 0x10000, v84
	v_cmp_eq_u32_sdwa s[22:23], v84, v3 src0_sel:WORD_0 src1_sel:DWORD
	s_nop 1
	v_cndmask_b32_e64 v50, v50, v84, s[22:23]
; %bb.1923:                             ;   in Loop: Header=BB33_1899 Depth=4
	s_or_b64 exec, exec, s[28:29]
	v_lshlrev_b32_e32 v84, 16, v23
	v_lshlrev_b32_e32 v85, 16, v51
	v_max_f32_e32 v85, v85, v85
	v_max_f32_e32 v84, v84, v84
	v_min_f32_e32 v86, v84, v85
	v_max_f32_e32 v84, v84, v85
	v_cndmask_b32_e32 v85, v84, v86, vcc
	v_and_b32_e32 v84, 0x7f800000, v85
	v_cmp_ne_u32_e64 s[22:23], s87, v84
                                        ; implicit-def: $vgpr84
	s_and_saveexec_b64 s[28:29], s[22:23]
	s_xor_b64 s[22:23], exec, s[28:29]
; %bb.1924:                             ;   in Loop: Header=BB33_1899 Depth=4
	v_bfe_u32 v84, v85, 16, 1
	v_add3_u32 v84, v85, v84, s96
                                        ; implicit-def: $vgpr85
; %bb.1925:                             ;   in Loop: Header=BB33_1899 Depth=4
	s_andn2_saveexec_b64 s[28:29], s[22:23]
; %bb.1926:                             ;   in Loop: Header=BB33_1899 Depth=4
	v_or_b32_e32 v84, 0x10000, v85
	v_cmp_eq_u32_sdwa s[22:23], v85, v3 src0_sel:WORD_0 src1_sel:DWORD
	s_nop 1
	v_cndmask_b32_e64 v84, v84, v85, s[22:23]
; %bb.1927:                             ;   in Loop: Header=BB33_1899 Depth=4
	s_or_b64 exec, exec, s[28:29]
	v_and_b32_e32 v85, 0xffff0000, v23
	v_and_b32_e32 v51, 0xffff0000, v51
	v_max_f32_e32 v51, v51, v51
	v_max_f32_e32 v85, v85, v85
	v_min_f32_e32 v86, v85, v51
	v_max_f32_e32 v51, v85, v51
	v_cndmask_b32_e32 v85, v51, v86, vcc
	v_and_b32_e32 v51, 0x7f800000, v85
	v_cmp_ne_u32_e64 s[22:23], s87, v51
                                        ; implicit-def: $vgpr51
	s_and_saveexec_b64 s[28:29], s[22:23]
	s_xor_b64 s[22:23], exec, s[28:29]
; %bb.1928:                             ;   in Loop: Header=BB33_1899 Depth=4
	v_bfe_u32 v51, v85, 16, 1
	v_add3_u32 v51, v85, v51, s96
                                        ; implicit-def: $vgpr85
; %bb.1929:                             ;   in Loop: Header=BB33_1899 Depth=4
	s_andn2_saveexec_b64 s[28:29], s[22:23]
; %bb.1930:                             ;   in Loop: Header=BB33_1899 Depth=4
	v_or_b32_e32 v51, 0x10000, v85
	v_cmp_eq_u32_sdwa s[22:23], v85, v3 src0_sel:WORD_0 src1_sel:DWORD
	s_nop 1
	v_cndmask_b32_e64 v51, v51, v85, s[22:23]
; %bb.1931:                             ;   in Loop: Header=BB33_1899 Depth=4
	s_or_b64 exec, exec, s[28:29]
	v_lshrrev_b32_e32 v81, 16, v81
	v_and_or_b32 v48, v48, s97, v81
	v_lshrrev_b32_e32 v81, 16, v83
	v_lshrrev_b32_e32 v82, 16, v82
	v_and_or_b32 v50, v50, s97, v81
	v_lshrrev_b32_e32 v81, 16, v84
	v_and_or_b32 v49, v49, s97, v82
	v_and_or_b32 v51, v51, s97, v81
	global_store_dwordx4 v[64:65], v[48:51], off
	s_nop 1
	v_lshlrev_b32_e32 v48, 16, v16
	v_lshlrev_b32_e32 v49, 16, v36
	v_max_f32_e32 v49, v49, v49
	v_max_f32_e32 v48, v48, v48
	v_min_f32_e32 v50, v48, v49
	v_max_f32_e32 v48, v48, v49
	v_cndmask_b32_e32 v49, v48, v50, vcc
	v_and_b32_e32 v48, 0x7f800000, v49
	v_cmp_ne_u32_e64 s[22:23], s87, v48
                                        ; implicit-def: $vgpr48
	s_and_saveexec_b64 s[28:29], s[22:23]
	s_xor_b64 s[22:23], exec, s[28:29]
; %bb.1932:                             ;   in Loop: Header=BB33_1899 Depth=4
	v_bfe_u32 v48, v49, 16, 1
	v_add3_u32 v48, v49, v48, s96
                                        ; implicit-def: $vgpr49
; %bb.1933:                             ;   in Loop: Header=BB33_1899 Depth=4
	s_andn2_saveexec_b64 s[28:29], s[22:23]
; %bb.1934:                             ;   in Loop: Header=BB33_1899 Depth=4
	v_or_b32_e32 v48, 0x10000, v49
	v_cmp_eq_u32_sdwa s[22:23], v49, v3 src0_sel:WORD_0 src1_sel:DWORD
	s_nop 1
	v_cndmask_b32_e64 v48, v48, v49, s[22:23]
; %bb.1935:                             ;   in Loop: Header=BB33_1899 Depth=4
	s_or_b64 exec, exec, s[28:29]
	v_and_b32_e32 v49, 0xffff0000, v16
	v_and_b32_e32 v36, 0xffff0000, v36
	v_max_f32_e32 v36, v36, v36
	v_max_f32_e32 v49, v49, v49
	v_min_f32_e32 v50, v49, v36
	v_max_f32_e32 v36, v49, v36
	v_cndmask_b32_e32 v49, v36, v50, vcc
	v_and_b32_e32 v36, 0x7f800000, v49
	v_cmp_ne_u32_e64 s[22:23], s87, v36
                                        ; implicit-def: $vgpr36
	s_and_saveexec_b64 s[28:29], s[22:23]
	s_xor_b64 s[22:23], exec, s[28:29]
; %bb.1936:                             ;   in Loop: Header=BB33_1899 Depth=4
	v_bfe_u32 v36, v49, 16, 1
	v_add3_u32 v36, v49, v36, s96
                                        ; implicit-def: $vgpr49
; %bb.1937:                             ;   in Loop: Header=BB33_1899 Depth=4
	s_andn2_saveexec_b64 s[28:29], s[22:23]
; %bb.1938:                             ;   in Loop: Header=BB33_1899 Depth=4
	v_or_b32_e32 v36, 0x10000, v49
	v_cmp_eq_u32_sdwa s[22:23], v49, v3 src0_sel:WORD_0 src1_sel:DWORD
	s_nop 1
	v_cndmask_b32_e64 v36, v36, v49, s[22:23]
; %bb.1939:                             ;   in Loop: Header=BB33_1899 Depth=4
	s_or_b64 exec, exec, s[28:29]
	v_lshlrev_b32_e32 v49, 16, v17
	v_lshlrev_b32_e32 v50, 16, v37
	v_max_f32_e32 v50, v50, v50
	v_max_f32_e32 v49, v49, v49
	v_min_f32_e32 v51, v49, v50
	v_max_f32_e32 v49, v49, v50
	v_cndmask_b32_e32 v50, v49, v51, vcc
	v_and_b32_e32 v49, 0x7f800000, v50
	v_cmp_ne_u32_e64 s[22:23], s87, v49
                                        ; implicit-def: $vgpr49
	s_and_saveexec_b64 s[28:29], s[22:23]
	s_xor_b64 s[22:23], exec, s[28:29]
; %bb.1940:                             ;   in Loop: Header=BB33_1899 Depth=4
	v_bfe_u32 v49, v50, 16, 1
	v_add3_u32 v49, v50, v49, s96
                                        ; implicit-def: $vgpr50
; %bb.1941:                             ;   in Loop: Header=BB33_1899 Depth=4
	s_andn2_saveexec_b64 s[28:29], s[22:23]
; %bb.1942:                             ;   in Loop: Header=BB33_1899 Depth=4
	v_or_b32_e32 v49, 0x10000, v50
	v_cmp_eq_u32_sdwa s[22:23], v50, v3 src0_sel:WORD_0 src1_sel:DWORD
	s_nop 1
	v_cndmask_b32_e64 v49, v49, v50, s[22:23]
; %bb.1943:                             ;   in Loop: Header=BB33_1899 Depth=4
	s_or_b64 exec, exec, s[28:29]
	v_and_b32_e32 v50, 0xffff0000, v17
	v_and_b32_e32 v37, 0xffff0000, v37
	v_max_f32_e32 v37, v37, v37
	v_max_f32_e32 v50, v50, v50
	v_min_f32_e32 v51, v50, v37
	v_max_f32_e32 v37, v50, v37
	v_cndmask_b32_e32 v50, v37, v51, vcc
	v_and_b32_e32 v37, 0x7f800000, v50
	v_cmp_ne_u32_e64 s[22:23], s87, v37
                                        ; implicit-def: $vgpr37
	s_and_saveexec_b64 s[28:29], s[22:23]
	s_xor_b64 s[22:23], exec, s[28:29]
; %bb.1944:                             ;   in Loop: Header=BB33_1899 Depth=4
	v_bfe_u32 v37, v50, 16, 1
	v_add3_u32 v37, v50, v37, s96
                                        ; implicit-def: $vgpr50
; %bb.1945:                             ;   in Loop: Header=BB33_1899 Depth=4
	s_andn2_saveexec_b64 s[28:29], s[22:23]
; %bb.1946:                             ;   in Loop: Header=BB33_1899 Depth=4
	v_or_b32_e32 v37, 0x10000, v50
	v_cmp_eq_u32_sdwa s[22:23], v50, v3 src0_sel:WORD_0 src1_sel:DWORD
	s_nop 1
	v_cndmask_b32_e64 v37, v37, v50, s[22:23]
; %bb.1947:                             ;   in Loop: Header=BB33_1899 Depth=4
	s_or_b64 exec, exec, s[28:29]
	v_lshlrev_b32_e32 v50, 16, v18
	v_lshlrev_b32_e32 v51, 16, v38
	v_max_f32_e32 v51, v51, v51
	v_max_f32_e32 v50, v50, v50
	v_min_f32_e32 v81, v50, v51
	v_max_f32_e32 v50, v50, v51
	v_cndmask_b32_e32 v51, v50, v81, vcc
	v_and_b32_e32 v50, 0x7f800000, v51
	v_cmp_ne_u32_e64 s[22:23], s87, v50
                                        ; implicit-def: $vgpr50
	s_and_saveexec_b64 s[28:29], s[22:23]
	s_xor_b64 s[22:23], exec, s[28:29]
; %bb.1948:                             ;   in Loop: Header=BB33_1899 Depth=4
	v_bfe_u32 v50, v51, 16, 1
	v_add3_u32 v50, v51, v50, s96
                                        ; implicit-def: $vgpr51
; %bb.1949:                             ;   in Loop: Header=BB33_1899 Depth=4
	s_andn2_saveexec_b64 s[28:29], s[22:23]
; %bb.1950:                             ;   in Loop: Header=BB33_1899 Depth=4
	v_or_b32_e32 v50, 0x10000, v51
	v_cmp_eq_u32_sdwa s[22:23], v51, v3 src0_sel:WORD_0 src1_sel:DWORD
	s_nop 1
	v_cndmask_b32_e64 v50, v50, v51, s[22:23]
; %bb.1951:                             ;   in Loop: Header=BB33_1899 Depth=4
	s_or_b64 exec, exec, s[28:29]
	v_and_b32_e32 v51, 0xffff0000, v18
	v_and_b32_e32 v38, 0xffff0000, v38
	v_max_f32_e32 v38, v38, v38
	v_max_f32_e32 v51, v51, v51
	v_min_f32_e32 v81, v51, v38
	v_max_f32_e32 v38, v51, v38
	v_cndmask_b32_e32 v51, v38, v81, vcc
	v_and_b32_e32 v38, 0x7f800000, v51
	v_cmp_ne_u32_e64 s[22:23], s87, v38
                                        ; implicit-def: $vgpr38
	s_and_saveexec_b64 s[28:29], s[22:23]
	s_xor_b64 s[22:23], exec, s[28:29]
; %bb.1952:                             ;   in Loop: Header=BB33_1899 Depth=4
	v_bfe_u32 v38, v51, 16, 1
	v_add3_u32 v38, v51, v38, s96
                                        ; implicit-def: $vgpr51
; %bb.1953:                             ;   in Loop: Header=BB33_1899 Depth=4
	s_andn2_saveexec_b64 s[28:29], s[22:23]
; %bb.1954:                             ;   in Loop: Header=BB33_1899 Depth=4
	v_or_b32_e32 v38, 0x10000, v51
	v_cmp_eq_u32_sdwa s[22:23], v51, v3 src0_sel:WORD_0 src1_sel:DWORD
	s_nop 1
	v_cndmask_b32_e64 v38, v38, v51, s[22:23]
; %bb.1955:                             ;   in Loop: Header=BB33_1899 Depth=4
	s_or_b64 exec, exec, s[28:29]
	v_lshlrev_b32_e32 v51, 16, v19
	v_lshlrev_b32_e32 v81, 16, v39
	v_max_f32_e32 v81, v81, v81
	v_max_f32_e32 v51, v51, v51
	v_min_f32_e32 v82, v51, v81
	v_max_f32_e32 v51, v51, v81
	v_cndmask_b32_e32 v81, v51, v82, vcc
	v_and_b32_e32 v51, 0x7f800000, v81
	v_cmp_ne_u32_e64 s[22:23], s87, v51
                                        ; implicit-def: $vgpr51
	s_and_saveexec_b64 s[28:29], s[22:23]
	s_xor_b64 s[22:23], exec, s[28:29]
; %bb.1956:                             ;   in Loop: Header=BB33_1899 Depth=4
	v_bfe_u32 v51, v81, 16, 1
	v_add3_u32 v51, v81, v51, s96
                                        ; implicit-def: $vgpr81
; %bb.1957:                             ;   in Loop: Header=BB33_1899 Depth=4
	s_andn2_saveexec_b64 s[28:29], s[22:23]
; %bb.1958:                             ;   in Loop: Header=BB33_1899 Depth=4
	v_or_b32_e32 v51, 0x10000, v81
	v_cmp_eq_u32_sdwa s[22:23], v81, v3 src0_sel:WORD_0 src1_sel:DWORD
	s_nop 1
	v_cndmask_b32_e64 v51, v51, v81, s[22:23]
; %bb.1959:                             ;   in Loop: Header=BB33_1899 Depth=4
	s_or_b64 exec, exec, s[28:29]
	v_and_b32_e32 v81, 0xffff0000, v19
	v_and_b32_e32 v39, 0xffff0000, v39
	v_max_f32_e32 v39, v39, v39
	v_max_f32_e32 v81, v81, v81
	v_min_f32_e32 v82, v81, v39
	v_max_f32_e32 v39, v81, v39
	v_cndmask_b32_e32 v81, v39, v82, vcc
	v_and_b32_e32 v39, 0x7f800000, v81
	v_cmp_ne_u32_e64 s[22:23], s87, v39
                                        ; implicit-def: $vgpr39
	s_and_saveexec_b64 s[28:29], s[22:23]
	s_xor_b64 s[22:23], exec, s[28:29]
; %bb.1960:                             ;   in Loop: Header=BB33_1899 Depth=4
	v_bfe_u32 v39, v81, 16, 1
	v_add3_u32 v39, v81, v39, s96
                                        ; implicit-def: $vgpr81
; %bb.1961:                             ;   in Loop: Header=BB33_1899 Depth=4
	s_andn2_saveexec_b64 s[28:29], s[22:23]
; %bb.1962:                             ;   in Loop: Header=BB33_1899 Depth=4
	v_or_b32_e32 v39, 0x10000, v81
	v_cmp_eq_u32_sdwa s[22:23], v81, v3 src0_sel:WORD_0 src1_sel:DWORD
	s_nop 1
	v_cndmask_b32_e64 v39, v39, v81, s[22:23]
; %bb.1963:                             ;   in Loop: Header=BB33_1899 Depth=4
	s_or_b64 exec, exec, s[28:29]
	v_lshrrev_b32_e32 v48, 16, v48
	v_and_or_b32 v36, v36, s97, v48
	v_lshrrev_b32_e32 v48, 16, v50
	v_lshrrev_b32_e32 v49, 16, v49
	v_and_or_b32 v38, v38, s97, v48
	v_lshrrev_b32_e32 v48, 16, v51
	v_and_or_b32 v37, v37, s97, v49
	v_and_or_b32 v39, v39, s97, v48
	global_store_dwordx4 v[64:65], v[36:39], off offset:1024
	s_nop 1
	v_lshlrev_b32_e32 v36, 16, v12
	v_lshlrev_b32_e32 v37, 16, v32
	v_max_f32_e32 v37, v37, v37
	v_max_f32_e32 v36, v36, v36
	v_min_f32_e32 v38, v36, v37
	v_max_f32_e32 v36, v36, v37
	v_cndmask_b32_e32 v37, v36, v38, vcc
	v_and_b32_e32 v36, 0x7f800000, v37
	v_cmp_ne_u32_e64 s[22:23], s87, v36
                                        ; implicit-def: $vgpr36
	s_and_saveexec_b64 s[28:29], s[22:23]
	s_xor_b64 s[22:23], exec, s[28:29]
; %bb.1964:                             ;   in Loop: Header=BB33_1899 Depth=4
	v_bfe_u32 v36, v37, 16, 1
	v_add3_u32 v36, v37, v36, s96
                                        ; implicit-def: $vgpr37
; %bb.1965:                             ;   in Loop: Header=BB33_1899 Depth=4
	s_andn2_saveexec_b64 s[28:29], s[22:23]
; %bb.1966:                             ;   in Loop: Header=BB33_1899 Depth=4
	v_or_b32_e32 v36, 0x10000, v37
	v_cmp_eq_u32_sdwa s[22:23], v37, v3 src0_sel:WORD_0 src1_sel:DWORD
	s_nop 1
	v_cndmask_b32_e64 v36, v36, v37, s[22:23]
; %bb.1967:                             ;   in Loop: Header=BB33_1899 Depth=4
	s_or_b64 exec, exec, s[28:29]
	v_and_b32_e32 v37, 0xffff0000, v12
	v_and_b32_e32 v32, 0xffff0000, v32
	v_max_f32_e32 v32, v32, v32
	v_max_f32_e32 v37, v37, v37
	v_min_f32_e32 v38, v37, v32
	v_max_f32_e32 v32, v37, v32
	v_cndmask_b32_e32 v37, v32, v38, vcc
	v_and_b32_e32 v32, 0x7f800000, v37
	v_cmp_ne_u32_e64 s[22:23], s87, v32
                                        ; implicit-def: $vgpr32
	s_and_saveexec_b64 s[28:29], s[22:23]
	s_xor_b64 s[22:23], exec, s[28:29]
; %bb.1968:                             ;   in Loop: Header=BB33_1899 Depth=4
	v_bfe_u32 v32, v37, 16, 1
	v_add3_u32 v32, v37, v32, s96
                                        ; implicit-def: $vgpr37
; %bb.1969:                             ;   in Loop: Header=BB33_1899 Depth=4
	s_andn2_saveexec_b64 s[28:29], s[22:23]
; %bb.1970:                             ;   in Loop: Header=BB33_1899 Depth=4
	v_or_b32_e32 v32, 0x10000, v37
	v_cmp_eq_u32_sdwa s[22:23], v37, v3 src0_sel:WORD_0 src1_sel:DWORD
	s_nop 1
	v_cndmask_b32_e64 v32, v32, v37, s[22:23]
; %bb.1971:                             ;   in Loop: Header=BB33_1899 Depth=4
	s_or_b64 exec, exec, s[28:29]
	v_lshlrev_b32_e32 v37, 16, v13
	v_lshlrev_b32_e32 v38, 16, v33
	v_max_f32_e32 v38, v38, v38
	v_max_f32_e32 v37, v37, v37
	v_min_f32_e32 v39, v37, v38
	v_max_f32_e32 v37, v37, v38
	v_cndmask_b32_e32 v38, v37, v39, vcc
	v_and_b32_e32 v37, 0x7f800000, v38
	v_cmp_ne_u32_e64 s[22:23], s87, v37
                                        ; implicit-def: $vgpr37
	s_and_saveexec_b64 s[28:29], s[22:23]
	s_xor_b64 s[22:23], exec, s[28:29]
; %bb.1972:                             ;   in Loop: Header=BB33_1899 Depth=4
	v_bfe_u32 v37, v38, 16, 1
	v_add3_u32 v37, v38, v37, s96
                                        ; implicit-def: $vgpr38
; %bb.1973:                             ;   in Loop: Header=BB33_1899 Depth=4
	s_andn2_saveexec_b64 s[28:29], s[22:23]
; %bb.1974:                             ;   in Loop: Header=BB33_1899 Depth=4
	v_or_b32_e32 v37, 0x10000, v38
	v_cmp_eq_u32_sdwa s[22:23], v38, v3 src0_sel:WORD_0 src1_sel:DWORD
	s_nop 1
	v_cndmask_b32_e64 v37, v37, v38, s[22:23]
; %bb.1975:                             ;   in Loop: Header=BB33_1899 Depth=4
	s_or_b64 exec, exec, s[28:29]
	v_and_b32_e32 v38, 0xffff0000, v13
	v_and_b32_e32 v33, 0xffff0000, v33
	v_max_f32_e32 v33, v33, v33
	v_max_f32_e32 v38, v38, v38
	v_min_f32_e32 v39, v38, v33
	v_max_f32_e32 v33, v38, v33
	v_cndmask_b32_e32 v38, v33, v39, vcc
	v_and_b32_e32 v33, 0x7f800000, v38
	v_cmp_ne_u32_e64 s[22:23], s87, v33
                                        ; implicit-def: $vgpr33
	s_and_saveexec_b64 s[28:29], s[22:23]
	s_xor_b64 s[22:23], exec, s[28:29]
; %bb.1976:                             ;   in Loop: Header=BB33_1899 Depth=4
	v_bfe_u32 v33, v38, 16, 1
	v_add3_u32 v33, v38, v33, s96
                                        ; implicit-def: $vgpr38
; %bb.1977:                             ;   in Loop: Header=BB33_1899 Depth=4
	s_andn2_saveexec_b64 s[28:29], s[22:23]
; %bb.1978:                             ;   in Loop: Header=BB33_1899 Depth=4
	v_or_b32_e32 v33, 0x10000, v38
	v_cmp_eq_u32_sdwa s[22:23], v38, v3 src0_sel:WORD_0 src1_sel:DWORD
	s_nop 1
	v_cndmask_b32_e64 v33, v33, v38, s[22:23]
; %bb.1979:                             ;   in Loop: Header=BB33_1899 Depth=4
	s_or_b64 exec, exec, s[28:29]
	v_lshlrev_b32_e32 v38, 16, v14
	v_lshlrev_b32_e32 v39, 16, v34
	v_max_f32_e32 v39, v39, v39
	v_max_f32_e32 v38, v38, v38
	v_min_f32_e32 v48, v38, v39
	v_max_f32_e32 v38, v38, v39
	v_cndmask_b32_e32 v39, v38, v48, vcc
	v_and_b32_e32 v38, 0x7f800000, v39
	v_cmp_ne_u32_e64 s[22:23], s87, v38
                                        ; implicit-def: $vgpr38
	s_and_saveexec_b64 s[28:29], s[22:23]
	s_xor_b64 s[22:23], exec, s[28:29]
; %bb.1980:                             ;   in Loop: Header=BB33_1899 Depth=4
	v_bfe_u32 v38, v39, 16, 1
	v_add3_u32 v38, v39, v38, s96
                                        ; implicit-def: $vgpr39
; %bb.1981:                             ;   in Loop: Header=BB33_1899 Depth=4
	s_andn2_saveexec_b64 s[28:29], s[22:23]
; %bb.1982:                             ;   in Loop: Header=BB33_1899 Depth=4
	v_or_b32_e32 v38, 0x10000, v39
	v_cmp_eq_u32_sdwa s[22:23], v39, v3 src0_sel:WORD_0 src1_sel:DWORD
	s_nop 1
	v_cndmask_b32_e64 v38, v38, v39, s[22:23]
; %bb.1983:                             ;   in Loop: Header=BB33_1899 Depth=4
	s_or_b64 exec, exec, s[28:29]
	v_and_b32_e32 v39, 0xffff0000, v14
	v_and_b32_e32 v34, 0xffff0000, v34
	v_max_f32_e32 v34, v34, v34
	v_max_f32_e32 v39, v39, v39
	v_min_f32_e32 v48, v39, v34
	v_max_f32_e32 v34, v39, v34
	v_cndmask_b32_e32 v39, v34, v48, vcc
	v_and_b32_e32 v34, 0x7f800000, v39
	v_cmp_ne_u32_e64 s[22:23], s87, v34
                                        ; implicit-def: $vgpr34
	s_and_saveexec_b64 s[28:29], s[22:23]
	s_xor_b64 s[22:23], exec, s[28:29]
; %bb.1984:                             ;   in Loop: Header=BB33_1899 Depth=4
	v_bfe_u32 v34, v39, 16, 1
	v_add3_u32 v34, v39, v34, s96
                                        ; implicit-def: $vgpr39
; %bb.1985:                             ;   in Loop: Header=BB33_1899 Depth=4
	s_andn2_saveexec_b64 s[28:29], s[22:23]
; %bb.1986:                             ;   in Loop: Header=BB33_1899 Depth=4
	v_or_b32_e32 v34, 0x10000, v39
	v_cmp_eq_u32_sdwa s[22:23], v39, v3 src0_sel:WORD_0 src1_sel:DWORD
	s_nop 1
	v_cndmask_b32_e64 v34, v34, v39, s[22:23]
; %bb.1987:                             ;   in Loop: Header=BB33_1899 Depth=4
	s_or_b64 exec, exec, s[28:29]
	v_lshlrev_b32_e32 v39, 16, v15
	v_lshlrev_b32_e32 v48, 16, v35
	v_max_f32_e32 v48, v48, v48
	v_max_f32_e32 v39, v39, v39
	v_min_f32_e32 v49, v39, v48
	v_max_f32_e32 v39, v39, v48
	v_cndmask_b32_e32 v48, v39, v49, vcc
	v_and_b32_e32 v39, 0x7f800000, v48
	v_cmp_ne_u32_e64 s[22:23], s87, v39
                                        ; implicit-def: $vgpr39
	s_and_saveexec_b64 s[28:29], s[22:23]
	s_xor_b64 s[22:23], exec, s[28:29]
; %bb.1988:                             ;   in Loop: Header=BB33_1899 Depth=4
	v_bfe_u32 v39, v48, 16, 1
	v_add3_u32 v39, v48, v39, s96
                                        ; implicit-def: $vgpr48
; %bb.1989:                             ;   in Loop: Header=BB33_1899 Depth=4
	s_andn2_saveexec_b64 s[28:29], s[22:23]
; %bb.1990:                             ;   in Loop: Header=BB33_1899 Depth=4
	v_or_b32_e32 v39, 0x10000, v48
	v_cmp_eq_u32_sdwa s[22:23], v48, v3 src0_sel:WORD_0 src1_sel:DWORD
	s_nop 1
	v_cndmask_b32_e64 v39, v39, v48, s[22:23]
; %bb.1991:                             ;   in Loop: Header=BB33_1899 Depth=4
	s_or_b64 exec, exec, s[28:29]
	v_and_b32_e32 v48, 0xffff0000, v15
	v_and_b32_e32 v35, 0xffff0000, v35
	v_max_f32_e32 v35, v35, v35
	v_max_f32_e32 v48, v48, v48
	v_min_f32_e32 v49, v48, v35
	v_max_f32_e32 v35, v48, v35
	v_cndmask_b32_e32 v48, v35, v49, vcc
	v_and_b32_e32 v35, 0x7f800000, v48
	v_cmp_ne_u32_e64 s[22:23], s87, v35
                                        ; implicit-def: $vgpr35
	s_and_saveexec_b64 s[28:29], s[22:23]
	s_xor_b64 s[22:23], exec, s[28:29]
; %bb.1992:                             ;   in Loop: Header=BB33_1899 Depth=4
	v_bfe_u32 v35, v48, 16, 1
	v_add3_u32 v35, v48, v35, s96
                                        ; implicit-def: $vgpr48
; %bb.1993:                             ;   in Loop: Header=BB33_1899 Depth=4
	s_andn2_saveexec_b64 s[28:29], s[22:23]
; %bb.1994:                             ;   in Loop: Header=BB33_1899 Depth=4
	v_or_b32_e32 v35, 0x10000, v48
	v_cmp_eq_u32_sdwa s[22:23], v48, v3 src0_sel:WORD_0 src1_sel:DWORD
	s_nop 1
	v_cndmask_b32_e64 v35, v35, v48, s[22:23]
; %bb.1995:                             ;   in Loop: Header=BB33_1899 Depth=4
	s_or_b64 exec, exec, s[28:29]
	v_lshrrev_b32_e32 v36, 16, v36
	v_and_or_b32 v32, v32, s97, v36
	v_lshrrev_b32_e32 v36, 16, v38
	v_lshrrev_b32_e32 v37, 16, v37
	v_and_or_b32 v34, v34, s97, v36
	v_lshrrev_b32_e32 v36, 16, v39
	v_and_or_b32 v33, v33, s97, v37
	v_and_or_b32 v35, v35, s97, v36
	global_store_dwordx4 v[64:65], v[32:35], off offset:2048
	s_nop 1
	v_lshlrev_b32_e32 v32, 16, v8
	v_lshlrev_b32_e32 v33, 16, v24
	v_max_f32_e32 v33, v33, v33
	v_max_f32_e32 v32, v32, v32
	v_min_f32_e32 v34, v32, v33
	v_max_f32_e32 v32, v32, v33
	v_cndmask_b32_e32 v33, v32, v34, vcc
	v_and_b32_e32 v32, 0x7f800000, v33
	v_cmp_ne_u32_e64 s[22:23], s87, v32
                                        ; implicit-def: $vgpr32
	s_and_saveexec_b64 s[28:29], s[22:23]
	s_xor_b64 s[22:23], exec, s[28:29]
; %bb.1996:                             ;   in Loop: Header=BB33_1899 Depth=4
	v_bfe_u32 v32, v33, 16, 1
	v_add3_u32 v32, v33, v32, s96
                                        ; implicit-def: $vgpr33
; %bb.1997:                             ;   in Loop: Header=BB33_1899 Depth=4
	s_andn2_saveexec_b64 s[28:29], s[22:23]
; %bb.1998:                             ;   in Loop: Header=BB33_1899 Depth=4
	v_or_b32_e32 v32, 0x10000, v33
	v_cmp_eq_u32_sdwa s[22:23], v33, v3 src0_sel:WORD_0 src1_sel:DWORD
	s_nop 1
	v_cndmask_b32_e64 v32, v32, v33, s[22:23]
; %bb.1999:                             ;   in Loop: Header=BB33_1899 Depth=4
	s_or_b64 exec, exec, s[28:29]
	v_and_b32_e32 v33, 0xffff0000, v8
	v_and_b32_e32 v24, 0xffff0000, v24
	v_max_f32_e32 v24, v24, v24
	v_max_f32_e32 v33, v33, v33
	v_min_f32_e32 v34, v33, v24
	v_max_f32_e32 v24, v33, v24
	v_cndmask_b32_e32 v33, v24, v34, vcc
	v_and_b32_e32 v24, 0x7f800000, v33
	v_cmp_ne_u32_e64 s[22:23], s87, v24
                                        ; implicit-def: $vgpr24
	s_and_saveexec_b64 s[28:29], s[22:23]
	s_xor_b64 s[22:23], exec, s[28:29]
; %bb.2000:                             ;   in Loop: Header=BB33_1899 Depth=4
	v_bfe_u32 v24, v33, 16, 1
	v_add3_u32 v24, v33, v24, s96
                                        ; implicit-def: $vgpr33
; %bb.2001:                             ;   in Loop: Header=BB33_1899 Depth=4
	s_andn2_saveexec_b64 s[28:29], s[22:23]
; %bb.2002:                             ;   in Loop: Header=BB33_1899 Depth=4
	v_or_b32_e32 v24, 0x10000, v33
	v_cmp_eq_u32_sdwa s[22:23], v33, v3 src0_sel:WORD_0 src1_sel:DWORD
	s_nop 1
	v_cndmask_b32_e64 v24, v24, v33, s[22:23]
; %bb.2003:                             ;   in Loop: Header=BB33_1899 Depth=4
	s_or_b64 exec, exec, s[28:29]
	v_lshlrev_b32_e32 v33, 16, v9
	v_lshlrev_b32_e32 v34, 16, v25
	v_max_f32_e32 v34, v34, v34
	v_max_f32_e32 v33, v33, v33
	v_min_f32_e32 v35, v33, v34
	v_max_f32_e32 v33, v33, v34
	v_cndmask_b32_e32 v34, v33, v35, vcc
	v_and_b32_e32 v33, 0x7f800000, v34
	v_cmp_ne_u32_e64 s[22:23], s87, v33
                                        ; implicit-def: $vgpr33
	s_and_saveexec_b64 s[28:29], s[22:23]
	s_xor_b64 s[22:23], exec, s[28:29]
; %bb.2004:                             ;   in Loop: Header=BB33_1899 Depth=4
	v_bfe_u32 v33, v34, 16, 1
	v_add3_u32 v33, v34, v33, s96
                                        ; implicit-def: $vgpr34
; %bb.2005:                             ;   in Loop: Header=BB33_1899 Depth=4
	s_andn2_saveexec_b64 s[28:29], s[22:23]
; %bb.2006:                             ;   in Loop: Header=BB33_1899 Depth=4
	v_or_b32_e32 v33, 0x10000, v34
	v_cmp_eq_u32_sdwa s[22:23], v34, v3 src0_sel:WORD_0 src1_sel:DWORD
	s_nop 1
	v_cndmask_b32_e64 v33, v33, v34, s[22:23]
; %bb.2007:                             ;   in Loop: Header=BB33_1899 Depth=4
	s_or_b64 exec, exec, s[28:29]
	v_and_b32_e32 v34, 0xffff0000, v9
	v_and_b32_e32 v25, 0xffff0000, v25
	v_max_f32_e32 v25, v25, v25
	v_max_f32_e32 v34, v34, v34
	v_min_f32_e32 v35, v34, v25
	v_max_f32_e32 v25, v34, v25
	v_cndmask_b32_e32 v34, v25, v35, vcc
	v_and_b32_e32 v25, 0x7f800000, v34
	v_cmp_ne_u32_e64 s[22:23], s87, v25
                                        ; implicit-def: $vgpr25
	s_and_saveexec_b64 s[28:29], s[22:23]
	s_xor_b64 s[22:23], exec, s[28:29]
; %bb.2008:                             ;   in Loop: Header=BB33_1899 Depth=4
	v_bfe_u32 v25, v34, 16, 1
	v_add3_u32 v25, v34, v25, s96
                                        ; implicit-def: $vgpr34
; %bb.2009:                             ;   in Loop: Header=BB33_1899 Depth=4
	s_andn2_saveexec_b64 s[28:29], s[22:23]
; %bb.2010:                             ;   in Loop: Header=BB33_1899 Depth=4
	v_or_b32_e32 v25, 0x10000, v34
	v_cmp_eq_u32_sdwa s[22:23], v34, v3 src0_sel:WORD_0 src1_sel:DWORD
	s_nop 1
	v_cndmask_b32_e64 v25, v25, v34, s[22:23]
; %bb.2011:                             ;   in Loop: Header=BB33_1899 Depth=4
	s_or_b64 exec, exec, s[28:29]
	v_lshlrev_b32_e32 v34, 16, v10
	v_lshlrev_b32_e32 v35, 16, v26
	v_max_f32_e32 v35, v35, v35
	v_max_f32_e32 v34, v34, v34
	v_min_f32_e32 v36, v34, v35
	v_max_f32_e32 v34, v34, v35
	v_cndmask_b32_e32 v35, v34, v36, vcc
	v_and_b32_e32 v34, 0x7f800000, v35
	v_cmp_ne_u32_e64 s[22:23], s87, v34
                                        ; implicit-def: $vgpr34
	s_and_saveexec_b64 s[28:29], s[22:23]
	s_xor_b64 s[22:23], exec, s[28:29]
; %bb.2012:                             ;   in Loop: Header=BB33_1899 Depth=4
	v_bfe_u32 v34, v35, 16, 1
	v_add3_u32 v34, v35, v34, s96
                                        ; implicit-def: $vgpr35
; %bb.2013:                             ;   in Loop: Header=BB33_1899 Depth=4
	s_andn2_saveexec_b64 s[28:29], s[22:23]
; %bb.2014:                             ;   in Loop: Header=BB33_1899 Depth=4
	v_or_b32_e32 v34, 0x10000, v35
	v_cmp_eq_u32_sdwa s[22:23], v35, v3 src0_sel:WORD_0 src1_sel:DWORD
	s_nop 1
	v_cndmask_b32_e64 v34, v34, v35, s[22:23]
; %bb.2015:                             ;   in Loop: Header=BB33_1899 Depth=4
	s_or_b64 exec, exec, s[28:29]
	v_and_b32_e32 v35, 0xffff0000, v10
	v_and_b32_e32 v26, 0xffff0000, v26
	v_max_f32_e32 v26, v26, v26
	v_max_f32_e32 v35, v35, v35
	v_min_f32_e32 v36, v35, v26
	v_max_f32_e32 v26, v35, v26
	v_cndmask_b32_e32 v35, v26, v36, vcc
	v_and_b32_e32 v26, 0x7f800000, v35
	v_cmp_ne_u32_e64 s[22:23], s87, v26
                                        ; implicit-def: $vgpr26
	s_and_saveexec_b64 s[28:29], s[22:23]
	s_xor_b64 s[22:23], exec, s[28:29]
; %bb.2016:                             ;   in Loop: Header=BB33_1899 Depth=4
	v_bfe_u32 v26, v35, 16, 1
	v_add3_u32 v26, v35, v26, s96
                                        ; implicit-def: $vgpr35
; %bb.2017:                             ;   in Loop: Header=BB33_1899 Depth=4
	s_andn2_saveexec_b64 s[28:29], s[22:23]
; %bb.2018:                             ;   in Loop: Header=BB33_1899 Depth=4
	v_or_b32_e32 v26, 0x10000, v35
	v_cmp_eq_u32_sdwa s[22:23], v35, v3 src0_sel:WORD_0 src1_sel:DWORD
	s_nop 1
	v_cndmask_b32_e64 v26, v26, v35, s[22:23]
; %bb.2019:                             ;   in Loop: Header=BB33_1899 Depth=4
	s_or_b64 exec, exec, s[28:29]
	v_lshlrev_b32_e32 v35, 16, v11
	v_lshlrev_b32_e32 v36, 16, v27
	v_max_f32_e32 v36, v36, v36
	v_max_f32_e32 v35, v35, v35
	v_min_f32_e32 v37, v35, v36
	v_max_f32_e32 v35, v35, v36
	v_cndmask_b32_e32 v36, v35, v37, vcc
	v_and_b32_e32 v35, 0x7f800000, v36
	v_cmp_ne_u32_e64 s[22:23], s87, v35
                                        ; implicit-def: $vgpr35
	s_and_saveexec_b64 s[28:29], s[22:23]
	s_xor_b64 s[22:23], exec, s[28:29]
; %bb.2020:                             ;   in Loop: Header=BB33_1899 Depth=4
	v_bfe_u32 v35, v36, 16, 1
	v_add3_u32 v35, v36, v35, s96
                                        ; implicit-def: $vgpr36
; %bb.2021:                             ;   in Loop: Header=BB33_1899 Depth=4
	s_andn2_saveexec_b64 s[28:29], s[22:23]
; %bb.2022:                             ;   in Loop: Header=BB33_1899 Depth=4
	v_or_b32_e32 v35, 0x10000, v36
	v_cmp_eq_u32_sdwa s[22:23], v36, v3 src0_sel:WORD_0 src1_sel:DWORD
	s_nop 1
	v_cndmask_b32_e64 v35, v35, v36, s[22:23]
; %bb.2023:                             ;   in Loop: Header=BB33_1899 Depth=4
	s_or_b64 exec, exec, s[28:29]
	v_and_b32_e32 v36, 0xffff0000, v11
	v_and_b32_e32 v27, 0xffff0000, v27
	v_max_f32_e32 v27, v27, v27
	v_max_f32_e32 v36, v36, v36
	v_min_f32_e32 v37, v36, v27
	v_max_f32_e32 v27, v36, v27
	v_cndmask_b32_e32 v36, v27, v37, vcc
	v_and_b32_e32 v27, 0x7f800000, v36
	v_cmp_ne_u32_e64 s[22:23], s87, v27
                                        ; implicit-def: $vgpr27
	s_and_saveexec_b64 s[28:29], s[22:23]
	s_xor_b64 s[22:23], exec, s[28:29]
; %bb.2024:                             ;   in Loop: Header=BB33_1899 Depth=4
	v_bfe_u32 v27, v36, 16, 1
	v_add3_u32 v27, v36, v27, s96
                                        ; implicit-def: $vgpr36
; %bb.2025:                             ;   in Loop: Header=BB33_1899 Depth=4
	s_andn2_saveexec_b64 s[28:29], s[22:23]
	s_cbranch_execz .LBB33_1898
; %bb.2026:                             ;   in Loop: Header=BB33_1899 Depth=4
	v_or_b32_e32 v27, 0x10000, v36
	v_cmp_eq_u32_sdwa s[22:23], v36, v3 src0_sel:WORD_0 src1_sel:DWORD
	s_nop 1
	v_cndmask_b32_e64 v27, v27, v36, s[22:23]
	s_branch .LBB33_1898
.LBB33_2027:                            ;   in Loop: Header=BB33_1814 Depth=3
	s_or_b64 exec, exec, s[26:27]
.LBB33_2028:                            ;   in Loop: Header=BB33_1814 Depth=3
	s_or_b64 exec, exec, s[24:25]
	v_lshlrev_b32_e32 v24, 12, v2
	v_cmp_ne_u32_e32 vcc, v80, v24
	s_mov_b64 s[22:23], 0
	v_mov_b32_e32 v2, 0
                                        ; implicit-def: $vgpr18
	s_and_saveexec_b64 s[50:51], vcc
	s_cbranch_execz .LBB33_2036
; %bb.2029:                             ;   in Loop: Header=BB33_1814 Depth=3
	v_lshlrev_b32_e32 v0, 6, v0
	v_sub_u32_e32 v0, v110, v0
	v_sub_u32_e32 v8, v80, v24
	v_ashrrev_i32_e32 v2, 31, v0
	v_lshrrev_b32_e32 v2, 26, v2
	v_ashrrev_i32_e32 v10, 31, v8
	v_add_u32_e32 v2, v0, v2
	v_lshrrev_b32_e32 v10, 22, v10
	v_ashrrev_i32_e32 v9, 6, v2
	v_and_b32_e32 v2, 0xffffffc0, v2
	v_add_u32_e32 v10, v8, v10
	v_sub_u32_e32 v0, v0, v2
	v_and_b32_e32 v25, 0xfffffc00, v10
	v_lshlrev_b32_e32 v2, 4, v0
	v_sub_u32_e32 v26, v8, v25
	v_lshl_add_u32 v2, v9, 10, v2
	v_ashrrev_i32_e32 v11, 10, v10
	v_cmp_lt_i32_e64 s[22:23], 15, v26
	v_sub_u32_e32 v32, v8, v2
	s_nop 0
	v_addc_co_u32_e64 v8, vcc, 0, v11, s[22:23]
	v_sub_u32_e32 v27, v8, v9
	v_cmp_lt_i32_e32 vcc, 15, v32
	s_and_saveexec_b64 s[52:53], vcc
	s_cbranch_execz .LBB33_2035
; %bb.2030:                             ;   in Loop: Header=BB33_1814 Depth=3
	v_add_u32_e32 v8, v2, v24
	s_and_b32 s74, s73, 1
	v_ashrrev_i32_e32 v9, 31, v8
	s_cmp_eq_u64 s[74:75], 0
	v_lshl_add_u64 v[16:17], v[8:9], 0, v[106:107]
	s_waitcnt lgkmcnt(0)
	v_lshl_add_u64 v[18:19], v[8:9], 0, v[54:55]
	v_lshl_add_u64 v[20:21], v[8:9], 0, v[62:63]
	;; [unrolled: 1-line block ×3, first 2 shown]
	s_mov_b64 s[54:55], 0
	s_cselect_b64 s[24:25], -1, 0
.LBB33_2031:                            ;   Parent Loop BB33_47 Depth=1
                                        ;     Parent Loop BB33_1811 Depth=2
                                        ;       Parent Loop BB33_1814 Depth=3
                                        ; =>      This Loop Header: Depth=4
                                        ;           Child Loop BB33_2032 Depth 5
	global_load_dwordx4 v[8:11], v[16:17], off nt
	global_load_dwordx4 v[12:15], v[18:19], off nt
	s_waitcnt vmcnt(0)
	v_lshlrev_b32_e32 v2, 16, v8
	v_and_b32_e32 v34, 0xffff0000, v12
	v_lshlrev_b32_e32 v12, 16, v12
	v_max_f32_e32 v12, v12, v12
	v_max_f32_e32 v2, v2, v2
	v_min_f32_e32 v35, v2, v12
	v_max_f32_e32 v2, v2, v12
	v_cndmask_b32_e64 v12, v2, v35, s[24:25]
	v_and_b32_e32 v33, 0xffff0000, v8
	v_and_b32_e32 v2, 0x7f800000, v12
	v_cmp_eq_u32_e32 vcc, s87, v2
	v_bfe_u32 v2, v12, 16, 1
	v_cmp_eq_u32_sdwa s[26:27], v12, v3 src0_sel:WORD_0 src1_sel:DWORD
	v_or_b32_e32 v35, 0x10000, v12
	v_max_f32_e32 v34, v34, v34
	v_max_f32_e32 v33, v33, v33
	v_add3_u32 v2, v12, v2, s96
	v_cndmask_b32_e64 v12, v35, v12, s[26:27]
	v_min_f32_e32 v35, v33, v34
	v_max_f32_e32 v33, v33, v34
	v_cndmask_b32_e64 v34, v33, v35, s[24:25]
	v_and_b32_e32 v33, 0x7f800000, v34
	v_cmp_eq_u32_e64 s[26:27], s87, v33
	v_bfe_u32 v33, v34, 16, 1
	v_cmp_eq_u32_sdwa s[28:29], v34, v3 src0_sel:WORD_0 src1_sel:DWORD
	v_or_b32_e32 v35, 0x10000, v34
	v_add3_u32 v33, v34, v33, s96
	v_cndmask_b32_e64 v34, v35, v34, s[28:29]
	v_and_b32_e32 v37, 0xffff0000, v13
	v_lshlrev_b32_e32 v35, 16, v9
	v_lshlrev_b32_e32 v13, 16, v13
	v_max_f32_e32 v13, v13, v13
	v_max_f32_e32 v35, v35, v35
	v_min_f32_e32 v38, v35, v13
	v_max_f32_e32 v13, v35, v13
	v_cndmask_b32_e64 v35, v13, v38, s[24:25]
	v_and_b32_e32 v36, 0xffff0000, v9
	v_and_b32_e32 v13, 0x7f800000, v35
	v_cmp_eq_u32_e64 s[28:29], s87, v13
	v_bfe_u32 v13, v35, 16, 1
	v_cmp_eq_u32_sdwa s[40:41], v35, v3 src0_sel:WORD_0 src1_sel:DWORD
	v_or_b32_e32 v38, 0x10000, v35
	v_max_f32_e32 v37, v37, v37
	v_max_f32_e32 v36, v36, v36
	v_add3_u32 v13, v35, v13, s96
	v_cndmask_b32_e64 v35, v38, v35, s[40:41]
	v_min_f32_e32 v38, v36, v37
	v_max_f32_e32 v36, v36, v37
	v_cndmask_b32_e64 v37, v36, v38, s[24:25]
	v_and_b32_e32 v36, 0x7f800000, v37
	v_cmp_eq_u32_e64 s[40:41], s87, v36
	v_bfe_u32 v36, v37, 16, 1
	v_cmp_eq_u32_sdwa s[42:43], v37, v3 src0_sel:WORD_0 src1_sel:DWORD
	v_or_b32_e32 v38, 0x10000, v37
	v_add3_u32 v36, v37, v36, s96
	v_cndmask_b32_e64 v37, v38, v37, s[42:43]
	v_and_b32_e32 v48, 0xffff0000, v14
	v_lshlrev_b32_e32 v38, 16, v10
	v_lshlrev_b32_e32 v14, 16, v14
	v_max_f32_e32 v14, v14, v14
	v_max_f32_e32 v38, v38, v38
	v_min_f32_e32 v49, v38, v14
	v_max_f32_e32 v14, v38, v14
	v_cndmask_b32_e64 v38, v14, v49, s[24:25]
	v_and_b32_e32 v39, 0xffff0000, v10
	v_and_b32_e32 v14, 0x7f800000, v38
	v_cmp_eq_u32_e64 s[42:43], s87, v14
	v_bfe_u32 v14, v38, 16, 1
	v_cmp_eq_u32_sdwa s[44:45], v38, v3 src0_sel:WORD_0 src1_sel:DWORD
	v_or_b32_e32 v49, 0x10000, v38
	v_max_f32_e32 v48, v48, v48
	v_max_f32_e32 v39, v39, v39
	v_add3_u32 v14, v38, v14, s96
	v_cndmask_b32_e64 v38, v49, v38, s[44:45]
	v_min_f32_e32 v49, v39, v48
	v_max_f32_e32 v39, v39, v48
	v_and_b32_e32 v50, 0xffff0000, v15
	v_lshlrev_b32_e32 v51, 16, v11
	v_lshlrev_b32_e32 v15, 16, v15
	v_cndmask_b32_e64 v48, v39, v49, s[24:25]
	v_max_f32_e32 v15, v15, v15
	v_max_f32_e32 v51, v51, v51
	v_and_b32_e32 v39, 0x7f800000, v48
	v_min_f32_e32 v64, v51, v15
	v_max_f32_e32 v15, v51, v15
	v_cmp_eq_u32_e64 s[44:45], s87, v39
	v_bfe_u32 v39, v48, 16, 1
	v_cmp_eq_u32_sdwa s[46:47], v48, v3 src0_sel:WORD_0 src1_sel:DWORD
	v_or_b32_e32 v49, 0x10000, v48
	v_cndmask_b32_e64 v15, v15, v64, s[24:25]
	v_add3_u32 v39, v48, v39, s96
	v_cndmask_b32_e64 v48, v49, v48, s[46:47]
	v_and_b32_e32 v49, 0xffff0000, v11
	v_and_b32_e32 v51, 0x7f800000, v15
	v_cmp_eq_u32_e64 s[46:47], s87, v51
	v_bfe_u32 v51, v15, 16, 1
	v_cmp_eq_u32_sdwa s[56:57], v15, v3 src0_sel:WORD_0 src1_sel:DWORD
	v_or_b32_e32 v64, 0x10000, v15
	v_max_f32_e32 v50, v50, v50
	v_max_f32_e32 v49, v49, v49
	v_add3_u32 v51, v15, v51, s96
	v_cndmask_b32_e64 v15, v64, v15, s[56:57]
	v_min_f32_e32 v64, v49, v50
	v_max_f32_e32 v49, v49, v50
	v_cndmask_b32_e64 v49, v49, v64, s[24:25]
	v_and_b32_e32 v50, 0x7f800000, v49
	v_cmp_eq_u32_e64 s[56:57], s87, v50
	v_bfe_u32 v50, v49, 16, 1
	v_cmp_eq_u32_sdwa s[58:59], v49, v3 src0_sel:WORD_0 src1_sel:DWORD
	v_or_b32_e32 v64, 0x10000, v49
	v_cndmask_b32_e32 v2, v2, v12, vcc
	v_add3_u32 v50, v49, v50, s96
	v_cndmask_b32_e64 v49, v64, v49, s[58:59]
	v_cndmask_b32_e64 v12, v33, v34, s[26:27]
	v_cndmask_b32_e64 v13, v13, v35, s[28:29]
	v_cndmask_b32_e64 v14, v14, v38, s[42:43]
	v_cndmask_b32_e64 v15, v51, v15, s[46:47]
	v_lshrrev_b32_e32 v2, 16, v2
	v_cndmask_b32_e64 v33, v36, v37, s[40:41]
	v_cndmask_b32_e64 v34, v39, v48, s[44:45]
	;; [unrolled: 1-line block ×3, first 2 shown]
	v_lshrrev_b32_e32 v13, 16, v13
	v_and_or_b32 v2, v12, s97, v2
	v_lshrrev_b32_e32 v12, 16, v14
	v_lshrrev_b32_e32 v14, 16, v15
	v_and_or_b32 v13, v33, s97, v13
	v_and_or_b32 v12, v34, s97, v12
	;; [unrolled: 1-line block ×3, first 2 shown]
	s_mov_b64 s[40:41], -1
	s_mov_b64 s[42:43], 0
.LBB33_2032:                            ;   Parent Loop BB33_47 Depth=1
                                        ;     Parent Loop BB33_1811 Depth=2
                                        ;       Parent Loop BB33_1814 Depth=3
                                        ;         Parent Loop BB33_2031 Depth=4
                                        ; =>        This Inner Loop Header: Depth=5
	v_cndmask_b32_e64 v14, 0, 1, s[40:41]
	s_cmp_eq_u32 s42, 1
	v_cmp_ne_u32_e32 vcc, 1, v14
	s_cselect_b64 s[26:27], -1, 0
	v_cndmask_b32_e64 v35, v9, v13, s[40:41]
	v_cndmask_b32_e64 v34, v8, v2, s[40:41]
	;; [unrolled: 1-line block ×4, first 2 shown]
	v_cndmask_b32_e32 v39, v21, v23, vcc
	v_cndmask_b32_e64 v49, v21, v23, s[26:27]
	s_cmp_eq_u32 s42, 0
	v_cndmask_b32_e32 v38, v20, v22, vcc
	v_cndmask_b32_e64 v48, v20, v22, s[26:27]
	global_store_dwordx4 v[38:39], v[34:37], off
	s_cselect_b64 vcc, -1, 0
	s_and_b64 s[28:29], exec, s[40:41]
	v_lshl_add_u64 v[34:35], v[48:49], 0, s[88:89]
	s_mov_b64 s[42:43], 1
	s_mov_b64 s[40:41], 0
	v_cndmask_b32_e64 v23, v23, v35, s[26:27]
	v_cndmask_b32_e64 v22, v22, v34, s[26:27]
	v_cndmask_b32_e32 v21, v21, v35, vcc
	v_cndmask_b32_e32 v20, v20, v34, vcc
	s_mov_b64 vcc, s[28:29]
	s_cbranch_vccnz .LBB33_2032
; %bb.2033:                             ;   in Loop: Header=BB33_2031 Depth=4
	v_sub_u32_e32 v32, v32, v76
	v_cmp_gt_i32_e32 vcc, 16, v32
	v_lshl_add_u64 v[20:21], v[20:21], 0, v[94:95]
	v_lshl_add_u64 v[22:23], v[22:23], 0, v[94:95]
	;; [unrolled: 1-line block ×4, first 2 shown]
	s_or_b64 s[54:55], vcc, s[54:55]
	v_sub_u32_e32 v27, v27, v60
	s_andn2_b64 exec, exec, s[54:55]
	s_cbranch_execnz .LBB33_2031
; %bb.2034:                             ;   in Loop: Header=BB33_1814 Depth=3
	s_or_b64 exec, exec, s[54:55]
.LBB33_2035:                            ;   in Loop: Header=BB33_1814 Depth=3
	s_or_b64 exec, exec, s[52:53]
	v_and_b32_e32 v8, 14, v80
	v_cmp_lt_i32_e32 vcc, 0, v27
	v_sub_u32_e32 v2, v26, v8
	v_cndmask_b32_e64 v80, v26, v8, s[22:23]
	v_cndmask_b32_e32 v8, 0, v60, vcc
	v_cndmask_b32_e64 v2, 0, v2, s[22:23]
	v_sub_u32_e32 v8, v8, v27
	v_cmp_ne_u32_e32 vcc, 0, v80
	v_add3_u32 v2, v25, v24, v2
	v_lshl_add_u32 v18, v8, 6, v0
	s_and_b64 s[22:23], vcc, exec
.LBB33_2036:                            ;   in Loop: Header=BB33_1814 Depth=3
	s_or_b64 exec, exec, s[50:51]
	s_and_saveexec_b64 s[40:41], s[22:23]
	s_cbranch_execz .LBB33_2111
.LBB33_2037:                            ;   in Loop: Header=BB33_1814 Depth=3
	v_ashrrev_i32_e32 v0, 31, v18
	v_ashrrev_i32_e32 v9, 31, v80
	v_lshrrev_b32_e32 v0, 26, v0
	v_lshrrev_b32_e32 v9, 21, v9
	v_add_u32_e32 v8, v18, v0
	v_add_u32_e32 v9, v80, v9
	v_ashrrev_i32_e32 v0, 6, v8
	v_ashrrev_i32_e32 v20, 11, v9
	v_sub_u32_e32 v19, v20, v0
	v_cmp_lt_i32_e32 vcc, 0, v19
	s_and_saveexec_b64 s[24:25], vcc
	s_cbranch_execz .LBB33_2105
; %bb.2038:                             ;   in Loop: Header=BB33_1814 Depth=3
	v_and_b32_e32 v8, 0x7fffffc0, v8
	v_sub_u32_e32 v8, v18, v8
	v_lshlrev_b32_e32 v8, 1, v8
	v_lshlrev_b32_e32 v9, 11, v0
	v_add3_u32 v8, v8, v2, v9
	s_and_b32 s74, s73, 1
	v_ashrrev_i32_e32 v9, 31, v8
	s_cmp_eq_u64 s[74:75], 0
	v_lshl_add_u64 v[10:11], v[8:9], 0, v[62:63]
	v_lshl_add_u64 v[12:13], v[8:9], 0, v[52:53]
	s_mov_b64 s[26:27], 0
	s_cselect_b64 vcc, -1, 0
	v_mov_b64_e32 v[14:15], v[106:107]
	s_waitcnt lgkmcnt(0)
	v_mov_b64_e32 v[16:17], v[54:55]
	s_branch .LBB33_2040
.LBB33_2039:                            ;   in Loop: Header=BB33_2040 Depth=4
	s_or_b64 exec, exec, s[28:29]
	v_sub_u32_e32 v19, v19, v60
	v_cmp_gt_i32_e64 s[22:23], 1, v19
	flat_store_short_d16_hi v[10:11], v50 offset:1920 nt
	flat_store_short v[12:13], v21 nt
	flat_store_short v[12:13], v22 offset:128 nt
	flat_store_short v[12:13], v23 offset:256 nt
	;; [unrolled: 1-line block ×15, first 2 shown]
	v_lshl_add_u64 v[10:11], v[10:11], 0, v[78:79]
	v_lshl_add_u64 v[12:13], v[12:13], 0, v[78:79]
	;; [unrolled: 1-line block ×3, first 2 shown]
	s_or_b64 s[26:27], s[22:23], s[26:27]
	v_lshl_add_u64 v[14:15], v[14:15], 0, v[78:79]
	s_andn2_b64 exec, exec, s[26:27]
	s_cbranch_execz .LBB33_2104
.LBB33_2040:                            ;   Parent Loop BB33_47 Depth=1
                                        ;     Parent Loop BB33_1811 Depth=2
                                        ;       Parent Loop BB33_1814 Depth=3
                                        ; =>      This Inner Loop Header: Depth=4
	v_lshl_add_u64 v[48:49], v[8:9], 0, v[14:15]
	v_lshl_add_u64 v[86:87], v[8:9], 0, v[16:17]
	flat_load_ushort v21, v[48:49] nt
	flat_load_ushort v22, v[48:49] offset:128 nt
	flat_load_ushort v23, v[48:49] offset:256 nt
	;; [unrolled: 1-line block ×14, first 2 shown]
	s_nop 0
	flat_load_ushort v48, v[48:49] offset:1920 nt
	s_nop 0
	flat_load_ushort v84, v[86:87] offset:128 nt
	flat_load_ushort v83, v[86:87] offset:256 nt
	;; [unrolled: 1-line block ×7, first 2 shown]
	flat_load_ushort v85, v[86:87] nt
	flat_load_ushort v68, v[86:87] offset:1024 nt
	flat_load_ushort v67, v[86:87] offset:1152 nt
	;; [unrolled: 1-line block ×8, first 2 shown]
	s_waitcnt vmcnt(0) lgkmcnt(0)
	v_lshlrev_b32_e32 v86, 16, v21
	v_max_f32_e32 v86, v86, v86
	v_lshlrev_b32_e32 v85, 16, v85
	v_max_f32_e32 v85, v85, v85
	v_min_f32_e32 v87, v86, v85
	v_max_f32_e32 v85, v86, v85
	v_cndmask_b32_e32 v85, v85, v87, vcc
	v_and_b32_e32 v86, 0x7f800000, v85
	v_cmp_ne_u32_e64 s[22:23], s87, v86
                                        ; implicit-def: $vgpr86
	s_and_saveexec_b64 s[28:29], s[22:23]
	s_xor_b64 s[22:23], exec, s[28:29]
; %bb.2041:                             ;   in Loop: Header=BB33_2040 Depth=4
	v_bfe_u32 v86, v85, 16, 1
	v_add3_u32 v86, v85, v86, s96
                                        ; implicit-def: $vgpr85
; %bb.2042:                             ;   in Loop: Header=BB33_2040 Depth=4
	s_andn2_saveexec_b64 s[28:29], s[22:23]
; %bb.2043:                             ;   in Loop: Header=BB33_2040 Depth=4
	v_or_b32_e32 v86, 0x10000, v85
	v_cmp_eq_u32_sdwa s[22:23], v85, v3 src0_sel:WORD_0 src1_sel:DWORD
	s_nop 1
	v_cndmask_b32_e64 v86, v86, v85, s[22:23]
; %bb.2044:                             ;   in Loop: Header=BB33_2040 Depth=4
	s_or_b64 exec, exec, s[28:29]
	v_lshlrev_b32_e32 v85, 16, v22
	v_lshlrev_b32_e32 v84, 16, v84
	v_max_f32_e32 v84, v84, v84
	v_max_f32_e32 v85, v85, v85
	flat_store_short_d16_hi v[10:11], v86 nt
	v_min_f32_e32 v86, v85, v84
	v_max_f32_e32 v84, v85, v84
	v_cndmask_b32_e32 v84, v84, v86, vcc
	v_and_b32_e32 v85, 0x7f800000, v84
	v_cmp_ne_u32_e64 s[22:23], s87, v85
                                        ; implicit-def: $vgpr85
	s_and_saveexec_b64 s[28:29], s[22:23]
	s_xor_b64 s[22:23], exec, s[28:29]
; %bb.2045:                             ;   in Loop: Header=BB33_2040 Depth=4
	v_bfe_u32 v85, v84, 16, 1
	v_add3_u32 v85, v84, v85, s96
                                        ; implicit-def: $vgpr84
; %bb.2046:                             ;   in Loop: Header=BB33_2040 Depth=4
	s_andn2_saveexec_b64 s[28:29], s[22:23]
; %bb.2047:                             ;   in Loop: Header=BB33_2040 Depth=4
	v_or_b32_e32 v85, 0x10000, v84
	v_cmp_eq_u32_sdwa s[22:23], v84, v3 src0_sel:WORD_0 src1_sel:DWORD
	s_nop 1
	v_cndmask_b32_e64 v85, v85, v84, s[22:23]
; %bb.2048:                             ;   in Loop: Header=BB33_2040 Depth=4
	s_or_b64 exec, exec, s[28:29]
	v_lshlrev_b32_e32 v84, 16, v23
	v_lshlrev_b32_e32 v83, 16, v83
	v_max_f32_e32 v83, v83, v83
	v_max_f32_e32 v84, v84, v84
	flat_store_short_d16_hi v[10:11], v85 offset:128 nt
	v_min_f32_e32 v85, v84, v83
	v_max_f32_e32 v83, v84, v83
	v_cndmask_b32_e32 v83, v83, v85, vcc
	v_and_b32_e32 v84, 0x7f800000, v83
	v_cmp_ne_u32_e64 s[22:23], s87, v84
                                        ; implicit-def: $vgpr84
	s_and_saveexec_b64 s[28:29], s[22:23]
	s_xor_b64 s[22:23], exec, s[28:29]
; %bb.2049:                             ;   in Loop: Header=BB33_2040 Depth=4
	v_bfe_u32 v84, v83, 16, 1
	v_add3_u32 v84, v83, v84, s96
                                        ; implicit-def: $vgpr83
; %bb.2050:                             ;   in Loop: Header=BB33_2040 Depth=4
	s_andn2_saveexec_b64 s[28:29], s[22:23]
; %bb.2051:                             ;   in Loop: Header=BB33_2040 Depth=4
	v_or_b32_e32 v84, 0x10000, v83
	v_cmp_eq_u32_sdwa s[22:23], v83, v3 src0_sel:WORD_0 src1_sel:DWORD
	s_nop 1
	v_cndmask_b32_e64 v84, v84, v83, s[22:23]
; %bb.2052:                             ;   in Loop: Header=BB33_2040 Depth=4
	s_or_b64 exec, exec, s[28:29]
	v_lshlrev_b32_e32 v83, 16, v24
	v_lshlrev_b32_e32 v82, 16, v82
	v_max_f32_e32 v82, v82, v82
	v_max_f32_e32 v83, v83, v83
	flat_store_short_d16_hi v[10:11], v84 offset:256 nt
	v_min_f32_e32 v84, v83, v82
	v_max_f32_e32 v82, v83, v82
	v_cndmask_b32_e32 v82, v82, v84, vcc
	v_and_b32_e32 v83, 0x7f800000, v82
	v_cmp_ne_u32_e64 s[22:23], s87, v83
                                        ; implicit-def: $vgpr83
	s_and_saveexec_b64 s[28:29], s[22:23]
	s_xor_b64 s[22:23], exec, s[28:29]
; %bb.2053:                             ;   in Loop: Header=BB33_2040 Depth=4
	v_bfe_u32 v83, v82, 16, 1
	v_add3_u32 v83, v82, v83, s96
                                        ; implicit-def: $vgpr82
; %bb.2054:                             ;   in Loop: Header=BB33_2040 Depth=4
	s_andn2_saveexec_b64 s[28:29], s[22:23]
; %bb.2055:                             ;   in Loop: Header=BB33_2040 Depth=4
	v_or_b32_e32 v83, 0x10000, v82
	v_cmp_eq_u32_sdwa s[22:23], v82, v3 src0_sel:WORD_0 src1_sel:DWORD
	s_nop 1
	v_cndmask_b32_e64 v83, v83, v82, s[22:23]
; %bb.2056:                             ;   in Loop: Header=BB33_2040 Depth=4
	s_or_b64 exec, exec, s[28:29]
	v_lshlrev_b32_e32 v82, 16, v25
	v_lshlrev_b32_e32 v81, 16, v81
	v_max_f32_e32 v81, v81, v81
	v_max_f32_e32 v82, v82, v82
	flat_store_short_d16_hi v[10:11], v83 offset:384 nt
	v_min_f32_e32 v83, v82, v81
	v_max_f32_e32 v81, v82, v81
	v_cndmask_b32_e32 v81, v81, v83, vcc
	v_and_b32_e32 v82, 0x7f800000, v81
	v_cmp_ne_u32_e64 s[22:23], s87, v82
                                        ; implicit-def: $vgpr82
	s_and_saveexec_b64 s[28:29], s[22:23]
	s_xor_b64 s[22:23], exec, s[28:29]
; %bb.2057:                             ;   in Loop: Header=BB33_2040 Depth=4
	v_bfe_u32 v82, v81, 16, 1
	v_add3_u32 v82, v81, v82, s96
                                        ; implicit-def: $vgpr81
; %bb.2058:                             ;   in Loop: Header=BB33_2040 Depth=4
	s_andn2_saveexec_b64 s[28:29], s[22:23]
; %bb.2059:                             ;   in Loop: Header=BB33_2040 Depth=4
	v_or_b32_e32 v82, 0x10000, v81
	v_cmp_eq_u32_sdwa s[22:23], v81, v3 src0_sel:WORD_0 src1_sel:DWORD
	s_nop 1
	v_cndmask_b32_e64 v82, v82, v81, s[22:23]
; %bb.2060:                             ;   in Loop: Header=BB33_2040 Depth=4
	s_or_b64 exec, exec, s[28:29]
	v_lshlrev_b32_e32 v81, 16, v26
	v_lshlrev_b32_e32 v71, 16, v71
	v_max_f32_e32 v71, v71, v71
	v_max_f32_e32 v81, v81, v81
	flat_store_short_d16_hi v[10:11], v82 offset:512 nt
	v_min_f32_e32 v82, v81, v71
	v_max_f32_e32 v71, v81, v71
	v_cndmask_b32_e32 v71, v71, v82, vcc
	v_and_b32_e32 v81, 0x7f800000, v71
	v_cmp_ne_u32_e64 s[22:23], s87, v81
                                        ; implicit-def: $vgpr81
	s_and_saveexec_b64 s[28:29], s[22:23]
	s_xor_b64 s[22:23], exec, s[28:29]
; %bb.2061:                             ;   in Loop: Header=BB33_2040 Depth=4
	v_bfe_u32 v81, v71, 16, 1
	v_add3_u32 v81, v71, v81, s96
                                        ; implicit-def: $vgpr71
; %bb.2062:                             ;   in Loop: Header=BB33_2040 Depth=4
	s_andn2_saveexec_b64 s[28:29], s[22:23]
; %bb.2063:                             ;   in Loop: Header=BB33_2040 Depth=4
	v_or_b32_e32 v81, 0x10000, v71
	v_cmp_eq_u32_sdwa s[22:23], v71, v3 src0_sel:WORD_0 src1_sel:DWORD
	s_nop 1
	v_cndmask_b32_e64 v81, v81, v71, s[22:23]
; %bb.2064:                             ;   in Loop: Header=BB33_2040 Depth=4
	s_or_b64 exec, exec, s[28:29]
	v_lshlrev_b32_e32 v71, 16, v27
	v_lshlrev_b32_e32 v70, 16, v70
	v_max_f32_e32 v70, v70, v70
	v_max_f32_e32 v71, v71, v71
	flat_store_short_d16_hi v[10:11], v81 offset:640 nt
	v_min_f32_e32 v81, v71, v70
	v_max_f32_e32 v70, v71, v70
	v_cndmask_b32_e32 v70, v70, v81, vcc
	v_and_b32_e32 v71, 0x7f800000, v70
	v_cmp_ne_u32_e64 s[22:23], s87, v71
                                        ; implicit-def: $vgpr71
	s_and_saveexec_b64 s[28:29], s[22:23]
	s_xor_b64 s[22:23], exec, s[28:29]
; %bb.2065:                             ;   in Loop: Header=BB33_2040 Depth=4
	v_bfe_u32 v71, v70, 16, 1
	v_add3_u32 v71, v70, v71, s96
                                        ; implicit-def: $vgpr70
; %bb.2066:                             ;   in Loop: Header=BB33_2040 Depth=4
	s_andn2_saveexec_b64 s[28:29], s[22:23]
; %bb.2067:                             ;   in Loop: Header=BB33_2040 Depth=4
	v_or_b32_e32 v71, 0x10000, v70
	v_cmp_eq_u32_sdwa s[22:23], v70, v3 src0_sel:WORD_0 src1_sel:DWORD
	s_nop 1
	v_cndmask_b32_e64 v71, v71, v70, s[22:23]
; %bb.2068:                             ;   in Loop: Header=BB33_2040 Depth=4
	s_or_b64 exec, exec, s[28:29]
	v_lshlrev_b32_e32 v70, 16, v32
	v_lshlrev_b32_e32 v69, 16, v69
	v_max_f32_e32 v69, v69, v69
	v_max_f32_e32 v70, v70, v70
	flat_store_short_d16_hi v[10:11], v71 offset:768 nt
	v_min_f32_e32 v71, v70, v69
	v_max_f32_e32 v69, v70, v69
	v_cndmask_b32_e32 v69, v69, v71, vcc
	v_and_b32_e32 v70, 0x7f800000, v69
	v_cmp_ne_u32_e64 s[22:23], s87, v70
                                        ; implicit-def: $vgpr70
	s_and_saveexec_b64 s[28:29], s[22:23]
	s_xor_b64 s[22:23], exec, s[28:29]
; %bb.2069:                             ;   in Loop: Header=BB33_2040 Depth=4
	v_bfe_u32 v70, v69, 16, 1
	v_add3_u32 v70, v69, v70, s96
                                        ; implicit-def: $vgpr69
; %bb.2070:                             ;   in Loop: Header=BB33_2040 Depth=4
	s_andn2_saveexec_b64 s[28:29], s[22:23]
; %bb.2071:                             ;   in Loop: Header=BB33_2040 Depth=4
	v_or_b32_e32 v70, 0x10000, v69
	v_cmp_eq_u32_sdwa s[22:23], v69, v3 src0_sel:WORD_0 src1_sel:DWORD
	s_nop 1
	v_cndmask_b32_e64 v70, v70, v69, s[22:23]
; %bb.2072:                             ;   in Loop: Header=BB33_2040 Depth=4
	s_or_b64 exec, exec, s[28:29]
	v_lshlrev_b32_e32 v69, 16, v33
	v_lshlrev_b32_e32 v68, 16, v68
	v_max_f32_e32 v68, v68, v68
	v_max_f32_e32 v69, v69, v69
	flat_store_short_d16_hi v[10:11], v70 offset:896 nt
	v_min_f32_e32 v70, v69, v68
	v_max_f32_e32 v68, v69, v68
	v_cndmask_b32_e32 v68, v68, v70, vcc
	v_and_b32_e32 v69, 0x7f800000, v68
	v_cmp_ne_u32_e64 s[22:23], s87, v69
                                        ; implicit-def: $vgpr69
	s_and_saveexec_b64 s[28:29], s[22:23]
	s_xor_b64 s[22:23], exec, s[28:29]
; %bb.2073:                             ;   in Loop: Header=BB33_2040 Depth=4
	v_bfe_u32 v69, v68, 16, 1
	v_add3_u32 v69, v68, v69, s96
                                        ; implicit-def: $vgpr68
; %bb.2074:                             ;   in Loop: Header=BB33_2040 Depth=4
	s_andn2_saveexec_b64 s[28:29], s[22:23]
; %bb.2075:                             ;   in Loop: Header=BB33_2040 Depth=4
	v_or_b32_e32 v69, 0x10000, v68
	v_cmp_eq_u32_sdwa s[22:23], v68, v3 src0_sel:WORD_0 src1_sel:DWORD
	s_nop 1
	v_cndmask_b32_e64 v69, v69, v68, s[22:23]
; %bb.2076:                             ;   in Loop: Header=BB33_2040 Depth=4
	s_or_b64 exec, exec, s[28:29]
	v_lshlrev_b32_e32 v68, 16, v34
	v_lshlrev_b32_e32 v67, 16, v67
	v_max_f32_e32 v67, v67, v67
	v_max_f32_e32 v68, v68, v68
	flat_store_short_d16_hi v[10:11], v69 offset:1024 nt
	v_min_f32_e32 v69, v68, v67
	v_max_f32_e32 v67, v68, v67
	v_cndmask_b32_e32 v67, v67, v69, vcc
	v_and_b32_e32 v68, 0x7f800000, v67
	v_cmp_ne_u32_e64 s[22:23], s87, v68
                                        ; implicit-def: $vgpr68
	s_and_saveexec_b64 s[28:29], s[22:23]
	s_xor_b64 s[22:23], exec, s[28:29]
; %bb.2077:                             ;   in Loop: Header=BB33_2040 Depth=4
	v_bfe_u32 v68, v67, 16, 1
	v_add3_u32 v68, v67, v68, s96
                                        ; implicit-def: $vgpr67
; %bb.2078:                             ;   in Loop: Header=BB33_2040 Depth=4
	s_andn2_saveexec_b64 s[28:29], s[22:23]
; %bb.2079:                             ;   in Loop: Header=BB33_2040 Depth=4
	v_or_b32_e32 v68, 0x10000, v67
	v_cmp_eq_u32_sdwa s[22:23], v67, v3 src0_sel:WORD_0 src1_sel:DWORD
	s_nop 1
	v_cndmask_b32_e64 v68, v68, v67, s[22:23]
; %bb.2080:                             ;   in Loop: Header=BB33_2040 Depth=4
	s_or_b64 exec, exec, s[28:29]
	v_lshlrev_b32_e32 v67, 16, v35
	v_lshlrev_b32_e32 v66, 16, v66
	v_max_f32_e32 v66, v66, v66
	v_max_f32_e32 v67, v67, v67
	flat_store_short_d16_hi v[10:11], v68 offset:1152 nt
	v_min_f32_e32 v68, v67, v66
	v_max_f32_e32 v66, v67, v66
	v_cndmask_b32_e32 v66, v66, v68, vcc
	v_and_b32_e32 v67, 0x7f800000, v66
	v_cmp_ne_u32_e64 s[22:23], s87, v67
                                        ; implicit-def: $vgpr67
	s_and_saveexec_b64 s[28:29], s[22:23]
	s_xor_b64 s[22:23], exec, s[28:29]
; %bb.2081:                             ;   in Loop: Header=BB33_2040 Depth=4
	v_bfe_u32 v67, v66, 16, 1
	v_add3_u32 v67, v66, v67, s96
                                        ; implicit-def: $vgpr66
; %bb.2082:                             ;   in Loop: Header=BB33_2040 Depth=4
	s_andn2_saveexec_b64 s[28:29], s[22:23]
; %bb.2083:                             ;   in Loop: Header=BB33_2040 Depth=4
	v_or_b32_e32 v67, 0x10000, v66
	v_cmp_eq_u32_sdwa s[22:23], v66, v3 src0_sel:WORD_0 src1_sel:DWORD
	s_nop 1
	v_cndmask_b32_e64 v67, v67, v66, s[22:23]
; %bb.2084:                             ;   in Loop: Header=BB33_2040 Depth=4
	s_or_b64 exec, exec, s[28:29]
	v_lshlrev_b32_e32 v66, 16, v36
	v_lshlrev_b32_e32 v65, 16, v65
	v_max_f32_e32 v65, v65, v65
	v_max_f32_e32 v66, v66, v66
	flat_store_short_d16_hi v[10:11], v67 offset:1280 nt
	v_min_f32_e32 v67, v66, v65
	v_max_f32_e32 v65, v66, v65
	v_cndmask_b32_e32 v65, v65, v67, vcc
	v_and_b32_e32 v66, 0x7f800000, v65
	v_cmp_ne_u32_e64 s[22:23], s87, v66
                                        ; implicit-def: $vgpr66
	s_and_saveexec_b64 s[28:29], s[22:23]
	s_xor_b64 s[22:23], exec, s[28:29]
; %bb.2085:                             ;   in Loop: Header=BB33_2040 Depth=4
	v_bfe_u32 v66, v65, 16, 1
	v_add3_u32 v66, v65, v66, s96
                                        ; implicit-def: $vgpr65
; %bb.2086:                             ;   in Loop: Header=BB33_2040 Depth=4
	s_andn2_saveexec_b64 s[28:29], s[22:23]
; %bb.2087:                             ;   in Loop: Header=BB33_2040 Depth=4
	v_or_b32_e32 v66, 0x10000, v65
	v_cmp_eq_u32_sdwa s[22:23], v65, v3 src0_sel:WORD_0 src1_sel:DWORD
	s_nop 1
	v_cndmask_b32_e64 v66, v66, v65, s[22:23]
; %bb.2088:                             ;   in Loop: Header=BB33_2040 Depth=4
	s_or_b64 exec, exec, s[28:29]
	v_lshlrev_b32_e32 v65, 16, v37
	v_lshlrev_b32_e32 v64, 16, v64
	v_max_f32_e32 v64, v64, v64
	v_max_f32_e32 v65, v65, v65
	flat_store_short_d16_hi v[10:11], v66 offset:1408 nt
	v_min_f32_e32 v66, v65, v64
	v_max_f32_e32 v64, v65, v64
	v_cndmask_b32_e32 v64, v64, v66, vcc
	v_and_b32_e32 v65, 0x7f800000, v64
	v_cmp_ne_u32_e64 s[22:23], s87, v65
                                        ; implicit-def: $vgpr65
	s_and_saveexec_b64 s[28:29], s[22:23]
	s_xor_b64 s[22:23], exec, s[28:29]
; %bb.2089:                             ;   in Loop: Header=BB33_2040 Depth=4
	v_bfe_u32 v65, v64, 16, 1
	v_add3_u32 v65, v64, v65, s96
                                        ; implicit-def: $vgpr64
; %bb.2090:                             ;   in Loop: Header=BB33_2040 Depth=4
	s_andn2_saveexec_b64 s[28:29], s[22:23]
; %bb.2091:                             ;   in Loop: Header=BB33_2040 Depth=4
	v_or_b32_e32 v65, 0x10000, v64
	v_cmp_eq_u32_sdwa s[22:23], v64, v3 src0_sel:WORD_0 src1_sel:DWORD
	s_nop 1
	v_cndmask_b32_e64 v65, v65, v64, s[22:23]
; %bb.2092:                             ;   in Loop: Header=BB33_2040 Depth=4
	s_or_b64 exec, exec, s[28:29]
	v_lshlrev_b32_e32 v64, 16, v38
	v_lshlrev_b32_e32 v51, 16, v51
	v_max_f32_e32 v51, v51, v51
	v_max_f32_e32 v64, v64, v64
	flat_store_short_d16_hi v[10:11], v65 offset:1536 nt
	v_min_f32_e32 v65, v64, v51
	v_max_f32_e32 v51, v64, v51
	v_cndmask_b32_e32 v51, v51, v65, vcc
	v_and_b32_e32 v64, 0x7f800000, v51
	v_cmp_ne_u32_e64 s[22:23], s87, v64
                                        ; implicit-def: $vgpr64
	s_and_saveexec_b64 s[28:29], s[22:23]
	s_xor_b64 s[22:23], exec, s[28:29]
; %bb.2093:                             ;   in Loop: Header=BB33_2040 Depth=4
	v_bfe_u32 v64, v51, 16, 1
	v_add3_u32 v64, v51, v64, s96
                                        ; implicit-def: $vgpr51
; %bb.2094:                             ;   in Loop: Header=BB33_2040 Depth=4
	s_andn2_saveexec_b64 s[28:29], s[22:23]
; %bb.2095:                             ;   in Loop: Header=BB33_2040 Depth=4
	v_or_b32_e32 v64, 0x10000, v51
	v_cmp_eq_u32_sdwa s[22:23], v51, v3 src0_sel:WORD_0 src1_sel:DWORD
	s_nop 1
	v_cndmask_b32_e64 v64, v64, v51, s[22:23]
; %bb.2096:                             ;   in Loop: Header=BB33_2040 Depth=4
	s_or_b64 exec, exec, s[28:29]
	v_lshlrev_b32_e32 v51, 16, v39
	v_lshlrev_b32_e32 v50, 16, v50
	v_max_f32_e32 v50, v50, v50
	v_max_f32_e32 v51, v51, v51
	flat_store_short_d16_hi v[10:11], v64 offset:1664 nt
	v_min_f32_e32 v64, v51, v50
	v_max_f32_e32 v50, v51, v50
	v_cndmask_b32_e32 v50, v50, v64, vcc
	v_and_b32_e32 v51, 0x7f800000, v50
	v_cmp_ne_u32_e64 s[22:23], s87, v51
                                        ; implicit-def: $vgpr51
	s_and_saveexec_b64 s[28:29], s[22:23]
	s_xor_b64 s[22:23], exec, s[28:29]
; %bb.2097:                             ;   in Loop: Header=BB33_2040 Depth=4
	v_bfe_u32 v51, v50, 16, 1
	v_add3_u32 v51, v50, v51, s96
                                        ; implicit-def: $vgpr50
; %bb.2098:                             ;   in Loop: Header=BB33_2040 Depth=4
	s_andn2_saveexec_b64 s[28:29], s[22:23]
; %bb.2099:                             ;   in Loop: Header=BB33_2040 Depth=4
	v_or_b32_e32 v51, 0x10000, v50
	v_cmp_eq_u32_sdwa s[22:23], v50, v3 src0_sel:WORD_0 src1_sel:DWORD
	s_nop 1
	v_cndmask_b32_e64 v51, v51, v50, s[22:23]
; %bb.2100:                             ;   in Loop: Header=BB33_2040 Depth=4
	s_or_b64 exec, exec, s[28:29]
	v_lshlrev_b32_e32 v50, 16, v48
	v_lshlrev_b32_e32 v49, 16, v49
	v_max_f32_e32 v49, v49, v49
	v_max_f32_e32 v50, v50, v50
	flat_store_short_d16_hi v[10:11], v51 offset:1792 nt
	v_min_f32_e32 v51, v50, v49
	v_max_f32_e32 v49, v50, v49
	v_cndmask_b32_e32 v49, v49, v51, vcc
	v_and_b32_e32 v50, 0x7f800000, v49
	v_cmp_ne_u32_e64 s[22:23], s87, v50
                                        ; implicit-def: $vgpr50
	s_and_saveexec_b64 s[28:29], s[22:23]
	s_xor_b64 s[22:23], exec, s[28:29]
; %bb.2101:                             ;   in Loop: Header=BB33_2040 Depth=4
	v_bfe_u32 v50, v49, 16, 1
	v_add3_u32 v50, v49, v50, s96
                                        ; implicit-def: $vgpr49
; %bb.2102:                             ;   in Loop: Header=BB33_2040 Depth=4
	s_andn2_saveexec_b64 s[28:29], s[22:23]
	s_cbranch_execz .LBB33_2039
; %bb.2103:                             ;   in Loop: Header=BB33_2040 Depth=4
	v_or_b32_e32 v50, 0x10000, v49
	v_cmp_eq_u32_sdwa s[22:23], v49, v3 src0_sel:WORD_0 src1_sel:DWORD
	s_nop 1
	v_cndmask_b32_e64 v50, v50, v49, s[22:23]
	s_branch .LBB33_2039
.LBB33_2104:                            ;   in Loop: Header=BB33_1814 Depth=3
	s_or_b64 exec, exec, s[26:27]
.LBB33_2105:                            ;   in Loop: Header=BB33_1814 Depth=3
	s_or_b64 exec, exec, s[24:25]
	v_lshlrev_b32_e32 v8, 11, v20
	v_cmp_ne_u32_e32 vcc, v80, v8
	s_and_b64 exec, exec, vcc
	s_cbranch_execz .LBB33_2111
; %bb.2106:                             ;   in Loop: Header=BB33_1814 Depth=3
	v_lshlrev_b32_e32 v0, 6, v0
	v_sub_u32_e32 v0, v18, v0
	v_lshlrev_b32_e32 v9, 6, v19
	v_sub_u32_e32 v0, v0, v9
	v_ashrrev_i32_e32 v9, 31, v0
	v_lshrrev_b32_e32 v9, 26, v9
	v_add_u32_e32 v9, v0, v9
	v_and_b32_e32 v10, 0x7fffffc0, v9
	v_sub_u32_e32 v0, v0, v10
	v_lshlrev_b32_e32 v9, 1, v9
	v_and_b32_e32 v9, 0xffffff80, v9
	v_lshlrev_b32_e32 v0, 1, v0
	v_add3_u32 v8, v9, v0, v8
	v_sub_u32_e32 v0, v80, v8
	v_cmp_lt_i32_e32 vcc, 1, v0
	s_and_b64 exec, exec, vcc
	s_cbranch_execz .LBB33_2111
; %bb.2107:                             ;   in Loop: Header=BB33_1814 Depth=3
	v_add_u32_e32 v14, v8, v2
	s_and_b32 s74, s73, 1
	v_ashrrev_i32_e32 v15, 31, v14
	s_cmp_eq_u64 s[74:75], 0
	v_lshl_add_u64 v[8:9], v[14:15], 0, v[106:107]
	s_waitcnt lgkmcnt(0)
	v_lshl_add_u64 v[10:11], v[14:15], 0, v[54:55]
	v_lshl_add_u64 v[12:13], v[14:15], 0, v[62:63]
	;; [unrolled: 1-line block ×3, first 2 shown]
	s_mov_b64 s[42:43], 0
	s_cselect_b64 s[22:23], -1, 0
.LBB33_2108:                            ;   Parent Loop BB33_47 Depth=1
                                        ;     Parent Loop BB33_1811 Depth=2
                                        ;       Parent Loop BB33_1814 Depth=3
                                        ; =>      This Loop Header: Depth=4
                                        ;           Child Loop BB33_2109 Depth 5
	flat_load_ushort v2, v[8:9] nt
	flat_load_ushort v16, v[10:11] nt
	s_mov_b64 s[24:25], -1
	s_mov_b64 s[44:45], 0
	s_waitcnt vmcnt(0) lgkmcnt(0)
	v_lshlrev_b32_e32 v17, 16, v2
	v_lshlrev_b32_e32 v16, 16, v16
	v_max_f32_e32 v16, v16, v16
	v_max_f32_e32 v17, v17, v17
	v_min_f32_e32 v18, v17, v16
	v_max_f32_e32 v16, v17, v16
	v_cndmask_b32_e64 v16, v16, v18, s[22:23]
	v_and_b32_e32 v17, 0x7f800000, v16
	v_bfe_u32 v18, v16, 16, 1
	v_or_b32_e32 v19, 0x10000, v16
	v_cmp_eq_u32_sdwa vcc, v16, v3 src0_sel:WORD_0 src1_sel:DWORD
	v_add3_u32 v18, v16, v18, s96
	s_nop 0
	v_cndmask_b32_e32 v16, v19, v16, vcc
	v_cmp_eq_u32_e32 vcc, s87, v17
	s_nop 1
	v_cndmask_b32_e32 v16, v18, v16, vcc
.LBB33_2109:                            ;   Parent Loop BB33_47 Depth=1
                                        ;     Parent Loop BB33_1811 Depth=2
                                        ;       Parent Loop BB33_1814 Depth=3
                                        ;         Parent Loop BB33_2108 Depth=4
                                        ; =>        This Inner Loop Header: Depth=5
	s_mov_b64 vcc, s[24:25]
	v_cndmask_b32_e64 v17, 0, 1, s[24:25]
	s_cmp_eq_u32 s44, 1
	v_cndmask_b32_sdwa v22, v2, v16, vcc dst_sel:DWORD dst_unused:UNUSED_PAD src0_sel:DWORD src1_sel:WORD_1
	v_cmp_ne_u32_e32 vcc, 1, v17
	s_cselect_b64 s[26:27], -1, 0
	v_cndmask_b32_e64 v21, v13, v15, s[26:27]
	v_cndmask_b32_e32 v19, v13, v15, vcc
	s_cmp_eq_u32 s44, 0
	v_cndmask_b32_e32 v18, v12, v14, vcc
	v_cndmask_b32_e64 v20, v12, v14, s[26:27]
	flat_store_short v[18:19], v22 nt
	v_lshl_add_u64 v[18:19], v[20:21], 0, s[90:91]
	s_cselect_b64 vcc, -1, 0
	s_and_b64 s[28:29], exec, s[24:25]
	s_mov_b64 s[44:45], 1
	s_mov_b64 s[24:25], 0
	v_cndmask_b32_e64 v15, v15, v19, s[26:27]
	v_cndmask_b32_e64 v14, v14, v18, s[26:27]
	v_cndmask_b32_e32 v13, v13, v19, vcc
	v_cndmask_b32_e32 v12, v12, v18, vcc
	s_mov_b64 vcc, s[28:29]
	s_cbranch_vccnz .LBB33_2109
; %bb.2110:                             ;   in Loop: Header=BB33_2108 Depth=4
	v_sub_u32_e32 v0, v0, v88
	v_cmp_gt_i32_e32 vcc, 2, v0
	v_lshl_add_u64 v[12:13], v[12:13], 0, v[120:121]
	v_lshl_add_u64 v[14:15], v[14:15], 0, v[120:121]
	;; [unrolled: 1-line block ×3, first 2 shown]
	s_or_b64 s[42:43], vcc, s[42:43]
	v_lshl_add_u64 v[10:11], v[10:11], 0, v[122:123]
	s_andn2_b64 exec, exec, s[42:43]
	s_cbranch_execnz .LBB33_2108
.LBB33_2111:                            ;   in Loop: Header=BB33_1814 Depth=3
	s_or_b64 exec, exec, s[40:41]
	s_branch .LBB33_1895
.LBB33_2112:                            ;   in Loop: Header=BB33_1814 Depth=3
	s_mov_b64 s[24:25], -1
	s_and_saveexec_b64 s[22:23], s[16:17]
	s_cbranch_execz .LBB33_2114
; %bb.2113:                             ;   in Loop: Header=BB33_1814 Depth=3
	ds_read_b32 v0, v0 offset:720
	s_waitcnt lgkmcnt(0)
	v_and_b32_e32 v0, 15, v0
	v_cmp_eq_u32_e32 vcc, 0, v0
	s_orn2_b64 s[24:25], vcc, exec
.LBB33_2114:                            ;   in Loop: Header=BB33_1814 Depth=3
	s_or_b64 exec, exec, s[22:23]
	s_and_saveexec_b64 s[22:23], s[14:15]
	s_cbranch_execz .LBB33_2116
; %bb.2115:                             ;   in Loop: Header=BB33_1814 Depth=3
	ds_read_b32 v0, v0 offset:784
	s_waitcnt lgkmcnt(0)
	v_and_b32_e32 v0, 15, v0
	v_cmp_eq_u32_e32 vcc, 0, v0
	s_and_b64 s[26:27], s[24:25], vcc
	s_andn2_b64 s[24:25], s[24:25], exec
	s_and_b64 s[26:27], s[26:27], exec
	s_or_b64 s[24:25], s[24:25], s[26:27]
.LBB33_2116:                            ;   in Loop: Header=BB33_1814 Depth=3
	s_or_b64 exec, exec, s[22:23]
	s_xor_b64 s[24:25], s[24:25], -1
	v_cndmask_b32_e64 v8, 0, 1, s[24:25]
	v_lshlrev_b32_e32 v2, 1, v29
	s_mov_b64 s[22:23], -1
	v_mov_b32_e32 v0, 0
	v_cmp_ne_u32_e32 vcc, 0, v8
	s_cbranch_vccz .LBB33_2118
; %bb.2117:                             ;   in Loop: Header=BB33_1814 Depth=3
	s_waitcnt vmcnt(0)
	v_mov_b32_e32 v14, v109
	s_and_saveexec_b64 s[24:25], s[22:23]
	s_cbranch_execnz .LBB33_2385
	s_branch .LBB33_2457
.LBB33_2118:                            ;   in Loop: Header=BB33_1814 Depth=3
	v_ashrrev_i32_e32 v0, 31, v2
	v_lshrrev_b32_e32 v0, 19, v0
	v_add_u32_e32 v0, v2, v0
	v_ashrrev_i32_e32 v0, 13, v0
	s_waitcnt vmcnt(0)
	v_sub_u32_e32 v59, v0, v111
	v_cmp_lt_i32_e32 vcc, 0, v59
	s_and_saveexec_b64 s[24:25], vcc
	s_cbranch_execz .LBB33_2378
; %bb.2119:                             ;   in Loop: Header=BB33_1814 Depth=3
	scratch_load_dwordx2 v[118:119], off, s33 offset:236 ; 8-byte Folded Reload
	s_and_b32 s74, s73, 1
	s_cmp_eq_u64 s[74:75], 0
	s_mov_b64 s[26:27], 0
	s_cselect_b64 s[22:23], -1, 0
	s_branch .LBB33_2121
.LBB33_2120:                            ;   in Loop: Header=BB33_2121 Depth=4
	s_or_b64 exec, exec, s[28:29]
	v_lshrrev_b32_e32 v12, 16, v12
	v_and_or_b32 v9, v9, s97, v12
	v_lshrrev_b32_e32 v12, 16, v16
	v_and_or_b32 v8, v8, s97, v12
	v_lshrrev_b32_e32 v12, 16, v13
	v_sub_u32_e32 v59, v59, v60
	v_and_or_b32 v10, v10, s97, v12
	v_lshrrev_b32_e32 v12, 16, v14
	v_cmp_gt_i32_e32 vcc, 1, v59
	v_and_or_b32 v11, v11, s97, v12
	s_or_b64 s[26:27], vcc, s[26:27]
	v_lshl_add_u64 v[118:119], v[118:119], 0, v[74:75]
	global_store_dwordx4 v[100:101], v[8:11], off
	s_andn2_b64 exec, exec, s[26:27]
	s_cbranch_execz .LBB33_2377
.LBB33_2121:                            ;   Parent Loop BB33_47 Depth=1
                                        ;     Parent Loop BB33_1811 Depth=2
                                        ;       Parent Loop BB33_1814 Depth=3
                                        ; =>      This Inner Loop Header: Depth=4
	s_waitcnt vmcnt(0)
	v_lshl_add_u64 v[8:9], v[106:107], 0, v[118:119]
	v_add_co_u32_e32 v10, vcc, 0xfffff000, v8
	s_nop 1
	v_addc_co_u32_e32 v11, vcc, -1, v9, vcc
	global_load_dwordx4 v[100:103], v[10:11], off offset:-3072 nt
	v_add_co_u32_e32 v12, vcc, 0xfffff000, v118
	s_waitcnt vmcnt(0)
	v_lshlrev_b32_e32 v73, 16, v100
	v_addc_co_u32_e32 v13, vcc, -1, v119, vcc
	global_load_dwordx4 v[112:115], v[12:13], off offset:-3072 nt
	global_load_dwordx4 v[84:87], v[10:11], off offset:-2048 nt
	;; [unrolled: 1-line block ×5, first 2 shown]
	s_waitcnt lgkmcnt(0)
	global_load_dwordx4 v[52:55], v[8:9], off offset:-4096 nt
	global_load_dwordx4 v[64:67], v[118:119], off offset:-4096 nt
	;; [unrolled: 1-line block ×8, first 2 shown]
	s_nop 0
	global_load_dwordx4 v[8:11], v[8:9], off nt
	s_nop 0
	global_load_dwordx4 v[12:15], v[118:119], off nt
	v_max_f32_e32 v73, v73, v73
	s_waitcnt vmcnt(14)
	v_lshlrev_b32_e32 v108, 16, v112
	v_max_f32_e32 v108, v108, v108
	v_min_f32_e32 v109, v73, v108
	v_max_f32_e32 v73, v73, v108
	v_cndmask_b32_e64 v124, v73, v109, s[22:23]
	v_and_b32_e32 v73, 0x7f800000, v124
	v_cmp_ne_u32_e32 vcc, s87, v73
                                        ; implicit-def: $vgpr73
	s_and_saveexec_b64 s[28:29], vcc
	s_xor_b64 s[28:29], exec, s[28:29]
; %bb.2122:                             ;   in Loop: Header=BB33_2121 Depth=4
	v_bfe_u32 v73, v124, 16, 1
	v_add3_u32 v73, v124, v73, s96
                                        ; implicit-def: $vgpr124
; %bb.2123:                             ;   in Loop: Header=BB33_2121 Depth=4
	s_andn2_saveexec_b64 s[28:29], s[28:29]
; %bb.2124:                             ;   in Loop: Header=BB33_2121 Depth=4
	v_or_b32_e32 v73, 0x10000, v124
	v_cmp_eq_u32_sdwa vcc, v124, v3 src0_sel:WORD_0 src1_sel:DWORD
	s_nop 1
	v_cndmask_b32_e32 v73, v73, v124, vcc
; %bb.2125:                             ;   in Loop: Header=BB33_2121 Depth=4
	s_or_b64 exec, exec, s[28:29]
	v_and_b32_e32 v100, 0xffff0000, v100
	v_and_b32_e32 v112, 0xffff0000, v112
	v_max_f32_e32 v112, v112, v112
	v_max_f32_e32 v100, v100, v100
	v_min_f32_e32 v108, v100, v112
	v_max_f32_e32 v100, v100, v112
	v_cndmask_b32_e64 v100, v100, v108, s[22:23]
	v_and_b32_e32 v112, 0x7f800000, v100
	v_cmp_ne_u32_e32 vcc, s87, v112
                                        ; implicit-def: $vgpr112
	s_and_saveexec_b64 s[28:29], vcc
	s_xor_b64 s[28:29], exec, s[28:29]
; %bb.2126:                             ;   in Loop: Header=BB33_2121 Depth=4
	v_bfe_u32 v112, v100, 16, 1
	v_add3_u32 v112, v100, v112, s96
                                        ; implicit-def: $vgpr100
; %bb.2127:                             ;   in Loop: Header=BB33_2121 Depth=4
	s_andn2_saveexec_b64 s[28:29], s[28:29]
; %bb.2128:                             ;   in Loop: Header=BB33_2121 Depth=4
	v_or_b32_e32 v112, 0x10000, v100
	v_cmp_eq_u32_sdwa vcc, v100, v3 src0_sel:WORD_0 src1_sel:DWORD
	s_nop 1
	v_cndmask_b32_e32 v112, v112, v100, vcc
; %bb.2129:                             ;   in Loop: Header=BB33_2121 Depth=4
	s_or_b64 exec, exec, s[28:29]
	v_lshlrev_b32_e32 v100, 16, v101
	v_lshlrev_b32_e32 v108, 16, v113
	v_max_f32_e32 v108, v108, v108
	v_max_f32_e32 v100, v100, v100
	v_min_f32_e32 v109, v100, v108
	v_max_f32_e32 v100, v100, v108
	v_cndmask_b32_e64 v100, v100, v109, s[22:23]
	v_and_b32_e32 v108, 0x7f800000, v100
	v_cmp_ne_u32_e32 vcc, s87, v108
                                        ; implicit-def: $vgpr124
	s_and_saveexec_b64 s[28:29], vcc
	s_xor_b64 s[28:29], exec, s[28:29]
; %bb.2130:                             ;   in Loop: Header=BB33_2121 Depth=4
	v_bfe_u32 v108, v100, 16, 1
	v_add3_u32 v124, v100, v108, s96
                                        ; implicit-def: $vgpr100
; %bb.2131:                             ;   in Loop: Header=BB33_2121 Depth=4
	s_andn2_saveexec_b64 s[28:29], s[28:29]
; %bb.2132:                             ;   in Loop: Header=BB33_2121 Depth=4
	v_or_b32_e32 v108, 0x10000, v100
	v_cmp_eq_u32_sdwa vcc, v100, v3 src0_sel:WORD_0 src1_sel:DWORD
	s_nop 1
	v_cndmask_b32_e32 v124, v108, v100, vcc
; %bb.2133:                             ;   in Loop: Header=BB33_2121 Depth=4
	s_or_b64 exec, exec, s[28:29]
	v_and_b32_e32 v100, 0xffff0000, v101
	v_and_b32_e32 v101, 0xffff0000, v113
	v_max_f32_e32 v101, v101, v101
	v_max_f32_e32 v100, v100, v100
	v_min_f32_e32 v113, v100, v101
	v_max_f32_e32 v100, v100, v101
	v_cndmask_b32_e64 v100, v100, v113, s[22:23]
	v_and_b32_e32 v101, 0x7f800000, v100
	v_cmp_ne_u32_e32 vcc, s87, v101
                                        ; implicit-def: $vgpr113
	s_and_saveexec_b64 s[28:29], vcc
	s_xor_b64 s[28:29], exec, s[28:29]
; %bb.2134:                             ;   in Loop: Header=BB33_2121 Depth=4
	v_bfe_u32 v101, v100, 16, 1
	v_add3_u32 v113, v100, v101, s96
                                        ; implicit-def: $vgpr100
; %bb.2135:                             ;   in Loop: Header=BB33_2121 Depth=4
	s_andn2_saveexec_b64 s[28:29], s[28:29]
; %bb.2136:                             ;   in Loop: Header=BB33_2121 Depth=4
	v_or_b32_e32 v101, 0x10000, v100
	v_cmp_eq_u32_sdwa vcc, v100, v3 src0_sel:WORD_0 src1_sel:DWORD
	s_nop 1
	v_cndmask_b32_e32 v113, v101, v100, vcc
; %bb.2137:                             ;   in Loop: Header=BB33_2121 Depth=4
	s_or_b64 exec, exec, s[28:29]
	v_lshlrev_b32_e32 v100, 16, v102
	v_lshlrev_b32_e32 v101, 16, v114
	v_max_f32_e32 v101, v101, v101
	v_max_f32_e32 v100, v100, v100
	v_min_f32_e32 v108, v100, v101
	v_max_f32_e32 v100, v100, v101
	v_cndmask_b32_e64 v100, v100, v108, s[22:23]
	v_and_b32_e32 v101, 0x7f800000, v100
	v_cmp_ne_u32_e32 vcc, s87, v101
                                        ; implicit-def: $vgpr125
	s_and_saveexec_b64 s[28:29], vcc
	s_xor_b64 s[28:29], exec, s[28:29]
; %bb.2138:                             ;   in Loop: Header=BB33_2121 Depth=4
	v_bfe_u32 v101, v100, 16, 1
	v_add3_u32 v125, v100, v101, s96
                                        ; implicit-def: $vgpr100
; %bb.2139:                             ;   in Loop: Header=BB33_2121 Depth=4
	s_andn2_saveexec_b64 s[28:29], s[28:29]
; %bb.2140:                             ;   in Loop: Header=BB33_2121 Depth=4
	v_or_b32_e32 v101, 0x10000, v100
	v_cmp_eq_u32_sdwa vcc, v100, v3 src0_sel:WORD_0 src1_sel:DWORD
	s_nop 1
	v_cndmask_b32_e32 v125, v101, v100, vcc
; %bb.2141:                             ;   in Loop: Header=BB33_2121 Depth=4
	s_or_b64 exec, exec, s[28:29]
	v_and_b32_e32 v100, 0xffff0000, v102
	v_and_b32_e32 v101, 0xffff0000, v114
	v_max_f32_e32 v101, v101, v101
	v_max_f32_e32 v100, v100, v100
	v_min_f32_e32 v102, v100, v101
	v_max_f32_e32 v100, v100, v101
	v_cndmask_b32_e64 v100, v100, v102, s[22:23]
	v_and_b32_e32 v101, 0x7f800000, v100
	v_cmp_ne_u32_e32 vcc, s87, v101
                                        ; implicit-def: $vgpr102
	s_and_saveexec_b64 s[28:29], vcc
	s_xor_b64 s[28:29], exec, s[28:29]
; %bb.2142:                             ;   in Loop: Header=BB33_2121 Depth=4
	v_bfe_u32 v101, v100, 16, 1
	v_add3_u32 v102, v100, v101, s96
                                        ; implicit-def: $vgpr100
; %bb.2143:                             ;   in Loop: Header=BB33_2121 Depth=4
	s_andn2_saveexec_b64 s[28:29], s[28:29]
; %bb.2144:                             ;   in Loop: Header=BB33_2121 Depth=4
	v_or_b32_e32 v101, 0x10000, v100
	v_cmp_eq_u32_sdwa vcc, v100, v3 src0_sel:WORD_0 src1_sel:DWORD
	s_nop 1
	v_cndmask_b32_e32 v102, v101, v100, vcc
; %bb.2145:                             ;   in Loop: Header=BB33_2121 Depth=4
	s_or_b64 exec, exec, s[28:29]
	v_lshlrev_b32_e32 v100, 16, v103
	v_lshlrev_b32_e32 v101, 16, v115
	v_max_f32_e32 v101, v101, v101
	v_max_f32_e32 v100, v100, v100
	v_min_f32_e32 v114, v100, v101
	v_max_f32_e32 v100, v100, v101
	v_cndmask_b32_e64 v100, v100, v114, s[22:23]
	v_and_b32_e32 v101, 0x7f800000, v100
	v_cmp_ne_u32_e32 vcc, s87, v101
                                        ; implicit-def: $vgpr114
	s_and_saveexec_b64 s[28:29], vcc
	s_xor_b64 s[28:29], exec, s[28:29]
; %bb.2146:                             ;   in Loop: Header=BB33_2121 Depth=4
	v_bfe_u32 v101, v100, 16, 1
	v_add3_u32 v114, v100, v101, s96
                                        ; implicit-def: $vgpr100
; %bb.2147:                             ;   in Loop: Header=BB33_2121 Depth=4
	s_andn2_saveexec_b64 s[28:29], s[28:29]
; %bb.2148:                             ;   in Loop: Header=BB33_2121 Depth=4
	v_or_b32_e32 v101, 0x10000, v100
	v_cmp_eq_u32_sdwa vcc, v100, v3 src0_sel:WORD_0 src1_sel:DWORD
	s_nop 1
	v_cndmask_b32_e32 v114, v101, v100, vcc
; %bb.2149:                             ;   in Loop: Header=BB33_2121 Depth=4
	s_or_b64 exec, exec, s[28:29]
	v_and_b32_e32 v100, 0xffff0000, v103
	v_and_b32_e32 v101, 0xffff0000, v115
	v_max_f32_e32 v101, v101, v101
	v_max_f32_e32 v100, v100, v100
	v_min_f32_e32 v103, v100, v101
	v_max_f32_e32 v100, v100, v101
	v_cndmask_b32_e64 v100, v100, v103, s[22:23]
	v_and_b32_e32 v101, 0x7f800000, v100
	v_cmp_ne_u32_e32 vcc, s87, v101
                                        ; implicit-def: $vgpr103
	s_and_saveexec_b64 s[28:29], vcc
	s_xor_b64 s[28:29], exec, s[28:29]
; %bb.2150:                             ;   in Loop: Header=BB33_2121 Depth=4
	v_bfe_u32 v101, v100, 16, 1
	v_add3_u32 v103, v100, v101, s96
                                        ; implicit-def: $vgpr100
; %bb.2151:                             ;   in Loop: Header=BB33_2121 Depth=4
	s_andn2_saveexec_b64 s[28:29], s[28:29]
; %bb.2152:                             ;   in Loop: Header=BB33_2121 Depth=4
	v_or_b32_e32 v101, 0x10000, v100
	v_cmp_eq_u32_sdwa vcc, v100, v3 src0_sel:WORD_0 src1_sel:DWORD
	s_nop 1
	v_cndmask_b32_e32 v103, v101, v100, vcc
; %bb.2153:                             ;   in Loop: Header=BB33_2121 Depth=4
	s_or_b64 exec, exec, s[28:29]
	v_lshrrev_b32_e32 v115, 16, v124
	v_and_or_b32 v109, v113, s97, v115
	v_lshrrev_b32_e32 v113, 16, v73
	v_and_or_b32 v108, v112, s97, v113
	v_lshrrev_b32_e32 v112, 16, v125
	v_lshl_add_u64 v[100:101], v[62:63], 0, v[118:119]
	v_and_or_b32 v110, v102, s97, v112
	v_lshrrev_b32_e32 v102, 16, v114
	v_and_or_b32 v111, v103, s97, v102
	v_add_co_u32_e32 v102, vcc, 0xfffff000, v100
	s_nop 1
	v_addc_co_u32_e32 v103, vcc, -1, v101, vcc
	global_store_dwordx4 v[102:103], v[108:111], off offset:-3072
	s_waitcnt vmcnt(14)
	v_lshlrev_b32_e32 v102, 16, v84
	s_waitcnt vmcnt(13)
	v_lshlrev_b32_e32 v103, 16, v96
	v_max_f32_e32 v103, v103, v103
	v_max_f32_e32 v102, v102, v102
	v_min_f32_e32 v112, v102, v103
	v_max_f32_e32 v102, v102, v103
	v_cndmask_b32_e64 v103, v102, v112, s[22:23]
	v_and_b32_e32 v102, 0x7f800000, v103
	v_cmp_ne_u32_e32 vcc, s87, v102
                                        ; implicit-def: $vgpr102
	s_and_saveexec_b64 s[28:29], vcc
	s_xor_b64 s[28:29], exec, s[28:29]
; %bb.2154:                             ;   in Loop: Header=BB33_2121 Depth=4
	v_bfe_u32 v102, v103, 16, 1
	v_add3_u32 v102, v103, v102, s96
                                        ; implicit-def: $vgpr103
; %bb.2155:                             ;   in Loop: Header=BB33_2121 Depth=4
	s_andn2_saveexec_b64 s[28:29], s[28:29]
; %bb.2156:                             ;   in Loop: Header=BB33_2121 Depth=4
	v_or_b32_e32 v102, 0x10000, v103
	v_cmp_eq_u32_sdwa vcc, v103, v3 src0_sel:WORD_0 src1_sel:DWORD
	s_nop 1
	v_cndmask_b32_e32 v102, v102, v103, vcc
; %bb.2157:                             ;   in Loop: Header=BB33_2121 Depth=4
	s_or_b64 exec, exec, s[28:29]
	v_and_b32_e32 v84, 0xffff0000, v84
	v_and_b32_e32 v96, 0xffff0000, v96
	v_max_f32_e32 v96, v96, v96
	v_max_f32_e32 v84, v84, v84
	v_min_f32_e32 v103, v84, v96
	v_max_f32_e32 v84, v84, v96
	v_cndmask_b32_e64 v96, v84, v103, s[22:23]
	v_and_b32_e32 v84, 0x7f800000, v96
	v_cmp_ne_u32_e32 vcc, s87, v84
                                        ; implicit-def: $vgpr84
	s_and_saveexec_b64 s[28:29], vcc
	s_xor_b64 s[28:29], exec, s[28:29]
; %bb.2158:                             ;   in Loop: Header=BB33_2121 Depth=4
	v_bfe_u32 v84, v96, 16, 1
	v_add3_u32 v84, v96, v84, s96
                                        ; implicit-def: $vgpr96
; %bb.2159:                             ;   in Loop: Header=BB33_2121 Depth=4
	s_andn2_saveexec_b64 s[28:29], s[28:29]
; %bb.2160:                             ;   in Loop: Header=BB33_2121 Depth=4
	v_or_b32_e32 v84, 0x10000, v96
	v_cmp_eq_u32_sdwa vcc, v96, v3 src0_sel:WORD_0 src1_sel:DWORD
	s_nop 1
	v_cndmask_b32_e32 v84, v84, v96, vcc
; %bb.2161:                             ;   in Loop: Header=BB33_2121 Depth=4
	s_or_b64 exec, exec, s[28:29]
	v_lshlrev_b32_e32 v96, 16, v85
	v_lshlrev_b32_e32 v103, 16, v97
	v_max_f32_e32 v103, v103, v103
	v_max_f32_e32 v96, v96, v96
	v_min_f32_e32 v112, v96, v103
	v_max_f32_e32 v96, v96, v103
	v_cndmask_b32_e64 v103, v96, v112, s[22:23]
	v_and_b32_e32 v96, 0x7f800000, v103
	v_cmp_ne_u32_e32 vcc, s87, v96
                                        ; implicit-def: $vgpr96
	s_and_saveexec_b64 s[28:29], vcc
	s_xor_b64 s[28:29], exec, s[28:29]
; %bb.2162:                             ;   in Loop: Header=BB33_2121 Depth=4
	v_bfe_u32 v96, v103, 16, 1
	v_add3_u32 v96, v103, v96, s96
                                        ; implicit-def: $vgpr103
; %bb.2163:                             ;   in Loop: Header=BB33_2121 Depth=4
	s_andn2_saveexec_b64 s[28:29], s[28:29]
; %bb.2164:                             ;   in Loop: Header=BB33_2121 Depth=4
	v_or_b32_e32 v96, 0x10000, v103
	v_cmp_eq_u32_sdwa vcc, v103, v3 src0_sel:WORD_0 src1_sel:DWORD
	s_nop 1
	v_cndmask_b32_e32 v96, v96, v103, vcc
; %bb.2165:                             ;   in Loop: Header=BB33_2121 Depth=4
	s_or_b64 exec, exec, s[28:29]
	v_and_b32_e32 v85, 0xffff0000, v85
	v_and_b32_e32 v97, 0xffff0000, v97
	v_max_f32_e32 v97, v97, v97
	v_max_f32_e32 v85, v85, v85
	v_min_f32_e32 v103, v85, v97
	v_max_f32_e32 v85, v85, v97
	v_cndmask_b32_e64 v97, v85, v103, s[22:23]
	v_and_b32_e32 v85, 0x7f800000, v97
	v_cmp_ne_u32_e32 vcc, s87, v85
                                        ; implicit-def: $vgpr85
	s_and_saveexec_b64 s[28:29], vcc
	s_xor_b64 s[28:29], exec, s[28:29]
; %bb.2166:                             ;   in Loop: Header=BB33_2121 Depth=4
	v_bfe_u32 v85, v97, 16, 1
	v_add3_u32 v85, v97, v85, s96
                                        ; implicit-def: $vgpr97
; %bb.2167:                             ;   in Loop: Header=BB33_2121 Depth=4
	s_andn2_saveexec_b64 s[28:29], s[28:29]
; %bb.2168:                             ;   in Loop: Header=BB33_2121 Depth=4
	v_or_b32_e32 v85, 0x10000, v97
	v_cmp_eq_u32_sdwa vcc, v97, v3 src0_sel:WORD_0 src1_sel:DWORD
	s_nop 1
	v_cndmask_b32_e32 v85, v85, v97, vcc
; %bb.2169:                             ;   in Loop: Header=BB33_2121 Depth=4
	s_or_b64 exec, exec, s[28:29]
	v_lshlrev_b32_e32 v97, 16, v86
	v_lshlrev_b32_e32 v103, 16, v98
	v_max_f32_e32 v103, v103, v103
	v_max_f32_e32 v97, v97, v97
	v_min_f32_e32 v112, v97, v103
	v_max_f32_e32 v97, v97, v103
	v_cndmask_b32_e64 v103, v97, v112, s[22:23]
	v_and_b32_e32 v97, 0x7f800000, v103
	v_cmp_ne_u32_e32 vcc, s87, v97
                                        ; implicit-def: $vgpr97
	s_and_saveexec_b64 s[28:29], vcc
	s_xor_b64 s[28:29], exec, s[28:29]
; %bb.2170:                             ;   in Loop: Header=BB33_2121 Depth=4
	v_bfe_u32 v97, v103, 16, 1
	v_add3_u32 v97, v103, v97, s96
                                        ; implicit-def: $vgpr103
; %bb.2171:                             ;   in Loop: Header=BB33_2121 Depth=4
	s_andn2_saveexec_b64 s[28:29], s[28:29]
; %bb.2172:                             ;   in Loop: Header=BB33_2121 Depth=4
	v_or_b32_e32 v97, 0x10000, v103
	v_cmp_eq_u32_sdwa vcc, v103, v3 src0_sel:WORD_0 src1_sel:DWORD
	s_nop 1
	v_cndmask_b32_e32 v97, v97, v103, vcc
; %bb.2173:                             ;   in Loop: Header=BB33_2121 Depth=4
	s_or_b64 exec, exec, s[28:29]
	v_and_b32_e32 v86, 0xffff0000, v86
	v_and_b32_e32 v98, 0xffff0000, v98
	v_max_f32_e32 v98, v98, v98
	v_max_f32_e32 v86, v86, v86
	v_min_f32_e32 v103, v86, v98
	v_max_f32_e32 v86, v86, v98
	v_cndmask_b32_e64 v98, v86, v103, s[22:23]
	v_and_b32_e32 v86, 0x7f800000, v98
	v_cmp_ne_u32_e32 vcc, s87, v86
                                        ; implicit-def: $vgpr86
	s_and_saveexec_b64 s[28:29], vcc
	s_xor_b64 s[28:29], exec, s[28:29]
; %bb.2174:                             ;   in Loop: Header=BB33_2121 Depth=4
	v_bfe_u32 v86, v98, 16, 1
	v_add3_u32 v86, v98, v86, s96
                                        ; implicit-def: $vgpr98
; %bb.2175:                             ;   in Loop: Header=BB33_2121 Depth=4
	s_andn2_saveexec_b64 s[28:29], s[28:29]
; %bb.2176:                             ;   in Loop: Header=BB33_2121 Depth=4
	v_or_b32_e32 v86, 0x10000, v98
	v_cmp_eq_u32_sdwa vcc, v98, v3 src0_sel:WORD_0 src1_sel:DWORD
	s_nop 1
	v_cndmask_b32_e32 v86, v86, v98, vcc
; %bb.2177:                             ;   in Loop: Header=BB33_2121 Depth=4
	s_or_b64 exec, exec, s[28:29]
	v_lshlrev_b32_e32 v98, 16, v87
	v_lshlrev_b32_e32 v103, 16, v99
	v_max_f32_e32 v103, v103, v103
	v_max_f32_e32 v98, v98, v98
	v_min_f32_e32 v112, v98, v103
	v_max_f32_e32 v98, v98, v103
	v_cndmask_b32_e64 v103, v98, v112, s[22:23]
	v_and_b32_e32 v98, 0x7f800000, v103
	v_cmp_ne_u32_e32 vcc, s87, v98
                                        ; implicit-def: $vgpr98
	s_and_saveexec_b64 s[28:29], vcc
	s_xor_b64 s[28:29], exec, s[28:29]
; %bb.2178:                             ;   in Loop: Header=BB33_2121 Depth=4
	v_bfe_u32 v98, v103, 16, 1
	v_add3_u32 v98, v103, v98, s96
                                        ; implicit-def: $vgpr103
; %bb.2179:                             ;   in Loop: Header=BB33_2121 Depth=4
	s_andn2_saveexec_b64 s[28:29], s[28:29]
; %bb.2180:                             ;   in Loop: Header=BB33_2121 Depth=4
	v_or_b32_e32 v98, 0x10000, v103
	v_cmp_eq_u32_sdwa vcc, v103, v3 src0_sel:WORD_0 src1_sel:DWORD
	s_nop 1
	v_cndmask_b32_e32 v98, v98, v103, vcc
; %bb.2181:                             ;   in Loop: Header=BB33_2121 Depth=4
	s_or_b64 exec, exec, s[28:29]
	v_and_b32_e32 v87, 0xffff0000, v87
	v_and_b32_e32 v99, 0xffff0000, v99
	v_max_f32_e32 v99, v99, v99
	v_max_f32_e32 v87, v87, v87
	v_min_f32_e32 v103, v87, v99
	v_max_f32_e32 v87, v87, v99
	v_cndmask_b32_e64 v99, v87, v103, s[22:23]
	v_and_b32_e32 v87, 0x7f800000, v99
	v_cmp_ne_u32_e32 vcc, s87, v87
                                        ; implicit-def: $vgpr87
	s_and_saveexec_b64 s[28:29], vcc
	s_xor_b64 s[28:29], exec, s[28:29]
; %bb.2182:                             ;   in Loop: Header=BB33_2121 Depth=4
	v_bfe_u32 v87, v99, 16, 1
	v_add3_u32 v87, v99, v87, s96
                                        ; implicit-def: $vgpr99
; %bb.2183:                             ;   in Loop: Header=BB33_2121 Depth=4
	s_andn2_saveexec_b64 s[28:29], s[28:29]
; %bb.2184:                             ;   in Loop: Header=BB33_2121 Depth=4
	v_or_b32_e32 v87, 0x10000, v99
	v_cmp_eq_u32_sdwa vcc, v99, v3 src0_sel:WORD_0 src1_sel:DWORD
	s_nop 1
	v_cndmask_b32_e32 v87, v87, v99, vcc
; %bb.2185:                             ;   in Loop: Header=BB33_2121 Depth=4
	s_or_b64 exec, exec, s[28:29]
	v_lshrrev_b32_e32 v96, 16, v96
	v_and_or_b32 v85, v85, s97, v96
	v_lshrrev_b32_e32 v96, 16, v102
	v_and_or_b32 v84, v84, s97, v96
	;; [unrolled: 2-line block ×4, first 2 shown]
	v_add_co_u32_e32 v96, vcc, 0xfffff000, v100
	s_nop 1
	v_addc_co_u32_e32 v97, vcc, -1, v101, vcc
	global_store_dwordx4 v[96:97], v[84:87], off offset:-2048
	s_waitcnt vmcnt(13)
	s_nop 0
	v_lshlrev_b32_e32 v84, 16, v68
	s_waitcnt vmcnt(12)
	v_lshlrev_b32_e32 v85, 16, v80
	v_max_f32_e32 v85, v85, v85
	v_max_f32_e32 v84, v84, v84
	v_min_f32_e32 v86, v84, v85
	v_max_f32_e32 v84, v84, v85
	v_cndmask_b32_e64 v85, v84, v86, s[22:23]
	v_and_b32_e32 v84, 0x7f800000, v85
	v_cmp_ne_u32_e32 vcc, s87, v84
                                        ; implicit-def: $vgpr84
	s_and_saveexec_b64 s[28:29], vcc
	s_xor_b64 s[28:29], exec, s[28:29]
; %bb.2186:                             ;   in Loop: Header=BB33_2121 Depth=4
	v_bfe_u32 v84, v85, 16, 1
	v_add3_u32 v84, v85, v84, s96
                                        ; implicit-def: $vgpr85
; %bb.2187:                             ;   in Loop: Header=BB33_2121 Depth=4
	s_andn2_saveexec_b64 s[28:29], s[28:29]
; %bb.2188:                             ;   in Loop: Header=BB33_2121 Depth=4
	v_or_b32_e32 v84, 0x10000, v85
	v_cmp_eq_u32_sdwa vcc, v85, v3 src0_sel:WORD_0 src1_sel:DWORD
	s_nop 1
	v_cndmask_b32_e32 v84, v84, v85, vcc
; %bb.2189:                             ;   in Loop: Header=BB33_2121 Depth=4
	s_or_b64 exec, exec, s[28:29]
	v_and_b32_e32 v68, 0xffff0000, v68
	v_and_b32_e32 v80, 0xffff0000, v80
	v_max_f32_e32 v80, v80, v80
	v_max_f32_e32 v68, v68, v68
	v_min_f32_e32 v85, v68, v80
	v_max_f32_e32 v68, v68, v80
	v_cndmask_b32_e64 v80, v68, v85, s[22:23]
	v_and_b32_e32 v68, 0x7f800000, v80
	v_cmp_ne_u32_e32 vcc, s87, v68
                                        ; implicit-def: $vgpr68
	s_and_saveexec_b64 s[28:29], vcc
	s_xor_b64 s[28:29], exec, s[28:29]
; %bb.2190:                             ;   in Loop: Header=BB33_2121 Depth=4
	v_bfe_u32 v68, v80, 16, 1
	v_add3_u32 v68, v80, v68, s96
                                        ; implicit-def: $vgpr80
; %bb.2191:                             ;   in Loop: Header=BB33_2121 Depth=4
	s_andn2_saveexec_b64 s[28:29], s[28:29]
; %bb.2192:                             ;   in Loop: Header=BB33_2121 Depth=4
	v_or_b32_e32 v68, 0x10000, v80
	v_cmp_eq_u32_sdwa vcc, v80, v3 src0_sel:WORD_0 src1_sel:DWORD
	s_nop 1
	v_cndmask_b32_e32 v68, v68, v80, vcc
; %bb.2193:                             ;   in Loop: Header=BB33_2121 Depth=4
	s_or_b64 exec, exec, s[28:29]
	v_lshlrev_b32_e32 v80, 16, v69
	v_lshlrev_b32_e32 v85, 16, v81
	v_max_f32_e32 v85, v85, v85
	v_max_f32_e32 v80, v80, v80
	v_min_f32_e32 v86, v80, v85
	v_max_f32_e32 v80, v80, v85
	v_cndmask_b32_e64 v85, v80, v86, s[22:23]
	v_and_b32_e32 v80, 0x7f800000, v85
	v_cmp_ne_u32_e32 vcc, s87, v80
                                        ; implicit-def: $vgpr80
	s_and_saveexec_b64 s[28:29], vcc
	s_xor_b64 s[28:29], exec, s[28:29]
; %bb.2194:                             ;   in Loop: Header=BB33_2121 Depth=4
	v_bfe_u32 v80, v85, 16, 1
	v_add3_u32 v80, v85, v80, s96
                                        ; implicit-def: $vgpr85
; %bb.2195:                             ;   in Loop: Header=BB33_2121 Depth=4
	s_andn2_saveexec_b64 s[28:29], s[28:29]
; %bb.2196:                             ;   in Loop: Header=BB33_2121 Depth=4
	v_or_b32_e32 v80, 0x10000, v85
	v_cmp_eq_u32_sdwa vcc, v85, v3 src0_sel:WORD_0 src1_sel:DWORD
	s_nop 1
	v_cndmask_b32_e32 v80, v80, v85, vcc
; %bb.2197:                             ;   in Loop: Header=BB33_2121 Depth=4
	s_or_b64 exec, exec, s[28:29]
	v_and_b32_e32 v69, 0xffff0000, v69
	v_and_b32_e32 v81, 0xffff0000, v81
	v_max_f32_e32 v81, v81, v81
	v_max_f32_e32 v69, v69, v69
	v_min_f32_e32 v85, v69, v81
	v_max_f32_e32 v69, v69, v81
	v_cndmask_b32_e64 v81, v69, v85, s[22:23]
	v_and_b32_e32 v69, 0x7f800000, v81
	v_cmp_ne_u32_e32 vcc, s87, v69
                                        ; implicit-def: $vgpr69
	s_and_saveexec_b64 s[28:29], vcc
	s_xor_b64 s[28:29], exec, s[28:29]
; %bb.2198:                             ;   in Loop: Header=BB33_2121 Depth=4
	v_bfe_u32 v69, v81, 16, 1
	v_add3_u32 v69, v81, v69, s96
                                        ; implicit-def: $vgpr81
; %bb.2199:                             ;   in Loop: Header=BB33_2121 Depth=4
	s_andn2_saveexec_b64 s[28:29], s[28:29]
; %bb.2200:                             ;   in Loop: Header=BB33_2121 Depth=4
	v_or_b32_e32 v69, 0x10000, v81
	v_cmp_eq_u32_sdwa vcc, v81, v3 src0_sel:WORD_0 src1_sel:DWORD
	s_nop 1
	v_cndmask_b32_e32 v69, v69, v81, vcc
; %bb.2201:                             ;   in Loop: Header=BB33_2121 Depth=4
	s_or_b64 exec, exec, s[28:29]
	v_lshlrev_b32_e32 v81, 16, v70
	v_lshlrev_b32_e32 v85, 16, v82
	v_max_f32_e32 v85, v85, v85
	v_max_f32_e32 v81, v81, v81
	v_min_f32_e32 v86, v81, v85
	v_max_f32_e32 v81, v81, v85
	v_cndmask_b32_e64 v85, v81, v86, s[22:23]
	v_and_b32_e32 v81, 0x7f800000, v85
	v_cmp_ne_u32_e32 vcc, s87, v81
                                        ; implicit-def: $vgpr81
	s_and_saveexec_b64 s[28:29], vcc
	s_xor_b64 s[28:29], exec, s[28:29]
; %bb.2202:                             ;   in Loop: Header=BB33_2121 Depth=4
	v_bfe_u32 v81, v85, 16, 1
	v_add3_u32 v81, v85, v81, s96
                                        ; implicit-def: $vgpr85
; %bb.2203:                             ;   in Loop: Header=BB33_2121 Depth=4
	s_andn2_saveexec_b64 s[28:29], s[28:29]
; %bb.2204:                             ;   in Loop: Header=BB33_2121 Depth=4
	v_or_b32_e32 v81, 0x10000, v85
	v_cmp_eq_u32_sdwa vcc, v85, v3 src0_sel:WORD_0 src1_sel:DWORD
	s_nop 1
	v_cndmask_b32_e32 v81, v81, v85, vcc
; %bb.2205:                             ;   in Loop: Header=BB33_2121 Depth=4
	s_or_b64 exec, exec, s[28:29]
	v_and_b32_e32 v70, 0xffff0000, v70
	v_and_b32_e32 v82, 0xffff0000, v82
	v_max_f32_e32 v82, v82, v82
	v_max_f32_e32 v70, v70, v70
	v_min_f32_e32 v85, v70, v82
	v_max_f32_e32 v70, v70, v82
	v_cndmask_b32_e64 v82, v70, v85, s[22:23]
	v_and_b32_e32 v70, 0x7f800000, v82
	v_cmp_ne_u32_e32 vcc, s87, v70
                                        ; implicit-def: $vgpr70
	s_and_saveexec_b64 s[28:29], vcc
	s_xor_b64 s[28:29], exec, s[28:29]
; %bb.2206:                             ;   in Loop: Header=BB33_2121 Depth=4
	v_bfe_u32 v70, v82, 16, 1
	v_add3_u32 v70, v82, v70, s96
                                        ; implicit-def: $vgpr82
; %bb.2207:                             ;   in Loop: Header=BB33_2121 Depth=4
	s_andn2_saveexec_b64 s[28:29], s[28:29]
; %bb.2208:                             ;   in Loop: Header=BB33_2121 Depth=4
	v_or_b32_e32 v70, 0x10000, v82
	v_cmp_eq_u32_sdwa vcc, v82, v3 src0_sel:WORD_0 src1_sel:DWORD
	s_nop 1
	v_cndmask_b32_e32 v70, v70, v82, vcc
; %bb.2209:                             ;   in Loop: Header=BB33_2121 Depth=4
	s_or_b64 exec, exec, s[28:29]
	v_lshlrev_b32_e32 v82, 16, v71
	v_lshlrev_b32_e32 v85, 16, v83
	v_max_f32_e32 v85, v85, v85
	v_max_f32_e32 v82, v82, v82
	v_min_f32_e32 v86, v82, v85
	v_max_f32_e32 v82, v82, v85
	v_cndmask_b32_e64 v85, v82, v86, s[22:23]
	v_and_b32_e32 v82, 0x7f800000, v85
	v_cmp_ne_u32_e32 vcc, s87, v82
                                        ; implicit-def: $vgpr82
	s_and_saveexec_b64 s[28:29], vcc
	s_xor_b64 s[28:29], exec, s[28:29]
; %bb.2210:                             ;   in Loop: Header=BB33_2121 Depth=4
	v_bfe_u32 v82, v85, 16, 1
	v_add3_u32 v82, v85, v82, s96
                                        ; implicit-def: $vgpr85
; %bb.2211:                             ;   in Loop: Header=BB33_2121 Depth=4
	s_andn2_saveexec_b64 s[28:29], s[28:29]
; %bb.2212:                             ;   in Loop: Header=BB33_2121 Depth=4
	v_or_b32_e32 v82, 0x10000, v85
	v_cmp_eq_u32_sdwa vcc, v85, v3 src0_sel:WORD_0 src1_sel:DWORD
	s_nop 1
	v_cndmask_b32_e32 v82, v82, v85, vcc
; %bb.2213:                             ;   in Loop: Header=BB33_2121 Depth=4
	s_or_b64 exec, exec, s[28:29]
	v_and_b32_e32 v71, 0xffff0000, v71
	v_and_b32_e32 v83, 0xffff0000, v83
	v_max_f32_e32 v83, v83, v83
	v_max_f32_e32 v71, v71, v71
	v_min_f32_e32 v85, v71, v83
	v_max_f32_e32 v71, v71, v83
	v_cndmask_b32_e64 v83, v71, v85, s[22:23]
	v_and_b32_e32 v71, 0x7f800000, v83
	v_cmp_ne_u32_e32 vcc, s87, v71
                                        ; implicit-def: $vgpr71
	s_and_saveexec_b64 s[28:29], vcc
	s_xor_b64 s[28:29], exec, s[28:29]
; %bb.2214:                             ;   in Loop: Header=BB33_2121 Depth=4
	v_bfe_u32 v71, v83, 16, 1
	v_add3_u32 v71, v83, v71, s96
                                        ; implicit-def: $vgpr83
; %bb.2215:                             ;   in Loop: Header=BB33_2121 Depth=4
	s_andn2_saveexec_b64 s[28:29], s[28:29]
; %bb.2216:                             ;   in Loop: Header=BB33_2121 Depth=4
	v_or_b32_e32 v71, 0x10000, v83
	v_cmp_eq_u32_sdwa vcc, v83, v3 src0_sel:WORD_0 src1_sel:DWORD
	s_nop 1
	v_cndmask_b32_e32 v71, v71, v83, vcc
; %bb.2217:                             ;   in Loop: Header=BB33_2121 Depth=4
	s_or_b64 exec, exec, s[28:29]
	v_lshrrev_b32_e32 v80, 16, v80
	v_and_or_b32 v69, v69, s97, v80
	v_lshrrev_b32_e32 v80, 16, v84
	v_and_or_b32 v68, v68, s97, v80
	;; [unrolled: 2-line block ×4, first 2 shown]
	v_add_co_u32_e32 v80, vcc, 0xfffff000, v100
	s_nop 1
	v_addc_co_u32_e32 v81, vcc, -1, v101, vcc
	global_store_dwordx4 v[80:81], v[68:71], off offset:-1024
	s_waitcnt vmcnt(12)
	s_nop 0
	v_lshlrev_b32_e32 v68, 16, v52
	s_waitcnt vmcnt(11)
	v_lshlrev_b32_e32 v69, 16, v64
	v_max_f32_e32 v69, v69, v69
	v_max_f32_e32 v68, v68, v68
	v_min_f32_e32 v70, v68, v69
	v_max_f32_e32 v68, v68, v69
	v_cndmask_b32_e64 v69, v68, v70, s[22:23]
	v_and_b32_e32 v68, 0x7f800000, v69
	v_cmp_ne_u32_e32 vcc, s87, v68
                                        ; implicit-def: $vgpr68
	s_and_saveexec_b64 s[28:29], vcc
	s_xor_b64 s[28:29], exec, s[28:29]
; %bb.2218:                             ;   in Loop: Header=BB33_2121 Depth=4
	v_bfe_u32 v68, v69, 16, 1
	v_add3_u32 v68, v69, v68, s96
                                        ; implicit-def: $vgpr69
; %bb.2219:                             ;   in Loop: Header=BB33_2121 Depth=4
	s_andn2_saveexec_b64 s[28:29], s[28:29]
; %bb.2220:                             ;   in Loop: Header=BB33_2121 Depth=4
	v_or_b32_e32 v68, 0x10000, v69
	v_cmp_eq_u32_sdwa vcc, v69, v3 src0_sel:WORD_0 src1_sel:DWORD
	s_nop 1
	v_cndmask_b32_e32 v68, v68, v69, vcc
; %bb.2221:                             ;   in Loop: Header=BB33_2121 Depth=4
	s_or_b64 exec, exec, s[28:29]
	v_and_b32_e32 v52, 0xffff0000, v52
	v_and_b32_e32 v64, 0xffff0000, v64
	v_max_f32_e32 v64, v64, v64
	v_max_f32_e32 v52, v52, v52
	v_min_f32_e32 v69, v52, v64
	v_max_f32_e32 v52, v52, v64
	v_cndmask_b32_e64 v64, v52, v69, s[22:23]
	v_and_b32_e32 v52, 0x7f800000, v64
	v_cmp_ne_u32_e32 vcc, s87, v52
                                        ; implicit-def: $vgpr52
	s_and_saveexec_b64 s[28:29], vcc
	s_xor_b64 s[28:29], exec, s[28:29]
; %bb.2222:                             ;   in Loop: Header=BB33_2121 Depth=4
	v_bfe_u32 v52, v64, 16, 1
	v_add3_u32 v52, v64, v52, s96
                                        ; implicit-def: $vgpr64
; %bb.2223:                             ;   in Loop: Header=BB33_2121 Depth=4
	s_andn2_saveexec_b64 s[28:29], s[28:29]
; %bb.2224:                             ;   in Loop: Header=BB33_2121 Depth=4
	v_or_b32_e32 v52, 0x10000, v64
	v_cmp_eq_u32_sdwa vcc, v64, v3 src0_sel:WORD_0 src1_sel:DWORD
	s_nop 1
	v_cndmask_b32_e32 v52, v52, v64, vcc
; %bb.2225:                             ;   in Loop: Header=BB33_2121 Depth=4
	s_or_b64 exec, exec, s[28:29]
	v_lshlrev_b32_e32 v64, 16, v53
	v_lshlrev_b32_e32 v69, 16, v65
	v_max_f32_e32 v69, v69, v69
	v_max_f32_e32 v64, v64, v64
	v_min_f32_e32 v70, v64, v69
	v_max_f32_e32 v64, v64, v69
	v_cndmask_b32_e64 v69, v64, v70, s[22:23]
	v_and_b32_e32 v64, 0x7f800000, v69
	v_cmp_ne_u32_e32 vcc, s87, v64
                                        ; implicit-def: $vgpr64
	s_and_saveexec_b64 s[28:29], vcc
	s_xor_b64 s[28:29], exec, s[28:29]
; %bb.2226:                             ;   in Loop: Header=BB33_2121 Depth=4
	v_bfe_u32 v64, v69, 16, 1
	v_add3_u32 v64, v69, v64, s96
                                        ; implicit-def: $vgpr69
; %bb.2227:                             ;   in Loop: Header=BB33_2121 Depth=4
	s_andn2_saveexec_b64 s[28:29], s[28:29]
; %bb.2228:                             ;   in Loop: Header=BB33_2121 Depth=4
	v_or_b32_e32 v64, 0x10000, v69
	v_cmp_eq_u32_sdwa vcc, v69, v3 src0_sel:WORD_0 src1_sel:DWORD
	s_nop 1
	v_cndmask_b32_e32 v64, v64, v69, vcc
; %bb.2229:                             ;   in Loop: Header=BB33_2121 Depth=4
	s_or_b64 exec, exec, s[28:29]
	v_and_b32_e32 v53, 0xffff0000, v53
	v_and_b32_e32 v65, 0xffff0000, v65
	v_max_f32_e32 v65, v65, v65
	v_max_f32_e32 v53, v53, v53
	v_min_f32_e32 v69, v53, v65
	v_max_f32_e32 v53, v53, v65
	v_cndmask_b32_e64 v65, v53, v69, s[22:23]
	v_and_b32_e32 v53, 0x7f800000, v65
	v_cmp_ne_u32_e32 vcc, s87, v53
                                        ; implicit-def: $vgpr53
	s_and_saveexec_b64 s[28:29], vcc
	s_xor_b64 s[28:29], exec, s[28:29]
; %bb.2230:                             ;   in Loop: Header=BB33_2121 Depth=4
	v_bfe_u32 v53, v65, 16, 1
	v_add3_u32 v53, v65, v53, s96
                                        ; implicit-def: $vgpr65
; %bb.2231:                             ;   in Loop: Header=BB33_2121 Depth=4
	s_andn2_saveexec_b64 s[28:29], s[28:29]
; %bb.2232:                             ;   in Loop: Header=BB33_2121 Depth=4
	v_or_b32_e32 v53, 0x10000, v65
	v_cmp_eq_u32_sdwa vcc, v65, v3 src0_sel:WORD_0 src1_sel:DWORD
	s_nop 1
	v_cndmask_b32_e32 v53, v53, v65, vcc
; %bb.2233:                             ;   in Loop: Header=BB33_2121 Depth=4
	s_or_b64 exec, exec, s[28:29]
	v_lshlrev_b32_e32 v65, 16, v54
	v_lshlrev_b32_e32 v69, 16, v66
	v_max_f32_e32 v69, v69, v69
	v_max_f32_e32 v65, v65, v65
	v_min_f32_e32 v70, v65, v69
	v_max_f32_e32 v65, v65, v69
	v_cndmask_b32_e64 v69, v65, v70, s[22:23]
	v_and_b32_e32 v65, 0x7f800000, v69
	v_cmp_ne_u32_e32 vcc, s87, v65
                                        ; implicit-def: $vgpr65
	s_and_saveexec_b64 s[28:29], vcc
	s_xor_b64 s[28:29], exec, s[28:29]
; %bb.2234:                             ;   in Loop: Header=BB33_2121 Depth=4
	v_bfe_u32 v65, v69, 16, 1
	v_add3_u32 v65, v69, v65, s96
                                        ; implicit-def: $vgpr69
; %bb.2235:                             ;   in Loop: Header=BB33_2121 Depth=4
	s_andn2_saveexec_b64 s[28:29], s[28:29]
; %bb.2236:                             ;   in Loop: Header=BB33_2121 Depth=4
	v_or_b32_e32 v65, 0x10000, v69
	v_cmp_eq_u32_sdwa vcc, v69, v3 src0_sel:WORD_0 src1_sel:DWORD
	s_nop 1
	v_cndmask_b32_e32 v65, v65, v69, vcc
; %bb.2237:                             ;   in Loop: Header=BB33_2121 Depth=4
	s_or_b64 exec, exec, s[28:29]
	v_and_b32_e32 v54, 0xffff0000, v54
	v_and_b32_e32 v66, 0xffff0000, v66
	v_max_f32_e32 v66, v66, v66
	v_max_f32_e32 v54, v54, v54
	v_min_f32_e32 v69, v54, v66
	v_max_f32_e32 v54, v54, v66
	v_cndmask_b32_e64 v66, v54, v69, s[22:23]
	v_and_b32_e32 v54, 0x7f800000, v66
	v_cmp_ne_u32_e32 vcc, s87, v54
                                        ; implicit-def: $vgpr54
	s_and_saveexec_b64 s[28:29], vcc
	s_xor_b64 s[28:29], exec, s[28:29]
; %bb.2238:                             ;   in Loop: Header=BB33_2121 Depth=4
	v_bfe_u32 v54, v66, 16, 1
	v_add3_u32 v54, v66, v54, s96
                                        ; implicit-def: $vgpr66
; %bb.2239:                             ;   in Loop: Header=BB33_2121 Depth=4
	s_andn2_saveexec_b64 s[28:29], s[28:29]
; %bb.2240:                             ;   in Loop: Header=BB33_2121 Depth=4
	v_or_b32_e32 v54, 0x10000, v66
	v_cmp_eq_u32_sdwa vcc, v66, v3 src0_sel:WORD_0 src1_sel:DWORD
	s_nop 1
	v_cndmask_b32_e32 v54, v54, v66, vcc
; %bb.2241:                             ;   in Loop: Header=BB33_2121 Depth=4
	s_or_b64 exec, exec, s[28:29]
	v_lshlrev_b32_e32 v66, 16, v55
	v_lshlrev_b32_e32 v69, 16, v67
	v_max_f32_e32 v69, v69, v69
	v_max_f32_e32 v66, v66, v66
	v_min_f32_e32 v70, v66, v69
	v_max_f32_e32 v66, v66, v69
	v_cndmask_b32_e64 v69, v66, v70, s[22:23]
	v_and_b32_e32 v66, 0x7f800000, v69
	v_cmp_ne_u32_e32 vcc, s87, v66
                                        ; implicit-def: $vgpr66
	s_and_saveexec_b64 s[28:29], vcc
	s_xor_b64 s[28:29], exec, s[28:29]
; %bb.2242:                             ;   in Loop: Header=BB33_2121 Depth=4
	v_bfe_u32 v66, v69, 16, 1
	v_add3_u32 v66, v69, v66, s96
                                        ; implicit-def: $vgpr69
; %bb.2243:                             ;   in Loop: Header=BB33_2121 Depth=4
	s_andn2_saveexec_b64 s[28:29], s[28:29]
; %bb.2244:                             ;   in Loop: Header=BB33_2121 Depth=4
	v_or_b32_e32 v66, 0x10000, v69
	v_cmp_eq_u32_sdwa vcc, v69, v3 src0_sel:WORD_0 src1_sel:DWORD
	s_nop 1
	v_cndmask_b32_e32 v66, v66, v69, vcc
; %bb.2245:                             ;   in Loop: Header=BB33_2121 Depth=4
	s_or_b64 exec, exec, s[28:29]
	v_and_b32_e32 v55, 0xffff0000, v55
	v_and_b32_e32 v67, 0xffff0000, v67
	v_max_f32_e32 v67, v67, v67
	v_max_f32_e32 v55, v55, v55
	v_min_f32_e32 v69, v55, v67
	v_max_f32_e32 v55, v55, v67
	v_cndmask_b32_e64 v67, v55, v69, s[22:23]
	v_and_b32_e32 v55, 0x7f800000, v67
	v_cmp_ne_u32_e32 vcc, s87, v55
                                        ; implicit-def: $vgpr55
	s_and_saveexec_b64 s[28:29], vcc
	s_xor_b64 s[28:29], exec, s[28:29]
; %bb.2246:                             ;   in Loop: Header=BB33_2121 Depth=4
	v_bfe_u32 v55, v67, 16, 1
	v_add3_u32 v55, v67, v55, s96
                                        ; implicit-def: $vgpr67
; %bb.2247:                             ;   in Loop: Header=BB33_2121 Depth=4
	s_andn2_saveexec_b64 s[28:29], s[28:29]
; %bb.2248:                             ;   in Loop: Header=BB33_2121 Depth=4
	v_or_b32_e32 v55, 0x10000, v67
	v_cmp_eq_u32_sdwa vcc, v67, v3 src0_sel:WORD_0 src1_sel:DWORD
	s_nop 1
	v_cndmask_b32_e32 v55, v55, v67, vcc
; %bb.2249:                             ;   in Loop: Header=BB33_2121 Depth=4
	s_or_b64 exec, exec, s[28:29]
	v_lshrrev_b32_e32 v64, 16, v64
	v_and_or_b32 v53, v53, s97, v64
	v_lshrrev_b32_e32 v64, 16, v68
	v_and_or_b32 v52, v52, s97, v64
	;; [unrolled: 2-line block ×4, first 2 shown]
	global_store_dwordx4 v[100:101], v[52:55], off offset:-4096
	s_waitcnt vmcnt(11)
	s_nop 0
	v_lshlrev_b32_e32 v52, 16, v36
	s_waitcnt vmcnt(10)
	v_lshlrev_b32_e32 v53, 16, v48
	v_max_f32_e32 v53, v53, v53
	v_max_f32_e32 v52, v52, v52
	v_min_f32_e32 v54, v52, v53
	v_max_f32_e32 v52, v52, v53
	v_cndmask_b32_e64 v53, v52, v54, s[22:23]
	v_and_b32_e32 v52, 0x7f800000, v53
	v_cmp_ne_u32_e32 vcc, s87, v52
                                        ; implicit-def: $vgpr52
	s_and_saveexec_b64 s[28:29], vcc
	s_xor_b64 s[28:29], exec, s[28:29]
; %bb.2250:                             ;   in Loop: Header=BB33_2121 Depth=4
	v_bfe_u32 v52, v53, 16, 1
	v_add3_u32 v52, v53, v52, s96
                                        ; implicit-def: $vgpr53
; %bb.2251:                             ;   in Loop: Header=BB33_2121 Depth=4
	s_andn2_saveexec_b64 s[28:29], s[28:29]
; %bb.2252:                             ;   in Loop: Header=BB33_2121 Depth=4
	v_or_b32_e32 v52, 0x10000, v53
	v_cmp_eq_u32_sdwa vcc, v53, v3 src0_sel:WORD_0 src1_sel:DWORD
	s_nop 1
	v_cndmask_b32_e32 v52, v52, v53, vcc
; %bb.2253:                             ;   in Loop: Header=BB33_2121 Depth=4
	s_or_b64 exec, exec, s[28:29]
	v_and_b32_e32 v36, 0xffff0000, v36
	v_and_b32_e32 v48, 0xffff0000, v48
	v_max_f32_e32 v48, v48, v48
	v_max_f32_e32 v36, v36, v36
	v_min_f32_e32 v53, v36, v48
	v_max_f32_e32 v36, v36, v48
	v_cndmask_b32_e64 v48, v36, v53, s[22:23]
	v_and_b32_e32 v36, 0x7f800000, v48
	v_cmp_ne_u32_e32 vcc, s87, v36
                                        ; implicit-def: $vgpr36
	s_and_saveexec_b64 s[28:29], vcc
	s_xor_b64 s[28:29], exec, s[28:29]
; %bb.2254:                             ;   in Loop: Header=BB33_2121 Depth=4
	v_bfe_u32 v36, v48, 16, 1
	v_add3_u32 v36, v48, v36, s96
                                        ; implicit-def: $vgpr48
; %bb.2255:                             ;   in Loop: Header=BB33_2121 Depth=4
	s_andn2_saveexec_b64 s[28:29], s[28:29]
; %bb.2256:                             ;   in Loop: Header=BB33_2121 Depth=4
	v_or_b32_e32 v36, 0x10000, v48
	v_cmp_eq_u32_sdwa vcc, v48, v3 src0_sel:WORD_0 src1_sel:DWORD
	s_nop 1
	v_cndmask_b32_e32 v36, v36, v48, vcc
; %bb.2257:                             ;   in Loop: Header=BB33_2121 Depth=4
	s_or_b64 exec, exec, s[28:29]
	v_lshlrev_b32_e32 v48, 16, v37
	v_lshlrev_b32_e32 v53, 16, v49
	v_max_f32_e32 v53, v53, v53
	v_max_f32_e32 v48, v48, v48
	v_min_f32_e32 v54, v48, v53
	v_max_f32_e32 v48, v48, v53
	v_cndmask_b32_e64 v53, v48, v54, s[22:23]
	v_and_b32_e32 v48, 0x7f800000, v53
	v_cmp_ne_u32_e32 vcc, s87, v48
                                        ; implicit-def: $vgpr48
	s_and_saveexec_b64 s[28:29], vcc
	s_xor_b64 s[28:29], exec, s[28:29]
; %bb.2258:                             ;   in Loop: Header=BB33_2121 Depth=4
	v_bfe_u32 v48, v53, 16, 1
	v_add3_u32 v48, v53, v48, s96
                                        ; implicit-def: $vgpr53
; %bb.2259:                             ;   in Loop: Header=BB33_2121 Depth=4
	s_andn2_saveexec_b64 s[28:29], s[28:29]
; %bb.2260:                             ;   in Loop: Header=BB33_2121 Depth=4
	v_or_b32_e32 v48, 0x10000, v53
	v_cmp_eq_u32_sdwa vcc, v53, v3 src0_sel:WORD_0 src1_sel:DWORD
	s_nop 1
	v_cndmask_b32_e32 v48, v48, v53, vcc
; %bb.2261:                             ;   in Loop: Header=BB33_2121 Depth=4
	s_or_b64 exec, exec, s[28:29]
	v_and_b32_e32 v37, 0xffff0000, v37
	v_and_b32_e32 v49, 0xffff0000, v49
	v_max_f32_e32 v49, v49, v49
	v_max_f32_e32 v37, v37, v37
	v_min_f32_e32 v53, v37, v49
	v_max_f32_e32 v37, v37, v49
	v_cndmask_b32_e64 v49, v37, v53, s[22:23]
	v_and_b32_e32 v37, 0x7f800000, v49
	v_cmp_ne_u32_e32 vcc, s87, v37
                                        ; implicit-def: $vgpr37
	s_and_saveexec_b64 s[28:29], vcc
	s_xor_b64 s[28:29], exec, s[28:29]
; %bb.2262:                             ;   in Loop: Header=BB33_2121 Depth=4
	v_bfe_u32 v37, v49, 16, 1
	v_add3_u32 v37, v49, v37, s96
                                        ; implicit-def: $vgpr49
; %bb.2263:                             ;   in Loop: Header=BB33_2121 Depth=4
	s_andn2_saveexec_b64 s[28:29], s[28:29]
; %bb.2264:                             ;   in Loop: Header=BB33_2121 Depth=4
	v_or_b32_e32 v37, 0x10000, v49
	v_cmp_eq_u32_sdwa vcc, v49, v3 src0_sel:WORD_0 src1_sel:DWORD
	s_nop 1
	v_cndmask_b32_e32 v37, v37, v49, vcc
; %bb.2265:                             ;   in Loop: Header=BB33_2121 Depth=4
	s_or_b64 exec, exec, s[28:29]
	v_lshlrev_b32_e32 v49, 16, v38
	v_lshlrev_b32_e32 v53, 16, v50
	v_max_f32_e32 v53, v53, v53
	v_max_f32_e32 v49, v49, v49
	v_min_f32_e32 v54, v49, v53
	v_max_f32_e32 v49, v49, v53
	v_cndmask_b32_e64 v53, v49, v54, s[22:23]
	v_and_b32_e32 v49, 0x7f800000, v53
	v_cmp_ne_u32_e32 vcc, s87, v49
                                        ; implicit-def: $vgpr49
	s_and_saveexec_b64 s[28:29], vcc
	s_xor_b64 s[28:29], exec, s[28:29]
; %bb.2266:                             ;   in Loop: Header=BB33_2121 Depth=4
	v_bfe_u32 v49, v53, 16, 1
	v_add3_u32 v49, v53, v49, s96
                                        ; implicit-def: $vgpr53
; %bb.2267:                             ;   in Loop: Header=BB33_2121 Depth=4
	s_andn2_saveexec_b64 s[28:29], s[28:29]
; %bb.2268:                             ;   in Loop: Header=BB33_2121 Depth=4
	v_or_b32_e32 v49, 0x10000, v53
	v_cmp_eq_u32_sdwa vcc, v53, v3 src0_sel:WORD_0 src1_sel:DWORD
	s_nop 1
	v_cndmask_b32_e32 v49, v49, v53, vcc
; %bb.2269:                             ;   in Loop: Header=BB33_2121 Depth=4
	s_or_b64 exec, exec, s[28:29]
	v_and_b32_e32 v38, 0xffff0000, v38
	v_and_b32_e32 v50, 0xffff0000, v50
	v_max_f32_e32 v50, v50, v50
	v_max_f32_e32 v38, v38, v38
	v_min_f32_e32 v53, v38, v50
	v_max_f32_e32 v38, v38, v50
	v_cndmask_b32_e64 v50, v38, v53, s[22:23]
	v_and_b32_e32 v38, 0x7f800000, v50
	v_cmp_ne_u32_e32 vcc, s87, v38
                                        ; implicit-def: $vgpr38
	s_and_saveexec_b64 s[28:29], vcc
	s_xor_b64 s[28:29], exec, s[28:29]
; %bb.2270:                             ;   in Loop: Header=BB33_2121 Depth=4
	v_bfe_u32 v38, v50, 16, 1
	v_add3_u32 v38, v50, v38, s96
                                        ; implicit-def: $vgpr50
; %bb.2271:                             ;   in Loop: Header=BB33_2121 Depth=4
	s_andn2_saveexec_b64 s[28:29], s[28:29]
; %bb.2272:                             ;   in Loop: Header=BB33_2121 Depth=4
	v_or_b32_e32 v38, 0x10000, v50
	v_cmp_eq_u32_sdwa vcc, v50, v3 src0_sel:WORD_0 src1_sel:DWORD
	s_nop 1
	v_cndmask_b32_e32 v38, v38, v50, vcc
; %bb.2273:                             ;   in Loop: Header=BB33_2121 Depth=4
	s_or_b64 exec, exec, s[28:29]
	v_lshlrev_b32_e32 v50, 16, v39
	v_lshlrev_b32_e32 v53, 16, v51
	v_max_f32_e32 v53, v53, v53
	v_max_f32_e32 v50, v50, v50
	v_min_f32_e32 v54, v50, v53
	v_max_f32_e32 v50, v50, v53
	v_cndmask_b32_e64 v53, v50, v54, s[22:23]
	v_and_b32_e32 v50, 0x7f800000, v53
	v_cmp_ne_u32_e32 vcc, s87, v50
                                        ; implicit-def: $vgpr50
	s_and_saveexec_b64 s[28:29], vcc
	s_xor_b64 s[28:29], exec, s[28:29]
; %bb.2274:                             ;   in Loop: Header=BB33_2121 Depth=4
	v_bfe_u32 v50, v53, 16, 1
	v_add3_u32 v50, v53, v50, s96
                                        ; implicit-def: $vgpr53
; %bb.2275:                             ;   in Loop: Header=BB33_2121 Depth=4
	s_andn2_saveexec_b64 s[28:29], s[28:29]
; %bb.2276:                             ;   in Loop: Header=BB33_2121 Depth=4
	v_or_b32_e32 v50, 0x10000, v53
	v_cmp_eq_u32_sdwa vcc, v53, v3 src0_sel:WORD_0 src1_sel:DWORD
	s_nop 1
	v_cndmask_b32_e32 v50, v50, v53, vcc
; %bb.2277:                             ;   in Loop: Header=BB33_2121 Depth=4
	s_or_b64 exec, exec, s[28:29]
	v_and_b32_e32 v39, 0xffff0000, v39
	v_and_b32_e32 v51, 0xffff0000, v51
	v_max_f32_e32 v51, v51, v51
	v_max_f32_e32 v39, v39, v39
	v_min_f32_e32 v53, v39, v51
	v_max_f32_e32 v39, v39, v51
	v_cndmask_b32_e64 v51, v39, v53, s[22:23]
	v_and_b32_e32 v39, 0x7f800000, v51
	v_cmp_ne_u32_e32 vcc, s87, v39
                                        ; implicit-def: $vgpr39
	s_and_saveexec_b64 s[28:29], vcc
	s_xor_b64 s[28:29], exec, s[28:29]
; %bb.2278:                             ;   in Loop: Header=BB33_2121 Depth=4
	v_bfe_u32 v39, v51, 16, 1
	v_add3_u32 v39, v51, v39, s96
                                        ; implicit-def: $vgpr51
; %bb.2279:                             ;   in Loop: Header=BB33_2121 Depth=4
	s_andn2_saveexec_b64 s[28:29], s[28:29]
; %bb.2280:                             ;   in Loop: Header=BB33_2121 Depth=4
	v_or_b32_e32 v39, 0x10000, v51
	v_cmp_eq_u32_sdwa vcc, v51, v3 src0_sel:WORD_0 src1_sel:DWORD
	s_nop 1
	v_cndmask_b32_e32 v39, v39, v51, vcc
; %bb.2281:                             ;   in Loop: Header=BB33_2121 Depth=4
	s_or_b64 exec, exec, s[28:29]
	v_lshrrev_b32_e32 v48, 16, v48
	v_and_or_b32 v37, v37, s97, v48
	v_lshrrev_b32_e32 v48, 16, v52
	v_and_or_b32 v36, v36, s97, v48
	;; [unrolled: 2-line block ×4, first 2 shown]
	global_store_dwordx4 v[100:101], v[36:39], off offset:-3072
	s_waitcnt vmcnt(10)
	s_nop 0
	v_lshlrev_b32_e32 v36, 16, v24
	s_waitcnt vmcnt(9)
	v_lshlrev_b32_e32 v37, 16, v32
	v_max_f32_e32 v37, v37, v37
	v_max_f32_e32 v36, v36, v36
	v_min_f32_e32 v38, v36, v37
	v_max_f32_e32 v36, v36, v37
	v_cndmask_b32_e64 v37, v36, v38, s[22:23]
	v_and_b32_e32 v36, 0x7f800000, v37
	v_cmp_ne_u32_e32 vcc, s87, v36
                                        ; implicit-def: $vgpr36
	s_and_saveexec_b64 s[28:29], vcc
	s_xor_b64 s[28:29], exec, s[28:29]
; %bb.2282:                             ;   in Loop: Header=BB33_2121 Depth=4
	v_bfe_u32 v36, v37, 16, 1
	v_add3_u32 v36, v37, v36, s96
                                        ; implicit-def: $vgpr37
; %bb.2283:                             ;   in Loop: Header=BB33_2121 Depth=4
	s_andn2_saveexec_b64 s[28:29], s[28:29]
; %bb.2284:                             ;   in Loop: Header=BB33_2121 Depth=4
	v_or_b32_e32 v36, 0x10000, v37
	v_cmp_eq_u32_sdwa vcc, v37, v3 src0_sel:WORD_0 src1_sel:DWORD
	s_nop 1
	v_cndmask_b32_e32 v36, v36, v37, vcc
; %bb.2285:                             ;   in Loop: Header=BB33_2121 Depth=4
	s_or_b64 exec, exec, s[28:29]
	v_and_b32_e32 v24, 0xffff0000, v24
	v_and_b32_e32 v32, 0xffff0000, v32
	v_max_f32_e32 v32, v32, v32
	v_max_f32_e32 v24, v24, v24
	v_min_f32_e32 v37, v24, v32
	v_max_f32_e32 v24, v24, v32
	v_cndmask_b32_e64 v32, v24, v37, s[22:23]
	v_and_b32_e32 v24, 0x7f800000, v32
	v_cmp_ne_u32_e32 vcc, s87, v24
                                        ; implicit-def: $vgpr24
	s_and_saveexec_b64 s[28:29], vcc
	s_xor_b64 s[28:29], exec, s[28:29]
; %bb.2286:                             ;   in Loop: Header=BB33_2121 Depth=4
	v_bfe_u32 v24, v32, 16, 1
	v_add3_u32 v24, v32, v24, s96
                                        ; implicit-def: $vgpr32
; %bb.2287:                             ;   in Loop: Header=BB33_2121 Depth=4
	s_andn2_saveexec_b64 s[28:29], s[28:29]
; %bb.2288:                             ;   in Loop: Header=BB33_2121 Depth=4
	v_or_b32_e32 v24, 0x10000, v32
	v_cmp_eq_u32_sdwa vcc, v32, v3 src0_sel:WORD_0 src1_sel:DWORD
	s_nop 1
	v_cndmask_b32_e32 v24, v24, v32, vcc
; %bb.2289:                             ;   in Loop: Header=BB33_2121 Depth=4
	s_or_b64 exec, exec, s[28:29]
	v_lshlrev_b32_e32 v32, 16, v25
	v_lshlrev_b32_e32 v37, 16, v33
	v_max_f32_e32 v37, v37, v37
	v_max_f32_e32 v32, v32, v32
	v_min_f32_e32 v38, v32, v37
	v_max_f32_e32 v32, v32, v37
	v_cndmask_b32_e64 v37, v32, v38, s[22:23]
	v_and_b32_e32 v32, 0x7f800000, v37
	v_cmp_ne_u32_e32 vcc, s87, v32
                                        ; implicit-def: $vgpr32
	s_and_saveexec_b64 s[28:29], vcc
	s_xor_b64 s[28:29], exec, s[28:29]
; %bb.2290:                             ;   in Loop: Header=BB33_2121 Depth=4
	v_bfe_u32 v32, v37, 16, 1
	v_add3_u32 v32, v37, v32, s96
                                        ; implicit-def: $vgpr37
; %bb.2291:                             ;   in Loop: Header=BB33_2121 Depth=4
	s_andn2_saveexec_b64 s[28:29], s[28:29]
; %bb.2292:                             ;   in Loop: Header=BB33_2121 Depth=4
	v_or_b32_e32 v32, 0x10000, v37
	v_cmp_eq_u32_sdwa vcc, v37, v3 src0_sel:WORD_0 src1_sel:DWORD
	s_nop 1
	v_cndmask_b32_e32 v32, v32, v37, vcc
; %bb.2293:                             ;   in Loop: Header=BB33_2121 Depth=4
	s_or_b64 exec, exec, s[28:29]
	v_and_b32_e32 v25, 0xffff0000, v25
	v_and_b32_e32 v33, 0xffff0000, v33
	v_max_f32_e32 v33, v33, v33
	v_max_f32_e32 v25, v25, v25
	v_min_f32_e32 v37, v25, v33
	v_max_f32_e32 v25, v25, v33
	v_cndmask_b32_e64 v33, v25, v37, s[22:23]
	v_and_b32_e32 v25, 0x7f800000, v33
	v_cmp_ne_u32_e32 vcc, s87, v25
                                        ; implicit-def: $vgpr25
	s_and_saveexec_b64 s[28:29], vcc
	s_xor_b64 s[28:29], exec, s[28:29]
; %bb.2294:                             ;   in Loop: Header=BB33_2121 Depth=4
	v_bfe_u32 v25, v33, 16, 1
	v_add3_u32 v25, v33, v25, s96
                                        ; implicit-def: $vgpr33
; %bb.2295:                             ;   in Loop: Header=BB33_2121 Depth=4
	s_andn2_saveexec_b64 s[28:29], s[28:29]
; %bb.2296:                             ;   in Loop: Header=BB33_2121 Depth=4
	v_or_b32_e32 v25, 0x10000, v33
	v_cmp_eq_u32_sdwa vcc, v33, v3 src0_sel:WORD_0 src1_sel:DWORD
	s_nop 1
	v_cndmask_b32_e32 v25, v25, v33, vcc
; %bb.2297:                             ;   in Loop: Header=BB33_2121 Depth=4
	s_or_b64 exec, exec, s[28:29]
	v_lshlrev_b32_e32 v33, 16, v26
	v_lshlrev_b32_e32 v37, 16, v34
	v_max_f32_e32 v37, v37, v37
	v_max_f32_e32 v33, v33, v33
	v_min_f32_e32 v38, v33, v37
	v_max_f32_e32 v33, v33, v37
	v_cndmask_b32_e64 v37, v33, v38, s[22:23]
	v_and_b32_e32 v33, 0x7f800000, v37
	v_cmp_ne_u32_e32 vcc, s87, v33
                                        ; implicit-def: $vgpr33
	s_and_saveexec_b64 s[28:29], vcc
	s_xor_b64 s[28:29], exec, s[28:29]
; %bb.2298:                             ;   in Loop: Header=BB33_2121 Depth=4
	v_bfe_u32 v33, v37, 16, 1
	v_add3_u32 v33, v37, v33, s96
                                        ; implicit-def: $vgpr37
; %bb.2299:                             ;   in Loop: Header=BB33_2121 Depth=4
	s_andn2_saveexec_b64 s[28:29], s[28:29]
; %bb.2300:                             ;   in Loop: Header=BB33_2121 Depth=4
	v_or_b32_e32 v33, 0x10000, v37
	v_cmp_eq_u32_sdwa vcc, v37, v3 src0_sel:WORD_0 src1_sel:DWORD
	s_nop 1
	v_cndmask_b32_e32 v33, v33, v37, vcc
; %bb.2301:                             ;   in Loop: Header=BB33_2121 Depth=4
	s_or_b64 exec, exec, s[28:29]
	v_and_b32_e32 v26, 0xffff0000, v26
	v_and_b32_e32 v34, 0xffff0000, v34
	v_max_f32_e32 v34, v34, v34
	v_max_f32_e32 v26, v26, v26
	v_min_f32_e32 v37, v26, v34
	v_max_f32_e32 v26, v26, v34
	v_cndmask_b32_e64 v34, v26, v37, s[22:23]
	v_and_b32_e32 v26, 0x7f800000, v34
	v_cmp_ne_u32_e32 vcc, s87, v26
                                        ; implicit-def: $vgpr26
	s_and_saveexec_b64 s[28:29], vcc
	s_xor_b64 s[28:29], exec, s[28:29]
; %bb.2302:                             ;   in Loop: Header=BB33_2121 Depth=4
	v_bfe_u32 v26, v34, 16, 1
	v_add3_u32 v26, v34, v26, s96
                                        ; implicit-def: $vgpr34
; %bb.2303:                             ;   in Loop: Header=BB33_2121 Depth=4
	s_andn2_saveexec_b64 s[28:29], s[28:29]
; %bb.2304:                             ;   in Loop: Header=BB33_2121 Depth=4
	v_or_b32_e32 v26, 0x10000, v34
	v_cmp_eq_u32_sdwa vcc, v34, v3 src0_sel:WORD_0 src1_sel:DWORD
	s_nop 1
	v_cndmask_b32_e32 v26, v26, v34, vcc
; %bb.2305:                             ;   in Loop: Header=BB33_2121 Depth=4
	s_or_b64 exec, exec, s[28:29]
	v_lshlrev_b32_e32 v34, 16, v27
	v_lshlrev_b32_e32 v37, 16, v35
	v_max_f32_e32 v37, v37, v37
	v_max_f32_e32 v34, v34, v34
	v_min_f32_e32 v38, v34, v37
	v_max_f32_e32 v34, v34, v37
	v_cndmask_b32_e64 v37, v34, v38, s[22:23]
	v_and_b32_e32 v34, 0x7f800000, v37
	v_cmp_ne_u32_e32 vcc, s87, v34
                                        ; implicit-def: $vgpr34
	s_and_saveexec_b64 s[28:29], vcc
	s_xor_b64 s[28:29], exec, s[28:29]
; %bb.2306:                             ;   in Loop: Header=BB33_2121 Depth=4
	v_bfe_u32 v34, v37, 16, 1
	v_add3_u32 v34, v37, v34, s96
                                        ; implicit-def: $vgpr37
; %bb.2307:                             ;   in Loop: Header=BB33_2121 Depth=4
	s_andn2_saveexec_b64 s[28:29], s[28:29]
; %bb.2308:                             ;   in Loop: Header=BB33_2121 Depth=4
	v_or_b32_e32 v34, 0x10000, v37
	v_cmp_eq_u32_sdwa vcc, v37, v3 src0_sel:WORD_0 src1_sel:DWORD
	s_nop 1
	v_cndmask_b32_e32 v34, v34, v37, vcc
; %bb.2309:                             ;   in Loop: Header=BB33_2121 Depth=4
	s_or_b64 exec, exec, s[28:29]
	v_and_b32_e32 v27, 0xffff0000, v27
	v_and_b32_e32 v35, 0xffff0000, v35
	v_max_f32_e32 v35, v35, v35
	v_max_f32_e32 v27, v27, v27
	v_min_f32_e32 v37, v27, v35
	v_max_f32_e32 v27, v27, v35
	v_cndmask_b32_e64 v35, v27, v37, s[22:23]
	v_and_b32_e32 v27, 0x7f800000, v35
	v_cmp_ne_u32_e32 vcc, s87, v27
                                        ; implicit-def: $vgpr27
	s_and_saveexec_b64 s[28:29], vcc
	s_xor_b64 s[28:29], exec, s[28:29]
; %bb.2310:                             ;   in Loop: Header=BB33_2121 Depth=4
	v_bfe_u32 v27, v35, 16, 1
	v_add3_u32 v27, v35, v27, s96
                                        ; implicit-def: $vgpr35
; %bb.2311:                             ;   in Loop: Header=BB33_2121 Depth=4
	s_andn2_saveexec_b64 s[28:29], s[28:29]
; %bb.2312:                             ;   in Loop: Header=BB33_2121 Depth=4
	v_or_b32_e32 v27, 0x10000, v35
	v_cmp_eq_u32_sdwa vcc, v35, v3 src0_sel:WORD_0 src1_sel:DWORD
	s_nop 1
	v_cndmask_b32_e32 v27, v27, v35, vcc
; %bb.2313:                             ;   in Loop: Header=BB33_2121 Depth=4
	s_or_b64 exec, exec, s[28:29]
	v_lshrrev_b32_e32 v32, 16, v32
	v_and_or_b32 v25, v25, s97, v32
	v_lshrrev_b32_e32 v32, 16, v36
	v_and_or_b32 v24, v24, s97, v32
	;; [unrolled: 2-line block ×4, first 2 shown]
	global_store_dwordx4 v[100:101], v[24:27], off offset:-2048
	s_waitcnt vmcnt(9)
	s_nop 0
	v_lshlrev_b32_e32 v24, 16, v16
	s_waitcnt vmcnt(8)
	v_lshlrev_b32_e32 v25, 16, v20
	v_max_f32_e32 v25, v25, v25
	v_max_f32_e32 v24, v24, v24
	v_min_f32_e32 v26, v24, v25
	v_max_f32_e32 v24, v24, v25
	v_cndmask_b32_e64 v25, v24, v26, s[22:23]
	v_and_b32_e32 v24, 0x7f800000, v25
	v_cmp_ne_u32_e32 vcc, s87, v24
                                        ; implicit-def: $vgpr24
	s_and_saveexec_b64 s[28:29], vcc
	s_xor_b64 s[28:29], exec, s[28:29]
; %bb.2314:                             ;   in Loop: Header=BB33_2121 Depth=4
	v_bfe_u32 v24, v25, 16, 1
	v_add3_u32 v24, v25, v24, s96
                                        ; implicit-def: $vgpr25
; %bb.2315:                             ;   in Loop: Header=BB33_2121 Depth=4
	s_andn2_saveexec_b64 s[28:29], s[28:29]
; %bb.2316:                             ;   in Loop: Header=BB33_2121 Depth=4
	v_or_b32_e32 v24, 0x10000, v25
	v_cmp_eq_u32_sdwa vcc, v25, v3 src0_sel:WORD_0 src1_sel:DWORD
	s_nop 1
	v_cndmask_b32_e32 v24, v24, v25, vcc
; %bb.2317:                             ;   in Loop: Header=BB33_2121 Depth=4
	s_or_b64 exec, exec, s[28:29]
	v_and_b32_e32 v16, 0xffff0000, v16
	v_and_b32_e32 v20, 0xffff0000, v20
	v_max_f32_e32 v20, v20, v20
	v_max_f32_e32 v16, v16, v16
	v_min_f32_e32 v25, v16, v20
	v_max_f32_e32 v16, v16, v20
	v_cndmask_b32_e64 v20, v16, v25, s[22:23]
	v_and_b32_e32 v16, 0x7f800000, v20
	v_cmp_ne_u32_e32 vcc, s87, v16
                                        ; implicit-def: $vgpr16
	s_and_saveexec_b64 s[28:29], vcc
	s_xor_b64 s[28:29], exec, s[28:29]
; %bb.2318:                             ;   in Loop: Header=BB33_2121 Depth=4
	v_bfe_u32 v16, v20, 16, 1
	v_add3_u32 v16, v20, v16, s96
                                        ; implicit-def: $vgpr20
; %bb.2319:                             ;   in Loop: Header=BB33_2121 Depth=4
	s_andn2_saveexec_b64 s[28:29], s[28:29]
; %bb.2320:                             ;   in Loop: Header=BB33_2121 Depth=4
	v_or_b32_e32 v16, 0x10000, v20
	v_cmp_eq_u32_sdwa vcc, v20, v3 src0_sel:WORD_0 src1_sel:DWORD
	s_nop 1
	v_cndmask_b32_e32 v16, v16, v20, vcc
; %bb.2321:                             ;   in Loop: Header=BB33_2121 Depth=4
	s_or_b64 exec, exec, s[28:29]
	v_lshlrev_b32_e32 v20, 16, v17
	v_lshlrev_b32_e32 v25, 16, v21
	v_max_f32_e32 v25, v25, v25
	v_max_f32_e32 v20, v20, v20
	v_min_f32_e32 v26, v20, v25
	v_max_f32_e32 v20, v20, v25
	v_cndmask_b32_e64 v25, v20, v26, s[22:23]
	v_and_b32_e32 v20, 0x7f800000, v25
	v_cmp_ne_u32_e32 vcc, s87, v20
                                        ; implicit-def: $vgpr20
	s_and_saveexec_b64 s[28:29], vcc
	s_xor_b64 s[28:29], exec, s[28:29]
; %bb.2322:                             ;   in Loop: Header=BB33_2121 Depth=4
	v_bfe_u32 v20, v25, 16, 1
	v_add3_u32 v20, v25, v20, s96
                                        ; implicit-def: $vgpr25
; %bb.2323:                             ;   in Loop: Header=BB33_2121 Depth=4
	s_andn2_saveexec_b64 s[28:29], s[28:29]
; %bb.2324:                             ;   in Loop: Header=BB33_2121 Depth=4
	v_or_b32_e32 v20, 0x10000, v25
	v_cmp_eq_u32_sdwa vcc, v25, v3 src0_sel:WORD_0 src1_sel:DWORD
	s_nop 1
	v_cndmask_b32_e32 v20, v20, v25, vcc
; %bb.2325:                             ;   in Loop: Header=BB33_2121 Depth=4
	s_or_b64 exec, exec, s[28:29]
	v_and_b32_e32 v17, 0xffff0000, v17
	v_and_b32_e32 v21, 0xffff0000, v21
	v_max_f32_e32 v21, v21, v21
	v_max_f32_e32 v17, v17, v17
	v_min_f32_e32 v25, v17, v21
	v_max_f32_e32 v17, v17, v21
	v_cndmask_b32_e64 v21, v17, v25, s[22:23]
	v_and_b32_e32 v17, 0x7f800000, v21
	v_cmp_ne_u32_e32 vcc, s87, v17
                                        ; implicit-def: $vgpr17
	s_and_saveexec_b64 s[28:29], vcc
	s_xor_b64 s[28:29], exec, s[28:29]
; %bb.2326:                             ;   in Loop: Header=BB33_2121 Depth=4
	v_bfe_u32 v17, v21, 16, 1
	v_add3_u32 v17, v21, v17, s96
                                        ; implicit-def: $vgpr21
; %bb.2327:                             ;   in Loop: Header=BB33_2121 Depth=4
	s_andn2_saveexec_b64 s[28:29], s[28:29]
; %bb.2328:                             ;   in Loop: Header=BB33_2121 Depth=4
	v_or_b32_e32 v17, 0x10000, v21
	v_cmp_eq_u32_sdwa vcc, v21, v3 src0_sel:WORD_0 src1_sel:DWORD
	s_nop 1
	v_cndmask_b32_e32 v17, v17, v21, vcc
; %bb.2329:                             ;   in Loop: Header=BB33_2121 Depth=4
	s_or_b64 exec, exec, s[28:29]
	v_lshlrev_b32_e32 v21, 16, v18
	v_lshlrev_b32_e32 v25, 16, v22
	v_max_f32_e32 v25, v25, v25
	v_max_f32_e32 v21, v21, v21
	v_min_f32_e32 v26, v21, v25
	v_max_f32_e32 v21, v21, v25
	v_cndmask_b32_e64 v25, v21, v26, s[22:23]
	v_and_b32_e32 v21, 0x7f800000, v25
	v_cmp_ne_u32_e32 vcc, s87, v21
                                        ; implicit-def: $vgpr21
	s_and_saveexec_b64 s[28:29], vcc
	s_xor_b64 s[28:29], exec, s[28:29]
; %bb.2330:                             ;   in Loop: Header=BB33_2121 Depth=4
	v_bfe_u32 v21, v25, 16, 1
	v_add3_u32 v21, v25, v21, s96
                                        ; implicit-def: $vgpr25
; %bb.2331:                             ;   in Loop: Header=BB33_2121 Depth=4
	s_andn2_saveexec_b64 s[28:29], s[28:29]
; %bb.2332:                             ;   in Loop: Header=BB33_2121 Depth=4
	v_or_b32_e32 v21, 0x10000, v25
	v_cmp_eq_u32_sdwa vcc, v25, v3 src0_sel:WORD_0 src1_sel:DWORD
	s_nop 1
	v_cndmask_b32_e32 v21, v21, v25, vcc
; %bb.2333:                             ;   in Loop: Header=BB33_2121 Depth=4
	s_or_b64 exec, exec, s[28:29]
	v_and_b32_e32 v18, 0xffff0000, v18
	v_and_b32_e32 v22, 0xffff0000, v22
	v_max_f32_e32 v22, v22, v22
	v_max_f32_e32 v18, v18, v18
	v_min_f32_e32 v25, v18, v22
	v_max_f32_e32 v18, v18, v22
	v_cndmask_b32_e64 v22, v18, v25, s[22:23]
	v_and_b32_e32 v18, 0x7f800000, v22
	v_cmp_ne_u32_e32 vcc, s87, v18
                                        ; implicit-def: $vgpr18
	s_and_saveexec_b64 s[28:29], vcc
	s_xor_b64 s[28:29], exec, s[28:29]
; %bb.2334:                             ;   in Loop: Header=BB33_2121 Depth=4
	v_bfe_u32 v18, v22, 16, 1
	v_add3_u32 v18, v22, v18, s96
                                        ; implicit-def: $vgpr22
; %bb.2335:                             ;   in Loop: Header=BB33_2121 Depth=4
	s_andn2_saveexec_b64 s[28:29], s[28:29]
; %bb.2336:                             ;   in Loop: Header=BB33_2121 Depth=4
	v_or_b32_e32 v18, 0x10000, v22
	v_cmp_eq_u32_sdwa vcc, v22, v3 src0_sel:WORD_0 src1_sel:DWORD
	s_nop 1
	v_cndmask_b32_e32 v18, v18, v22, vcc
; %bb.2337:                             ;   in Loop: Header=BB33_2121 Depth=4
	s_or_b64 exec, exec, s[28:29]
	v_lshlrev_b32_e32 v22, 16, v19
	v_lshlrev_b32_e32 v25, 16, v23
	v_max_f32_e32 v25, v25, v25
	v_max_f32_e32 v22, v22, v22
	v_min_f32_e32 v26, v22, v25
	v_max_f32_e32 v22, v22, v25
	v_cndmask_b32_e64 v25, v22, v26, s[22:23]
	v_and_b32_e32 v22, 0x7f800000, v25
	v_cmp_ne_u32_e32 vcc, s87, v22
                                        ; implicit-def: $vgpr22
	s_and_saveexec_b64 s[28:29], vcc
	s_xor_b64 s[28:29], exec, s[28:29]
; %bb.2338:                             ;   in Loop: Header=BB33_2121 Depth=4
	v_bfe_u32 v22, v25, 16, 1
	v_add3_u32 v22, v25, v22, s96
                                        ; implicit-def: $vgpr25
; %bb.2339:                             ;   in Loop: Header=BB33_2121 Depth=4
	s_andn2_saveexec_b64 s[28:29], s[28:29]
; %bb.2340:                             ;   in Loop: Header=BB33_2121 Depth=4
	v_or_b32_e32 v22, 0x10000, v25
	v_cmp_eq_u32_sdwa vcc, v25, v3 src0_sel:WORD_0 src1_sel:DWORD
	s_nop 1
	v_cndmask_b32_e32 v22, v22, v25, vcc
; %bb.2341:                             ;   in Loop: Header=BB33_2121 Depth=4
	s_or_b64 exec, exec, s[28:29]
	v_and_b32_e32 v19, 0xffff0000, v19
	v_and_b32_e32 v23, 0xffff0000, v23
	v_max_f32_e32 v23, v23, v23
	v_max_f32_e32 v19, v19, v19
	v_min_f32_e32 v25, v19, v23
	v_max_f32_e32 v19, v19, v23
	v_cndmask_b32_e64 v23, v19, v25, s[22:23]
	v_and_b32_e32 v19, 0x7f800000, v23
	v_cmp_ne_u32_e32 vcc, s87, v19
                                        ; implicit-def: $vgpr19
	s_and_saveexec_b64 s[28:29], vcc
	s_xor_b64 s[28:29], exec, s[28:29]
; %bb.2342:                             ;   in Loop: Header=BB33_2121 Depth=4
	v_bfe_u32 v19, v23, 16, 1
	v_add3_u32 v19, v23, v19, s96
                                        ; implicit-def: $vgpr23
; %bb.2343:                             ;   in Loop: Header=BB33_2121 Depth=4
	s_andn2_saveexec_b64 s[28:29], s[28:29]
; %bb.2344:                             ;   in Loop: Header=BB33_2121 Depth=4
	v_or_b32_e32 v19, 0x10000, v23
	v_cmp_eq_u32_sdwa vcc, v23, v3 src0_sel:WORD_0 src1_sel:DWORD
	s_nop 1
	v_cndmask_b32_e32 v19, v19, v23, vcc
; %bb.2345:                             ;   in Loop: Header=BB33_2121 Depth=4
	s_or_b64 exec, exec, s[28:29]
	v_lshrrev_b32_e32 v20, 16, v20
	v_and_or_b32 v17, v17, s97, v20
	v_lshrrev_b32_e32 v20, 16, v24
	v_and_or_b32 v16, v16, s97, v20
	;; [unrolled: 2-line block ×4, first 2 shown]
	global_store_dwordx4 v[100:101], v[16:19], off offset:-1024
	s_waitcnt vmcnt(8)
	s_nop 0
	v_lshlrev_b32_e32 v16, 16, v8
	s_waitcnt vmcnt(7)
	v_lshlrev_b32_e32 v17, 16, v12
	v_max_f32_e32 v17, v17, v17
	v_max_f32_e32 v16, v16, v16
	v_min_f32_e32 v18, v16, v17
	v_max_f32_e32 v16, v16, v17
	v_cndmask_b32_e64 v17, v16, v18, s[22:23]
	v_and_b32_e32 v16, 0x7f800000, v17
	v_cmp_ne_u32_e32 vcc, s87, v16
                                        ; implicit-def: $vgpr16
	s_and_saveexec_b64 s[28:29], vcc
	s_xor_b64 s[28:29], exec, s[28:29]
; %bb.2346:                             ;   in Loop: Header=BB33_2121 Depth=4
	v_bfe_u32 v16, v17, 16, 1
	v_add3_u32 v16, v17, v16, s96
                                        ; implicit-def: $vgpr17
; %bb.2347:                             ;   in Loop: Header=BB33_2121 Depth=4
	s_andn2_saveexec_b64 s[28:29], s[28:29]
; %bb.2348:                             ;   in Loop: Header=BB33_2121 Depth=4
	v_or_b32_e32 v16, 0x10000, v17
	v_cmp_eq_u32_sdwa vcc, v17, v3 src0_sel:WORD_0 src1_sel:DWORD
	s_nop 1
	v_cndmask_b32_e32 v16, v16, v17, vcc
; %bb.2349:                             ;   in Loop: Header=BB33_2121 Depth=4
	s_or_b64 exec, exec, s[28:29]
	v_and_b32_e32 v8, 0xffff0000, v8
	v_and_b32_e32 v12, 0xffff0000, v12
	v_max_f32_e32 v12, v12, v12
	v_max_f32_e32 v8, v8, v8
	v_min_f32_e32 v17, v8, v12
	v_max_f32_e32 v8, v8, v12
	v_cndmask_b32_e64 v12, v8, v17, s[22:23]
	v_and_b32_e32 v8, 0x7f800000, v12
	v_cmp_ne_u32_e32 vcc, s87, v8
                                        ; implicit-def: $vgpr8
	s_and_saveexec_b64 s[28:29], vcc
	s_xor_b64 s[28:29], exec, s[28:29]
; %bb.2350:                             ;   in Loop: Header=BB33_2121 Depth=4
	v_bfe_u32 v8, v12, 16, 1
	v_add3_u32 v8, v12, v8, s96
                                        ; implicit-def: $vgpr12
; %bb.2351:                             ;   in Loop: Header=BB33_2121 Depth=4
	s_andn2_saveexec_b64 s[28:29], s[28:29]
; %bb.2352:                             ;   in Loop: Header=BB33_2121 Depth=4
	v_or_b32_e32 v8, 0x10000, v12
	v_cmp_eq_u32_sdwa vcc, v12, v3 src0_sel:WORD_0 src1_sel:DWORD
	s_nop 1
	v_cndmask_b32_e32 v8, v8, v12, vcc
; %bb.2353:                             ;   in Loop: Header=BB33_2121 Depth=4
	s_or_b64 exec, exec, s[28:29]
	v_lshlrev_b32_e32 v12, 16, v9
	v_lshlrev_b32_e32 v17, 16, v13
	v_max_f32_e32 v17, v17, v17
	v_max_f32_e32 v12, v12, v12
	v_min_f32_e32 v18, v12, v17
	v_max_f32_e32 v12, v12, v17
	v_cndmask_b32_e64 v17, v12, v18, s[22:23]
	v_and_b32_e32 v12, 0x7f800000, v17
	v_cmp_ne_u32_e32 vcc, s87, v12
                                        ; implicit-def: $vgpr12
	s_and_saveexec_b64 s[28:29], vcc
	s_xor_b64 s[28:29], exec, s[28:29]
; %bb.2354:                             ;   in Loop: Header=BB33_2121 Depth=4
	v_bfe_u32 v12, v17, 16, 1
	v_add3_u32 v12, v17, v12, s96
                                        ; implicit-def: $vgpr17
; %bb.2355:                             ;   in Loop: Header=BB33_2121 Depth=4
	s_andn2_saveexec_b64 s[28:29], s[28:29]
; %bb.2356:                             ;   in Loop: Header=BB33_2121 Depth=4
	v_or_b32_e32 v12, 0x10000, v17
	v_cmp_eq_u32_sdwa vcc, v17, v3 src0_sel:WORD_0 src1_sel:DWORD
	s_nop 1
	v_cndmask_b32_e32 v12, v12, v17, vcc
; %bb.2357:                             ;   in Loop: Header=BB33_2121 Depth=4
	s_or_b64 exec, exec, s[28:29]
	v_and_b32_e32 v9, 0xffff0000, v9
	v_and_b32_e32 v13, 0xffff0000, v13
	v_max_f32_e32 v13, v13, v13
	v_max_f32_e32 v9, v9, v9
	v_min_f32_e32 v17, v9, v13
	v_max_f32_e32 v9, v9, v13
	v_cndmask_b32_e64 v13, v9, v17, s[22:23]
	v_and_b32_e32 v9, 0x7f800000, v13
	v_cmp_ne_u32_e32 vcc, s87, v9
                                        ; implicit-def: $vgpr9
	s_and_saveexec_b64 s[28:29], vcc
	s_xor_b64 s[28:29], exec, s[28:29]
; %bb.2358:                             ;   in Loop: Header=BB33_2121 Depth=4
	v_bfe_u32 v9, v13, 16, 1
	v_add3_u32 v9, v13, v9, s96
                                        ; implicit-def: $vgpr13
; %bb.2359:                             ;   in Loop: Header=BB33_2121 Depth=4
	s_andn2_saveexec_b64 s[28:29], s[28:29]
; %bb.2360:                             ;   in Loop: Header=BB33_2121 Depth=4
	v_or_b32_e32 v9, 0x10000, v13
	v_cmp_eq_u32_sdwa vcc, v13, v3 src0_sel:WORD_0 src1_sel:DWORD
	s_nop 1
	v_cndmask_b32_e32 v9, v9, v13, vcc
; %bb.2361:                             ;   in Loop: Header=BB33_2121 Depth=4
	s_or_b64 exec, exec, s[28:29]
	v_lshlrev_b32_e32 v13, 16, v10
	v_lshlrev_b32_e32 v17, 16, v14
	v_max_f32_e32 v17, v17, v17
	v_max_f32_e32 v13, v13, v13
	v_min_f32_e32 v18, v13, v17
	v_max_f32_e32 v13, v13, v17
	v_cndmask_b32_e64 v17, v13, v18, s[22:23]
	v_and_b32_e32 v13, 0x7f800000, v17
	v_cmp_ne_u32_e32 vcc, s87, v13
                                        ; implicit-def: $vgpr13
	s_and_saveexec_b64 s[28:29], vcc
	s_xor_b64 s[28:29], exec, s[28:29]
; %bb.2362:                             ;   in Loop: Header=BB33_2121 Depth=4
	v_bfe_u32 v13, v17, 16, 1
	v_add3_u32 v13, v17, v13, s96
                                        ; implicit-def: $vgpr17
; %bb.2363:                             ;   in Loop: Header=BB33_2121 Depth=4
	s_andn2_saveexec_b64 s[28:29], s[28:29]
; %bb.2364:                             ;   in Loop: Header=BB33_2121 Depth=4
	v_or_b32_e32 v13, 0x10000, v17
	v_cmp_eq_u32_sdwa vcc, v17, v3 src0_sel:WORD_0 src1_sel:DWORD
	s_nop 1
	v_cndmask_b32_e32 v13, v13, v17, vcc
; %bb.2365:                             ;   in Loop: Header=BB33_2121 Depth=4
	s_or_b64 exec, exec, s[28:29]
	v_and_b32_e32 v10, 0xffff0000, v10
	v_and_b32_e32 v14, 0xffff0000, v14
	v_max_f32_e32 v14, v14, v14
	v_max_f32_e32 v10, v10, v10
	v_min_f32_e32 v17, v10, v14
	v_max_f32_e32 v10, v10, v14
	v_cndmask_b32_e64 v14, v10, v17, s[22:23]
	v_and_b32_e32 v10, 0x7f800000, v14
	v_cmp_ne_u32_e32 vcc, s87, v10
                                        ; implicit-def: $vgpr10
	s_and_saveexec_b64 s[28:29], vcc
	s_xor_b64 s[28:29], exec, s[28:29]
; %bb.2366:                             ;   in Loop: Header=BB33_2121 Depth=4
	v_bfe_u32 v10, v14, 16, 1
	v_add3_u32 v10, v14, v10, s96
                                        ; implicit-def: $vgpr14
; %bb.2367:                             ;   in Loop: Header=BB33_2121 Depth=4
	s_andn2_saveexec_b64 s[28:29], s[28:29]
; %bb.2368:                             ;   in Loop: Header=BB33_2121 Depth=4
	v_or_b32_e32 v10, 0x10000, v14
	v_cmp_eq_u32_sdwa vcc, v14, v3 src0_sel:WORD_0 src1_sel:DWORD
	s_nop 1
	v_cndmask_b32_e32 v10, v10, v14, vcc
; %bb.2369:                             ;   in Loop: Header=BB33_2121 Depth=4
	s_or_b64 exec, exec, s[28:29]
	v_lshlrev_b32_e32 v14, 16, v11
	v_lshlrev_b32_e32 v17, 16, v15
	v_max_f32_e32 v17, v17, v17
	v_max_f32_e32 v14, v14, v14
	v_min_f32_e32 v18, v14, v17
	v_max_f32_e32 v14, v14, v17
	v_cndmask_b32_e64 v17, v14, v18, s[22:23]
	v_and_b32_e32 v14, 0x7f800000, v17
	v_cmp_ne_u32_e32 vcc, s87, v14
                                        ; implicit-def: $vgpr14
	s_and_saveexec_b64 s[28:29], vcc
	s_xor_b64 s[28:29], exec, s[28:29]
; %bb.2370:                             ;   in Loop: Header=BB33_2121 Depth=4
	v_bfe_u32 v14, v17, 16, 1
	v_add3_u32 v14, v17, v14, s96
                                        ; implicit-def: $vgpr17
; %bb.2371:                             ;   in Loop: Header=BB33_2121 Depth=4
	s_andn2_saveexec_b64 s[28:29], s[28:29]
; %bb.2372:                             ;   in Loop: Header=BB33_2121 Depth=4
	v_or_b32_e32 v14, 0x10000, v17
	v_cmp_eq_u32_sdwa vcc, v17, v3 src0_sel:WORD_0 src1_sel:DWORD
	s_nop 1
	v_cndmask_b32_e32 v14, v14, v17, vcc
; %bb.2373:                             ;   in Loop: Header=BB33_2121 Depth=4
	s_or_b64 exec, exec, s[28:29]
	v_and_b32_e32 v11, 0xffff0000, v11
	v_and_b32_e32 v15, 0xffff0000, v15
	v_max_f32_e32 v15, v15, v15
	v_max_f32_e32 v11, v11, v11
	v_min_f32_e32 v17, v11, v15
	v_max_f32_e32 v11, v11, v15
	v_cndmask_b32_e64 v15, v11, v17, s[22:23]
	v_and_b32_e32 v11, 0x7f800000, v15
	v_cmp_ne_u32_e32 vcc, s87, v11
                                        ; implicit-def: $vgpr11
	s_and_saveexec_b64 s[28:29], vcc
	s_xor_b64 s[28:29], exec, s[28:29]
; %bb.2374:                             ;   in Loop: Header=BB33_2121 Depth=4
	v_bfe_u32 v11, v15, 16, 1
	v_add3_u32 v11, v15, v11, s96
                                        ; implicit-def: $vgpr15
; %bb.2375:                             ;   in Loop: Header=BB33_2121 Depth=4
	s_andn2_saveexec_b64 s[28:29], s[28:29]
	s_cbranch_execz .LBB33_2120
; %bb.2376:                             ;   in Loop: Header=BB33_2121 Depth=4
	v_or_b32_e32 v11, 0x10000, v15
	v_cmp_eq_u32_sdwa vcc, v15, v3 src0_sel:WORD_0 src1_sel:DWORD
	s_nop 1
	v_cndmask_b32_e32 v11, v11, v15, vcc
	s_branch .LBB33_2120
.LBB33_2377:                            ;   in Loop: Header=BB33_1814 Depth=3
	s_or_b64 exec, exec, s[26:27]
	scratch_load_dword v109, off, s33 offset:216 ; 4-byte Folded Reload
	scratch_load_dword v110, off, s33 offset:220 ; 4-byte Folded Reload
	;; [unrolled: 1-line block ×3, first 2 shown]
	scratch_load_dwordx2 v[124:125], off, s33 offset:228 ; 8-byte Folded Reload
	scratch_load_dwordx2 v[96:97], off, s33 offset:208 ; 8-byte Folded Reload
	v_mov_b32_e32 v102, 0xc8
	v_mov_b32_e32 v103, 0x90
	;; [unrolled: 1-line block ×4, first 2 shown]
.LBB33_2378:                            ;   in Loop: Header=BB33_1814 Depth=3
	s_or_b64 exec, exec, s[24:25]
	v_lshlrev_b32_e32 v12, 13, v0
	v_cmp_ne_u32_e32 vcc, v2, v12
	s_mov_b64 s[22:23], 0
	v_mov_b32_e32 v0, 0
                                        ; implicit-def: $vgpr14
	s_and_saveexec_b64 s[50:51], vcc
	s_cbranch_execz .LBB33_2384
; %bb.2379:                             ;   in Loop: Header=BB33_1814 Depth=3
	v_lshlrev_b32_e32 v0, 6, v59
	s_waitcnt vmcnt(0)
	v_sub_u32_e32 v0, v110, v0
	v_ashrrev_i32_e32 v8, 31, v0
	v_lshrrev_b32_e32 v8, 26, v8
	v_add_u32_e32 v8, v0, v8
	v_ashrrev_i32_e32 v10, 6, v8
	v_and_b32_e32 v8, 0xffffffc0, v8
	v_sub_u32_e32 v13, v0, v8
	v_sub_u32_e32 v9, v2, v12
	v_lshlrev_b32_e32 v0, 4, v13
	v_lshl_add_u32 v8, v10, 10, v0
	v_ashrrev_i32_e32 v0, 31, v9
	v_lshrrev_b32_e32 v0, 22, v0
	v_add_u32_e32 v0, v9, v0
	v_ashrrev_i32_e32 v11, 10, v0
	v_and_b32_e32 v0, 0xfffffc00, v0
	v_sub_u32_e32 v14, v9, v0
	v_cmp_lt_i32_e32 vcc, 15, v14
	v_sub_u32_e32 v16, v9, v8
	s_nop 0
	v_addc_co_u32_e64 v9, s[22:23], 0, v11, vcc
	v_sub_u32_e32 v15, v9, v10
	v_cmp_lt_i32_e64 s[22:23], 15, v16
	s_and_saveexec_b64 s[52:53], s[22:23]
	s_cbranch_execz .LBB33_2383
; %bb.2380:                             ;   in Loop: Header=BB33_1814 Depth=3
	s_and_b32 s74, s73, 1
	v_add_u32_e32 v8, v8, v12
	s_cmp_eq_u64 s[74:75], 0
	v_ashrrev_i32_e32 v9, 31, v8
	s_mov_b64 s[54:55], 0
	s_cselect_b64 s[22:23], -1, 0
.LBB33_2381:                            ;   Parent Loop BB33_47 Depth=1
                                        ;     Parent Loop BB33_1811 Depth=2
                                        ;       Parent Loop BB33_1814 Depth=3
                                        ; =>      This Inner Loop Header: Depth=4
	v_lshl_add_u64 v[18:19], v[106:107], 0, v[8:9]
	global_load_dwordx4 v[18:21], v[18:19], off nt
	s_nop 0
	global_load_dwordx4 v[22:25], v[8:9], off nt
	v_sub_u32_e32 v16, v16, v76
	v_lshl_add_u64 v[10:11], v[62:63], 0, v[8:9]
	v_lshl_add_u64 v[8:9], v[8:9], 0, v[76:77]
	v_sub_u32_e32 v15, v15, v60
	s_waitcnt vmcnt(0)
	v_and_b32_e32 v17, 0xffff0000, v18
	v_and_b32_e32 v26, 0xffff0000, v22
	v_lshlrev_b32_e32 v18, 16, v18
	v_lshlrev_b32_e32 v22, 16, v22
	v_max_f32_e32 v22, v22, v22
	v_max_f32_e32 v18, v18, v18
	v_min_f32_e32 v27, v18, v22
	v_max_f32_e32 v18, v18, v22
	v_cndmask_b32_e64 v18, v18, v27, s[22:23]
	v_and_b32_e32 v22, 0x7f800000, v18
	v_cmp_eq_u32_e64 s[24:25], s87, v22
	v_bfe_u32 v22, v18, 16, 1
	v_cmp_eq_u32_sdwa s[26:27], v18, v3 src0_sel:WORD_0 src1_sel:DWORD
	v_or_b32_e32 v27, 0x10000, v18
	v_max_f32_e32 v26, v26, v26
	v_max_f32_e32 v17, v17, v17
	v_add3_u32 v22, v18, v22, s96
	v_cndmask_b32_e64 v18, v27, v18, s[26:27]
	v_min_f32_e32 v27, v17, v26
	v_max_f32_e32 v17, v17, v26
	v_cndmask_b32_e64 v17, v17, v27, s[22:23]
	v_and_b32_e32 v26, 0x7f800000, v17
	v_cmp_eq_u32_e64 s[26:27], s87, v26
	v_bfe_u32 v26, v17, 16, 1
	v_cmp_eq_u32_sdwa s[28:29], v17, v3 src0_sel:WORD_0 src1_sel:DWORD
	v_or_b32_e32 v27, 0x10000, v17
	v_add3_u32 v26, v17, v26, s96
	v_cndmask_b32_e64 v17, v27, v17, s[28:29]
	v_and_b32_e32 v27, 0xffff0000, v19
	v_and_b32_e32 v32, 0xffff0000, v23
	v_lshlrev_b32_e32 v19, 16, v19
	v_lshlrev_b32_e32 v23, 16, v23
	v_max_f32_e32 v23, v23, v23
	v_max_f32_e32 v19, v19, v19
	v_min_f32_e32 v33, v19, v23
	v_max_f32_e32 v19, v19, v23
	v_cndmask_b32_e64 v19, v19, v33, s[22:23]
	v_and_b32_e32 v23, 0x7f800000, v19
	v_cmp_eq_u32_e64 s[28:29], s87, v23
	v_bfe_u32 v23, v19, 16, 1
	v_cmp_eq_u32_sdwa s[40:41], v19, v3 src0_sel:WORD_0 src1_sel:DWORD
	v_or_b32_e32 v33, 0x10000, v19
	v_max_f32_e32 v32, v32, v32
	v_max_f32_e32 v27, v27, v27
	v_add3_u32 v23, v19, v23, s96
	v_cndmask_b32_e64 v19, v33, v19, s[40:41]
	v_min_f32_e32 v33, v27, v32
	v_max_f32_e32 v27, v27, v32
	v_cndmask_b32_e64 v27, v27, v33, s[22:23]
	v_and_b32_e32 v32, 0x7f800000, v27
	v_cmp_eq_u32_e64 s[40:41], s87, v32
	v_bfe_u32 v32, v27, 16, 1
	v_cmp_eq_u32_sdwa s[42:43], v27, v3 src0_sel:WORD_0 src1_sel:DWORD
	v_or_b32_e32 v33, 0x10000, v27
	v_add3_u32 v32, v27, v32, s96
	v_cndmask_b32_e64 v27, v33, v27, s[42:43]
	v_and_b32_e32 v33, 0xffff0000, v20
	v_and_b32_e32 v34, 0xffff0000, v24
	v_lshlrev_b32_e32 v20, 16, v20
	v_lshlrev_b32_e32 v24, 16, v24
	v_max_f32_e32 v24, v24, v24
	v_max_f32_e32 v20, v20, v20
	v_min_f32_e32 v35, v20, v24
	v_max_f32_e32 v20, v20, v24
	v_cndmask_b32_e64 v20, v20, v35, s[22:23]
	v_and_b32_e32 v24, 0x7f800000, v20
	v_cmp_eq_u32_e64 s[42:43], s87, v24
	v_bfe_u32 v24, v20, 16, 1
	v_cmp_eq_u32_sdwa s[44:45], v20, v3 src0_sel:WORD_0 src1_sel:DWORD
	v_or_b32_e32 v35, 0x10000, v20
	v_max_f32_e32 v34, v34, v34
	v_max_f32_e32 v33, v33, v33
	v_add3_u32 v24, v20, v24, s96
	v_cndmask_b32_e64 v20, v35, v20, s[44:45]
	v_min_f32_e32 v35, v33, v34
	v_max_f32_e32 v33, v33, v34
	v_cndmask_b32_e64 v33, v33, v35, s[22:23]
	v_and_b32_e32 v34, 0x7f800000, v33
	v_cmp_eq_u32_e64 s[44:45], s87, v34
	v_bfe_u32 v34, v33, 16, 1
	v_cmp_eq_u32_sdwa s[46:47], v33, v3 src0_sel:WORD_0 src1_sel:DWORD
	v_or_b32_e32 v35, 0x10000, v33
	v_add3_u32 v34, v33, v34, s96
	v_cndmask_b32_e64 v33, v35, v33, s[46:47]
	v_and_b32_e32 v35, 0xffff0000, v21
	v_and_b32_e32 v36, 0xffff0000, v25
	v_lshlrev_b32_e32 v21, 16, v21
	v_lshlrev_b32_e32 v25, 16, v25
	v_max_f32_e32 v25, v25, v25
	v_max_f32_e32 v21, v21, v21
	v_min_f32_e32 v37, v21, v25
	v_max_f32_e32 v21, v21, v25
	v_cndmask_b32_e64 v21, v21, v37, s[22:23]
	v_and_b32_e32 v25, 0x7f800000, v21
	v_cmp_eq_u32_e64 s[46:47], s87, v25
	v_bfe_u32 v25, v21, 16, 1
	v_cmp_eq_u32_sdwa s[56:57], v21, v3 src0_sel:WORD_0 src1_sel:DWORD
	v_or_b32_e32 v37, 0x10000, v21
	v_max_f32_e32 v36, v36, v36
	v_max_f32_e32 v35, v35, v35
	v_add3_u32 v25, v21, v25, s96
	v_cndmask_b32_e64 v21, v37, v21, s[56:57]
	v_min_f32_e32 v37, v35, v36
	v_max_f32_e32 v35, v35, v36
	v_cndmask_b32_e64 v35, v35, v37, s[22:23]
	v_and_b32_e32 v36, 0x7f800000, v35
	v_cndmask_b32_e64 v18, v22, v18, s[24:25]
	v_cmp_eq_u32_e64 s[56:57], s87, v36
	v_bfe_u32 v36, v35, 16, 1
	v_cmp_eq_u32_sdwa s[58:59], v35, v3 src0_sel:WORD_0 src1_sel:DWORD
	v_or_b32_e32 v37, 0x10000, v35
	v_cndmask_b32_e64 v17, v26, v17, s[26:27]
	v_cndmask_b32_e64 v20, v24, v20, s[42:43]
	v_lshrrev_b32_e32 v18, 16, v18
	v_add3_u32 v36, v35, v36, s96
	v_cndmask_b32_e64 v35, v37, v35, s[58:59]
	v_cndmask_b32_e64 v19, v23, v19, s[28:29]
	;; [unrolled: 1-line block ×4, first 2 shown]
	v_and_or_b32 v18, v17, s97, v18
	v_lshrrev_b32_e32 v17, 16, v20
	v_cndmask_b32_e64 v22, v32, v27, s[40:41]
	v_cndmask_b32_e64 v24, v36, v35, s[56:57]
	v_lshrrev_b32_e32 v19, 16, v19
	v_and_or_b32 v20, v23, s97, v17
	v_lshrrev_b32_e32 v17, 16, v21
	v_cmp_gt_i32_e64 s[24:25], 16, v16
	v_and_or_b32 v19, v22, s97, v19
	v_and_or_b32 v21, v24, s97, v17
	s_or_b64 s[54:55], s[24:25], s[54:55]
	global_store_dwordx4 v[10:11], v[18:21], off
	s_andn2_b64 exec, exec, s[54:55]
	s_cbranch_execnz .LBB33_2381
; %bb.2382:                             ;   in Loop: Header=BB33_1814 Depth=3
	s_or_b64 exec, exec, s[54:55]
.LBB33_2383:                            ;   in Loop: Header=BB33_1814 Depth=3
	s_or_b64 exec, exec, s[52:53]
	v_and_b32_e32 v2, 14, v2
	v_sub_u32_e32 v8, v14, v2
	v_cndmask_b32_e32 v8, 0, v8, vcc
	v_cndmask_b32_e32 v2, v14, v2, vcc
	v_cmp_lt_i32_e32 vcc, 0, v15
	v_add3_u32 v0, v0, v12, v8
	s_nop 0
	v_cndmask_b32_e32 v8, 0, v60, vcc
	v_sub_u32_e32 v8, v8, v15
	v_cmp_ne_u32_e32 vcc, 0, v2
	v_lshl_add_u32 v14, v8, 6, v13
	s_and_b64 s[22:23], vcc, exec
.LBB33_2384:                            ;   in Loop: Header=BB33_1814 Depth=3
	s_or_b64 exec, exec, s[50:51]
	s_and_saveexec_b64 s[24:25], s[22:23]
	s_cbranch_execz .LBB33_2457
.LBB33_2385:                            ;   in Loop: Header=BB33_1814 Depth=3
	v_ashrrev_i32_e32 v8, 31, v14
	v_ashrrev_i32_e32 v9, 31, v2
	v_lshrrev_b32_e32 v8, 26, v8
	v_lshrrev_b32_e32 v9, 21, v9
	v_add_u32_e32 v8, v14, v8
	v_add_u32_e32 v9, v2, v9
	v_ashrrev_i32_e32 v15, 6, v8
	v_ashrrev_i32_e32 v17, 11, v9
	v_sub_u32_e32 v16, v17, v15
	v_cmp_lt_i32_e32 vcc, 0, v16
	s_and_saveexec_b64 s[26:27], vcc
	s_cbranch_execz .LBB33_2453
; %bb.2386:                             ;   in Loop: Header=BB33_1814 Depth=3
	v_and_b32_e32 v8, 0x7fffffc0, v8
	v_sub_u32_e32 v8, v14, v8
	v_lshlrev_b32_e32 v8, 1, v8
	v_lshlrev_b32_e32 v9, 11, v15
	v_add3_u32 v8, v8, v0, v9
	s_and_b32 s74, s73, 1
	v_ashrrev_i32_e32 v9, 31, v8
	s_cmp_eq_u64 s[74:75], 0
	s_mov_b64 s[28:29], 0
	s_cselect_b64 s[22:23], -1, 0
	v_lshl_add_u64 v[8:9], v[8:9], 0, s[36:37]
	s_branch .LBB33_2388
.LBB33_2387:                            ;   in Loop: Header=BB33_2388 Depth=4
	s_or_b64 exec, exec, s[40:41]
	v_sub_u32_e32 v16, v16, v60
	v_cmp_gt_i32_e32 vcc, 1, v16
	s_or_b64 s[28:29], vcc, s[28:29]
	v_lshl_add_u64 v[8:9], v[8:9], 0, v[78:79]
	flat_store_short_d16_hi v[10:11], v13 nt
	s_andn2_b64 exec, exec, s[28:29]
	s_cbranch_execz .LBB33_2452
.LBB33_2388:                            ;   Parent Loop BB33_47 Depth=1
                                        ;     Parent Loop BB33_1811 Depth=2
                                        ;       Parent Loop BB33_1814 Depth=3
                                        ; =>      This Inner Loop Header: Depth=4
	v_lshl_add_u64 v[10:11], v[106:107], 0, v[8:9]
	v_add_co_u32_e32 v12, vcc, 0xfffff900, v10
	s_nop 1
	v_addc_co_u32_e32 v13, vcc, -1, v11, vcc
	flat_load_ushort v66, v[12:13] nt
	v_add_co_u32_e32 v12, vcc, 0xfffff900, v8
	s_nop 1
	v_addc_co_u32_e32 v13, vcc, -1, v9, vcc
	flat_load_ushort v67, v[12:13] nt
	;; [unrolled: 4-line block ×4, first 2 shown]
	v_add_co_u32_e32 v12, vcc, 0xfffffa00, v10
	s_nop 1
	v_addc_co_u32_e32 v13, vcc, -1, v11, vcc
	s_waitcnt lgkmcnt(0)
	flat_load_ushort v54, v[12:13] nt
	v_add_co_u32_e32 v12, vcc, 0xfffffa00, v8
	s_nop 1
	v_addc_co_u32_e32 v13, vcc, -1, v9, vcc
	flat_load_ushort v55, v[12:13] nt
	v_add_co_u32_e32 v12, vcc, 0xfffffa80, v10
	s_nop 1
	v_addc_co_u32_e32 v13, vcc, -1, v11, vcc
	;; [unrolled: 4-line block ×8, first 2 shown]
	v_add_co_u32_e32 v18, vcc, s68, v8
	flat_load_ushort v38, v[12:13] offset:896 nt
	s_nop 0
	v_addc_co_u32_e32 v19, vcc, -1, v9, vcc
	flat_load_ushort v39, v[18:19] nt
	v_add_co_u32_e32 v18, vcc, 0xfffffc80, v10
	s_nop 1
	v_addc_co_u32_e32 v19, vcc, -1, v11, vcc
	flat_load_ushort v36, v[18:19] nt
	v_add_co_u32_e32 v18, vcc, 0xfffffc80, v8
	s_nop 1
	v_addc_co_u32_e32 v19, vcc, -1, v9, vcc
	flat_load_ushort v37, v[18:19] nt
	v_add_co_u32_e32 v18, vcc, 0xfffffd00, v10
	s_nop 1
	v_addc_co_u32_e32 v19, vcc, -1, v11, vcc
	flat_load_ushort v34, v[18:19] nt
	v_add_co_u32_e32 v18, vcc, 0xfffffd00, v8
	s_nop 1
	v_addc_co_u32_e32 v19, vcc, -1, v9, vcc
	flat_load_ushort v35, v[18:19] nt
	v_add_co_u32_e32 v18, vcc, 0xfffffd80, v10
	s_nop 1
	v_addc_co_u32_e32 v19, vcc, -1, v11, vcc
	flat_load_ushort v32, v[18:19] nt
	v_add_co_u32_e32 v18, vcc, 0xfffffd80, v8
	s_nop 1
	v_addc_co_u32_e32 v19, vcc, -1, v9, vcc
	flat_load_ushort v33, v[18:19] nt
	v_add_co_u32_e32 v18, vcc, 0xfffffe00, v10
	s_nop 1
	v_addc_co_u32_e32 v19, vcc, -1, v11, vcc
	flat_load_ushort v26, v[18:19] nt
	v_add_co_u32_e32 v18, vcc, 0xfffffe00, v8
	s_nop 1
	v_addc_co_u32_e32 v19, vcc, -1, v9, vcc
	flat_load_ushort v27, v[18:19] nt
	v_add_co_u32_e32 v18, vcc, 0xfffffe80, v10
	s_nop 1
	v_addc_co_u32_e32 v19, vcc, -1, v11, vcc
	flat_load_ushort v24, v[18:19] nt
	v_add_co_u32_e32 v18, vcc, 0xfffffe80, v8
	s_nop 1
	v_addc_co_u32_e32 v19, vcc, -1, v9, vcc
	flat_load_ushort v25, v[18:19] nt
	v_add_co_u32_e32 v18, vcc, 0xffffff00, v10
	s_nop 1
	v_addc_co_u32_e32 v19, vcc, -1, v11, vcc
	flat_load_ushort v22, v[18:19] nt
	v_add_co_u32_e32 v18, vcc, 0xffffff00, v8
	s_nop 1
	v_addc_co_u32_e32 v19, vcc, -1, v9, vcc
	flat_load_ushort v23, v[18:19] nt
	flat_load_ushort v20, v[12:13] offset:1792 nt
	v_add_co_u32_e32 v18, vcc, s69, v8
	s_nop 1
	v_addc_co_u32_e32 v19, vcc, -1, v9, vcc
	flat_load_ushort v21, v[18:19] nt
	s_nop 0
	flat_load_ushort v18, v[10:11] nt
	flat_load_ushort v19, v[8:9] nt
	s_nop 0
	flat_load_ushort v10, v[12:13] nt
	s_waitcnt vmcnt(0) lgkmcnt(0)
	v_lshlrev_b32_e32 v12, 16, v10
	v_add_co_u32_e32 v10, vcc, 0xfffff880, v8
	s_nop 1
	v_addc_co_u32_e32 v11, vcc, -1, v9, vcc
	flat_load_ushort v10, v[10:11] nt
	v_max_f32_e32 v11, v12, v12
	s_waitcnt vmcnt(0) lgkmcnt(0)
	v_lshlrev_b32_e32 v10, 16, v10
	v_max_f32_e32 v10, v10, v10
	v_min_f32_e32 v12, v11, v10
	v_max_f32_e32 v10, v11, v10
	v_cndmask_b32_e64 v10, v10, v12, s[22:23]
	v_and_b32_e32 v11, 0x7f800000, v10
	v_cmp_ne_u32_e32 vcc, s87, v11
                                        ; implicit-def: $vgpr12
	s_and_saveexec_b64 s[40:41], vcc
	s_xor_b64 s[40:41], exec, s[40:41]
; %bb.2389:                             ;   in Loop: Header=BB33_2388 Depth=4
	v_bfe_u32 v11, v10, 16, 1
	v_add3_u32 v12, v10, v11, s96
                                        ; implicit-def: $vgpr10
; %bb.2390:                             ;   in Loop: Header=BB33_2388 Depth=4
	s_andn2_saveexec_b64 s[40:41], s[40:41]
; %bb.2391:                             ;   in Loop: Header=BB33_2388 Depth=4
	v_or_b32_e32 v11, 0x10000, v10
	v_cmp_eq_u32_sdwa vcc, v10, v3 src0_sel:WORD_0 src1_sel:DWORD
	s_nop 1
	v_cndmask_b32_e32 v12, v11, v10, vcc
; %bb.2392:                             ;   in Loop: Header=BB33_2388 Depth=4
	s_or_b64 exec, exec, s[40:41]
	v_lshl_add_u64 v[10:11], v[62:63], 0, v[8:9]
	v_add_co_u32_e32 v68, vcc, 0xfffff880, v10
	v_lshlrev_b32_e32 v13, 16, v67
	s_nop 0
	v_addc_co_u32_e32 v69, vcc, -1, v11, vcc
	flat_store_short_d16_hi v[68:69], v12 nt
	v_lshlrev_b32_e32 v12, 16, v66
	v_max_f32_e32 v13, v13, v13
	v_max_f32_e32 v12, v12, v12
	v_min_f32_e32 v66, v12, v13
	v_max_f32_e32 v12, v12, v13
	v_cndmask_b32_e64 v13, v12, v66, s[22:23]
	v_and_b32_e32 v12, 0x7f800000, v13
	v_cmp_ne_u32_e32 vcc, s87, v12
                                        ; implicit-def: $vgpr12
	s_and_saveexec_b64 s[40:41], vcc
	s_xor_b64 s[40:41], exec, s[40:41]
; %bb.2393:                             ;   in Loop: Header=BB33_2388 Depth=4
	v_bfe_u32 v12, v13, 16, 1
	v_add3_u32 v12, v13, v12, s96
                                        ; implicit-def: $vgpr13
; %bb.2394:                             ;   in Loop: Header=BB33_2388 Depth=4
	s_andn2_saveexec_b64 s[40:41], s[40:41]
; %bb.2395:                             ;   in Loop: Header=BB33_2388 Depth=4
	v_or_b32_e32 v12, 0x10000, v13
	v_cmp_eq_u32_sdwa vcc, v13, v3 src0_sel:WORD_0 src1_sel:DWORD
	s_nop 1
	v_cndmask_b32_e32 v12, v12, v13, vcc
; %bb.2396:                             ;   in Loop: Header=BB33_2388 Depth=4
	s_or_b64 exec, exec, s[40:41]
	v_add_co_u32_e32 v66, vcc, 0xfffff900, v10
	v_lshlrev_b32_e32 v13, 16, v65
	s_nop 0
	v_addc_co_u32_e32 v67, vcc, -1, v11, vcc
	flat_store_short_d16_hi v[66:67], v12 nt
	v_lshlrev_b32_e32 v12, 16, v64
	v_max_f32_e32 v13, v13, v13
	v_max_f32_e32 v12, v12, v12
	v_min_f32_e32 v64, v12, v13
	v_max_f32_e32 v12, v12, v13
	v_cndmask_b32_e64 v13, v12, v64, s[22:23]
	v_and_b32_e32 v12, 0x7f800000, v13
	v_cmp_ne_u32_e32 vcc, s87, v12
                                        ; implicit-def: $vgpr12
	s_and_saveexec_b64 s[40:41], vcc
	s_xor_b64 s[40:41], exec, s[40:41]
; %bb.2397:                             ;   in Loop: Header=BB33_2388 Depth=4
	v_bfe_u32 v12, v13, 16, 1
	v_add3_u32 v12, v13, v12, s96
                                        ; implicit-def: $vgpr13
; %bb.2398:                             ;   in Loop: Header=BB33_2388 Depth=4
	s_andn2_saveexec_b64 s[40:41], s[40:41]
; %bb.2399:                             ;   in Loop: Header=BB33_2388 Depth=4
	v_or_b32_e32 v12, 0x10000, v13
	v_cmp_eq_u32_sdwa vcc, v13, v3 src0_sel:WORD_0 src1_sel:DWORD
	s_nop 1
	v_cndmask_b32_e32 v12, v12, v13, vcc
; %bb.2400:                             ;   in Loop: Header=BB33_2388 Depth=4
	s_or_b64 exec, exec, s[40:41]
	;; [unrolled: 29-line block ×14, first 2 shown]
	v_add_co_u32_e32 v20, vcc, 0xffffff80, v10
	v_lshlrev_b32_e32 v13, 16, v19
	s_nop 0
	v_addc_co_u32_e32 v21, vcc, -1, v11, vcc
	flat_store_short_d16_hi v[20:21], v12 nt
	v_lshlrev_b32_e32 v12, 16, v18
	v_max_f32_e32 v13, v13, v13
	v_max_f32_e32 v12, v12, v12
	v_min_f32_e32 v18, v12, v13
	v_max_f32_e32 v12, v12, v13
	v_cndmask_b32_e64 v12, v12, v18, s[22:23]
	v_and_b32_e32 v13, 0x7f800000, v12
	v_cmp_ne_u32_e32 vcc, s87, v13
                                        ; implicit-def: $vgpr13
	s_and_saveexec_b64 s[40:41], vcc
	s_xor_b64 s[40:41], exec, s[40:41]
; %bb.2449:                             ;   in Loop: Header=BB33_2388 Depth=4
	v_bfe_u32 v13, v12, 16, 1
	v_add3_u32 v13, v12, v13, s96
                                        ; implicit-def: $vgpr12
; %bb.2450:                             ;   in Loop: Header=BB33_2388 Depth=4
	s_andn2_saveexec_b64 s[40:41], s[40:41]
	s_cbranch_execz .LBB33_2387
; %bb.2451:                             ;   in Loop: Header=BB33_2388 Depth=4
	v_or_b32_e32 v13, 0x10000, v12
	v_cmp_eq_u32_sdwa vcc, v12, v3 src0_sel:WORD_0 src1_sel:DWORD
	s_nop 1
	v_cndmask_b32_e32 v13, v13, v12, vcc
	s_branch .LBB33_2387
.LBB33_2452:                            ;   in Loop: Header=BB33_1814 Depth=3
	s_or_b64 exec, exec, s[28:29]
.LBB33_2453:                            ;   in Loop: Header=BB33_1814 Depth=3
	s_or_b64 exec, exec, s[26:27]
	v_lshlrev_b32_e32 v8, 11, v17
	v_cmp_ne_u32_e32 vcc, v2, v8
	s_and_b64 exec, exec, vcc
	s_cbranch_execz .LBB33_2457
; %bb.2454:                             ;   in Loop: Header=BB33_1814 Depth=3
	v_lshlrev_b32_e32 v9, 6, v15
	v_sub_u32_e32 v9, v14, v9
	v_lshlrev_b32_e32 v10, 6, v16
	v_sub_u32_e32 v9, v9, v10
	v_ashrrev_i32_e32 v10, 31, v9
	v_lshrrev_b32_e32 v10, 26, v10
	v_add_u32_e32 v10, v9, v10
	v_and_b32_e32 v11, 0x7fffffc0, v10
	v_sub_u32_e32 v9, v9, v11
	v_lshlrev_b32_e32 v10, 1, v10
	v_and_b32_e32 v10, 0xffffff80, v10
	v_lshlrev_b32_e32 v9, 1, v9
	v_add3_u32 v8, v10, v9, v8
	v_sub_u32_e32 v2, v2, v8
	v_cmp_lt_i32_e32 vcc, 1, v2
	s_and_b64 exec, exec, vcc
	s_cbranch_execz .LBB33_2457
; %bb.2455:                             ;   in Loop: Header=BB33_1814 Depth=3
	s_and_b32 s74, s73, 1
	v_add_u32_e32 v8, v8, v0
	s_cmp_eq_u64 s[74:75], 0
	v_ashrrev_i32_e32 v9, 31, v8
	s_mov_b64 s[26:27], 0
	s_cselect_b64 vcc, -1, 0
.LBB33_2456:                            ;   Parent Loop BB33_47 Depth=1
                                        ;     Parent Loop BB33_1811 Depth=2
                                        ;       Parent Loop BB33_1814 Depth=3
                                        ; =>      This Inner Loop Header: Depth=4
	v_lshl_add_u64 v[10:11], v[106:107], 0, v[8:9]
	flat_load_ushort v0, v[8:9] nt
	flat_load_ushort v12, v[10:11] nt
	v_sub_u32_e32 v2, v2, v88
	v_cmp_gt_i32_e64 s[22:23], 2, v2
	s_or_b64 s[26:27], s[22:23], s[26:27]
	v_lshl_add_u64 v[10:11], v[62:63], 0, v[8:9]
	v_lshl_add_u64 v[8:9], v[8:9], 0, v[88:89]
	s_waitcnt vmcnt(0) lgkmcnt(0)
	v_lshlrev_b32_e32 v0, 16, v0
	v_lshlrev_b32_e32 v12, 16, v12
	v_max_f32_e32 v0, v0, v0
	v_max_f32_e32 v12, v12, v12
	v_min_f32_e32 v13, v12, v0
	v_max_f32_e32 v0, v12, v0
	v_cndmask_b32_e32 v0, v0, v13, vcc
	v_and_b32_e32 v12, 0x7f800000, v0
	v_bfe_u32 v13, v0, 16, 1
	v_or_b32_e32 v14, 0x10000, v0
	v_cmp_eq_u32_sdwa s[22:23], v0, v3 src0_sel:WORD_0 src1_sel:DWORD
	v_add3_u32 v13, v0, v13, s96
	s_nop 0
	v_cndmask_b32_e64 v0, v14, v0, s[22:23]
	v_cmp_eq_u32_e64 s[22:23], s87, v12
	s_nop 1
	v_cndmask_b32_e64 v0, v13, v0, s[22:23]
	flat_store_short_d16_hi v[10:11], v0 nt
	s_andn2_b64 exec, exec, s[26:27]
	s_cbranch_execnz .LBB33_2456
.LBB33_2457:                            ;   in Loop: Header=BB33_1814 Depth=3
	s_or_b64 exec, exec, s[24:25]
	v_cmp_lt_i32_e64 s[22:23], 0, v29
	s_and_saveexec_b64 s[24:25], s[4:5]
	s_cbranch_execz .LBB33_1890
.LBB33_2458:                            ;   in Loop: Header=BB33_1814 Depth=3
	s_and_saveexec_b64 s[26:27], s[76:77]
	s_xor_b64 s[26:27], exec, s[26:27]
	s_cbranch_execz .LBB33_2473
; %bb.2459:                             ;   in Loop: Header=BB33_1814 Depth=3
	s_and_saveexec_b64 s[28:29], s[12:13]
	s_cbranch_execz .LBB33_2472
; %bb.2460:                             ;   in Loop: Header=BB33_1814 Depth=3
	s_mov_b64 s[42:43], exec
	v_mbcnt_lo_u32_b32 v0, s42, 0
	v_mbcnt_hi_u32_b32 v0, s43, v0
	v_cmp_eq_u32_e32 vcc, 0, v0
	s_waitcnt lgkmcnt(0)
	s_and_saveexec_b64 s[40:41], vcc
	s_cbranch_execz .LBB33_2462
; %bb.2461:                             ;   in Loop: Header=BB33_1814 Depth=3
	s_bcnt1_i32_b64 s42, s[42:43]
	v_mov_b32_e32 v2, s42
	ds_add_u64 v0, v[2:3]
	s_trap 2
.LBB33_2462:                            ;   in Loop: Header=BB33_1814 Depth=3
	s_or_b64 exec, exec, s[40:41]
	s_trap 2
	ds_read_b64 v[8:9], v0
	s_waitcnt lgkmcnt(0)
	v_lshl_add_u64 v[46:47], v[46:47], 0, v[60:61]
	v_cmp_lt_u64_e32 vcc, v[8:9], v[46:47]
	s_and_saveexec_b64 s[40:41], vcc
	s_cbranch_execz .LBB33_2471
; %bb.2463:                             ;   in Loop: Header=BB33_1814 Depth=3
	s_mov_b32 s73, 0
	s_mov_b64 s[42:43], 0
                                        ; implicit-def: $sgpr44_sgpr45
                                        ; implicit-def: $sgpr46_sgpr47
	s_branch .LBB33_2465
.LBB33_2464:                            ;   in Loop: Header=BB33_2465 Depth=4
	s_or_b64 exec, exec, s[58:59]
	s_and_b64 s[56:57], exec, vcc
	s_or_b64 s[42:43], s[56:57], s[42:43]
	s_andn2_b64 s[44:45], s[44:45], exec
	s_and_b64 s[56:57], s[46:47], exec
	s_or_b64 s[44:45], s[44:45], s[56:57]
	s_andn2_b64 exec, exec, s[42:43]
	s_cbranch_execz .LBB33_2469
.LBB33_2465:                            ;   Parent Loop BB33_47 Depth=1
                                        ;     Parent Loop BB33_1811 Depth=2
                                        ;       Parent Loop BB33_1814 Depth=3
                                        ; =>      This Inner Loop Header: Depth=4
	s_add_i32 s73, s73, 1
	s_cmpk_lg_i32 s73, 0x2710
	s_cselect_b64 s[56:57], -1, 0
	s_and_b64 vcc, exec, s[56:57]
	s_cbranch_vccz .LBB33_2467
; %bb.2466:                             ;   in Loop: Header=BB33_2465 Depth=4
	s_mov_b64 vcc, -1
	s_or_b64 s[46:47], s[46:47], exec
	s_and_saveexec_b64 s[58:59], s[56:57]
	s_cbranch_execz .LBB33_2464
	s_branch .LBB33_2468
.LBB33_2467:                            ;   in Loop: Header=BB33_2465 Depth=4
	s_trap 2
	ds_read_b64 v[8:9], v0
	s_andn2_b64 s[56:57], s[56:57], exec
	s_mov_b32 s73, 0
	s_waitcnt vmcnt(0) lgkmcnt(0)
	flat_load_dword v0, v[8:9] sc0 sc1
	s_waitcnt vmcnt(0) lgkmcnt(0)
	buffer_inv sc0 sc1
	v_cmp_eq_u32_e32 vcc, 0, v0
	s_and_b64 s[58:59], vcc, exec
	s_or_b64 s[56:57], s[56:57], s[58:59]
	s_mov_b64 vcc, -1
	s_or_b64 s[46:47], s[46:47], exec
	s_and_saveexec_b64 s[58:59], s[56:57]
	s_cbranch_execz .LBB33_2464
.LBB33_2468:                            ;   in Loop: Header=BB33_2465 Depth=4
	s_sleep 1
	s_trap 2
	ds_read_b64 v[8:9], v0
	s_waitcnt lgkmcnt(0)
	s_andn2_b64 s[46:47], s[46:47], exec
	v_cmp_ge_u64_e32 vcc, v[8:9], v[46:47]
	s_orn2_b64 vcc, vcc, exec
	s_branch .LBB33_2464
.LBB33_2469:                            ;   in Loop: Header=BB33_1814 Depth=3
	s_or_b64 exec, exec, s[42:43]
	s_and_saveexec_b64 s[42:43], s[44:45]
	s_xor_b64 s[42:43], exec, s[42:43]
	s_cbranch_execz .LBB33_2471
; %bb.2470:                             ;   in Loop: Header=BB33_1814 Depth=3
	ds_write_b32 v0, v1
	s_trap 2
.LBB33_2471:                            ;   in Loop: Header=BB33_1814 Depth=3
	s_or_b64 exec, exec, s[40:41]
	;;#ASMSTART
	s_wakeup
	;;#ASMEND
.LBB33_2472:                            ;   in Loop: Header=BB33_1814 Depth=3
	s_or_b64 exec, exec, s[28:29]
.LBB33_2473:                            ;   in Loop: Header=BB33_1814 Depth=3
	s_andn2_saveexec_b64 s[26:27], s[26:27]
	s_cbranch_execz .LBB33_2475
; %bb.2474:                             ;   in Loop: Header=BB33_1814 Depth=3
	s_waitcnt lgkmcnt(0)
	s_barrier
.LBB33_2475:                            ;   in Loop: Header=BB33_1814 Depth=3
	s_or_b64 exec, exec, s[26:27]
	s_or_b64 exec, exec, s[24:25]
                                        ; implicit-def: $vgpr0
	s_and_saveexec_b64 s[24:25], s[20:21]
	s_xor_b64 s[24:25], exec, s[24:25]
	s_cbranch_execnz .LBB33_1891
.LBB33_2476:                            ;   in Loop: Header=BB33_1814 Depth=3
	s_andn2_saveexec_b64 s[22:23], s[24:25]
	s_cbranch_execz .LBB33_2495
.LBB33_2477:                            ;   in Loop: Header=BB33_1814 Depth=3
	s_and_saveexec_b64 s[24:25], s[76:77]
	s_xor_b64 s[24:25], exec, s[24:25]
	s_cbranch_execz .LBB33_2492
; %bb.2478:                             ;   in Loop: Header=BB33_1814 Depth=3
	s_and_saveexec_b64 s[26:27], s[12:13]
	s_cbranch_execz .LBB33_2491
; %bb.2479:                             ;   in Loop: Header=BB33_1814 Depth=3
	s_mov_b64 s[40:41], exec
	v_mbcnt_lo_u32_b32 v0, s40, 0
	v_mbcnt_hi_u32_b32 v0, s41, v0
	v_cmp_eq_u32_e32 vcc, 0, v0
	;;#ASMSTART
	s_waitcnt lgkmcnt(0) vmcnt(0)
	;;#ASMEND
	s_and_saveexec_b64 s[28:29], vcc
	s_cbranch_execz .LBB33_2481
; %bb.2480:                             ;   in Loop: Header=BB33_1814 Depth=3
	s_bcnt1_i32_b64 s40, s[40:41]
	v_mov_b32_e32 v2, s40
	s_waitcnt lgkmcnt(0)
	ds_add_u64 v0, v[2:3]
	s_trap 2
.LBB33_2481:                            ;   in Loop: Header=BB33_1814 Depth=3
	s_or_b64 exec, exec, s[28:29]
	s_trap 2
	ds_read_b64 v[8:9], v0
	s_waitcnt lgkmcnt(0)
	v_lshl_add_u64 v[46:47], v[46:47], 0, v[60:61]
	v_cmp_lt_u64_e32 vcc, v[8:9], v[46:47]
	s_and_saveexec_b64 s[28:29], vcc
	s_cbranch_execz .LBB33_2490
; %bb.2482:                             ;   in Loop: Header=BB33_1814 Depth=3
	s_mov_b32 s73, 0
	s_mov_b64 s[40:41], 0
                                        ; implicit-def: $sgpr42_sgpr43
                                        ; implicit-def: $sgpr44_sgpr45
	s_branch .LBB33_2484
.LBB33_2483:                            ;   in Loop: Header=BB33_2484 Depth=4
	s_or_b64 exec, exec, s[56:57]
	s_and_b64 s[46:47], exec, s[58:59]
	s_or_b64 s[40:41], s[46:47], s[40:41]
	s_andn2_b64 s[42:43], s[42:43], exec
	s_and_b64 s[46:47], s[44:45], exec
	s_or_b64 s[42:43], s[42:43], s[46:47]
	s_andn2_b64 exec, exec, s[40:41]
	s_cbranch_execz .LBB33_2488
.LBB33_2484:                            ;   Parent Loop BB33_47 Depth=1
                                        ;     Parent Loop BB33_1811 Depth=2
                                        ;       Parent Loop BB33_1814 Depth=3
                                        ; =>      This Inner Loop Header: Depth=4
	s_add_i32 s73, s73, 1
	s_cmpk_lg_i32 s73, 0x2710
	s_cselect_b64 s[46:47], -1, 0
	s_and_b64 vcc, exec, s[46:47]
	s_cbranch_vccz .LBB33_2486
; %bb.2485:                             ;   in Loop: Header=BB33_2484 Depth=4
	s_mov_b64 s[58:59], -1
	s_or_b64 s[44:45], s[44:45], exec
	s_and_saveexec_b64 s[56:57], s[46:47]
	s_cbranch_execz .LBB33_2483
	s_branch .LBB33_2487
.LBB33_2486:                            ;   in Loop: Header=BB33_2484 Depth=4
	s_trap 2
	ds_read_b64 v[8:9], v0
	s_andn2_b64 s[46:47], s[46:47], exec
	s_mov_b32 s73, 0
	s_waitcnt vmcnt(0) lgkmcnt(0)
	flat_load_dword v0, v[8:9] sc0 sc1
	s_waitcnt vmcnt(0) lgkmcnt(0)
	buffer_inv sc0 sc1
	v_cmp_eq_u32_e32 vcc, 0, v0
	s_and_b64 s[56:57], vcc, exec
	s_or_b64 s[46:47], s[46:47], s[56:57]
	s_mov_b64 s[58:59], -1
	s_or_b64 s[44:45], s[44:45], exec
	s_and_saveexec_b64 s[56:57], s[46:47]
	s_cbranch_execz .LBB33_2483
.LBB33_2487:                            ;   in Loop: Header=BB33_2484 Depth=4
	s_sleep 1
	s_trap 2
	ds_read_b64 v[8:9], v0
	s_waitcnt lgkmcnt(0)
	s_andn2_b64 s[44:45], s[44:45], exec
	v_cmp_ge_u64_e32 vcc, v[8:9], v[46:47]
	s_orn2_b64 s[58:59], vcc, exec
	s_branch .LBB33_2483
.LBB33_2488:                            ;   in Loop: Header=BB33_1814 Depth=3
	s_or_b64 exec, exec, s[40:41]
	s_and_saveexec_b64 s[40:41], s[42:43]
	s_xor_b64 s[40:41], exec, s[40:41]
	s_cbranch_execz .LBB33_2490
; %bb.2489:                             ;   in Loop: Header=BB33_1814 Depth=3
	ds_write_b32 v0, v1
	s_trap 2
.LBB33_2490:                            ;   in Loop: Header=BB33_1814 Depth=3
	s_or_b64 exec, exec, s[28:29]
	;;#ASMSTART
	s_wakeup
	;;#ASMEND
.LBB33_2491:                            ;   in Loop: Header=BB33_1814 Depth=3
	s_or_b64 exec, exec, s[26:27]
.LBB33_2492:                            ;   in Loop: Header=BB33_1814 Depth=3
	s_andn2_saveexec_b64 s[24:25], s[24:25]
	s_cbranch_execz .LBB33_2494
; %bb.2493:                             ;   in Loop: Header=BB33_1814 Depth=3
	;;#ASMSTART
	s_waitcnt lgkmcnt(0) vmcnt(0)
	;;#ASMEND
	s_barrier
.LBB33_2494:                            ;   in Loop: Header=BB33_1814 Depth=3
	s_or_b64 exec, exec, s[24:25]
	v_and_b32_e32 v0, 16, v58
.LBB33_2495:                            ;   in Loop: Header=BB33_1814 Depth=3
	s_or_b64 exec, exec, s[22:23]
	v_cmp_ne_u32_e32 vcc, 0, v0
	s_xor_b64 s[22:23], s[6:7], -1
	s_and_b64 s[24:25], vcc, s[22:23]
	s_and_saveexec_b64 s[22:23], s[24:25]
	s_cbranch_execz .LBB33_2497
; %bb.2496:                             ;   in Loop: Header=BB33_1814 Depth=3
	flat_store_dword v[44:45], v1 sc0 sc1
.LBB33_2497:                            ;   in Loop: Header=BB33_1814 Depth=3
	s_or_b64 exec, exec, s[22:23]
	v_and_b32_e32 v0, 48, v58
	v_cmp_ne_u32_e32 vcc, 0, v0
	s_and_saveexec_b64 s[22:23], vcc
	s_cbranch_execz .LBB33_1813
; %bb.2498:                             ;   in Loop: Header=BB33_1814 Depth=3
	v_lshl_add_u64 v[116:117], v[116:117], 0, 2
	flat_store_dwordx2 v[40:41], v[116:117] sc0 sc1
	s_branch .LBB33_1813
.LBB33_2499:                            ;   in Loop: Header=BB33_1811 Depth=2
	s_or_b64 exec, exec, s[38:39]
.LBB33_2500:                            ;   in Loop: Header=BB33_1811 Depth=2
	s_or_b64 exec, exec, s[60:61]
	v_cmp_gt_i32_e32 vcc, 2, v0
	s_and_saveexec_b64 s[24:25], vcc
	s_cbranch_execz .LBB33_2576
; %bb.2501:                             ;   in Loop: Header=BB33_1811 Depth=2
	v_cmp_eq_u32_e64 s[28:29], 0, v0
	s_mov_b64 s[26:27], 0
	s_branch .LBB33_2503
.LBB33_2502:                            ;   in Loop: Header=BB33_2503 Depth=3
	s_or_b64 exec, exec, s[22:23]
	v_add_u32_e32 v72, v28, v72
	s_mov_b64 s[28:29], 0
	s_andn2_b64 exec, exec, s[26:27]
	s_cbranch_execz .LBB33_2575
.LBB33_2503:                            ;   Parent Loop BB33_47 Depth=1
                                        ;     Parent Loop BB33_1811 Depth=2
                                        ; =>    This Loop Header: Depth=3
                                        ;         Child Loop BB33_2509 Depth 4
                                        ;         Child Loop BB33_2537 Depth 4
	;; [unrolled: 1-line block ×3, first 2 shown]
	v_sub_u32_e32 v0, v31, v72
	v_min_i32_e32 v28, v28, v0
	v_and_b32_e32 v0, 12, v58
	v_cmp_ne_u32_e32 vcc, 0, v0
	s_and_saveexec_b64 s[40:41], vcc
	s_cbranch_execz .LBB33_2529
; %bb.2504:                             ;   in Loop: Header=BB33_2503 Depth=3
	v_and_b32_e32 v2, 8, v58
	s_waitcnt vmcnt(0) lgkmcnt(0)
	v_lshl_add_u64 v[8:9], v[56:57], 0, v[2:3]
	v_lshl_add_u64 v[4:5], v[116:117], 0, 2
	v_cmp_lt_u64_e32 vcc, v[8:9], v[4:5]
	s_and_saveexec_b64 s[42:43], vcc
	s_cbranch_execz .LBB33_2516
; %bb.2505:                             ;   in Loop: Header=BB33_2503 Depth=3
	v_and_b32_e32 v0, 64, v58
	s_mov_b32 s63, 0
	v_cmp_eq_u32_e32 vcc, 0, v0
	s_mov_b64 s[44:45], 0
                                        ; implicit-def: $sgpr46_sgpr47
                                        ; implicit-def: $sgpr56_sgpr57
                                        ; implicit-def: $sgpr58_sgpr59
	s_branch .LBB33_2509
.LBB33_2506:                            ;   in Loop: Header=BB33_2509 Depth=4
	s_waitcnt vmcnt(0) lgkmcnt(0)
	v_lshl_add_u64 v[8:9], v[56:57], 0, v[2:3]
	v_cmp_ge_u64_e64 s[22:23], v[8:9], v[4:5]
	s_or_b64 s[48:49], s[48:49], exec
	s_orn2_b64 s[38:39], s[22:23], exec
.LBB33_2507:                            ;   in Loop: Header=BB33_2509 Depth=4
	s_or_b64 exec, exec, s[52:53]
	s_andn2_b64 s[22:23], s[58:59], exec
	s_and_b64 s[58:59], s[48:49], exec
	s_or_b64 s[58:59], s[22:23], s[58:59]
	s_andn2_b64 s[22:23], s[56:57], exec
	s_and_b64 s[56:57], s[38:39], exec
	s_or_b64 s[56:57], s[22:23], s[56:57]
.LBB33_2508:                            ;   in Loop: Header=BB33_2509 Depth=4
	s_or_b64 exec, exec, s[60:61]
	s_and_b64 s[22:23], exec, s[56:57]
	s_or_b64 s[44:45], s[22:23], s[44:45]
	s_andn2_b64 s[22:23], s[46:47], exec
	s_and_b64 s[46:47], s[58:59], exec
	s_or_b64 s[46:47], s[22:23], s[46:47]
	s_andn2_b64 exec, exec, s[44:45]
	s_cbranch_execz .LBB33_2513
.LBB33_2509:                            ;   Parent Loop BB33_47 Depth=1
                                        ;     Parent Loop BB33_1811 Depth=2
                                        ;       Parent Loop BB33_2503 Depth=3
                                        ; =>      This Inner Loop Header: Depth=4
	s_sleep 1
	s_waitcnt vmcnt(0) lgkmcnt(0)
	flat_load_dwordx2 v[56:57], v[40:41] sc0 sc1
	s_or_b64 s[58:59], s[58:59], exec
	s_or_b64 s[56:57], s[56:57], exec
                                        ; implicit-def: $vgpr0
	s_and_saveexec_b64 s[60:61], vcc
	s_cbranch_execz .LBB33_2508
; %bb.2510:                             ;   in Loop: Header=BB33_2509 Depth=4
	s_cmpk_lt_i32 s63, 0x270f
	s_cselect_b64 s[50:51], -1, 0
	s_cmpk_gt_i32 s63, 0x270e
	s_mov_b64 s[38:39], -1
	s_cbranch_scc0 .LBB33_2512
; %bb.2511:                             ;   in Loop: Header=BB33_2509 Depth=4
	s_trap 2
	ds_read_b64 v[8:9], v0
	s_andn2_b64 s[50:51], s[50:51], exec
	s_mov_b32 s63, 0
	s_mov_b64 s[48:49], 0
	s_waitcnt vmcnt(0) lgkmcnt(0)
	flat_load_dword v0, v[8:9] sc0 sc1
	s_waitcnt vmcnt(0) lgkmcnt(0)
	buffer_inv sc0 sc1
	v_cmp_eq_u32_e64 s[22:23], 0, v0
	s_and_b64 s[22:23], s[22:23], exec
	s_or_b64 s[50:51], s[50:51], s[22:23]
	s_and_saveexec_b64 s[52:53], s[50:51]
	s_cbranch_execz .LBB33_2507
	s_branch .LBB33_2506
.LBB33_2512:                            ;   in Loop: Header=BB33_2509 Depth=4
	s_add_i32 s63, s63, 1
	s_mov_b64 s[48:49], -1
                                        ; implicit-def: $vgpr0
	s_and_saveexec_b64 s[52:53], s[50:51]
	s_cbranch_execz .LBB33_2507
	s_branch .LBB33_2506
.LBB33_2513:                            ;   in Loop: Header=BB33_2503 Depth=3
	s_or_b64 exec, exec, s[44:45]
	s_xor_b64 s[22:23], s[46:47], -1
	s_and_saveexec_b64 s[44:45], s[22:23]
	s_xor_b64 s[22:23], exec, s[44:45]
	s_cbranch_execz .LBB33_2515
; %bb.2514:                             ;   in Loop: Header=BB33_2503 Depth=3
	v_or_b32_e32 v58, 64, v58
	s_waitcnt lgkmcnt(0)
	ds_write_b32 v0, v0
	s_trap 2
.LBB33_2515:                            ;   in Loop: Header=BB33_2503 Depth=3
	s_or_b64 exec, exec, s[22:23]
.LBB33_2516:                            ;   in Loop: Header=BB33_2503 Depth=3
	s_or_b64 exec, exec, s[42:43]
	v_and_b32_e32 v0, 0x108, v58
	v_cmp_ne_u32_e32 vcc, s86, v0
	;;#ASMSTART
	s_wakeup
	;;#ASMEND
                                        ; implicit-def: $vgpr8_vgpr9
	s_and_saveexec_b64 s[22:23], vcc
	s_xor_b64 s[22:23], exec, s[22:23]
; %bb.2517:                             ;   in Loop: Header=BB33_2503 Depth=3
	v_and_b32_e32 v8, 7, v116
	v_mov_b32_e32 v9, v3
                                        ; implicit-def: $vgpr116_vgpr117
; %bb.2518:                             ;   in Loop: Header=BB33_2503 Depth=3
	s_andn2_saveexec_b64 s[22:23], s[22:23]
	s_cbranch_execz .LBB33_2520
; %bb.2519:                             ;   in Loop: Header=BB33_2503 Depth=3
	v_and_b32_e32 v8, 7, v116
	v_ashrrev_i32_e32 v29, 31, v28
	v_mov_b32_e32 v9, v3
	v_mad_u64_u32 v[10:11], s[42:43], v8, 24, v[6:7]
	v_lshlrev_b64 v[12:13], 1, v[28:29]
	flat_store_dwordx2 v[10:11], v[12:13] offset:8
.LBB33_2520:                            ;   in Loop: Header=BB33_2503 Depth=3
	s_or_b64 exec, exec, s[22:23]
	v_and_b32_e32 v0, 0x100, v58
	v_cmp_ne_u32_e32 vcc, 0, v0
	s_mov_b64 s[22:23], -1
                                        ; implicit-def: $vgpr10_vgpr11
	s_and_saveexec_b64 s[42:43], vcc
	s_cbranch_execz .LBB33_2524
; %bb.2521:                             ;   in Loop: Header=BB33_2503 Depth=3
	v_mad_u64_u32 v[12:13], s[22:23], v8, 24, v[6:7]
	v_mov_b32_e32 v0, v13
	v_mad_u64_u32 v[10:11], s[22:23], v9, 24, v[0:1]
	v_mov_b32_e32 v13, v10
	flat_load_dword v0, v[12:13]
                                        ; implicit-def: $vgpr10_vgpr11
	s_waitcnt vmcnt(0) lgkmcnt(0)
	v_cmp_ne_u32_e32 vcc, 1, v0
	v_cmp_eq_u32_e64 s[22:23], 1, v0
	s_and_saveexec_b64 s[44:45], s[22:23]
	s_cbranch_execz .LBB33_2523
; %bb.2522:                             ;   in Loop: Header=BB33_2503 Depth=3
	flat_load_dword v10, v[12:13] offset:4 sc0 sc1
	s_waitcnt vmcnt(0) lgkmcnt(0)
	v_ashrrev_i32_e32 v11, 31, v10
	v_lshrrev_b64 v[10:11], 1, v[10:11]
.LBB33_2523:                            ;   in Loop: Header=BB33_2503 Depth=3
	s_or_b64 exec, exec, s[44:45]
	s_orn2_b64 s[22:23], vcc, exec
.LBB33_2524:                            ;   in Loop: Header=BB33_2503 Depth=3
	s_or_b64 exec, exec, s[42:43]
	s_and_saveexec_b64 s[42:43], s[22:23]
; %bb.2525:                             ;   in Loop: Header=BB33_2503 Depth=3
	v_mul_lo_u32 v0, v9, v30
	v_ashrrev_i32_e32 v9, 31, v30
	v_mul_lo_u32 v9, v8, v9
	v_mad_u64_u32 v[10:11], s[22:23], v8, v30, 0
	v_add3_u32 v11, v11, v9, v0
; %bb.2526:                             ;   in Loop: Header=BB33_2503 Depth=3
	s_or_b64 exec, exec, s[42:43]
	v_cmp_eq_u32_e32 vcc, 0, v2
	v_lshl_add_u64 v[8:9], v[10:11], 1, v[42:43]
	s_nop 0
	v_cndmask_b32_e32 v0, v112, v113, vcc
	v_add_u32_e32 v0, v0, v0
	ds_write_b64 v0, v[8:9] offset:584
	v_and_b32_e32 v0, 0x2000, v58
	v_cmp_ne_u32_e32 vcc, 0, v0
	s_and_saveexec_b64 s[22:23], vcc
	s_cbranch_execz .LBB33_2528
; %bb.2527:                             ;   in Loop: Header=BB33_2503 Depth=3
	ds_read_b64 v[8:9], v0 offset:872
	s_waitcnt lgkmcnt(0)
	v_lshl_add_u64 v[8:9], v[8:9], 0, 1
	ds_write_b64 v0, v[8:9] offset:872
.LBB33_2528:                            ;   in Loop: Header=BB33_2503 Depth=3
	s_or_b64 exec, exec, s[22:23]
	v_mov_b64_e32 v[116:117], v[4:5]
.LBB33_2529:                            ;   in Loop: Header=BB33_2503 Depth=3
	s_or_b64 exec, exec, s[40:41]
	s_xor_b64 s[22:23], s[28:29], -1
	s_and_b64 s[22:23], exec, s[22:23]
	s_or_b64 s[26:27], s[22:23], s[26:27]
	s_and_saveexec_b64 s[22:23], s[4:5]
	s_cbranch_execz .LBB33_2548
; %bb.2530:                             ;   in Loop: Header=BB33_2503 Depth=3
	s_and_saveexec_b64 s[28:29], s[76:77]
	s_xor_b64 s[28:29], exec, s[28:29]
	s_cbranch_execz .LBB33_2545
; %bb.2531:                             ;   in Loop: Header=BB33_2503 Depth=3
	s_and_saveexec_b64 s[40:41], s[12:13]
	s_cbranch_execz .LBB33_2544
; %bb.2532:                             ;   in Loop: Header=BB33_2503 Depth=3
	s_mov_b64 s[44:45], exec
	v_mbcnt_lo_u32_b32 v0, s44, 0
	v_mbcnt_hi_u32_b32 v0, s45, v0
	v_cmp_eq_u32_e32 vcc, 0, v0
	s_waitcnt lgkmcnt(0)
	s_and_saveexec_b64 s[42:43], vcc
	s_cbranch_execz .LBB33_2534
; %bb.2533:                             ;   in Loop: Header=BB33_2503 Depth=3
	s_bcnt1_i32_b64 s44, s[44:45]
	v_mov_b32_e32 v2, s44
	ds_add_u64 v0, v[2:3]
	s_trap 2
.LBB33_2534:                            ;   in Loop: Header=BB33_2503 Depth=3
	s_or_b64 exec, exec, s[42:43]
	s_trap 2
	ds_read_b64 v[4:5], v0
	s_waitcnt lgkmcnt(0)
	v_lshl_add_u64 v[46:47], v[46:47], 0, v[60:61]
	v_cmp_lt_u64_e32 vcc, v[4:5], v[46:47]
	s_and_saveexec_b64 s[42:43], vcc
	s_cbranch_execz .LBB33_2543
; %bb.2535:                             ;   in Loop: Header=BB33_2503 Depth=3
	s_mov_b32 s63, 0
	s_mov_b64 s[44:45], 0
                                        ; implicit-def: $sgpr46_sgpr47
                                        ; implicit-def: $sgpr56_sgpr57
	s_branch .LBB33_2537
.LBB33_2536:                            ;   in Loop: Header=BB33_2537 Depth=4
	s_or_b64 exec, exec, s[60:61]
	s_and_b64 s[58:59], exec, vcc
	s_or_b64 s[44:45], s[58:59], s[44:45]
	s_andn2_b64 s[46:47], s[46:47], exec
	s_and_b64 s[58:59], s[56:57], exec
	s_or_b64 s[46:47], s[46:47], s[58:59]
	s_andn2_b64 exec, exec, s[44:45]
	s_cbranch_execz .LBB33_2541
.LBB33_2537:                            ;   Parent Loop BB33_47 Depth=1
                                        ;     Parent Loop BB33_1811 Depth=2
                                        ;       Parent Loop BB33_2503 Depth=3
                                        ; =>      This Inner Loop Header: Depth=4
	s_add_i32 s63, s63, 1
	s_cmpk_lg_i32 s63, 0x2710
	s_cselect_b64 s[58:59], -1, 0
	s_and_b64 vcc, exec, s[58:59]
	s_cbranch_vccz .LBB33_2539
; %bb.2538:                             ;   in Loop: Header=BB33_2537 Depth=4
	s_mov_b64 vcc, -1
	s_or_b64 s[56:57], s[56:57], exec
	s_and_saveexec_b64 s[60:61], s[58:59]
	s_cbranch_execz .LBB33_2536
	s_branch .LBB33_2540
.LBB33_2539:                            ;   in Loop: Header=BB33_2537 Depth=4
	s_trap 2
	ds_read_b64 v[4:5], v0
	s_andn2_b64 s[58:59], s[58:59], exec
	s_mov_b32 s63, 0
	s_waitcnt vmcnt(0) lgkmcnt(0)
	flat_load_dword v0, v[4:5] sc0 sc1
	s_waitcnt vmcnt(0) lgkmcnt(0)
	buffer_inv sc0 sc1
	v_cmp_eq_u32_e32 vcc, 0, v0
	s_and_b64 s[60:61], vcc, exec
	s_or_b64 s[58:59], s[58:59], s[60:61]
	s_mov_b64 vcc, -1
	s_or_b64 s[56:57], s[56:57], exec
	s_and_saveexec_b64 s[60:61], s[58:59]
	s_cbranch_execz .LBB33_2536
.LBB33_2540:                            ;   in Loop: Header=BB33_2537 Depth=4
	s_sleep 1
	s_trap 2
	ds_read_b64 v[4:5], v0
	s_waitcnt lgkmcnt(0)
	s_andn2_b64 s[56:57], s[56:57], exec
	v_cmp_ge_u64_e32 vcc, v[4:5], v[46:47]
	s_orn2_b64 vcc, vcc, exec
	s_branch .LBB33_2536
.LBB33_2541:                            ;   in Loop: Header=BB33_2503 Depth=3
	s_or_b64 exec, exec, s[44:45]
	s_and_saveexec_b64 s[44:45], s[46:47]
	s_xor_b64 s[44:45], exec, s[44:45]
	s_cbranch_execz .LBB33_2543
; %bb.2542:                             ;   in Loop: Header=BB33_2503 Depth=3
	ds_write_b32 v0, v1
	s_trap 2
.LBB33_2543:                            ;   in Loop: Header=BB33_2503 Depth=3
	s_or_b64 exec, exec, s[42:43]
	;;#ASMSTART
	s_wakeup
	;;#ASMEND
.LBB33_2544:                            ;   in Loop: Header=BB33_2503 Depth=3
	s_or_b64 exec, exec, s[40:41]
.LBB33_2545:                            ;   in Loop: Header=BB33_2503 Depth=3
	s_andn2_saveexec_b64 s[28:29], s[28:29]
	s_cbranch_execz .LBB33_2547
; %bb.2546:                             ;   in Loop: Header=BB33_2503 Depth=3
	s_waitcnt lgkmcnt(0)
	s_barrier
.LBB33_2547:                            ;   in Loop: Header=BB33_2503 Depth=3
	s_or_b64 exec, exec, s[28:29]
.LBB33_2548:                            ;   in Loop: Header=BB33_2503 Depth=3
	s_or_b64 exec, exec, s[22:23]
                                        ; implicit-def: $vgpr0
	s_and_saveexec_b64 s[22:23], s[20:21]
	s_xor_b64 s[22:23], exec, s[22:23]
	s_cbranch_execz .LBB33_2552
; %bb.2549:                             ;   in Loop: Header=BB33_2503 Depth=3
	s_trap 2
	ds_read_b32 v2, v0
	v_cmp_lt_i32_e32 vcc, 0, v28
	v_and_b32_e32 v4, 16, v58
	v_and_b32_e32 v0, 16, v58
	s_waitcnt lgkmcnt(0)
	v_readfirstlane_b32 s28, v2
	s_cmp_eq_u32 s28, 0
	s_cselect_b64 s[28:29], -1, 0
	s_and_b64 s[28:29], vcc, s[28:29]
	v_cmp_ne_u32_e32 vcc, 0, v4
	s_and_b64 s[40:41], vcc, s[28:29]
	s_and_saveexec_b64 s[28:29], s[40:41]
	s_cbranch_execz .LBB33_2551
; %bb.2550:                             ;   in Loop: Header=BB33_2503 Depth=3
	v_mov_b32_e32 v0, 1
	buffer_wbl2 sc1
	s_waitcnt vmcnt(0)
	buffer_inv sc1
.LBB33_2551:                            ;   in Loop: Header=BB33_2503 Depth=3
	s_or_b64 exec, exec, s[28:29]
	s_andn2_saveexec_b64 s[22:23], s[22:23]
	s_cbranch_execz .LBB33_2571
	s_branch .LBB33_2553
.LBB33_2552:                            ;   in Loop: Header=BB33_2503 Depth=3
	s_andn2_saveexec_b64 s[22:23], s[22:23]
	s_cbranch_execz .LBB33_2571
.LBB33_2553:                            ;   in Loop: Header=BB33_2503 Depth=3
	s_and_saveexec_b64 s[28:29], s[76:77]
	s_xor_b64 s[28:29], exec, s[28:29]
	s_cbranch_execz .LBB33_2568
; %bb.2554:                             ;   in Loop: Header=BB33_2503 Depth=3
	s_and_saveexec_b64 s[40:41], s[12:13]
	s_cbranch_execz .LBB33_2567
; %bb.2555:                             ;   in Loop: Header=BB33_2503 Depth=3
	s_mov_b64 s[44:45], exec
	v_mbcnt_lo_u32_b32 v0, s44, 0
	v_mbcnt_hi_u32_b32 v0, s45, v0
	v_cmp_eq_u32_e32 vcc, 0, v0
	;;#ASMSTART
	s_waitcnt lgkmcnt(0) vmcnt(0)
	;;#ASMEND
	s_and_saveexec_b64 s[42:43], vcc
	s_cbranch_execz .LBB33_2557
; %bb.2556:                             ;   in Loop: Header=BB33_2503 Depth=3
	s_bcnt1_i32_b64 s44, s[44:45]
	v_mov_b32_e32 v2, s44
	s_waitcnt lgkmcnt(0)
	ds_add_u64 v0, v[2:3]
	s_trap 2
.LBB33_2557:                            ;   in Loop: Header=BB33_2503 Depth=3
	s_or_b64 exec, exec, s[42:43]
	s_trap 2
	ds_read_b64 v[4:5], v0
	s_waitcnt lgkmcnt(0)
	v_lshl_add_u64 v[46:47], v[46:47], 0, v[60:61]
	v_cmp_lt_u64_e32 vcc, v[4:5], v[46:47]
	s_and_saveexec_b64 s[42:43], vcc
	s_cbranch_execz .LBB33_2566
; %bb.2558:                             ;   in Loop: Header=BB33_2503 Depth=3
	s_mov_b32 s63, 0
	s_mov_b64 s[44:45], 0
                                        ; implicit-def: $sgpr46_sgpr47
                                        ; implicit-def: $sgpr56_sgpr57
	s_branch .LBB33_2560
.LBB33_2559:                            ;   in Loop: Header=BB33_2560 Depth=4
	s_or_b64 exec, exec, s[60:61]
	s_and_b64 s[58:59], exec, vcc
	s_or_b64 s[44:45], s[58:59], s[44:45]
	s_andn2_b64 s[46:47], s[46:47], exec
	s_and_b64 s[58:59], s[56:57], exec
	s_or_b64 s[46:47], s[46:47], s[58:59]
	s_andn2_b64 exec, exec, s[44:45]
	s_cbranch_execz .LBB33_2564
.LBB33_2560:                            ;   Parent Loop BB33_47 Depth=1
                                        ;     Parent Loop BB33_1811 Depth=2
                                        ;       Parent Loop BB33_2503 Depth=3
                                        ; =>      This Inner Loop Header: Depth=4
	s_add_i32 s63, s63, 1
	s_cmpk_lg_i32 s63, 0x2710
	s_cselect_b64 s[58:59], -1, 0
	s_and_b64 vcc, exec, s[58:59]
	s_cbranch_vccz .LBB33_2562
; %bb.2561:                             ;   in Loop: Header=BB33_2560 Depth=4
	s_mov_b64 vcc, -1
	s_or_b64 s[56:57], s[56:57], exec
	s_and_saveexec_b64 s[60:61], s[58:59]
	s_cbranch_execz .LBB33_2559
	s_branch .LBB33_2563
.LBB33_2562:                            ;   in Loop: Header=BB33_2560 Depth=4
	s_trap 2
	ds_read_b64 v[4:5], v0
	s_andn2_b64 s[58:59], s[58:59], exec
	s_mov_b32 s63, 0
	s_waitcnt vmcnt(0) lgkmcnt(0)
	flat_load_dword v0, v[4:5] sc0 sc1
	s_waitcnt vmcnt(0) lgkmcnt(0)
	buffer_inv sc0 sc1
	v_cmp_eq_u32_e32 vcc, 0, v0
	s_and_b64 s[60:61], vcc, exec
	s_or_b64 s[58:59], s[58:59], s[60:61]
	s_mov_b64 vcc, -1
	s_or_b64 s[56:57], s[56:57], exec
	s_and_saveexec_b64 s[60:61], s[58:59]
	s_cbranch_execz .LBB33_2559
.LBB33_2563:                            ;   in Loop: Header=BB33_2560 Depth=4
	s_sleep 1
	s_trap 2
	ds_read_b64 v[4:5], v0
	s_waitcnt lgkmcnt(0)
	s_andn2_b64 s[56:57], s[56:57], exec
	v_cmp_ge_u64_e32 vcc, v[4:5], v[46:47]
	s_orn2_b64 vcc, vcc, exec
	s_branch .LBB33_2559
.LBB33_2564:                            ;   in Loop: Header=BB33_2503 Depth=3
	s_or_b64 exec, exec, s[44:45]
	s_and_saveexec_b64 s[44:45], s[46:47]
	s_xor_b64 s[44:45], exec, s[44:45]
	s_cbranch_execz .LBB33_2566
; %bb.2565:                             ;   in Loop: Header=BB33_2503 Depth=3
	ds_write_b32 v0, v1
	s_trap 2
.LBB33_2566:                            ;   in Loop: Header=BB33_2503 Depth=3
	s_or_b64 exec, exec, s[42:43]
	;;#ASMSTART
	s_wakeup
	;;#ASMEND
.LBB33_2567:                            ;   in Loop: Header=BB33_2503 Depth=3
	s_or_b64 exec, exec, s[40:41]
.LBB33_2568:                            ;   in Loop: Header=BB33_2503 Depth=3
	s_andn2_saveexec_b64 s[28:29], s[28:29]
	s_cbranch_execz .LBB33_2570
; %bb.2569:                             ;   in Loop: Header=BB33_2503 Depth=3
	;;#ASMSTART
	s_waitcnt lgkmcnt(0) vmcnt(0)
	;;#ASMEND
	s_barrier
.LBB33_2570:                            ;   in Loop: Header=BB33_2503 Depth=3
	s_or_b64 exec, exec, s[28:29]
	v_and_b32_e32 v0, 16, v58
.LBB33_2571:                            ;   in Loop: Header=BB33_2503 Depth=3
	s_or_b64 exec, exec, s[22:23]
	v_cmp_ne_u32_e32 vcc, 0, v0
	s_xor_b64 s[22:23], s[6:7], -1
	s_and_b64 s[28:29], vcc, s[22:23]
	s_and_saveexec_b64 s[22:23], s[28:29]
	s_cbranch_execz .LBB33_2573
; %bb.2572:                             ;   in Loop: Header=BB33_2503 Depth=3
	flat_store_dword v[44:45], v1 sc0 sc1
.LBB33_2573:                            ;   in Loop: Header=BB33_2503 Depth=3
	s_or_b64 exec, exec, s[22:23]
	v_and_b32_e32 v0, 48, v58
	v_cmp_ne_u32_e32 vcc, 0, v0
	s_and_saveexec_b64 s[22:23], vcc
	s_cbranch_execz .LBB33_2502
; %bb.2574:                             ;   in Loop: Header=BB33_2503 Depth=3
	v_lshl_add_u64 v[116:117], v[116:117], 0, 2
	flat_store_dwordx2 v[40:41], v[116:117] sc0 sc1
	s_branch .LBB33_2502
.LBB33_2575:                            ;   in Loop: Header=BB33_1811 Depth=2
	s_or_b64 exec, exec, s[26:27]
.LBB33_2576:                            ;   in Loop: Header=BB33_1811 Depth=2
	s_or_b64 exec, exec, s[24:25]
	scratch_load_dwordx2 v[84:85], off, s33 offset:184 ; 8-byte Folded Reload
	scratch_load_dwordx2 v[12:13], off, s33 offset:200 ; 8-byte Folded Reload
	s_add_i32 s22, s62, 1
	s_cmp_eq_u32 s62, s82
	s_cbranch_scc1 .LBB33_2578
; %bb.2577:                             ;   in Loop: Header=BB33_1811 Depth=2
	s_mov_b32 s62, s22
	s_branch .LBB33_1811
.LBB33_2578:                            ;   in Loop: Header=BB33_47 Depth=1
	scratch_load_dwordx2 v[10:11], off, s33 offset:192 ; 8-byte Folded Reload
	s_waitcnt vmcnt(0)
	v_mul_lo_u32 v0, v11, s83
	v_mul_lo_u32 v2, v10, s84
	v_mad_u64_u32 v[8:9], s[22:23], v10, s83, 0
	v_add3_u32 v9, v9, v2, v0
	v_sub_co_u32_e32 v4, vcc, v12, v8
	v_mov_b32_e32 v0, 0
	s_nop 0
	v_subb_co_u32_e32 v5, vcc, v13, v9, vcc
	v_cmp_lt_i64_e32 vcc, v[10:11], v[4:5]
	s_nop 1
	v_cndmask_b32_e32 v2, v4, v10, vcc
	v_max_i32_e32 v31, 0, v2
	v_add_u32_e32 v4, 31, v31
	v_ashrrev_i32_e32 v5, 31, v4
	v_lshrrev_b32_e32 v5, 27, v5
	v_add_u32_e32 v4, v4, v5
	v_ashrrev_i32_e32 v4, 5, v4
	v_lshlrev_b32_e32 v4, 4, v4
	v_cmp_lt_i32_e32 vcc, 0, v2
	v_max_i32_e32 v59, s81, v4
	s_and_b64 s[22:23], s[34:35], vcc
	v_mov_b32_e32 v4, 0
	s_and_saveexec_b64 s[60:61], s[22:23]
	s_cbranch_execz .LBB33_3036
; %bb.2579:                             ;   in Loop: Header=BB33_47 Depth=1
	v_lshl_add_u64 v[8:9], v[8:9], 0, v[104:105]
	s_mov_b32 s62, 1
	s_mov_b64 s[48:49], -1
	v_mov_b32_e32 v4, 0
	s_mov_b64 s[38:39], 0
	v_lshlrev_b64 v[82:83], 1, v[8:9]
	scratch_store_dwordx2 off, v[82:83], s33 offset:256 ; 8-byte Folded Spill
	s_branch .LBB33_2581
.LBB33_2580:                            ;   in Loop: Header=BB33_2581 Depth=2
	s_or_b64 exec, exec, s[22:23]
	v_add_u32_e32 v4, v59, v4
	v_cmp_ge_i32_e32 vcc, v4, v31
	s_xor_b64 s[22:23], s[48:49], -1
	s_or_b64 s[22:23], s[22:23], vcc
	s_and_b64 s[22:23], exec, s[22:23]
	s_or_b64 s[38:39], s[22:23], s[38:39]
	s_mov_b64 s[48:49], 0
	v_mov_b32_e32 v0, s62
	s_mov_b32 s62, 2
	s_andn2_b64 exec, exec, s[38:39]
	s_cbranch_execz .LBB33_3035
.LBB33_2581:                            ;   Parent Loop BB33_47 Depth=1
                                        ; =>  This Loop Header: Depth=2
                                        ;       Child Loop BB33_2589 Depth 3
                                        ;       Child Loop BB33_2613 Depth 3
	;; [unrolled: 1-line block ×9, first 2 shown]
	s_and_saveexec_b64 s[22:23], s[0:1]
	s_cbranch_execz .LBB33_2583
; %bb.2582:                             ;   in Loop: Header=BB33_2581 Depth=2
	s_trap 2
	ds_read_b128 v[8:11], v0
	v_ashrrev_i32_e32 v5, 31, v4
	v_lshlrev_b64 v[12:13], 1, v[4:5]
	s_waitcnt lgkmcnt(0)
	v_lshl_add_u64 v[8:9], v[8:9], 0, v[82:83]
	v_lshl_add_u64 v[14:15], v[10:11], 0, v[82:83]
	;; [unrolled: 1-line block ×3, first 2 shown]
	ds_write_b64 v0, v[8:9]
	v_lshl_add_u64 v[8:9], v[14:15], 0, v[12:13]
	v_cmp_ne_u64_e32 vcc, 0, v[10:11]
	s_nop 1
	v_cndmask_b32_e32 v9, 0, v9, vcc
	v_cndmask_b32_e32 v8, 0, v8, vcc
	ds_write_b64 v0, v[8:9]
.LBB33_2583:                            ;   in Loop: Header=BB33_2581 Depth=2
	s_or_b64 exec, exec, s[22:23]
	v_and_b32_e32 v0, 4, v58
	v_cmp_ne_u32_e32 vcc, 0, v0
	s_and_saveexec_b64 s[24:25], vcc
	s_cbranch_execz .LBB33_2605
; %bb.2584:                             ;   in Loop: Header=BB33_2581 Depth=2
	v_lshl_add_u64 v[8:9], v[116:117], 0, 2
	s_waitcnt vmcnt(0) lgkmcnt(0)
	v_cmp_lt_u64_e32 vcc, v[56:57], v[8:9]
	s_and_saveexec_b64 s[26:27], vcc
	s_cbranch_execz .LBB33_2596
; %bb.2585:                             ;   in Loop: Header=BB33_2581 Depth=2
	v_and_b32_e32 v0, 64, v58
	s_mov_b32 s63, 0
	v_cmp_eq_u32_e32 vcc, 0, v0
	s_mov_b64 s[28:29], 0
                                        ; implicit-def: $sgpr40_sgpr41
                                        ; implicit-def: $sgpr42_sgpr43
                                        ; implicit-def: $sgpr44_sgpr45
	s_branch .LBB33_2589
.LBB33_2586:                            ;   in Loop: Header=BB33_2589 Depth=3
	s_waitcnt vmcnt(0) lgkmcnt(0)
	v_cmp_ge_u64_e64 s[22:23], v[56:57], v[8:9]
	s_or_b64 s[58:59], s[58:59], exec
	s_orn2_b64 s[56:57], s[22:23], exec
.LBB33_2587:                            ;   in Loop: Header=BB33_2589 Depth=3
	s_or_b64 exec, exec, s[52:53]
	s_andn2_b64 s[22:23], s[44:45], exec
	s_and_b64 s[44:45], s[58:59], exec
	s_or_b64 s[44:45], s[22:23], s[44:45]
	s_andn2_b64 s[22:23], s[42:43], exec
	s_and_b64 s[42:43], s[56:57], exec
	s_or_b64 s[42:43], s[22:23], s[42:43]
.LBB33_2588:                            ;   in Loop: Header=BB33_2589 Depth=3
	s_or_b64 exec, exec, s[46:47]
	s_and_b64 s[22:23], exec, s[42:43]
	s_or_b64 s[28:29], s[22:23], s[28:29]
	s_andn2_b64 s[22:23], s[40:41], exec
	s_and_b64 s[40:41], s[44:45], exec
	s_or_b64 s[40:41], s[22:23], s[40:41]
	s_andn2_b64 exec, exec, s[28:29]
	s_cbranch_execz .LBB33_2593
.LBB33_2589:                            ;   Parent Loop BB33_47 Depth=1
                                        ;     Parent Loop BB33_2581 Depth=2
                                        ; =>    This Inner Loop Header: Depth=3
	s_sleep 1
	s_waitcnt vmcnt(0) lgkmcnt(0)
	flat_load_dwordx2 v[56:57], v[40:41] sc0 sc1
	s_or_b64 s[44:45], s[44:45], exec
	s_or_b64 s[42:43], s[42:43], exec
                                        ; implicit-def: $vgpr0
	s_and_saveexec_b64 s[46:47], vcc
	s_cbranch_execz .LBB33_2588
; %bb.2590:                             ;   in Loop: Header=BB33_2589 Depth=3
	s_cmpk_lt_i32 s63, 0x270f
	s_cselect_b64 s[50:51], -1, 0
	s_cmpk_gt_i32 s63, 0x270e
	s_mov_b64 s[56:57], -1
	s_cbranch_scc0 .LBB33_2592
; %bb.2591:                             ;   in Loop: Header=BB33_2589 Depth=3
	s_trap 2
	ds_read_b64 v[10:11], v0
	s_andn2_b64 s[50:51], s[50:51], exec
	s_mov_b32 s63, 0
	s_mov_b64 s[58:59], 0
	s_waitcnt vmcnt(0) lgkmcnt(0)
	flat_load_dword v0, v[10:11] sc0 sc1
	s_waitcnt vmcnt(0) lgkmcnt(0)
	buffer_inv sc0 sc1
	v_cmp_eq_u32_e64 s[22:23], 0, v0
	s_and_b64 s[22:23], s[22:23], exec
	s_or_b64 s[50:51], s[50:51], s[22:23]
	s_and_saveexec_b64 s[52:53], s[50:51]
	s_cbranch_execz .LBB33_2587
	s_branch .LBB33_2586
.LBB33_2592:                            ;   in Loop: Header=BB33_2589 Depth=3
	s_add_i32 s63, s63, 1
	s_mov_b64 s[58:59], -1
                                        ; implicit-def: $vgpr0
	s_and_saveexec_b64 s[52:53], s[50:51]
	s_cbranch_execz .LBB33_2587
	s_branch .LBB33_2586
.LBB33_2593:                            ;   in Loop: Header=BB33_2581 Depth=2
	s_or_b64 exec, exec, s[28:29]
	s_xor_b64 s[22:23], s[40:41], -1
	s_and_saveexec_b64 s[28:29], s[22:23]
	s_xor_b64 s[22:23], exec, s[28:29]
	s_cbranch_execz .LBB33_2595
; %bb.2594:                             ;   in Loop: Header=BB33_2581 Depth=2
	v_or_b32_e32 v58, 64, v58
	s_waitcnt lgkmcnt(0)
	ds_write_b32 v0, v0
	s_trap 2
.LBB33_2595:                            ;   in Loop: Header=BB33_2581 Depth=2
	s_or_b64 exec, exec, s[22:23]
.LBB33_2596:                            ;   in Loop: Header=BB33_2581 Depth=2
	s_or_b64 exec, exec, s[26:27]
	v_and_b32_e32 v0, 0x100, v58
	v_cmp_ne_u32_e32 vcc, 0, v0
	v_and_b32_e32 v0, 7, v116
	s_mov_b64 s[22:23], -1
	;;#ASMSTART
	s_wakeup
	;;#ASMEND
                                        ; implicit-def: $vgpr10_vgpr11
	s_and_saveexec_b64 s[26:27], vcc
	s_cbranch_execz .LBB33_2600
; %bb.2597:                             ;   in Loop: Header=BB33_2581 Depth=2
	v_mad_u64_u32 v[12:13], s[22:23], v0, 24, v[6:7]
	flat_load_dword v2, v[12:13]
                                        ; implicit-def: $vgpr10_vgpr11
	s_waitcnt vmcnt(0) lgkmcnt(0)
	v_cmp_ne_u32_e32 vcc, 1, v2
	v_cmp_eq_u32_e64 s[22:23], 1, v2
	s_and_saveexec_b64 s[28:29], s[22:23]
	s_cbranch_execz .LBB33_2599
; %bb.2598:                             ;   in Loop: Header=BB33_2581 Depth=2
	flat_load_dword v10, v[12:13] offset:4 sc0 sc1
	s_waitcnt vmcnt(0) lgkmcnt(0)
	v_ashrrev_i32_e32 v11, 31, v10
	v_lshrrev_b64 v[10:11], 1, v[10:11]
.LBB33_2599:                            ;   in Loop: Header=BB33_2581 Depth=2
	s_or_b64 exec, exec, s[28:29]
	s_orn2_b64 s[22:23], vcc, exec
.LBB33_2600:                            ;   in Loop: Header=BB33_2581 Depth=2
	s_or_b64 exec, exec, s[26:27]
	s_and_saveexec_b64 s[26:27], s[22:23]
; %bb.2601:                             ;   in Loop: Header=BB33_2581 Depth=2
	v_mad_i64_i32 v[10:11], s[22:23], v0, v30, 0
; %bb.2602:                             ;   in Loop: Header=BB33_2581 Depth=2
	s_or_b64 exec, exec, s[26:27]
	v_lshl_add_u64 v[10:11], v[10:11], 1, v[42:43]
	ds_write_b64 v0, v[10:11] offset:720
	v_and_b32_e32 v0, 0x2000, v58
	v_cmp_ne_u32_e32 vcc, 0, v0
	s_and_saveexec_b64 s[22:23], vcc
	s_cbranch_execz .LBB33_2604
; %bb.2603:                             ;   in Loop: Header=BB33_2581 Depth=2
	ds_read_b64 v[10:11], v0 offset:872
	s_waitcnt lgkmcnt(0)
	v_lshl_add_u64 v[10:11], v[10:11], 0, 1
	ds_write_b64 v0, v[10:11] offset:872
.LBB33_2604:                            ;   in Loop: Header=BB33_2581 Depth=2
	s_or_b64 exec, exec, s[22:23]
	v_mov_b64_e32 v[116:117], v[8:9]
.LBB33_2605:                            ;   in Loop: Header=BB33_2581 Depth=2
	s_or_b64 exec, exec, s[24:25]
	s_and_saveexec_b64 s[22:23], s[4:5]
	s_cbranch_execz .LBB33_2624
; %bb.2606:                             ;   in Loop: Header=BB33_2581 Depth=2
	s_and_saveexec_b64 s[24:25], s[76:77]
	s_xor_b64 s[24:25], exec, s[24:25]
	s_cbranch_execz .LBB33_2621
; %bb.2607:                             ;   in Loop: Header=BB33_2581 Depth=2
	s_and_saveexec_b64 s[26:27], s[12:13]
	s_cbranch_execz .LBB33_2620
; %bb.2608:                             ;   in Loop: Header=BB33_2581 Depth=2
	s_mov_b64 s[40:41], exec
	v_mbcnt_lo_u32_b32 v0, s40, 0
	v_mbcnt_hi_u32_b32 v0, s41, v0
	v_cmp_eq_u32_e32 vcc, 0, v0
	s_waitcnt lgkmcnt(0)
	s_and_saveexec_b64 s[28:29], vcc
	s_cbranch_execz .LBB33_2610
; %bb.2609:                             ;   in Loop: Header=BB33_2581 Depth=2
	s_bcnt1_i32_b64 s40, s[40:41]
	v_mov_b32_e32 v2, s40
	ds_add_u64 v0, v[2:3]
	s_trap 2
.LBB33_2610:                            ;   in Loop: Header=BB33_2581 Depth=2
	s_or_b64 exec, exec, s[28:29]
	s_trap 2
	ds_read_b64 v[8:9], v0
	s_waitcnt lgkmcnt(0)
	v_lshl_add_u64 v[46:47], v[46:47], 0, v[60:61]
	v_cmp_lt_u64_e32 vcc, v[8:9], v[46:47]
	s_and_saveexec_b64 s[28:29], vcc
	s_cbranch_execz .LBB33_2619
; %bb.2611:                             ;   in Loop: Header=BB33_2581 Depth=2
	s_mov_b32 s63, 0
	s_mov_b64 s[40:41], 0
                                        ; implicit-def: $sgpr42_sgpr43
                                        ; implicit-def: $sgpr44_sgpr45
	s_branch .LBB33_2613
.LBB33_2612:                            ;   in Loop: Header=BB33_2613 Depth=3
	s_or_b64 exec, exec, s[56:57]
	s_and_b64 s[46:47], exec, s[58:59]
	s_or_b64 s[40:41], s[46:47], s[40:41]
	s_andn2_b64 s[42:43], s[42:43], exec
	s_and_b64 s[46:47], s[44:45], exec
	s_or_b64 s[42:43], s[42:43], s[46:47]
	s_andn2_b64 exec, exec, s[40:41]
	s_cbranch_execz .LBB33_2617
.LBB33_2613:                            ;   Parent Loop BB33_47 Depth=1
                                        ;     Parent Loop BB33_2581 Depth=2
                                        ; =>    This Inner Loop Header: Depth=3
	s_add_i32 s63, s63, 1
	s_cmpk_lg_i32 s63, 0x2710
	s_cselect_b64 s[46:47], -1, 0
	s_and_b64 vcc, exec, s[46:47]
	s_cbranch_vccz .LBB33_2615
; %bb.2614:                             ;   in Loop: Header=BB33_2613 Depth=3
	s_mov_b64 s[58:59], -1
	s_or_b64 s[44:45], s[44:45], exec
	s_and_saveexec_b64 s[56:57], s[46:47]
	s_cbranch_execz .LBB33_2612
	s_branch .LBB33_2616
.LBB33_2615:                            ;   in Loop: Header=BB33_2613 Depth=3
	s_trap 2
	ds_read_b64 v[8:9], v0
	s_andn2_b64 s[46:47], s[46:47], exec
	s_mov_b32 s63, 0
	s_waitcnt vmcnt(0) lgkmcnt(0)
	flat_load_dword v0, v[8:9] sc0 sc1
	s_waitcnt vmcnt(0) lgkmcnt(0)
	buffer_inv sc0 sc1
	v_cmp_eq_u32_e32 vcc, 0, v0
	s_and_b64 s[56:57], vcc, exec
	s_or_b64 s[46:47], s[46:47], s[56:57]
	s_mov_b64 s[58:59], -1
	s_or_b64 s[44:45], s[44:45], exec
	s_and_saveexec_b64 s[56:57], s[46:47]
	s_cbranch_execz .LBB33_2612
.LBB33_2616:                            ;   in Loop: Header=BB33_2613 Depth=3
	s_sleep 1
	s_trap 2
	ds_read_b64 v[8:9], v0
	s_waitcnt lgkmcnt(0)
	s_andn2_b64 s[44:45], s[44:45], exec
	v_cmp_ge_u64_e32 vcc, v[8:9], v[46:47]
	s_orn2_b64 s[58:59], vcc, exec
	s_branch .LBB33_2612
.LBB33_2617:                            ;   in Loop: Header=BB33_2581 Depth=2
	s_or_b64 exec, exec, s[40:41]
	s_and_saveexec_b64 s[40:41], s[42:43]
	s_xor_b64 s[40:41], exec, s[40:41]
	s_cbranch_execz .LBB33_2619
; %bb.2618:                             ;   in Loop: Header=BB33_2581 Depth=2
	ds_write_b32 v0, v1
	s_trap 2
.LBB33_2619:                            ;   in Loop: Header=BB33_2581 Depth=2
	s_or_b64 exec, exec, s[28:29]
	;;#ASMSTART
	s_wakeup
	;;#ASMEND
.LBB33_2620:                            ;   in Loop: Header=BB33_2581 Depth=2
	s_or_b64 exec, exec, s[26:27]
.LBB33_2621:                            ;   in Loop: Header=BB33_2581 Depth=2
	s_andn2_saveexec_b64 s[24:25], s[24:25]
	s_cbranch_execz .LBB33_2623
; %bb.2622:                             ;   in Loop: Header=BB33_2581 Depth=2
	s_waitcnt lgkmcnt(0)
	s_barrier
.LBB33_2623:                            ;   in Loop: Header=BB33_2581 Depth=2
	s_or_b64 exec, exec, s[24:25]
.LBB33_2624:                            ;   in Loop: Header=BB33_2581 Depth=2
	s_or_b64 exec, exec, s[22:23]
	s_trap 2
	ds_read_b32 v0, v0
	v_and_b32_e32 v2, 0x4000, v58
	v_cmp_ne_u32_e32 vcc, 0, v2
	s_xor_b64 s[22:23], s[2:3], -1
	s_and_b64 s[24:25], s[22:23], vcc
	s_and_saveexec_b64 s[22:23], s[24:25]
	s_cbranch_execz .LBB33_2643
; %bb.2625:                             ;   in Loop: Header=BB33_2581 Depth=2
	s_and_saveexec_b64 s[24:25], s[76:77]
	s_xor_b64 s[24:25], exec, s[24:25]
	s_cbranch_execz .LBB33_2640
; %bb.2626:                             ;   in Loop: Header=BB33_2581 Depth=2
	s_and_saveexec_b64 s[26:27], s[12:13]
	s_cbranch_execz .LBB33_2639
; %bb.2627:                             ;   in Loop: Header=BB33_2581 Depth=2
	s_mov_b64 s[40:41], exec
	v_mbcnt_lo_u32_b32 v2, s40, 0
	v_mbcnt_hi_u32_b32 v2, s41, v2
	v_cmp_eq_u32_e32 vcc, 0, v2
	s_waitcnt lgkmcnt(0)
	s_and_saveexec_b64 s[28:29], vcc
	s_cbranch_execz .LBB33_2629
; %bb.2628:                             ;   in Loop: Header=BB33_2581 Depth=2
	s_bcnt1_i32_b64 s40, s[40:41]
	v_mov_b32_e32 v2, s40
	ds_add_u64 v0, v[2:3]
	s_trap 2
.LBB33_2629:                            ;   in Loop: Header=BB33_2581 Depth=2
	s_or_b64 exec, exec, s[28:29]
	s_trap 2
	ds_read_b64 v[8:9], v0
	s_waitcnt lgkmcnt(0)
	v_lshl_add_u64 v[46:47], v[46:47], 0, v[60:61]
	v_cmp_lt_u64_e32 vcc, v[8:9], v[46:47]
	s_and_saveexec_b64 s[28:29], vcc
	s_cbranch_execz .LBB33_2638
; %bb.2630:                             ;   in Loop: Header=BB33_2581 Depth=2
	s_mov_b32 s63, 0
	s_mov_b64 s[40:41], 0
                                        ; implicit-def: $sgpr42_sgpr43
                                        ; implicit-def: $sgpr44_sgpr45
	s_branch .LBB33_2632
.LBB33_2631:                            ;   in Loop: Header=BB33_2632 Depth=3
	s_or_b64 exec, exec, s[56:57]
	s_and_b64 s[46:47], exec, s[58:59]
	s_or_b64 s[40:41], s[46:47], s[40:41]
	s_andn2_b64 s[42:43], s[42:43], exec
	s_and_b64 s[46:47], s[44:45], exec
	s_or_b64 s[42:43], s[42:43], s[46:47]
	s_andn2_b64 exec, exec, s[40:41]
	s_cbranch_execz .LBB33_2636
.LBB33_2632:                            ;   Parent Loop BB33_47 Depth=1
                                        ;     Parent Loop BB33_2581 Depth=2
                                        ; =>    This Inner Loop Header: Depth=3
	s_add_i32 s63, s63, 1
	s_cmpk_lg_i32 s63, 0x2710
	s_cselect_b64 s[46:47], -1, 0
	s_and_b64 vcc, exec, s[46:47]
	s_cbranch_vccz .LBB33_2634
; %bb.2633:                             ;   in Loop: Header=BB33_2632 Depth=3
	s_mov_b64 s[58:59], -1
	s_or_b64 s[44:45], s[44:45], exec
	s_and_saveexec_b64 s[56:57], s[46:47]
	s_cbranch_execz .LBB33_2631
	s_branch .LBB33_2635
.LBB33_2634:                            ;   in Loop: Header=BB33_2632 Depth=3
	s_trap 2
	ds_read_b64 v[8:9], v0
	s_andn2_b64 s[46:47], s[46:47], exec
	s_mov_b32 s63, 0
	s_waitcnt vmcnt(0) lgkmcnt(0)
	flat_load_dword v2, v[8:9] sc0 sc1
	s_waitcnt vmcnt(0) lgkmcnt(0)
	buffer_inv sc0 sc1
	v_cmp_eq_u32_e32 vcc, 0, v2
	s_and_b64 s[56:57], vcc, exec
	s_or_b64 s[46:47], s[46:47], s[56:57]
	s_mov_b64 s[58:59], -1
	s_or_b64 s[44:45], s[44:45], exec
	s_and_saveexec_b64 s[56:57], s[46:47]
	s_cbranch_execz .LBB33_2631
.LBB33_2635:                            ;   in Loop: Header=BB33_2632 Depth=3
	s_sleep 1
	s_trap 2
	ds_read_b64 v[8:9], v0
	s_waitcnt lgkmcnt(0)
	s_andn2_b64 s[44:45], s[44:45], exec
	v_cmp_ge_u64_e32 vcc, v[8:9], v[46:47]
	s_orn2_b64 s[58:59], vcc, exec
	s_branch .LBB33_2631
.LBB33_2636:                            ;   in Loop: Header=BB33_2581 Depth=2
	s_or_b64 exec, exec, s[40:41]
	s_and_saveexec_b64 s[40:41], s[42:43]
	s_xor_b64 s[40:41], exec, s[40:41]
	s_cbranch_execz .LBB33_2638
; %bb.2637:                             ;   in Loop: Header=BB33_2581 Depth=2
	ds_write_b32 v0, v1
	s_trap 2
.LBB33_2638:                            ;   in Loop: Header=BB33_2581 Depth=2
	s_or_b64 exec, exec, s[28:29]
	;;#ASMSTART
	s_wakeup
	;;#ASMEND
.LBB33_2639:                            ;   in Loop: Header=BB33_2581 Depth=2
	s_or_b64 exec, exec, s[26:27]
.LBB33_2640:                            ;   in Loop: Header=BB33_2581 Depth=2
	s_andn2_saveexec_b64 s[24:25], s[24:25]
	s_cbranch_execz .LBB33_2642
; %bb.2641:                             ;   in Loop: Header=BB33_2581 Depth=2
	s_waitcnt lgkmcnt(0)
	s_barrier
.LBB33_2642:                            ;   in Loop: Header=BB33_2581 Depth=2
	s_or_b64 exec, exec, s[24:25]
.LBB33_2643:                            ;   in Loop: Header=BB33_2581 Depth=2
	s_or_b64 exec, exec, s[22:23]
	s_trap 2
	s_waitcnt lgkmcnt(0)
	ds_read_b64 v[118:119], v0
	v_sub_u32_e32 v2, v31, v4
	v_min_i32_e32 v59, v59, v2
	s_waitcnt lgkmcnt(0)
	v_cmp_eq_u64_e32 vcc, 0, v[118:119]
	s_cbranch_vccnz .LBB33_2651
; %bb.2644:                             ;   in Loop: Header=BB33_2581 Depth=2
	s_trap 2
	ds_read_b64 v[62:63], v0
	s_waitcnt lgkmcnt(0)
	v_cmp_eq_u64_e32 vcc, 0, v[62:63]
	s_cbranch_vccnz .LBB33_2651
; %bb.2645:                             ;   in Loop: Header=BB33_2581 Depth=2
	s_trap 2
	ds_read_b64 v[28:29], v0
	s_mov_b64 s[24:25], -1
	s_waitcnt lgkmcnt(0)
	v_readfirstlane_b32 s63, v28
	s_and_saveexec_b64 s[22:23], s[16:17]
	s_cbranch_execz .LBB33_2647
; %bb.2646:                             ;   in Loop: Header=BB33_2581 Depth=2
	ds_read_b32 v2, v0 offset:720
	s_waitcnt lgkmcnt(0)
	v_and_b32_e32 v2, 15, v2
	v_cmp_eq_u32_e32 vcc, 0, v2
	s_orn2_b64 s[24:25], vcc, exec
.LBB33_2647:                            ;   in Loop: Header=BB33_2581 Depth=2
	s_or_b64 exec, exec, s[22:23]
	s_and_saveexec_b64 s[22:23], s[14:15]
	s_cbranch_execz .LBB33_2649
; %bb.2648:                             ;   in Loop: Header=BB33_2581 Depth=2
	ds_read_b32 v2, v0 offset:784
	s_waitcnt lgkmcnt(0)
	v_and_b32_e32 v2, 15, v2
	v_cmp_eq_u32_e32 vcc, 0, v2
	s_and_b64 s[26:27], s[24:25], vcc
	s_andn2_b64 s[24:25], s[24:25], exec
	s_and_b64 s[26:27], s[26:27], exec
	s_or_b64 s[24:25], s[24:25], s[26:27]
.LBB33_2649:                            ;   in Loop: Header=BB33_2581 Depth=2
	s_or_b64 exec, exec, s[22:23]
	v_cmp_eq_u32_e32 vcc, 0, v0
	s_xor_b64 s[24:25], s[24:25], -1
	v_cndmask_b32_e64 v0, 0, 1, s[24:25]
	v_cndmask_b32_e32 v81, 0, v59, vcc
	v_lshlrev_b32_e32 v5, 1, v81
	s_mov_b64 s[22:23], -1
	v_cmp_ne_u32_e32 vcc, 0, v0
	v_mov_b32_e32 v18, 0
	s_cbranch_vccz .LBB33_2656
; %bb.2650:                             ;   in Loop: Header=BB33_2581 Depth=2
	v_mov_b32_e32 v19, v109
	s_and_saveexec_b64 s[24:25], s[22:23]
	s_cbranch_execnz .LBB33_2923
	s_branch .LBB33_2995
.LBB33_2651:                            ;   in Loop: Header=BB33_2581 Depth=2
	s_mov_b64 s[22:23], 0
	s_and_saveexec_b64 s[24:25], s[4:5]
	s_cbranch_execnz .LBB33_2996
.LBB33_2652:                            ;   in Loop: Header=BB33_2581 Depth=2
	s_or_b64 exec, exec, s[24:25]
	s_and_saveexec_b64 s[24:25], s[20:21]
	s_xor_b64 s[24:25], exec, s[24:25]
	s_cbranch_execz .LBB33_3014
.LBB33_2653:                            ;   in Loop: Header=BB33_2581 Depth=2
	v_and_b32_e32 v0, 16, v58
	v_cmp_ne_u32_e32 vcc, 0, v0
	s_and_b64 s[26:27], vcc, s[22:23]
	s_and_saveexec_b64 s[22:23], s[26:27]
	s_cbranch_execz .LBB33_2655
; %bb.2654:                             ;   in Loop: Header=BB33_2581 Depth=2
	buffer_wbl2 sc1
	s_waitcnt vmcnt(0) lgkmcnt(0)
	buffer_inv sc1
.LBB33_2655:                            ;   in Loop: Header=BB33_2581 Depth=2
	s_or_b64 exec, exec, s[22:23]
	s_andn2_saveexec_b64 s[22:23], s[24:25]
	s_cbranch_execz .LBB33_3033
	s_branch .LBB33_3015
.LBB33_2656:                            ;   in Loop: Header=BB33_2581 Depth=2
	v_ashrrev_i32_e32 v0, 31, v5
	v_lshrrev_b32_e32 v0, 19, v0
	v_add_u32_e32 v0, v5, v0
	v_ashrrev_i32_e32 v0, 13, v0
	v_sub_u32_e32 v2, v0, v111
	v_cmp_lt_i32_e32 vcc, 0, v2
	s_and_saveexec_b64 s[24:25], vcc
	s_cbranch_execz .LBB33_2916
; %bb.2657:                             ;   in Loop: Header=BB33_2581 Depth=2
	s_and_b32 s74, s63, 1
	s_cmp_eq_u64 s[74:75], 0
	s_mov_b64 s[26:27], 0
	s_cselect_b64 s[22:23], -1, 0
	v_mov_b64_e32 v[104:105], v[62:63]
	v_mov_b64_e32 v[106:107], v[118:119]
	;; [unrolled: 1-line block ×3, first 2 shown]
	scratch_store_dword off, v0, s33 offset:244 ; 4-byte Folded Spill
	scratch_store_dword off, v81, s33 offset:200 ; 4-byte Folded Spill
	s_branch .LBB33_2659
.LBB33_2658:                            ;   in Loop: Header=BB33_2659 Depth=3
	s_or_b64 exec, exec, s[28:29]
	v_lshrrev_b32_e32 v12, 16, v12
	v_and_or_b32 v9, v9, s97, v12
	v_lshrrev_b32_e32 v0, 16, v0
	v_add_co_u32_e32 v12, vcc, 0x1000, v100
	v_and_or_b32 v8, v8, s97, v0
	v_lshrrev_b32_e32 v0, 16, v13
	v_addc_co_u32_e32 v13, vcc, 0, v101, vcc
	v_sub_u32_e32 v2, v2, v60
	v_and_or_b32 v10, v10, s97, v0
	v_lshrrev_b32_e32 v0, 16, v14
	v_cmp_gt_i32_e32 vcc, 1, v2
	v_and_or_b32 v11, v11, s97, v0
	v_lshl_add_u64 v[72:73], v[72:73], 0, v[74:75]
	v_lshl_add_u64 v[106:107], v[106:107], 0, v[74:75]
	s_or_b64 s[26:27], vcc, s[26:27]
	v_lshl_add_u64 v[104:105], v[104:105], 0, v[74:75]
	global_store_dwordx4 v[12:13], v[8:11], off offset:3072
	s_andn2_b64 exec, exec, s[26:27]
	s_cbranch_execz .LBB33_2915
.LBB33_2659:                            ;   Parent Loop BB33_47 Depth=1
                                        ;     Parent Loop BB33_2581 Depth=2
                                        ; =>    This Inner Loop Header: Depth=3
	scratch_load_dwordx2 v[10:11], off, s33 offset:184 ; 8-byte Folded Reload
	s_waitcnt vmcnt(0)
	v_lshl_add_u64 v[8:9], v[10:11], 0, v[72:73]
	v_lshl_add_u64 v[10:11], v[10:11], 0, v[106:107]
	global_load_dwordx4 v[100:103], v[10:11], off nt
	global_load_dwordx4 v[84:87], v[10:11], off offset:1024 nt
	global_load_dwordx4 v[112:115], v[8:9], off nt
	global_load_dwordx4 v[96:99], v[8:9], off offset:1024 nt
	global_load_dwordx4 v[68:71], v[10:11], off offset:2048 nt
	;; [unrolled: 1-line block ×5, first 2 shown]
	v_add_co_u32_e32 v10, vcc, s85, v10
	s_waitcnt vmcnt(7)
	v_lshlrev_b32_e32 v0, 16, v100
	v_addc_co_u32_e32 v11, vcc, 0, v11, vcc
	v_add_co_u32_e32 v12, vcc, s85, v8
	s_waitcnt vmcnt(5)
	v_lshlrev_b32_e32 v108, 16, v112
	v_addc_co_u32_e32 v13, vcc, 0, v9, vcc
	global_load_dwordx4 v[36:39], v[10:11], off nt
	global_load_dwordx4 v[24:27], v[10:11], off offset:1024 nt
	global_load_dwordx4 v[48:51], v[12:13], off nt
	global_load_dwordx4 v[32:35], v[12:13], off offset:1024 nt
	global_load_dwordx4 v[16:19], v[10:11], off offset:2048 nt
	s_nop 0
	global_load_dwordx4 v[8:11], v[10:11], off offset:3072 nt
	s_nop 0
	;; [unrolled: 2-line block ×3, first 2 shown]
	global_load_dwordx4 v[12:15], v[12:13], off offset:3072 nt
	v_max_f32_e32 v108, v108, v108
	v_max_f32_e32 v0, v0, v0
	v_min_f32_e32 v109, v0, v108
	v_max_f32_e32 v0, v0, v108
	v_cndmask_b32_e64 v124, v0, v109, s[22:23]
	v_and_b32_e32 v0, 0x7f800000, v124
	v_cmp_ne_u32_e32 vcc, s87, v0
                                        ; implicit-def: $vgpr0
	s_and_saveexec_b64 s[28:29], vcc
	s_xor_b64 s[28:29], exec, s[28:29]
; %bb.2660:                             ;   in Loop: Header=BB33_2659 Depth=3
	v_bfe_u32 v0, v124, 16, 1
	v_add3_u32 v0, v124, v0, s96
                                        ; implicit-def: $vgpr124
; %bb.2661:                             ;   in Loop: Header=BB33_2659 Depth=3
	s_andn2_saveexec_b64 s[28:29], s[28:29]
; %bb.2662:                             ;   in Loop: Header=BB33_2659 Depth=3
	v_or_b32_e32 v0, 0x10000, v124
	v_cmp_eq_u32_sdwa vcc, v124, v3 src0_sel:WORD_0 src1_sel:DWORD
	s_nop 1
	v_cndmask_b32_e32 v0, v0, v124, vcc
; %bb.2663:                             ;   in Loop: Header=BB33_2659 Depth=3
	s_or_b64 exec, exec, s[28:29]
	v_and_b32_e32 v100, 0xffff0000, v100
	v_and_b32_e32 v112, 0xffff0000, v112
	v_max_f32_e32 v112, v112, v112
	v_max_f32_e32 v100, v100, v100
	v_min_f32_e32 v108, v100, v112
	v_max_f32_e32 v100, v100, v112
	v_cndmask_b32_e64 v100, v100, v108, s[22:23]
	v_and_b32_e32 v112, 0x7f800000, v100
	v_cmp_ne_u32_e32 vcc, s87, v112
                                        ; implicit-def: $vgpr112
	s_and_saveexec_b64 s[28:29], vcc
	s_xor_b64 s[28:29], exec, s[28:29]
; %bb.2664:                             ;   in Loop: Header=BB33_2659 Depth=3
	v_bfe_u32 v112, v100, 16, 1
	v_add3_u32 v112, v100, v112, s96
                                        ; implicit-def: $vgpr100
; %bb.2665:                             ;   in Loop: Header=BB33_2659 Depth=3
	s_andn2_saveexec_b64 s[28:29], s[28:29]
; %bb.2666:                             ;   in Loop: Header=BB33_2659 Depth=3
	v_or_b32_e32 v112, 0x10000, v100
	v_cmp_eq_u32_sdwa vcc, v100, v3 src0_sel:WORD_0 src1_sel:DWORD
	s_nop 1
	v_cndmask_b32_e32 v112, v112, v100, vcc
; %bb.2667:                             ;   in Loop: Header=BB33_2659 Depth=3
	s_or_b64 exec, exec, s[28:29]
	v_lshlrev_b32_e32 v100, 16, v101
	v_lshlrev_b32_e32 v108, 16, v113
	v_max_f32_e32 v108, v108, v108
	v_max_f32_e32 v100, v100, v100
	v_min_f32_e32 v109, v100, v108
	v_max_f32_e32 v100, v100, v108
	v_cndmask_b32_e64 v100, v100, v109, s[22:23]
	v_and_b32_e32 v108, 0x7f800000, v100
	v_cmp_ne_u32_e32 vcc, s87, v108
                                        ; implicit-def: $vgpr124
	s_and_saveexec_b64 s[28:29], vcc
	s_xor_b64 s[28:29], exec, s[28:29]
; %bb.2668:                             ;   in Loop: Header=BB33_2659 Depth=3
	v_bfe_u32 v108, v100, 16, 1
	v_add3_u32 v124, v100, v108, s96
                                        ; implicit-def: $vgpr100
; %bb.2669:                             ;   in Loop: Header=BB33_2659 Depth=3
	s_andn2_saveexec_b64 s[28:29], s[28:29]
; %bb.2670:                             ;   in Loop: Header=BB33_2659 Depth=3
	v_or_b32_e32 v108, 0x10000, v100
	v_cmp_eq_u32_sdwa vcc, v100, v3 src0_sel:WORD_0 src1_sel:DWORD
	s_nop 1
	v_cndmask_b32_e32 v124, v108, v100, vcc
; %bb.2671:                             ;   in Loop: Header=BB33_2659 Depth=3
	s_or_b64 exec, exec, s[28:29]
	v_and_b32_e32 v100, 0xffff0000, v101
	v_and_b32_e32 v101, 0xffff0000, v113
	v_max_f32_e32 v101, v101, v101
	v_max_f32_e32 v100, v100, v100
	v_min_f32_e32 v113, v100, v101
	v_max_f32_e32 v100, v100, v101
	v_cndmask_b32_e64 v100, v100, v113, s[22:23]
	v_and_b32_e32 v101, 0x7f800000, v100
	v_cmp_ne_u32_e32 vcc, s87, v101
                                        ; implicit-def: $vgpr113
	s_and_saveexec_b64 s[28:29], vcc
	s_xor_b64 s[28:29], exec, s[28:29]
; %bb.2672:                             ;   in Loop: Header=BB33_2659 Depth=3
	v_bfe_u32 v101, v100, 16, 1
	v_add3_u32 v113, v100, v101, s96
                                        ; implicit-def: $vgpr100
; %bb.2673:                             ;   in Loop: Header=BB33_2659 Depth=3
	s_andn2_saveexec_b64 s[28:29], s[28:29]
; %bb.2674:                             ;   in Loop: Header=BB33_2659 Depth=3
	v_or_b32_e32 v101, 0x10000, v100
	v_cmp_eq_u32_sdwa vcc, v100, v3 src0_sel:WORD_0 src1_sel:DWORD
	s_nop 1
	v_cndmask_b32_e32 v113, v101, v100, vcc
; %bb.2675:                             ;   in Loop: Header=BB33_2659 Depth=3
	s_or_b64 exec, exec, s[28:29]
	v_lshlrev_b32_e32 v100, 16, v102
	v_lshlrev_b32_e32 v101, 16, v114
	v_max_f32_e32 v101, v101, v101
	v_max_f32_e32 v100, v100, v100
	v_min_f32_e32 v108, v100, v101
	v_max_f32_e32 v100, v100, v101
	v_cndmask_b32_e64 v100, v100, v108, s[22:23]
	v_and_b32_e32 v101, 0x7f800000, v100
	v_cmp_ne_u32_e32 vcc, s87, v101
                                        ; implicit-def: $vgpr125
	s_and_saveexec_b64 s[28:29], vcc
	s_xor_b64 s[28:29], exec, s[28:29]
; %bb.2676:                             ;   in Loop: Header=BB33_2659 Depth=3
	v_bfe_u32 v101, v100, 16, 1
	v_add3_u32 v125, v100, v101, s96
                                        ; implicit-def: $vgpr100
; %bb.2677:                             ;   in Loop: Header=BB33_2659 Depth=3
	s_andn2_saveexec_b64 s[28:29], s[28:29]
; %bb.2678:                             ;   in Loop: Header=BB33_2659 Depth=3
	v_or_b32_e32 v101, 0x10000, v100
	v_cmp_eq_u32_sdwa vcc, v100, v3 src0_sel:WORD_0 src1_sel:DWORD
	s_nop 1
	v_cndmask_b32_e32 v125, v101, v100, vcc
; %bb.2679:                             ;   in Loop: Header=BB33_2659 Depth=3
	s_or_b64 exec, exec, s[28:29]
	v_and_b32_e32 v100, 0xffff0000, v102
	v_and_b32_e32 v101, 0xffff0000, v114
	v_max_f32_e32 v101, v101, v101
	v_max_f32_e32 v100, v100, v100
	v_min_f32_e32 v102, v100, v101
	v_max_f32_e32 v100, v100, v101
	v_cndmask_b32_e64 v100, v100, v102, s[22:23]
	v_and_b32_e32 v101, 0x7f800000, v100
	v_cmp_ne_u32_e32 vcc, s87, v101
                                        ; implicit-def: $vgpr102
	s_and_saveexec_b64 s[28:29], vcc
	s_xor_b64 s[28:29], exec, s[28:29]
; %bb.2680:                             ;   in Loop: Header=BB33_2659 Depth=3
	v_bfe_u32 v101, v100, 16, 1
	v_add3_u32 v102, v100, v101, s96
                                        ; implicit-def: $vgpr100
; %bb.2681:                             ;   in Loop: Header=BB33_2659 Depth=3
	s_andn2_saveexec_b64 s[28:29], s[28:29]
; %bb.2682:                             ;   in Loop: Header=BB33_2659 Depth=3
	v_or_b32_e32 v101, 0x10000, v100
	v_cmp_eq_u32_sdwa vcc, v100, v3 src0_sel:WORD_0 src1_sel:DWORD
	s_nop 1
	v_cndmask_b32_e32 v102, v101, v100, vcc
; %bb.2683:                             ;   in Loop: Header=BB33_2659 Depth=3
	s_or_b64 exec, exec, s[28:29]
	v_lshlrev_b32_e32 v100, 16, v103
	v_lshlrev_b32_e32 v101, 16, v115
	v_max_f32_e32 v101, v101, v101
	v_max_f32_e32 v100, v100, v100
	v_min_f32_e32 v114, v100, v101
	v_max_f32_e32 v100, v100, v101
	v_cndmask_b32_e64 v100, v100, v114, s[22:23]
	v_and_b32_e32 v101, 0x7f800000, v100
	v_cmp_ne_u32_e32 vcc, s87, v101
                                        ; implicit-def: $vgpr114
	s_and_saveexec_b64 s[28:29], vcc
	s_xor_b64 s[28:29], exec, s[28:29]
; %bb.2684:                             ;   in Loop: Header=BB33_2659 Depth=3
	v_bfe_u32 v101, v100, 16, 1
	v_add3_u32 v114, v100, v101, s96
                                        ; implicit-def: $vgpr100
; %bb.2685:                             ;   in Loop: Header=BB33_2659 Depth=3
	s_andn2_saveexec_b64 s[28:29], s[28:29]
; %bb.2686:                             ;   in Loop: Header=BB33_2659 Depth=3
	v_or_b32_e32 v101, 0x10000, v100
	v_cmp_eq_u32_sdwa vcc, v100, v3 src0_sel:WORD_0 src1_sel:DWORD
	s_nop 1
	v_cndmask_b32_e32 v114, v101, v100, vcc
; %bb.2687:                             ;   in Loop: Header=BB33_2659 Depth=3
	s_or_b64 exec, exec, s[28:29]
	v_and_b32_e32 v100, 0xffff0000, v103
	v_and_b32_e32 v101, 0xffff0000, v115
	v_max_f32_e32 v101, v101, v101
	v_max_f32_e32 v100, v100, v100
	v_min_f32_e32 v103, v100, v101
	v_max_f32_e32 v100, v100, v101
	v_cndmask_b32_e64 v100, v100, v103, s[22:23]
	v_and_b32_e32 v101, 0x7f800000, v100
	v_cmp_ne_u32_e32 vcc, s87, v101
                                        ; implicit-def: $vgpr103
	s_and_saveexec_b64 s[28:29], vcc
	s_xor_b64 s[28:29], exec, s[28:29]
; %bb.2688:                             ;   in Loop: Header=BB33_2659 Depth=3
	v_bfe_u32 v101, v100, 16, 1
	v_add3_u32 v103, v100, v101, s96
                                        ; implicit-def: $vgpr100
; %bb.2689:                             ;   in Loop: Header=BB33_2659 Depth=3
	s_andn2_saveexec_b64 s[28:29], s[28:29]
; %bb.2690:                             ;   in Loop: Header=BB33_2659 Depth=3
	v_or_b32_e32 v101, 0x10000, v100
	v_cmp_eq_u32_sdwa vcc, v100, v3 src0_sel:WORD_0 src1_sel:DWORD
	s_nop 1
	v_cndmask_b32_e32 v103, v101, v100, vcc
; %bb.2691:                             ;   in Loop: Header=BB33_2659 Depth=3
	s_or_b64 exec, exec, s[28:29]
	scratch_load_dwordx2 v[100:101], off, s33 offset:184 ; 8-byte Folded Reload
	v_lshrrev_b32_e32 v0, 16, v0
	v_and_or_b32 v108, v112, s97, v0
	v_lshrrev_b32_e32 v0, 16, v125
	v_and_or_b32 v110, v102, s97, v0
	;; [unrolled: 2-line block ×3, first 2 shown]
	v_lshlrev_b32_e32 v0, 16, v84
	s_waitcnt vmcnt(13)
	v_lshlrev_b32_e32 v102, 16, v96
	v_max_f32_e32 v102, v102, v102
	v_max_f32_e32 v0, v0, v0
	v_min_f32_e32 v103, v0, v102
	v_max_f32_e32 v0, v0, v102
	v_cndmask_b32_e64 v102, v0, v103, s[22:23]
	v_lshrrev_b32_e32 v115, 16, v124
	v_and_b32_e32 v0, 0x7f800000, v102
	v_and_or_b32 v109, v113, s97, v115
	v_cmp_ne_u32_e32 vcc, s87, v0
                                        ; implicit-def: $vgpr0
	s_waitcnt vmcnt(0)
	v_lshl_add_u64 v[100:101], v[100:101], 0, v[104:105]
	global_store_dwordx4 v[100:101], v[108:111], off
	s_and_saveexec_b64 s[28:29], vcc
	s_xor_b64 s[28:29], exec, s[28:29]
; %bb.2692:                             ;   in Loop: Header=BB33_2659 Depth=3
	v_bfe_u32 v0, v102, 16, 1
	v_add3_u32 v0, v102, v0, s96
                                        ; implicit-def: $vgpr102
; %bb.2693:                             ;   in Loop: Header=BB33_2659 Depth=3
	s_andn2_saveexec_b64 s[28:29], s[28:29]
; %bb.2694:                             ;   in Loop: Header=BB33_2659 Depth=3
	v_or_b32_e32 v0, 0x10000, v102
	v_cmp_eq_u32_sdwa vcc, v102, v3 src0_sel:WORD_0 src1_sel:DWORD
	s_nop 1
	v_cndmask_b32_e32 v0, v0, v102, vcc
; %bb.2695:                             ;   in Loop: Header=BB33_2659 Depth=3
	s_or_b64 exec, exec, s[28:29]
	v_and_b32_e32 v84, 0xffff0000, v84
	v_and_b32_e32 v96, 0xffff0000, v96
	v_max_f32_e32 v96, v96, v96
	v_max_f32_e32 v84, v84, v84
	v_min_f32_e32 v102, v84, v96
	v_max_f32_e32 v84, v84, v96
	v_cndmask_b32_e64 v96, v84, v102, s[22:23]
	v_and_b32_e32 v84, 0x7f800000, v96
	v_cmp_ne_u32_e32 vcc, s87, v84
                                        ; implicit-def: $vgpr84
	s_and_saveexec_b64 s[28:29], vcc
	s_xor_b64 s[28:29], exec, s[28:29]
; %bb.2696:                             ;   in Loop: Header=BB33_2659 Depth=3
	v_bfe_u32 v84, v96, 16, 1
	v_add3_u32 v84, v96, v84, s96
                                        ; implicit-def: $vgpr96
; %bb.2697:                             ;   in Loop: Header=BB33_2659 Depth=3
	s_andn2_saveexec_b64 s[28:29], s[28:29]
; %bb.2698:                             ;   in Loop: Header=BB33_2659 Depth=3
	v_or_b32_e32 v84, 0x10000, v96
	v_cmp_eq_u32_sdwa vcc, v96, v3 src0_sel:WORD_0 src1_sel:DWORD
	s_nop 1
	v_cndmask_b32_e32 v84, v84, v96, vcc
; %bb.2699:                             ;   in Loop: Header=BB33_2659 Depth=3
	s_or_b64 exec, exec, s[28:29]
	v_lshlrev_b32_e32 v96, 16, v85
	v_lshlrev_b32_e32 v102, 16, v97
	v_max_f32_e32 v102, v102, v102
	v_max_f32_e32 v96, v96, v96
	v_min_f32_e32 v103, v96, v102
	v_max_f32_e32 v96, v96, v102
	v_cndmask_b32_e64 v102, v96, v103, s[22:23]
	v_and_b32_e32 v96, 0x7f800000, v102
	v_cmp_ne_u32_e32 vcc, s87, v96
                                        ; implicit-def: $vgpr96
	s_and_saveexec_b64 s[28:29], vcc
	s_xor_b64 s[28:29], exec, s[28:29]
; %bb.2700:                             ;   in Loop: Header=BB33_2659 Depth=3
	v_bfe_u32 v96, v102, 16, 1
	v_add3_u32 v96, v102, v96, s96
                                        ; implicit-def: $vgpr102
; %bb.2701:                             ;   in Loop: Header=BB33_2659 Depth=3
	s_andn2_saveexec_b64 s[28:29], s[28:29]
; %bb.2702:                             ;   in Loop: Header=BB33_2659 Depth=3
	v_or_b32_e32 v96, 0x10000, v102
	v_cmp_eq_u32_sdwa vcc, v102, v3 src0_sel:WORD_0 src1_sel:DWORD
	s_nop 1
	v_cndmask_b32_e32 v96, v96, v102, vcc
; %bb.2703:                             ;   in Loop: Header=BB33_2659 Depth=3
	s_or_b64 exec, exec, s[28:29]
	v_and_b32_e32 v85, 0xffff0000, v85
	v_and_b32_e32 v97, 0xffff0000, v97
	v_max_f32_e32 v97, v97, v97
	v_max_f32_e32 v85, v85, v85
	v_min_f32_e32 v102, v85, v97
	v_max_f32_e32 v85, v85, v97
	v_cndmask_b32_e64 v97, v85, v102, s[22:23]
	v_and_b32_e32 v85, 0x7f800000, v97
	v_cmp_ne_u32_e32 vcc, s87, v85
                                        ; implicit-def: $vgpr85
	s_and_saveexec_b64 s[28:29], vcc
	s_xor_b64 s[28:29], exec, s[28:29]
; %bb.2704:                             ;   in Loop: Header=BB33_2659 Depth=3
	v_bfe_u32 v85, v97, 16, 1
	v_add3_u32 v85, v97, v85, s96
                                        ; implicit-def: $vgpr97
; %bb.2705:                             ;   in Loop: Header=BB33_2659 Depth=3
	s_andn2_saveexec_b64 s[28:29], s[28:29]
; %bb.2706:                             ;   in Loop: Header=BB33_2659 Depth=3
	v_or_b32_e32 v85, 0x10000, v97
	v_cmp_eq_u32_sdwa vcc, v97, v3 src0_sel:WORD_0 src1_sel:DWORD
	s_nop 1
	v_cndmask_b32_e32 v85, v85, v97, vcc
; %bb.2707:                             ;   in Loop: Header=BB33_2659 Depth=3
	s_or_b64 exec, exec, s[28:29]
	v_lshlrev_b32_e32 v97, 16, v86
	v_lshlrev_b32_e32 v102, 16, v98
	v_max_f32_e32 v102, v102, v102
	v_max_f32_e32 v97, v97, v97
	v_min_f32_e32 v103, v97, v102
	v_max_f32_e32 v97, v97, v102
	v_cndmask_b32_e64 v102, v97, v103, s[22:23]
	v_and_b32_e32 v97, 0x7f800000, v102
	v_cmp_ne_u32_e32 vcc, s87, v97
                                        ; implicit-def: $vgpr97
	s_and_saveexec_b64 s[28:29], vcc
	s_xor_b64 s[28:29], exec, s[28:29]
; %bb.2708:                             ;   in Loop: Header=BB33_2659 Depth=3
	v_bfe_u32 v97, v102, 16, 1
	v_add3_u32 v97, v102, v97, s96
                                        ; implicit-def: $vgpr102
; %bb.2709:                             ;   in Loop: Header=BB33_2659 Depth=3
	s_andn2_saveexec_b64 s[28:29], s[28:29]
; %bb.2710:                             ;   in Loop: Header=BB33_2659 Depth=3
	v_or_b32_e32 v97, 0x10000, v102
	v_cmp_eq_u32_sdwa vcc, v102, v3 src0_sel:WORD_0 src1_sel:DWORD
	s_nop 1
	v_cndmask_b32_e32 v97, v97, v102, vcc
; %bb.2711:                             ;   in Loop: Header=BB33_2659 Depth=3
	s_or_b64 exec, exec, s[28:29]
	v_and_b32_e32 v86, 0xffff0000, v86
	v_and_b32_e32 v98, 0xffff0000, v98
	v_max_f32_e32 v98, v98, v98
	v_max_f32_e32 v86, v86, v86
	v_min_f32_e32 v102, v86, v98
	v_max_f32_e32 v86, v86, v98
	v_cndmask_b32_e64 v98, v86, v102, s[22:23]
	v_and_b32_e32 v86, 0x7f800000, v98
	v_cmp_ne_u32_e32 vcc, s87, v86
                                        ; implicit-def: $vgpr86
	s_and_saveexec_b64 s[28:29], vcc
	s_xor_b64 s[28:29], exec, s[28:29]
; %bb.2712:                             ;   in Loop: Header=BB33_2659 Depth=3
	v_bfe_u32 v86, v98, 16, 1
	v_add3_u32 v86, v98, v86, s96
                                        ; implicit-def: $vgpr98
; %bb.2713:                             ;   in Loop: Header=BB33_2659 Depth=3
	s_andn2_saveexec_b64 s[28:29], s[28:29]
; %bb.2714:                             ;   in Loop: Header=BB33_2659 Depth=3
	v_or_b32_e32 v86, 0x10000, v98
	v_cmp_eq_u32_sdwa vcc, v98, v3 src0_sel:WORD_0 src1_sel:DWORD
	s_nop 1
	v_cndmask_b32_e32 v86, v86, v98, vcc
; %bb.2715:                             ;   in Loop: Header=BB33_2659 Depth=3
	s_or_b64 exec, exec, s[28:29]
	v_lshlrev_b32_e32 v98, 16, v87
	v_lshlrev_b32_e32 v102, 16, v99
	v_max_f32_e32 v102, v102, v102
	v_max_f32_e32 v98, v98, v98
	v_min_f32_e32 v103, v98, v102
	v_max_f32_e32 v98, v98, v102
	v_cndmask_b32_e64 v102, v98, v103, s[22:23]
	v_and_b32_e32 v98, 0x7f800000, v102
	v_cmp_ne_u32_e32 vcc, s87, v98
                                        ; implicit-def: $vgpr98
	s_and_saveexec_b64 s[28:29], vcc
	s_xor_b64 s[28:29], exec, s[28:29]
; %bb.2716:                             ;   in Loop: Header=BB33_2659 Depth=3
	v_bfe_u32 v98, v102, 16, 1
	v_add3_u32 v98, v102, v98, s96
                                        ; implicit-def: $vgpr102
; %bb.2717:                             ;   in Loop: Header=BB33_2659 Depth=3
	s_andn2_saveexec_b64 s[28:29], s[28:29]
; %bb.2718:                             ;   in Loop: Header=BB33_2659 Depth=3
	v_or_b32_e32 v98, 0x10000, v102
	v_cmp_eq_u32_sdwa vcc, v102, v3 src0_sel:WORD_0 src1_sel:DWORD
	s_nop 1
	v_cndmask_b32_e32 v98, v98, v102, vcc
; %bb.2719:                             ;   in Loop: Header=BB33_2659 Depth=3
	s_or_b64 exec, exec, s[28:29]
	v_and_b32_e32 v87, 0xffff0000, v87
	v_and_b32_e32 v99, 0xffff0000, v99
	v_max_f32_e32 v99, v99, v99
	v_max_f32_e32 v87, v87, v87
	v_min_f32_e32 v102, v87, v99
	v_max_f32_e32 v87, v87, v99
	v_cndmask_b32_e64 v99, v87, v102, s[22:23]
	v_and_b32_e32 v87, 0x7f800000, v99
	v_cmp_ne_u32_e32 vcc, s87, v87
                                        ; implicit-def: $vgpr87
	s_and_saveexec_b64 s[28:29], vcc
	s_xor_b64 s[28:29], exec, s[28:29]
; %bb.2720:                             ;   in Loop: Header=BB33_2659 Depth=3
	v_bfe_u32 v87, v99, 16, 1
	v_add3_u32 v87, v99, v87, s96
                                        ; implicit-def: $vgpr99
; %bb.2721:                             ;   in Loop: Header=BB33_2659 Depth=3
	s_andn2_saveexec_b64 s[28:29], s[28:29]
; %bb.2722:                             ;   in Loop: Header=BB33_2659 Depth=3
	v_or_b32_e32 v87, 0x10000, v99
	v_cmp_eq_u32_sdwa vcc, v99, v3 src0_sel:WORD_0 src1_sel:DWORD
	s_nop 1
	v_cndmask_b32_e32 v87, v87, v99, vcc
; %bb.2723:                             ;   in Loop: Header=BB33_2659 Depth=3
	s_or_b64 exec, exec, s[28:29]
	v_lshrrev_b32_e32 v0, 16, v0
	v_and_or_b32 v84, v84, s97, v0
	v_lshrrev_b32_e32 v0, 16, v97
	v_lshrrev_b32_e32 v96, 16, v96
	v_and_or_b32 v86, v86, s97, v0
	v_lshrrev_b32_e32 v0, 16, v98
	v_and_or_b32 v85, v85, s97, v96
	v_and_or_b32 v87, v87, s97, v0
	global_store_dwordx4 v[100:101], v[84:87], off offset:1024
	v_lshlrev_b32_e32 v0, 16, v68
	v_max_f32_e32 v0, v0, v0
	v_lshlrev_b32_e32 v84, 16, v80
	v_max_f32_e32 v84, v84, v84
	v_min_f32_e32 v85, v0, v84
	v_max_f32_e32 v0, v0, v84
	v_cndmask_b32_e64 v84, v0, v85, s[22:23]
	v_and_b32_e32 v0, 0x7f800000, v84
	v_cmp_ne_u32_e32 vcc, s87, v0
                                        ; implicit-def: $vgpr0
	s_and_saveexec_b64 s[28:29], vcc
	s_xor_b64 s[28:29], exec, s[28:29]
; %bb.2724:                             ;   in Loop: Header=BB33_2659 Depth=3
	v_bfe_u32 v0, v84, 16, 1
	v_add3_u32 v0, v84, v0, s96
                                        ; implicit-def: $vgpr84
; %bb.2725:                             ;   in Loop: Header=BB33_2659 Depth=3
	s_andn2_saveexec_b64 s[28:29], s[28:29]
; %bb.2726:                             ;   in Loop: Header=BB33_2659 Depth=3
	v_or_b32_e32 v0, 0x10000, v84
	v_cmp_eq_u32_sdwa vcc, v84, v3 src0_sel:WORD_0 src1_sel:DWORD
	s_nop 1
	v_cndmask_b32_e32 v0, v0, v84, vcc
; %bb.2727:                             ;   in Loop: Header=BB33_2659 Depth=3
	s_or_b64 exec, exec, s[28:29]
	v_and_b32_e32 v68, 0xffff0000, v68
	v_and_b32_e32 v80, 0xffff0000, v80
	v_max_f32_e32 v80, v80, v80
	v_max_f32_e32 v68, v68, v68
	v_min_f32_e32 v84, v68, v80
	v_max_f32_e32 v68, v68, v80
	v_cndmask_b32_e64 v80, v68, v84, s[22:23]
	v_and_b32_e32 v68, 0x7f800000, v80
	v_cmp_ne_u32_e32 vcc, s87, v68
                                        ; implicit-def: $vgpr68
	s_and_saveexec_b64 s[28:29], vcc
	s_xor_b64 s[28:29], exec, s[28:29]
; %bb.2728:                             ;   in Loop: Header=BB33_2659 Depth=3
	v_bfe_u32 v68, v80, 16, 1
	v_add3_u32 v68, v80, v68, s96
                                        ; implicit-def: $vgpr80
; %bb.2729:                             ;   in Loop: Header=BB33_2659 Depth=3
	s_andn2_saveexec_b64 s[28:29], s[28:29]
; %bb.2730:                             ;   in Loop: Header=BB33_2659 Depth=3
	v_or_b32_e32 v68, 0x10000, v80
	v_cmp_eq_u32_sdwa vcc, v80, v3 src0_sel:WORD_0 src1_sel:DWORD
	s_nop 1
	v_cndmask_b32_e32 v68, v68, v80, vcc
; %bb.2731:                             ;   in Loop: Header=BB33_2659 Depth=3
	s_or_b64 exec, exec, s[28:29]
	v_lshlrev_b32_e32 v80, 16, v69
	v_lshlrev_b32_e32 v84, 16, v81
	v_max_f32_e32 v84, v84, v84
	v_max_f32_e32 v80, v80, v80
	v_min_f32_e32 v85, v80, v84
	v_max_f32_e32 v80, v80, v84
	v_cndmask_b32_e64 v84, v80, v85, s[22:23]
	v_and_b32_e32 v80, 0x7f800000, v84
	v_cmp_ne_u32_e32 vcc, s87, v80
                                        ; implicit-def: $vgpr80
	s_and_saveexec_b64 s[28:29], vcc
	s_xor_b64 s[28:29], exec, s[28:29]
; %bb.2732:                             ;   in Loop: Header=BB33_2659 Depth=3
	v_bfe_u32 v80, v84, 16, 1
	v_add3_u32 v80, v84, v80, s96
                                        ; implicit-def: $vgpr84
; %bb.2733:                             ;   in Loop: Header=BB33_2659 Depth=3
	s_andn2_saveexec_b64 s[28:29], s[28:29]
; %bb.2734:                             ;   in Loop: Header=BB33_2659 Depth=3
	v_or_b32_e32 v80, 0x10000, v84
	v_cmp_eq_u32_sdwa vcc, v84, v3 src0_sel:WORD_0 src1_sel:DWORD
	s_nop 1
	v_cndmask_b32_e32 v80, v80, v84, vcc
; %bb.2735:                             ;   in Loop: Header=BB33_2659 Depth=3
	s_or_b64 exec, exec, s[28:29]
	v_and_b32_e32 v69, 0xffff0000, v69
	v_and_b32_e32 v81, 0xffff0000, v81
	v_max_f32_e32 v81, v81, v81
	v_max_f32_e32 v69, v69, v69
	v_min_f32_e32 v84, v69, v81
	v_max_f32_e32 v69, v69, v81
	v_cndmask_b32_e64 v81, v69, v84, s[22:23]
	v_and_b32_e32 v69, 0x7f800000, v81
	v_cmp_ne_u32_e32 vcc, s87, v69
                                        ; implicit-def: $vgpr69
	s_and_saveexec_b64 s[28:29], vcc
	s_xor_b64 s[28:29], exec, s[28:29]
; %bb.2736:                             ;   in Loop: Header=BB33_2659 Depth=3
	v_bfe_u32 v69, v81, 16, 1
	v_add3_u32 v69, v81, v69, s96
                                        ; implicit-def: $vgpr81
; %bb.2737:                             ;   in Loop: Header=BB33_2659 Depth=3
	s_andn2_saveexec_b64 s[28:29], s[28:29]
; %bb.2738:                             ;   in Loop: Header=BB33_2659 Depth=3
	v_or_b32_e32 v69, 0x10000, v81
	v_cmp_eq_u32_sdwa vcc, v81, v3 src0_sel:WORD_0 src1_sel:DWORD
	s_nop 1
	v_cndmask_b32_e32 v69, v69, v81, vcc
; %bb.2739:                             ;   in Loop: Header=BB33_2659 Depth=3
	s_or_b64 exec, exec, s[28:29]
	v_lshlrev_b32_e32 v81, 16, v70
	v_lshlrev_b32_e32 v84, 16, v82
	v_max_f32_e32 v84, v84, v84
	v_max_f32_e32 v81, v81, v81
	v_min_f32_e32 v85, v81, v84
	v_max_f32_e32 v81, v81, v84
	v_cndmask_b32_e64 v84, v81, v85, s[22:23]
	v_and_b32_e32 v81, 0x7f800000, v84
	v_cmp_ne_u32_e32 vcc, s87, v81
                                        ; implicit-def: $vgpr81
	s_and_saveexec_b64 s[28:29], vcc
	s_xor_b64 s[28:29], exec, s[28:29]
; %bb.2740:                             ;   in Loop: Header=BB33_2659 Depth=3
	v_bfe_u32 v81, v84, 16, 1
	v_add3_u32 v81, v84, v81, s96
                                        ; implicit-def: $vgpr84
; %bb.2741:                             ;   in Loop: Header=BB33_2659 Depth=3
	s_andn2_saveexec_b64 s[28:29], s[28:29]
; %bb.2742:                             ;   in Loop: Header=BB33_2659 Depth=3
	v_or_b32_e32 v81, 0x10000, v84
	v_cmp_eq_u32_sdwa vcc, v84, v3 src0_sel:WORD_0 src1_sel:DWORD
	s_nop 1
	v_cndmask_b32_e32 v81, v81, v84, vcc
; %bb.2743:                             ;   in Loop: Header=BB33_2659 Depth=3
	s_or_b64 exec, exec, s[28:29]
	v_and_b32_e32 v70, 0xffff0000, v70
	v_and_b32_e32 v82, 0xffff0000, v82
	v_max_f32_e32 v82, v82, v82
	v_max_f32_e32 v70, v70, v70
	v_min_f32_e32 v84, v70, v82
	v_max_f32_e32 v70, v70, v82
	v_cndmask_b32_e64 v82, v70, v84, s[22:23]
	v_and_b32_e32 v70, 0x7f800000, v82
	v_cmp_ne_u32_e32 vcc, s87, v70
                                        ; implicit-def: $vgpr70
	s_and_saveexec_b64 s[28:29], vcc
	s_xor_b64 s[28:29], exec, s[28:29]
; %bb.2744:                             ;   in Loop: Header=BB33_2659 Depth=3
	v_bfe_u32 v70, v82, 16, 1
	v_add3_u32 v70, v82, v70, s96
                                        ; implicit-def: $vgpr82
; %bb.2745:                             ;   in Loop: Header=BB33_2659 Depth=3
	s_andn2_saveexec_b64 s[28:29], s[28:29]
; %bb.2746:                             ;   in Loop: Header=BB33_2659 Depth=3
	v_or_b32_e32 v70, 0x10000, v82
	v_cmp_eq_u32_sdwa vcc, v82, v3 src0_sel:WORD_0 src1_sel:DWORD
	s_nop 1
	v_cndmask_b32_e32 v70, v70, v82, vcc
; %bb.2747:                             ;   in Loop: Header=BB33_2659 Depth=3
	s_or_b64 exec, exec, s[28:29]
	v_lshlrev_b32_e32 v82, 16, v71
	v_lshlrev_b32_e32 v84, 16, v83
	v_max_f32_e32 v84, v84, v84
	v_max_f32_e32 v82, v82, v82
	v_min_f32_e32 v85, v82, v84
	v_max_f32_e32 v82, v82, v84
	v_cndmask_b32_e64 v84, v82, v85, s[22:23]
	v_and_b32_e32 v82, 0x7f800000, v84
	v_cmp_ne_u32_e32 vcc, s87, v82
                                        ; implicit-def: $vgpr82
	s_and_saveexec_b64 s[28:29], vcc
	s_xor_b64 s[28:29], exec, s[28:29]
; %bb.2748:                             ;   in Loop: Header=BB33_2659 Depth=3
	v_bfe_u32 v82, v84, 16, 1
	v_add3_u32 v82, v84, v82, s96
                                        ; implicit-def: $vgpr84
; %bb.2749:                             ;   in Loop: Header=BB33_2659 Depth=3
	s_andn2_saveexec_b64 s[28:29], s[28:29]
; %bb.2750:                             ;   in Loop: Header=BB33_2659 Depth=3
	v_or_b32_e32 v82, 0x10000, v84
	v_cmp_eq_u32_sdwa vcc, v84, v3 src0_sel:WORD_0 src1_sel:DWORD
	s_nop 1
	v_cndmask_b32_e32 v82, v82, v84, vcc
; %bb.2751:                             ;   in Loop: Header=BB33_2659 Depth=3
	s_or_b64 exec, exec, s[28:29]
	v_and_b32_e32 v71, 0xffff0000, v71
	v_and_b32_e32 v83, 0xffff0000, v83
	v_max_f32_e32 v83, v83, v83
	v_max_f32_e32 v71, v71, v71
	v_min_f32_e32 v84, v71, v83
	v_max_f32_e32 v71, v71, v83
	v_cndmask_b32_e64 v83, v71, v84, s[22:23]
	v_and_b32_e32 v71, 0x7f800000, v83
	v_cmp_ne_u32_e32 vcc, s87, v71
                                        ; implicit-def: $vgpr71
	s_and_saveexec_b64 s[28:29], vcc
	s_xor_b64 s[28:29], exec, s[28:29]
; %bb.2752:                             ;   in Loop: Header=BB33_2659 Depth=3
	v_bfe_u32 v71, v83, 16, 1
	v_add3_u32 v71, v83, v71, s96
                                        ; implicit-def: $vgpr83
; %bb.2753:                             ;   in Loop: Header=BB33_2659 Depth=3
	s_andn2_saveexec_b64 s[28:29], s[28:29]
; %bb.2754:                             ;   in Loop: Header=BB33_2659 Depth=3
	v_or_b32_e32 v71, 0x10000, v83
	v_cmp_eq_u32_sdwa vcc, v83, v3 src0_sel:WORD_0 src1_sel:DWORD
	s_nop 1
	v_cndmask_b32_e32 v71, v71, v83, vcc
; %bb.2755:                             ;   in Loop: Header=BB33_2659 Depth=3
	s_or_b64 exec, exec, s[28:29]
	v_lshrrev_b32_e32 v0, 16, v0
	v_and_or_b32 v68, v68, s97, v0
	v_lshrrev_b32_e32 v0, 16, v81
	v_lshrrev_b32_e32 v80, 16, v80
	v_and_or_b32 v70, v70, s97, v0
	v_lshrrev_b32_e32 v0, 16, v82
	v_and_or_b32 v69, v69, s97, v80
	v_and_or_b32 v71, v71, s97, v0
	global_store_dwordx4 v[100:101], v[68:71], off offset:2048
	v_lshlrev_b32_e32 v0, 16, v52
	v_max_f32_e32 v0, v0, v0
	v_lshlrev_b32_e32 v68, 16, v64
	v_max_f32_e32 v68, v68, v68
	v_min_f32_e32 v69, v0, v68
	v_max_f32_e32 v0, v0, v68
	v_cndmask_b32_e64 v68, v0, v69, s[22:23]
	v_and_b32_e32 v0, 0x7f800000, v68
	v_cmp_ne_u32_e32 vcc, s87, v0
                                        ; implicit-def: $vgpr0
	s_and_saveexec_b64 s[28:29], vcc
	s_xor_b64 s[28:29], exec, s[28:29]
; %bb.2756:                             ;   in Loop: Header=BB33_2659 Depth=3
	v_bfe_u32 v0, v68, 16, 1
	v_add3_u32 v0, v68, v0, s96
                                        ; implicit-def: $vgpr68
; %bb.2757:                             ;   in Loop: Header=BB33_2659 Depth=3
	s_andn2_saveexec_b64 s[28:29], s[28:29]
; %bb.2758:                             ;   in Loop: Header=BB33_2659 Depth=3
	v_or_b32_e32 v0, 0x10000, v68
	v_cmp_eq_u32_sdwa vcc, v68, v3 src0_sel:WORD_0 src1_sel:DWORD
	s_nop 1
	v_cndmask_b32_e32 v0, v0, v68, vcc
; %bb.2759:                             ;   in Loop: Header=BB33_2659 Depth=3
	s_or_b64 exec, exec, s[28:29]
	v_and_b32_e32 v52, 0xffff0000, v52
	v_and_b32_e32 v64, 0xffff0000, v64
	v_max_f32_e32 v64, v64, v64
	v_max_f32_e32 v52, v52, v52
	v_min_f32_e32 v68, v52, v64
	v_max_f32_e32 v52, v52, v64
	v_cndmask_b32_e64 v64, v52, v68, s[22:23]
	v_and_b32_e32 v52, 0x7f800000, v64
	v_cmp_ne_u32_e32 vcc, s87, v52
                                        ; implicit-def: $vgpr52
	s_and_saveexec_b64 s[28:29], vcc
	s_xor_b64 s[28:29], exec, s[28:29]
; %bb.2760:                             ;   in Loop: Header=BB33_2659 Depth=3
	v_bfe_u32 v52, v64, 16, 1
	v_add3_u32 v52, v64, v52, s96
                                        ; implicit-def: $vgpr64
; %bb.2761:                             ;   in Loop: Header=BB33_2659 Depth=3
	s_andn2_saveexec_b64 s[28:29], s[28:29]
; %bb.2762:                             ;   in Loop: Header=BB33_2659 Depth=3
	v_or_b32_e32 v52, 0x10000, v64
	v_cmp_eq_u32_sdwa vcc, v64, v3 src0_sel:WORD_0 src1_sel:DWORD
	s_nop 1
	v_cndmask_b32_e32 v52, v52, v64, vcc
; %bb.2763:                             ;   in Loop: Header=BB33_2659 Depth=3
	s_or_b64 exec, exec, s[28:29]
	v_lshlrev_b32_e32 v64, 16, v53
	v_lshlrev_b32_e32 v68, 16, v65
	v_max_f32_e32 v68, v68, v68
	v_max_f32_e32 v64, v64, v64
	v_min_f32_e32 v69, v64, v68
	v_max_f32_e32 v64, v64, v68
	v_cndmask_b32_e64 v68, v64, v69, s[22:23]
	v_and_b32_e32 v64, 0x7f800000, v68
	v_cmp_ne_u32_e32 vcc, s87, v64
                                        ; implicit-def: $vgpr64
	s_and_saveexec_b64 s[28:29], vcc
	s_xor_b64 s[28:29], exec, s[28:29]
; %bb.2764:                             ;   in Loop: Header=BB33_2659 Depth=3
	v_bfe_u32 v64, v68, 16, 1
	v_add3_u32 v64, v68, v64, s96
                                        ; implicit-def: $vgpr68
; %bb.2765:                             ;   in Loop: Header=BB33_2659 Depth=3
	s_andn2_saveexec_b64 s[28:29], s[28:29]
; %bb.2766:                             ;   in Loop: Header=BB33_2659 Depth=3
	v_or_b32_e32 v64, 0x10000, v68
	v_cmp_eq_u32_sdwa vcc, v68, v3 src0_sel:WORD_0 src1_sel:DWORD
	s_nop 1
	v_cndmask_b32_e32 v64, v64, v68, vcc
; %bb.2767:                             ;   in Loop: Header=BB33_2659 Depth=3
	s_or_b64 exec, exec, s[28:29]
	v_and_b32_e32 v53, 0xffff0000, v53
	v_and_b32_e32 v65, 0xffff0000, v65
	v_max_f32_e32 v65, v65, v65
	v_max_f32_e32 v53, v53, v53
	v_min_f32_e32 v68, v53, v65
	v_max_f32_e32 v53, v53, v65
	v_cndmask_b32_e64 v65, v53, v68, s[22:23]
	v_and_b32_e32 v53, 0x7f800000, v65
	v_cmp_ne_u32_e32 vcc, s87, v53
                                        ; implicit-def: $vgpr53
	s_and_saveexec_b64 s[28:29], vcc
	s_xor_b64 s[28:29], exec, s[28:29]
; %bb.2768:                             ;   in Loop: Header=BB33_2659 Depth=3
	v_bfe_u32 v53, v65, 16, 1
	v_add3_u32 v53, v65, v53, s96
                                        ; implicit-def: $vgpr65
; %bb.2769:                             ;   in Loop: Header=BB33_2659 Depth=3
	s_andn2_saveexec_b64 s[28:29], s[28:29]
; %bb.2770:                             ;   in Loop: Header=BB33_2659 Depth=3
	v_or_b32_e32 v53, 0x10000, v65
	v_cmp_eq_u32_sdwa vcc, v65, v3 src0_sel:WORD_0 src1_sel:DWORD
	s_nop 1
	v_cndmask_b32_e32 v53, v53, v65, vcc
; %bb.2771:                             ;   in Loop: Header=BB33_2659 Depth=3
	s_or_b64 exec, exec, s[28:29]
	v_lshlrev_b32_e32 v65, 16, v54
	v_lshlrev_b32_e32 v68, 16, v66
	v_max_f32_e32 v68, v68, v68
	v_max_f32_e32 v65, v65, v65
	v_min_f32_e32 v69, v65, v68
	v_max_f32_e32 v65, v65, v68
	v_cndmask_b32_e64 v68, v65, v69, s[22:23]
	v_and_b32_e32 v65, 0x7f800000, v68
	v_cmp_ne_u32_e32 vcc, s87, v65
                                        ; implicit-def: $vgpr65
	s_and_saveexec_b64 s[28:29], vcc
	s_xor_b64 s[28:29], exec, s[28:29]
; %bb.2772:                             ;   in Loop: Header=BB33_2659 Depth=3
	v_bfe_u32 v65, v68, 16, 1
	v_add3_u32 v65, v68, v65, s96
                                        ; implicit-def: $vgpr68
; %bb.2773:                             ;   in Loop: Header=BB33_2659 Depth=3
	s_andn2_saveexec_b64 s[28:29], s[28:29]
; %bb.2774:                             ;   in Loop: Header=BB33_2659 Depth=3
	v_or_b32_e32 v65, 0x10000, v68
	v_cmp_eq_u32_sdwa vcc, v68, v3 src0_sel:WORD_0 src1_sel:DWORD
	s_nop 1
	v_cndmask_b32_e32 v65, v65, v68, vcc
; %bb.2775:                             ;   in Loop: Header=BB33_2659 Depth=3
	s_or_b64 exec, exec, s[28:29]
	v_and_b32_e32 v54, 0xffff0000, v54
	v_and_b32_e32 v66, 0xffff0000, v66
	v_max_f32_e32 v66, v66, v66
	v_max_f32_e32 v54, v54, v54
	v_min_f32_e32 v68, v54, v66
	v_max_f32_e32 v54, v54, v66
	v_cndmask_b32_e64 v66, v54, v68, s[22:23]
	v_and_b32_e32 v54, 0x7f800000, v66
	v_cmp_ne_u32_e32 vcc, s87, v54
                                        ; implicit-def: $vgpr54
	s_and_saveexec_b64 s[28:29], vcc
	s_xor_b64 s[28:29], exec, s[28:29]
; %bb.2776:                             ;   in Loop: Header=BB33_2659 Depth=3
	v_bfe_u32 v54, v66, 16, 1
	v_add3_u32 v54, v66, v54, s96
                                        ; implicit-def: $vgpr66
; %bb.2777:                             ;   in Loop: Header=BB33_2659 Depth=3
	s_andn2_saveexec_b64 s[28:29], s[28:29]
; %bb.2778:                             ;   in Loop: Header=BB33_2659 Depth=3
	v_or_b32_e32 v54, 0x10000, v66
	v_cmp_eq_u32_sdwa vcc, v66, v3 src0_sel:WORD_0 src1_sel:DWORD
	s_nop 1
	v_cndmask_b32_e32 v54, v54, v66, vcc
; %bb.2779:                             ;   in Loop: Header=BB33_2659 Depth=3
	s_or_b64 exec, exec, s[28:29]
	v_lshlrev_b32_e32 v66, 16, v55
	v_lshlrev_b32_e32 v68, 16, v67
	v_max_f32_e32 v68, v68, v68
	v_max_f32_e32 v66, v66, v66
	v_min_f32_e32 v69, v66, v68
	v_max_f32_e32 v66, v66, v68
	v_cndmask_b32_e64 v68, v66, v69, s[22:23]
	v_and_b32_e32 v66, 0x7f800000, v68
	v_cmp_ne_u32_e32 vcc, s87, v66
                                        ; implicit-def: $vgpr66
	s_and_saveexec_b64 s[28:29], vcc
	s_xor_b64 s[28:29], exec, s[28:29]
; %bb.2780:                             ;   in Loop: Header=BB33_2659 Depth=3
	v_bfe_u32 v66, v68, 16, 1
	v_add3_u32 v66, v68, v66, s96
                                        ; implicit-def: $vgpr68
; %bb.2781:                             ;   in Loop: Header=BB33_2659 Depth=3
	s_andn2_saveexec_b64 s[28:29], s[28:29]
; %bb.2782:                             ;   in Loop: Header=BB33_2659 Depth=3
	v_or_b32_e32 v66, 0x10000, v68
	v_cmp_eq_u32_sdwa vcc, v68, v3 src0_sel:WORD_0 src1_sel:DWORD
	s_nop 1
	v_cndmask_b32_e32 v66, v66, v68, vcc
; %bb.2783:                             ;   in Loop: Header=BB33_2659 Depth=3
	s_or_b64 exec, exec, s[28:29]
	v_and_b32_e32 v55, 0xffff0000, v55
	v_and_b32_e32 v67, 0xffff0000, v67
	v_max_f32_e32 v67, v67, v67
	v_max_f32_e32 v55, v55, v55
	v_min_f32_e32 v68, v55, v67
	v_max_f32_e32 v55, v55, v67
	v_cndmask_b32_e64 v67, v55, v68, s[22:23]
	v_and_b32_e32 v55, 0x7f800000, v67
	v_cmp_ne_u32_e32 vcc, s87, v55
                                        ; implicit-def: $vgpr55
	s_and_saveexec_b64 s[28:29], vcc
	s_xor_b64 s[28:29], exec, s[28:29]
; %bb.2784:                             ;   in Loop: Header=BB33_2659 Depth=3
	v_bfe_u32 v55, v67, 16, 1
	v_add3_u32 v55, v67, v55, s96
                                        ; implicit-def: $vgpr67
; %bb.2785:                             ;   in Loop: Header=BB33_2659 Depth=3
	s_andn2_saveexec_b64 s[28:29], s[28:29]
; %bb.2786:                             ;   in Loop: Header=BB33_2659 Depth=3
	v_or_b32_e32 v55, 0x10000, v67
	v_cmp_eq_u32_sdwa vcc, v67, v3 src0_sel:WORD_0 src1_sel:DWORD
	s_nop 1
	v_cndmask_b32_e32 v55, v55, v67, vcc
; %bb.2787:                             ;   in Loop: Header=BB33_2659 Depth=3
	s_or_b64 exec, exec, s[28:29]
	v_lshrrev_b32_e32 v0, 16, v0
	v_and_or_b32 v52, v52, s97, v0
	v_lshrrev_b32_e32 v0, 16, v65
	v_lshrrev_b32_e32 v64, 16, v64
	v_and_or_b32 v54, v54, s97, v0
	v_lshrrev_b32_e32 v0, 16, v66
	v_and_or_b32 v53, v53, s97, v64
	v_and_or_b32 v55, v55, s97, v0
	global_store_dwordx4 v[100:101], v[52:55], off offset:3072
	v_lshlrev_b32_e32 v0, 16, v36
	v_max_f32_e32 v0, v0, v0
	v_lshlrev_b32_e32 v52, 16, v48
	v_max_f32_e32 v52, v52, v52
	v_min_f32_e32 v53, v0, v52
	v_max_f32_e32 v0, v0, v52
	v_cndmask_b32_e64 v52, v0, v53, s[22:23]
	v_and_b32_e32 v0, 0x7f800000, v52
	v_cmp_ne_u32_e32 vcc, s87, v0
                                        ; implicit-def: $vgpr0
	s_and_saveexec_b64 s[28:29], vcc
	s_xor_b64 s[28:29], exec, s[28:29]
; %bb.2788:                             ;   in Loop: Header=BB33_2659 Depth=3
	v_bfe_u32 v0, v52, 16, 1
	v_add3_u32 v0, v52, v0, s96
                                        ; implicit-def: $vgpr52
; %bb.2789:                             ;   in Loop: Header=BB33_2659 Depth=3
	s_andn2_saveexec_b64 s[28:29], s[28:29]
; %bb.2790:                             ;   in Loop: Header=BB33_2659 Depth=3
	v_or_b32_e32 v0, 0x10000, v52
	v_cmp_eq_u32_sdwa vcc, v52, v3 src0_sel:WORD_0 src1_sel:DWORD
	s_nop 1
	v_cndmask_b32_e32 v0, v0, v52, vcc
; %bb.2791:                             ;   in Loop: Header=BB33_2659 Depth=3
	s_or_b64 exec, exec, s[28:29]
	v_and_b32_e32 v36, 0xffff0000, v36
	v_and_b32_e32 v48, 0xffff0000, v48
	v_max_f32_e32 v48, v48, v48
	v_max_f32_e32 v36, v36, v36
	v_min_f32_e32 v52, v36, v48
	v_max_f32_e32 v36, v36, v48
	v_cndmask_b32_e64 v48, v36, v52, s[22:23]
	v_and_b32_e32 v36, 0x7f800000, v48
	v_cmp_ne_u32_e32 vcc, s87, v36
                                        ; implicit-def: $vgpr36
	s_and_saveexec_b64 s[28:29], vcc
	s_xor_b64 s[28:29], exec, s[28:29]
; %bb.2792:                             ;   in Loop: Header=BB33_2659 Depth=3
	v_bfe_u32 v36, v48, 16, 1
	v_add3_u32 v36, v48, v36, s96
                                        ; implicit-def: $vgpr48
; %bb.2793:                             ;   in Loop: Header=BB33_2659 Depth=3
	s_andn2_saveexec_b64 s[28:29], s[28:29]
; %bb.2794:                             ;   in Loop: Header=BB33_2659 Depth=3
	v_or_b32_e32 v36, 0x10000, v48
	v_cmp_eq_u32_sdwa vcc, v48, v3 src0_sel:WORD_0 src1_sel:DWORD
	s_nop 1
	v_cndmask_b32_e32 v36, v36, v48, vcc
; %bb.2795:                             ;   in Loop: Header=BB33_2659 Depth=3
	s_or_b64 exec, exec, s[28:29]
	v_lshlrev_b32_e32 v48, 16, v37
	v_lshlrev_b32_e32 v52, 16, v49
	v_max_f32_e32 v52, v52, v52
	v_max_f32_e32 v48, v48, v48
	v_min_f32_e32 v53, v48, v52
	v_max_f32_e32 v48, v48, v52
	v_cndmask_b32_e64 v52, v48, v53, s[22:23]
	v_and_b32_e32 v48, 0x7f800000, v52
	v_cmp_ne_u32_e32 vcc, s87, v48
                                        ; implicit-def: $vgpr48
	s_and_saveexec_b64 s[28:29], vcc
	s_xor_b64 s[28:29], exec, s[28:29]
; %bb.2796:                             ;   in Loop: Header=BB33_2659 Depth=3
	v_bfe_u32 v48, v52, 16, 1
	v_add3_u32 v48, v52, v48, s96
                                        ; implicit-def: $vgpr52
; %bb.2797:                             ;   in Loop: Header=BB33_2659 Depth=3
	s_andn2_saveexec_b64 s[28:29], s[28:29]
; %bb.2798:                             ;   in Loop: Header=BB33_2659 Depth=3
	v_or_b32_e32 v48, 0x10000, v52
	v_cmp_eq_u32_sdwa vcc, v52, v3 src0_sel:WORD_0 src1_sel:DWORD
	s_nop 1
	v_cndmask_b32_e32 v48, v48, v52, vcc
; %bb.2799:                             ;   in Loop: Header=BB33_2659 Depth=3
	s_or_b64 exec, exec, s[28:29]
	v_and_b32_e32 v37, 0xffff0000, v37
	v_and_b32_e32 v49, 0xffff0000, v49
	v_max_f32_e32 v49, v49, v49
	v_max_f32_e32 v37, v37, v37
	v_min_f32_e32 v52, v37, v49
	v_max_f32_e32 v37, v37, v49
	v_cndmask_b32_e64 v49, v37, v52, s[22:23]
	v_and_b32_e32 v37, 0x7f800000, v49
	v_cmp_ne_u32_e32 vcc, s87, v37
                                        ; implicit-def: $vgpr37
	s_and_saveexec_b64 s[28:29], vcc
	s_xor_b64 s[28:29], exec, s[28:29]
; %bb.2800:                             ;   in Loop: Header=BB33_2659 Depth=3
	v_bfe_u32 v37, v49, 16, 1
	v_add3_u32 v37, v49, v37, s96
                                        ; implicit-def: $vgpr49
; %bb.2801:                             ;   in Loop: Header=BB33_2659 Depth=3
	s_andn2_saveexec_b64 s[28:29], s[28:29]
; %bb.2802:                             ;   in Loop: Header=BB33_2659 Depth=3
	v_or_b32_e32 v37, 0x10000, v49
	v_cmp_eq_u32_sdwa vcc, v49, v3 src0_sel:WORD_0 src1_sel:DWORD
	s_nop 1
	v_cndmask_b32_e32 v37, v37, v49, vcc
; %bb.2803:                             ;   in Loop: Header=BB33_2659 Depth=3
	s_or_b64 exec, exec, s[28:29]
	v_lshlrev_b32_e32 v49, 16, v38
	v_lshlrev_b32_e32 v52, 16, v50
	v_max_f32_e32 v52, v52, v52
	v_max_f32_e32 v49, v49, v49
	v_min_f32_e32 v53, v49, v52
	v_max_f32_e32 v49, v49, v52
	v_cndmask_b32_e64 v52, v49, v53, s[22:23]
	v_and_b32_e32 v49, 0x7f800000, v52
	v_cmp_ne_u32_e32 vcc, s87, v49
                                        ; implicit-def: $vgpr49
	s_and_saveexec_b64 s[28:29], vcc
	s_xor_b64 s[28:29], exec, s[28:29]
; %bb.2804:                             ;   in Loop: Header=BB33_2659 Depth=3
	v_bfe_u32 v49, v52, 16, 1
	v_add3_u32 v49, v52, v49, s96
                                        ; implicit-def: $vgpr52
; %bb.2805:                             ;   in Loop: Header=BB33_2659 Depth=3
	s_andn2_saveexec_b64 s[28:29], s[28:29]
; %bb.2806:                             ;   in Loop: Header=BB33_2659 Depth=3
	v_or_b32_e32 v49, 0x10000, v52
	v_cmp_eq_u32_sdwa vcc, v52, v3 src0_sel:WORD_0 src1_sel:DWORD
	s_nop 1
	v_cndmask_b32_e32 v49, v49, v52, vcc
; %bb.2807:                             ;   in Loop: Header=BB33_2659 Depth=3
	s_or_b64 exec, exec, s[28:29]
	v_and_b32_e32 v38, 0xffff0000, v38
	v_and_b32_e32 v50, 0xffff0000, v50
	v_max_f32_e32 v50, v50, v50
	v_max_f32_e32 v38, v38, v38
	v_min_f32_e32 v52, v38, v50
	v_max_f32_e32 v38, v38, v50
	v_cndmask_b32_e64 v50, v38, v52, s[22:23]
	v_and_b32_e32 v38, 0x7f800000, v50
	v_cmp_ne_u32_e32 vcc, s87, v38
                                        ; implicit-def: $vgpr38
	s_and_saveexec_b64 s[28:29], vcc
	s_xor_b64 s[28:29], exec, s[28:29]
; %bb.2808:                             ;   in Loop: Header=BB33_2659 Depth=3
	v_bfe_u32 v38, v50, 16, 1
	v_add3_u32 v38, v50, v38, s96
                                        ; implicit-def: $vgpr50
; %bb.2809:                             ;   in Loop: Header=BB33_2659 Depth=3
	s_andn2_saveexec_b64 s[28:29], s[28:29]
; %bb.2810:                             ;   in Loop: Header=BB33_2659 Depth=3
	v_or_b32_e32 v38, 0x10000, v50
	v_cmp_eq_u32_sdwa vcc, v50, v3 src0_sel:WORD_0 src1_sel:DWORD
	s_nop 1
	v_cndmask_b32_e32 v38, v38, v50, vcc
; %bb.2811:                             ;   in Loop: Header=BB33_2659 Depth=3
	s_or_b64 exec, exec, s[28:29]
	v_lshlrev_b32_e32 v50, 16, v39
	v_lshlrev_b32_e32 v52, 16, v51
	v_max_f32_e32 v52, v52, v52
	v_max_f32_e32 v50, v50, v50
	v_min_f32_e32 v53, v50, v52
	v_max_f32_e32 v50, v50, v52
	v_cndmask_b32_e64 v52, v50, v53, s[22:23]
	v_and_b32_e32 v50, 0x7f800000, v52
	v_cmp_ne_u32_e32 vcc, s87, v50
                                        ; implicit-def: $vgpr50
	s_and_saveexec_b64 s[28:29], vcc
	s_xor_b64 s[28:29], exec, s[28:29]
; %bb.2812:                             ;   in Loop: Header=BB33_2659 Depth=3
	v_bfe_u32 v50, v52, 16, 1
	v_add3_u32 v50, v52, v50, s96
                                        ; implicit-def: $vgpr52
; %bb.2813:                             ;   in Loop: Header=BB33_2659 Depth=3
	s_andn2_saveexec_b64 s[28:29], s[28:29]
; %bb.2814:                             ;   in Loop: Header=BB33_2659 Depth=3
	v_or_b32_e32 v50, 0x10000, v52
	v_cmp_eq_u32_sdwa vcc, v52, v3 src0_sel:WORD_0 src1_sel:DWORD
	s_nop 1
	v_cndmask_b32_e32 v50, v50, v52, vcc
; %bb.2815:                             ;   in Loop: Header=BB33_2659 Depth=3
	s_or_b64 exec, exec, s[28:29]
	v_and_b32_e32 v39, 0xffff0000, v39
	v_and_b32_e32 v51, 0xffff0000, v51
	v_max_f32_e32 v51, v51, v51
	v_max_f32_e32 v39, v39, v39
	v_min_f32_e32 v52, v39, v51
	v_max_f32_e32 v39, v39, v51
	v_cndmask_b32_e64 v51, v39, v52, s[22:23]
	v_and_b32_e32 v39, 0x7f800000, v51
	v_cmp_ne_u32_e32 vcc, s87, v39
                                        ; implicit-def: $vgpr39
	s_and_saveexec_b64 s[28:29], vcc
	s_xor_b64 s[28:29], exec, s[28:29]
; %bb.2816:                             ;   in Loop: Header=BB33_2659 Depth=3
	v_bfe_u32 v39, v51, 16, 1
	v_add3_u32 v39, v51, v39, s96
                                        ; implicit-def: $vgpr51
; %bb.2817:                             ;   in Loop: Header=BB33_2659 Depth=3
	s_andn2_saveexec_b64 s[28:29], s[28:29]
; %bb.2818:                             ;   in Loop: Header=BB33_2659 Depth=3
	v_or_b32_e32 v39, 0x10000, v51
	v_cmp_eq_u32_sdwa vcc, v51, v3 src0_sel:WORD_0 src1_sel:DWORD
	s_nop 1
	v_cndmask_b32_e32 v39, v39, v51, vcc
; %bb.2819:                             ;   in Loop: Header=BB33_2659 Depth=3
	s_or_b64 exec, exec, s[28:29]
	v_lshrrev_b32_e32 v0, 16, v0
	v_lshrrev_b32_e32 v48, 16, v48
	v_and_or_b32 v36, v36, s97, v0
	v_lshrrev_b32_e32 v0, 16, v49
	v_and_or_b32 v37, v37, s97, v48
	v_and_or_b32 v38, v38, s97, v0
	v_lshrrev_b32_e32 v0, 16, v50
	v_add_co_u32_e32 v48, vcc, 0x1000, v100
	v_and_or_b32 v39, v39, s97, v0
	s_nop 0
	v_addc_co_u32_e32 v49, vcc, 0, v101, vcc
	global_store_dwordx4 v[48:49], v[36:39], off
	v_lshlrev_b32_e32 v0, 16, v24
	v_max_f32_e32 v0, v0, v0
	v_lshlrev_b32_e32 v36, 16, v32
	v_max_f32_e32 v36, v36, v36
	v_min_f32_e32 v37, v0, v36
	v_max_f32_e32 v0, v0, v36
	v_cndmask_b32_e64 v36, v0, v37, s[22:23]
	v_and_b32_e32 v0, 0x7f800000, v36
	v_cmp_ne_u32_e32 vcc, s87, v0
                                        ; implicit-def: $vgpr0
	s_and_saveexec_b64 s[28:29], vcc
	s_xor_b64 s[28:29], exec, s[28:29]
; %bb.2820:                             ;   in Loop: Header=BB33_2659 Depth=3
	v_bfe_u32 v0, v36, 16, 1
	v_add3_u32 v0, v36, v0, s96
                                        ; implicit-def: $vgpr36
; %bb.2821:                             ;   in Loop: Header=BB33_2659 Depth=3
	s_andn2_saveexec_b64 s[28:29], s[28:29]
; %bb.2822:                             ;   in Loop: Header=BB33_2659 Depth=3
	v_or_b32_e32 v0, 0x10000, v36
	v_cmp_eq_u32_sdwa vcc, v36, v3 src0_sel:WORD_0 src1_sel:DWORD
	s_nop 1
	v_cndmask_b32_e32 v0, v0, v36, vcc
; %bb.2823:                             ;   in Loop: Header=BB33_2659 Depth=3
	s_or_b64 exec, exec, s[28:29]
	v_and_b32_e32 v24, 0xffff0000, v24
	v_and_b32_e32 v32, 0xffff0000, v32
	v_max_f32_e32 v32, v32, v32
	v_max_f32_e32 v24, v24, v24
	v_min_f32_e32 v36, v24, v32
	v_max_f32_e32 v24, v24, v32
	v_cndmask_b32_e64 v32, v24, v36, s[22:23]
	v_and_b32_e32 v24, 0x7f800000, v32
	v_cmp_ne_u32_e32 vcc, s87, v24
                                        ; implicit-def: $vgpr24
	s_and_saveexec_b64 s[28:29], vcc
	s_xor_b64 s[28:29], exec, s[28:29]
; %bb.2824:                             ;   in Loop: Header=BB33_2659 Depth=3
	v_bfe_u32 v24, v32, 16, 1
	v_add3_u32 v24, v32, v24, s96
                                        ; implicit-def: $vgpr32
; %bb.2825:                             ;   in Loop: Header=BB33_2659 Depth=3
	s_andn2_saveexec_b64 s[28:29], s[28:29]
; %bb.2826:                             ;   in Loop: Header=BB33_2659 Depth=3
	v_or_b32_e32 v24, 0x10000, v32
	v_cmp_eq_u32_sdwa vcc, v32, v3 src0_sel:WORD_0 src1_sel:DWORD
	s_nop 1
	v_cndmask_b32_e32 v24, v24, v32, vcc
; %bb.2827:                             ;   in Loop: Header=BB33_2659 Depth=3
	s_or_b64 exec, exec, s[28:29]
	v_lshlrev_b32_e32 v32, 16, v25
	v_lshlrev_b32_e32 v36, 16, v33
	v_max_f32_e32 v36, v36, v36
	v_max_f32_e32 v32, v32, v32
	v_min_f32_e32 v37, v32, v36
	v_max_f32_e32 v32, v32, v36
	v_cndmask_b32_e64 v36, v32, v37, s[22:23]
	v_and_b32_e32 v32, 0x7f800000, v36
	v_cmp_ne_u32_e32 vcc, s87, v32
                                        ; implicit-def: $vgpr32
	s_and_saveexec_b64 s[28:29], vcc
	s_xor_b64 s[28:29], exec, s[28:29]
; %bb.2828:                             ;   in Loop: Header=BB33_2659 Depth=3
	v_bfe_u32 v32, v36, 16, 1
	v_add3_u32 v32, v36, v32, s96
                                        ; implicit-def: $vgpr36
; %bb.2829:                             ;   in Loop: Header=BB33_2659 Depth=3
	s_andn2_saveexec_b64 s[28:29], s[28:29]
; %bb.2830:                             ;   in Loop: Header=BB33_2659 Depth=3
	v_or_b32_e32 v32, 0x10000, v36
	v_cmp_eq_u32_sdwa vcc, v36, v3 src0_sel:WORD_0 src1_sel:DWORD
	s_nop 1
	v_cndmask_b32_e32 v32, v32, v36, vcc
; %bb.2831:                             ;   in Loop: Header=BB33_2659 Depth=3
	s_or_b64 exec, exec, s[28:29]
	v_and_b32_e32 v25, 0xffff0000, v25
	v_and_b32_e32 v33, 0xffff0000, v33
	v_max_f32_e32 v33, v33, v33
	v_max_f32_e32 v25, v25, v25
	v_min_f32_e32 v36, v25, v33
	v_max_f32_e32 v25, v25, v33
	v_cndmask_b32_e64 v33, v25, v36, s[22:23]
	v_and_b32_e32 v25, 0x7f800000, v33
	v_cmp_ne_u32_e32 vcc, s87, v25
                                        ; implicit-def: $vgpr25
	s_and_saveexec_b64 s[28:29], vcc
	s_xor_b64 s[28:29], exec, s[28:29]
; %bb.2832:                             ;   in Loop: Header=BB33_2659 Depth=3
	v_bfe_u32 v25, v33, 16, 1
	v_add3_u32 v25, v33, v25, s96
                                        ; implicit-def: $vgpr33
; %bb.2833:                             ;   in Loop: Header=BB33_2659 Depth=3
	s_andn2_saveexec_b64 s[28:29], s[28:29]
; %bb.2834:                             ;   in Loop: Header=BB33_2659 Depth=3
	v_or_b32_e32 v25, 0x10000, v33
	v_cmp_eq_u32_sdwa vcc, v33, v3 src0_sel:WORD_0 src1_sel:DWORD
	s_nop 1
	v_cndmask_b32_e32 v25, v25, v33, vcc
; %bb.2835:                             ;   in Loop: Header=BB33_2659 Depth=3
	s_or_b64 exec, exec, s[28:29]
	v_lshlrev_b32_e32 v33, 16, v26
	v_lshlrev_b32_e32 v36, 16, v34
	v_max_f32_e32 v36, v36, v36
	v_max_f32_e32 v33, v33, v33
	v_min_f32_e32 v37, v33, v36
	v_max_f32_e32 v33, v33, v36
	v_cndmask_b32_e64 v36, v33, v37, s[22:23]
	v_and_b32_e32 v33, 0x7f800000, v36
	v_cmp_ne_u32_e32 vcc, s87, v33
                                        ; implicit-def: $vgpr33
	s_and_saveexec_b64 s[28:29], vcc
	s_xor_b64 s[28:29], exec, s[28:29]
; %bb.2836:                             ;   in Loop: Header=BB33_2659 Depth=3
	v_bfe_u32 v33, v36, 16, 1
	v_add3_u32 v33, v36, v33, s96
                                        ; implicit-def: $vgpr36
; %bb.2837:                             ;   in Loop: Header=BB33_2659 Depth=3
	s_andn2_saveexec_b64 s[28:29], s[28:29]
; %bb.2838:                             ;   in Loop: Header=BB33_2659 Depth=3
	v_or_b32_e32 v33, 0x10000, v36
	v_cmp_eq_u32_sdwa vcc, v36, v3 src0_sel:WORD_0 src1_sel:DWORD
	s_nop 1
	v_cndmask_b32_e32 v33, v33, v36, vcc
; %bb.2839:                             ;   in Loop: Header=BB33_2659 Depth=3
	s_or_b64 exec, exec, s[28:29]
	v_and_b32_e32 v26, 0xffff0000, v26
	v_and_b32_e32 v34, 0xffff0000, v34
	v_max_f32_e32 v34, v34, v34
	v_max_f32_e32 v26, v26, v26
	v_min_f32_e32 v36, v26, v34
	v_max_f32_e32 v26, v26, v34
	v_cndmask_b32_e64 v34, v26, v36, s[22:23]
	v_and_b32_e32 v26, 0x7f800000, v34
	v_cmp_ne_u32_e32 vcc, s87, v26
                                        ; implicit-def: $vgpr26
	s_and_saveexec_b64 s[28:29], vcc
	s_xor_b64 s[28:29], exec, s[28:29]
; %bb.2840:                             ;   in Loop: Header=BB33_2659 Depth=3
	v_bfe_u32 v26, v34, 16, 1
	v_add3_u32 v26, v34, v26, s96
                                        ; implicit-def: $vgpr34
; %bb.2841:                             ;   in Loop: Header=BB33_2659 Depth=3
	s_andn2_saveexec_b64 s[28:29], s[28:29]
; %bb.2842:                             ;   in Loop: Header=BB33_2659 Depth=3
	v_or_b32_e32 v26, 0x10000, v34
	v_cmp_eq_u32_sdwa vcc, v34, v3 src0_sel:WORD_0 src1_sel:DWORD
	s_nop 1
	v_cndmask_b32_e32 v26, v26, v34, vcc
; %bb.2843:                             ;   in Loop: Header=BB33_2659 Depth=3
	s_or_b64 exec, exec, s[28:29]
	v_lshlrev_b32_e32 v34, 16, v27
	v_lshlrev_b32_e32 v36, 16, v35
	v_max_f32_e32 v36, v36, v36
	v_max_f32_e32 v34, v34, v34
	v_min_f32_e32 v37, v34, v36
	v_max_f32_e32 v34, v34, v36
	v_cndmask_b32_e64 v36, v34, v37, s[22:23]
	v_and_b32_e32 v34, 0x7f800000, v36
	v_cmp_ne_u32_e32 vcc, s87, v34
                                        ; implicit-def: $vgpr34
	s_and_saveexec_b64 s[28:29], vcc
	s_xor_b64 s[28:29], exec, s[28:29]
; %bb.2844:                             ;   in Loop: Header=BB33_2659 Depth=3
	v_bfe_u32 v34, v36, 16, 1
	v_add3_u32 v34, v36, v34, s96
                                        ; implicit-def: $vgpr36
; %bb.2845:                             ;   in Loop: Header=BB33_2659 Depth=3
	s_andn2_saveexec_b64 s[28:29], s[28:29]
; %bb.2846:                             ;   in Loop: Header=BB33_2659 Depth=3
	v_or_b32_e32 v34, 0x10000, v36
	v_cmp_eq_u32_sdwa vcc, v36, v3 src0_sel:WORD_0 src1_sel:DWORD
	s_nop 1
	v_cndmask_b32_e32 v34, v34, v36, vcc
; %bb.2847:                             ;   in Loop: Header=BB33_2659 Depth=3
	s_or_b64 exec, exec, s[28:29]
	v_and_b32_e32 v27, 0xffff0000, v27
	v_and_b32_e32 v35, 0xffff0000, v35
	v_max_f32_e32 v35, v35, v35
	v_max_f32_e32 v27, v27, v27
	v_min_f32_e32 v36, v27, v35
	v_max_f32_e32 v27, v27, v35
	v_cndmask_b32_e64 v35, v27, v36, s[22:23]
	v_and_b32_e32 v27, 0x7f800000, v35
	v_cmp_ne_u32_e32 vcc, s87, v27
                                        ; implicit-def: $vgpr27
	s_and_saveexec_b64 s[28:29], vcc
	s_xor_b64 s[28:29], exec, s[28:29]
; %bb.2848:                             ;   in Loop: Header=BB33_2659 Depth=3
	v_bfe_u32 v27, v35, 16, 1
	v_add3_u32 v27, v35, v27, s96
                                        ; implicit-def: $vgpr35
; %bb.2849:                             ;   in Loop: Header=BB33_2659 Depth=3
	s_andn2_saveexec_b64 s[28:29], s[28:29]
; %bb.2850:                             ;   in Loop: Header=BB33_2659 Depth=3
	v_or_b32_e32 v27, 0x10000, v35
	v_cmp_eq_u32_sdwa vcc, v35, v3 src0_sel:WORD_0 src1_sel:DWORD
	s_nop 1
	v_cndmask_b32_e32 v27, v27, v35, vcc
; %bb.2851:                             ;   in Loop: Header=BB33_2659 Depth=3
	s_or_b64 exec, exec, s[28:29]
	v_lshrrev_b32_e32 v0, 16, v0
	v_lshrrev_b32_e32 v32, 16, v32
	v_and_or_b32 v24, v24, s97, v0
	v_lshrrev_b32_e32 v0, 16, v33
	v_and_or_b32 v25, v25, s97, v32
	v_and_or_b32 v26, v26, s97, v0
	v_lshrrev_b32_e32 v0, 16, v34
	v_add_co_u32_e32 v32, vcc, 0x1000, v100
	v_and_or_b32 v27, v27, s97, v0
	s_nop 0
	v_addc_co_u32_e32 v33, vcc, 0, v101, vcc
	global_store_dwordx4 v[32:33], v[24:27], off offset:1024
	v_lshlrev_b32_e32 v0, 16, v16
	v_max_f32_e32 v0, v0, v0
	v_lshlrev_b32_e32 v24, 16, v20
	v_max_f32_e32 v24, v24, v24
	v_min_f32_e32 v25, v0, v24
	v_max_f32_e32 v0, v0, v24
	v_cndmask_b32_e64 v24, v0, v25, s[22:23]
	v_and_b32_e32 v0, 0x7f800000, v24
	v_cmp_ne_u32_e32 vcc, s87, v0
                                        ; implicit-def: $vgpr0
	s_and_saveexec_b64 s[28:29], vcc
	s_xor_b64 s[28:29], exec, s[28:29]
; %bb.2852:                             ;   in Loop: Header=BB33_2659 Depth=3
	v_bfe_u32 v0, v24, 16, 1
	v_add3_u32 v0, v24, v0, s96
                                        ; implicit-def: $vgpr24
; %bb.2853:                             ;   in Loop: Header=BB33_2659 Depth=3
	s_andn2_saveexec_b64 s[28:29], s[28:29]
; %bb.2854:                             ;   in Loop: Header=BB33_2659 Depth=3
	v_or_b32_e32 v0, 0x10000, v24
	v_cmp_eq_u32_sdwa vcc, v24, v3 src0_sel:WORD_0 src1_sel:DWORD
	s_nop 1
	v_cndmask_b32_e32 v0, v0, v24, vcc
; %bb.2855:                             ;   in Loop: Header=BB33_2659 Depth=3
	s_or_b64 exec, exec, s[28:29]
	v_and_b32_e32 v16, 0xffff0000, v16
	v_and_b32_e32 v20, 0xffff0000, v20
	v_max_f32_e32 v20, v20, v20
	v_max_f32_e32 v16, v16, v16
	v_min_f32_e32 v24, v16, v20
	v_max_f32_e32 v16, v16, v20
	v_cndmask_b32_e64 v20, v16, v24, s[22:23]
	v_and_b32_e32 v16, 0x7f800000, v20
	v_cmp_ne_u32_e32 vcc, s87, v16
                                        ; implicit-def: $vgpr16
	s_and_saveexec_b64 s[28:29], vcc
	s_xor_b64 s[28:29], exec, s[28:29]
; %bb.2856:                             ;   in Loop: Header=BB33_2659 Depth=3
	v_bfe_u32 v16, v20, 16, 1
	v_add3_u32 v16, v20, v16, s96
                                        ; implicit-def: $vgpr20
; %bb.2857:                             ;   in Loop: Header=BB33_2659 Depth=3
	s_andn2_saveexec_b64 s[28:29], s[28:29]
; %bb.2858:                             ;   in Loop: Header=BB33_2659 Depth=3
	v_or_b32_e32 v16, 0x10000, v20
	v_cmp_eq_u32_sdwa vcc, v20, v3 src0_sel:WORD_0 src1_sel:DWORD
	s_nop 1
	v_cndmask_b32_e32 v16, v16, v20, vcc
; %bb.2859:                             ;   in Loop: Header=BB33_2659 Depth=3
	s_or_b64 exec, exec, s[28:29]
	v_lshlrev_b32_e32 v20, 16, v17
	v_lshlrev_b32_e32 v24, 16, v21
	v_max_f32_e32 v24, v24, v24
	v_max_f32_e32 v20, v20, v20
	v_min_f32_e32 v25, v20, v24
	v_max_f32_e32 v20, v20, v24
	v_cndmask_b32_e64 v24, v20, v25, s[22:23]
	v_and_b32_e32 v20, 0x7f800000, v24
	v_cmp_ne_u32_e32 vcc, s87, v20
                                        ; implicit-def: $vgpr20
	s_and_saveexec_b64 s[28:29], vcc
	s_xor_b64 s[28:29], exec, s[28:29]
; %bb.2860:                             ;   in Loop: Header=BB33_2659 Depth=3
	v_bfe_u32 v20, v24, 16, 1
	v_add3_u32 v20, v24, v20, s96
                                        ; implicit-def: $vgpr24
; %bb.2861:                             ;   in Loop: Header=BB33_2659 Depth=3
	s_andn2_saveexec_b64 s[28:29], s[28:29]
; %bb.2862:                             ;   in Loop: Header=BB33_2659 Depth=3
	v_or_b32_e32 v20, 0x10000, v24
	v_cmp_eq_u32_sdwa vcc, v24, v3 src0_sel:WORD_0 src1_sel:DWORD
	s_nop 1
	v_cndmask_b32_e32 v20, v20, v24, vcc
; %bb.2863:                             ;   in Loop: Header=BB33_2659 Depth=3
	s_or_b64 exec, exec, s[28:29]
	v_and_b32_e32 v17, 0xffff0000, v17
	v_and_b32_e32 v21, 0xffff0000, v21
	v_max_f32_e32 v21, v21, v21
	v_max_f32_e32 v17, v17, v17
	v_min_f32_e32 v24, v17, v21
	v_max_f32_e32 v17, v17, v21
	v_cndmask_b32_e64 v21, v17, v24, s[22:23]
	v_and_b32_e32 v17, 0x7f800000, v21
	v_cmp_ne_u32_e32 vcc, s87, v17
                                        ; implicit-def: $vgpr17
	s_and_saveexec_b64 s[28:29], vcc
	s_xor_b64 s[28:29], exec, s[28:29]
; %bb.2864:                             ;   in Loop: Header=BB33_2659 Depth=3
	v_bfe_u32 v17, v21, 16, 1
	v_add3_u32 v17, v21, v17, s96
                                        ; implicit-def: $vgpr21
; %bb.2865:                             ;   in Loop: Header=BB33_2659 Depth=3
	s_andn2_saveexec_b64 s[28:29], s[28:29]
; %bb.2866:                             ;   in Loop: Header=BB33_2659 Depth=3
	v_or_b32_e32 v17, 0x10000, v21
	v_cmp_eq_u32_sdwa vcc, v21, v3 src0_sel:WORD_0 src1_sel:DWORD
	s_nop 1
	v_cndmask_b32_e32 v17, v17, v21, vcc
; %bb.2867:                             ;   in Loop: Header=BB33_2659 Depth=3
	s_or_b64 exec, exec, s[28:29]
	v_lshlrev_b32_e32 v21, 16, v18
	v_lshlrev_b32_e32 v24, 16, v22
	v_max_f32_e32 v24, v24, v24
	v_max_f32_e32 v21, v21, v21
	v_min_f32_e32 v25, v21, v24
	v_max_f32_e32 v21, v21, v24
	v_cndmask_b32_e64 v24, v21, v25, s[22:23]
	v_and_b32_e32 v21, 0x7f800000, v24
	v_cmp_ne_u32_e32 vcc, s87, v21
                                        ; implicit-def: $vgpr21
	s_and_saveexec_b64 s[28:29], vcc
	s_xor_b64 s[28:29], exec, s[28:29]
; %bb.2868:                             ;   in Loop: Header=BB33_2659 Depth=3
	v_bfe_u32 v21, v24, 16, 1
	v_add3_u32 v21, v24, v21, s96
                                        ; implicit-def: $vgpr24
; %bb.2869:                             ;   in Loop: Header=BB33_2659 Depth=3
	s_andn2_saveexec_b64 s[28:29], s[28:29]
; %bb.2870:                             ;   in Loop: Header=BB33_2659 Depth=3
	v_or_b32_e32 v21, 0x10000, v24
	v_cmp_eq_u32_sdwa vcc, v24, v3 src0_sel:WORD_0 src1_sel:DWORD
	s_nop 1
	v_cndmask_b32_e32 v21, v21, v24, vcc
; %bb.2871:                             ;   in Loop: Header=BB33_2659 Depth=3
	s_or_b64 exec, exec, s[28:29]
	v_and_b32_e32 v18, 0xffff0000, v18
	v_and_b32_e32 v22, 0xffff0000, v22
	v_max_f32_e32 v22, v22, v22
	v_max_f32_e32 v18, v18, v18
	v_min_f32_e32 v24, v18, v22
	v_max_f32_e32 v18, v18, v22
	v_cndmask_b32_e64 v22, v18, v24, s[22:23]
	v_and_b32_e32 v18, 0x7f800000, v22
	v_cmp_ne_u32_e32 vcc, s87, v18
                                        ; implicit-def: $vgpr18
	s_and_saveexec_b64 s[28:29], vcc
	s_xor_b64 s[28:29], exec, s[28:29]
; %bb.2872:                             ;   in Loop: Header=BB33_2659 Depth=3
	v_bfe_u32 v18, v22, 16, 1
	v_add3_u32 v18, v22, v18, s96
                                        ; implicit-def: $vgpr22
; %bb.2873:                             ;   in Loop: Header=BB33_2659 Depth=3
	s_andn2_saveexec_b64 s[28:29], s[28:29]
; %bb.2874:                             ;   in Loop: Header=BB33_2659 Depth=3
	v_or_b32_e32 v18, 0x10000, v22
	v_cmp_eq_u32_sdwa vcc, v22, v3 src0_sel:WORD_0 src1_sel:DWORD
	s_nop 1
	v_cndmask_b32_e32 v18, v18, v22, vcc
; %bb.2875:                             ;   in Loop: Header=BB33_2659 Depth=3
	s_or_b64 exec, exec, s[28:29]
	v_lshlrev_b32_e32 v22, 16, v19
	v_lshlrev_b32_e32 v24, 16, v23
	v_max_f32_e32 v24, v24, v24
	v_max_f32_e32 v22, v22, v22
	v_min_f32_e32 v25, v22, v24
	v_max_f32_e32 v22, v22, v24
	v_cndmask_b32_e64 v24, v22, v25, s[22:23]
	v_and_b32_e32 v22, 0x7f800000, v24
	v_cmp_ne_u32_e32 vcc, s87, v22
                                        ; implicit-def: $vgpr22
	s_and_saveexec_b64 s[28:29], vcc
	s_xor_b64 s[28:29], exec, s[28:29]
; %bb.2876:                             ;   in Loop: Header=BB33_2659 Depth=3
	v_bfe_u32 v22, v24, 16, 1
	v_add3_u32 v22, v24, v22, s96
                                        ; implicit-def: $vgpr24
; %bb.2877:                             ;   in Loop: Header=BB33_2659 Depth=3
	s_andn2_saveexec_b64 s[28:29], s[28:29]
; %bb.2878:                             ;   in Loop: Header=BB33_2659 Depth=3
	v_or_b32_e32 v22, 0x10000, v24
	v_cmp_eq_u32_sdwa vcc, v24, v3 src0_sel:WORD_0 src1_sel:DWORD
	s_nop 1
	v_cndmask_b32_e32 v22, v22, v24, vcc
; %bb.2879:                             ;   in Loop: Header=BB33_2659 Depth=3
	s_or_b64 exec, exec, s[28:29]
	v_and_b32_e32 v19, 0xffff0000, v19
	v_and_b32_e32 v23, 0xffff0000, v23
	v_max_f32_e32 v23, v23, v23
	v_max_f32_e32 v19, v19, v19
	v_min_f32_e32 v24, v19, v23
	v_max_f32_e32 v19, v19, v23
	v_cndmask_b32_e64 v23, v19, v24, s[22:23]
	v_and_b32_e32 v19, 0x7f800000, v23
	v_cmp_ne_u32_e32 vcc, s87, v19
                                        ; implicit-def: $vgpr19
	s_and_saveexec_b64 s[28:29], vcc
	s_xor_b64 s[28:29], exec, s[28:29]
; %bb.2880:                             ;   in Loop: Header=BB33_2659 Depth=3
	v_bfe_u32 v19, v23, 16, 1
	v_add3_u32 v19, v23, v19, s96
                                        ; implicit-def: $vgpr23
; %bb.2881:                             ;   in Loop: Header=BB33_2659 Depth=3
	s_andn2_saveexec_b64 s[28:29], s[28:29]
; %bb.2882:                             ;   in Loop: Header=BB33_2659 Depth=3
	v_or_b32_e32 v19, 0x10000, v23
	v_cmp_eq_u32_sdwa vcc, v23, v3 src0_sel:WORD_0 src1_sel:DWORD
	s_nop 1
	v_cndmask_b32_e32 v19, v19, v23, vcc
; %bb.2883:                             ;   in Loop: Header=BB33_2659 Depth=3
	s_or_b64 exec, exec, s[28:29]
	v_lshrrev_b32_e32 v0, 16, v0
	v_lshrrev_b32_e32 v20, 16, v20
	v_and_or_b32 v16, v16, s97, v0
	v_lshrrev_b32_e32 v0, 16, v21
	v_and_or_b32 v17, v17, s97, v20
	v_and_or_b32 v18, v18, s97, v0
	v_lshrrev_b32_e32 v0, 16, v22
	v_add_co_u32_e32 v20, vcc, 0x1000, v100
	v_and_or_b32 v19, v19, s97, v0
	s_nop 0
	v_addc_co_u32_e32 v21, vcc, 0, v101, vcc
	global_store_dwordx4 v[20:21], v[16:19], off offset:2048
	v_lshlrev_b32_e32 v0, 16, v8
	v_max_f32_e32 v0, v0, v0
	v_lshlrev_b32_e32 v16, 16, v12
	v_max_f32_e32 v16, v16, v16
	v_min_f32_e32 v17, v0, v16
	v_max_f32_e32 v0, v0, v16
	v_cndmask_b32_e64 v16, v0, v17, s[22:23]
	v_and_b32_e32 v0, 0x7f800000, v16
	v_cmp_ne_u32_e32 vcc, s87, v0
                                        ; implicit-def: $vgpr0
	s_and_saveexec_b64 s[28:29], vcc
	s_xor_b64 s[28:29], exec, s[28:29]
; %bb.2884:                             ;   in Loop: Header=BB33_2659 Depth=3
	v_bfe_u32 v0, v16, 16, 1
	v_add3_u32 v0, v16, v0, s96
                                        ; implicit-def: $vgpr16
; %bb.2885:                             ;   in Loop: Header=BB33_2659 Depth=3
	s_andn2_saveexec_b64 s[28:29], s[28:29]
; %bb.2886:                             ;   in Loop: Header=BB33_2659 Depth=3
	v_or_b32_e32 v0, 0x10000, v16
	v_cmp_eq_u32_sdwa vcc, v16, v3 src0_sel:WORD_0 src1_sel:DWORD
	s_nop 1
	v_cndmask_b32_e32 v0, v0, v16, vcc
; %bb.2887:                             ;   in Loop: Header=BB33_2659 Depth=3
	s_or_b64 exec, exec, s[28:29]
	v_and_b32_e32 v8, 0xffff0000, v8
	v_and_b32_e32 v12, 0xffff0000, v12
	v_max_f32_e32 v12, v12, v12
	v_max_f32_e32 v8, v8, v8
	v_min_f32_e32 v16, v8, v12
	v_max_f32_e32 v8, v8, v12
	v_cndmask_b32_e64 v12, v8, v16, s[22:23]
	v_and_b32_e32 v8, 0x7f800000, v12
	v_cmp_ne_u32_e32 vcc, s87, v8
                                        ; implicit-def: $vgpr8
	s_and_saveexec_b64 s[28:29], vcc
	s_xor_b64 s[28:29], exec, s[28:29]
; %bb.2888:                             ;   in Loop: Header=BB33_2659 Depth=3
	v_bfe_u32 v8, v12, 16, 1
	v_add3_u32 v8, v12, v8, s96
                                        ; implicit-def: $vgpr12
; %bb.2889:                             ;   in Loop: Header=BB33_2659 Depth=3
	s_andn2_saveexec_b64 s[28:29], s[28:29]
; %bb.2890:                             ;   in Loop: Header=BB33_2659 Depth=3
	v_or_b32_e32 v8, 0x10000, v12
	v_cmp_eq_u32_sdwa vcc, v12, v3 src0_sel:WORD_0 src1_sel:DWORD
	s_nop 1
	v_cndmask_b32_e32 v8, v8, v12, vcc
; %bb.2891:                             ;   in Loop: Header=BB33_2659 Depth=3
	s_or_b64 exec, exec, s[28:29]
	v_lshlrev_b32_e32 v12, 16, v9
	v_lshlrev_b32_e32 v16, 16, v13
	v_max_f32_e32 v16, v16, v16
	v_max_f32_e32 v12, v12, v12
	v_min_f32_e32 v17, v12, v16
	v_max_f32_e32 v12, v12, v16
	v_cndmask_b32_e64 v16, v12, v17, s[22:23]
	v_and_b32_e32 v12, 0x7f800000, v16
	v_cmp_ne_u32_e32 vcc, s87, v12
                                        ; implicit-def: $vgpr12
	s_and_saveexec_b64 s[28:29], vcc
	s_xor_b64 s[28:29], exec, s[28:29]
; %bb.2892:                             ;   in Loop: Header=BB33_2659 Depth=3
	v_bfe_u32 v12, v16, 16, 1
	v_add3_u32 v12, v16, v12, s96
                                        ; implicit-def: $vgpr16
; %bb.2893:                             ;   in Loop: Header=BB33_2659 Depth=3
	s_andn2_saveexec_b64 s[28:29], s[28:29]
; %bb.2894:                             ;   in Loop: Header=BB33_2659 Depth=3
	v_or_b32_e32 v12, 0x10000, v16
	v_cmp_eq_u32_sdwa vcc, v16, v3 src0_sel:WORD_0 src1_sel:DWORD
	s_nop 1
	v_cndmask_b32_e32 v12, v12, v16, vcc
; %bb.2895:                             ;   in Loop: Header=BB33_2659 Depth=3
	s_or_b64 exec, exec, s[28:29]
	v_and_b32_e32 v9, 0xffff0000, v9
	v_and_b32_e32 v13, 0xffff0000, v13
	v_max_f32_e32 v13, v13, v13
	v_max_f32_e32 v9, v9, v9
	v_min_f32_e32 v16, v9, v13
	v_max_f32_e32 v9, v9, v13
	v_cndmask_b32_e64 v13, v9, v16, s[22:23]
	v_and_b32_e32 v9, 0x7f800000, v13
	v_cmp_ne_u32_e32 vcc, s87, v9
                                        ; implicit-def: $vgpr9
	s_and_saveexec_b64 s[28:29], vcc
	s_xor_b64 s[28:29], exec, s[28:29]
; %bb.2896:                             ;   in Loop: Header=BB33_2659 Depth=3
	v_bfe_u32 v9, v13, 16, 1
	v_add3_u32 v9, v13, v9, s96
                                        ; implicit-def: $vgpr13
; %bb.2897:                             ;   in Loop: Header=BB33_2659 Depth=3
	s_andn2_saveexec_b64 s[28:29], s[28:29]
; %bb.2898:                             ;   in Loop: Header=BB33_2659 Depth=3
	v_or_b32_e32 v9, 0x10000, v13
	v_cmp_eq_u32_sdwa vcc, v13, v3 src0_sel:WORD_0 src1_sel:DWORD
	s_nop 1
	v_cndmask_b32_e32 v9, v9, v13, vcc
; %bb.2899:                             ;   in Loop: Header=BB33_2659 Depth=3
	s_or_b64 exec, exec, s[28:29]
	v_lshlrev_b32_e32 v13, 16, v10
	v_lshlrev_b32_e32 v16, 16, v14
	v_max_f32_e32 v16, v16, v16
	v_max_f32_e32 v13, v13, v13
	v_min_f32_e32 v17, v13, v16
	v_max_f32_e32 v13, v13, v16
	v_cndmask_b32_e64 v16, v13, v17, s[22:23]
	v_and_b32_e32 v13, 0x7f800000, v16
	v_cmp_ne_u32_e32 vcc, s87, v13
                                        ; implicit-def: $vgpr13
	s_and_saveexec_b64 s[28:29], vcc
	s_xor_b64 s[28:29], exec, s[28:29]
; %bb.2900:                             ;   in Loop: Header=BB33_2659 Depth=3
	v_bfe_u32 v13, v16, 16, 1
	v_add3_u32 v13, v16, v13, s96
                                        ; implicit-def: $vgpr16
; %bb.2901:                             ;   in Loop: Header=BB33_2659 Depth=3
	s_andn2_saveexec_b64 s[28:29], s[28:29]
; %bb.2902:                             ;   in Loop: Header=BB33_2659 Depth=3
	v_or_b32_e32 v13, 0x10000, v16
	v_cmp_eq_u32_sdwa vcc, v16, v3 src0_sel:WORD_0 src1_sel:DWORD
	s_nop 1
	v_cndmask_b32_e32 v13, v13, v16, vcc
; %bb.2903:                             ;   in Loop: Header=BB33_2659 Depth=3
	s_or_b64 exec, exec, s[28:29]
	v_and_b32_e32 v10, 0xffff0000, v10
	v_and_b32_e32 v14, 0xffff0000, v14
	v_max_f32_e32 v14, v14, v14
	v_max_f32_e32 v10, v10, v10
	v_min_f32_e32 v16, v10, v14
	v_max_f32_e32 v10, v10, v14
	v_cndmask_b32_e64 v14, v10, v16, s[22:23]
	v_and_b32_e32 v10, 0x7f800000, v14
	v_cmp_ne_u32_e32 vcc, s87, v10
                                        ; implicit-def: $vgpr10
	s_and_saveexec_b64 s[28:29], vcc
	s_xor_b64 s[28:29], exec, s[28:29]
; %bb.2904:                             ;   in Loop: Header=BB33_2659 Depth=3
	v_bfe_u32 v10, v14, 16, 1
	v_add3_u32 v10, v14, v10, s96
                                        ; implicit-def: $vgpr14
; %bb.2905:                             ;   in Loop: Header=BB33_2659 Depth=3
	s_andn2_saveexec_b64 s[28:29], s[28:29]
; %bb.2906:                             ;   in Loop: Header=BB33_2659 Depth=3
	v_or_b32_e32 v10, 0x10000, v14
	v_cmp_eq_u32_sdwa vcc, v14, v3 src0_sel:WORD_0 src1_sel:DWORD
	s_nop 1
	v_cndmask_b32_e32 v10, v10, v14, vcc
; %bb.2907:                             ;   in Loop: Header=BB33_2659 Depth=3
	s_or_b64 exec, exec, s[28:29]
	v_lshlrev_b32_e32 v14, 16, v11
	v_lshlrev_b32_e32 v16, 16, v15
	v_max_f32_e32 v16, v16, v16
	v_max_f32_e32 v14, v14, v14
	v_min_f32_e32 v17, v14, v16
	v_max_f32_e32 v14, v14, v16
	v_cndmask_b32_e64 v16, v14, v17, s[22:23]
	v_and_b32_e32 v14, 0x7f800000, v16
	v_cmp_ne_u32_e32 vcc, s87, v14
                                        ; implicit-def: $vgpr14
	s_and_saveexec_b64 s[28:29], vcc
	s_xor_b64 s[28:29], exec, s[28:29]
; %bb.2908:                             ;   in Loop: Header=BB33_2659 Depth=3
	v_bfe_u32 v14, v16, 16, 1
	v_add3_u32 v14, v16, v14, s96
                                        ; implicit-def: $vgpr16
; %bb.2909:                             ;   in Loop: Header=BB33_2659 Depth=3
	s_andn2_saveexec_b64 s[28:29], s[28:29]
; %bb.2910:                             ;   in Loop: Header=BB33_2659 Depth=3
	v_or_b32_e32 v14, 0x10000, v16
	v_cmp_eq_u32_sdwa vcc, v16, v3 src0_sel:WORD_0 src1_sel:DWORD
	s_nop 1
	v_cndmask_b32_e32 v14, v14, v16, vcc
; %bb.2911:                             ;   in Loop: Header=BB33_2659 Depth=3
	s_or_b64 exec, exec, s[28:29]
	v_and_b32_e32 v11, 0xffff0000, v11
	v_and_b32_e32 v15, 0xffff0000, v15
	v_max_f32_e32 v15, v15, v15
	v_max_f32_e32 v11, v11, v11
	v_min_f32_e32 v16, v11, v15
	v_max_f32_e32 v11, v11, v15
	v_cndmask_b32_e64 v15, v11, v16, s[22:23]
	v_and_b32_e32 v11, 0x7f800000, v15
	v_cmp_ne_u32_e32 vcc, s87, v11
                                        ; implicit-def: $vgpr11
	s_and_saveexec_b64 s[28:29], vcc
	s_xor_b64 s[28:29], exec, s[28:29]
; %bb.2912:                             ;   in Loop: Header=BB33_2659 Depth=3
	v_bfe_u32 v11, v15, 16, 1
	v_add3_u32 v11, v15, v11, s96
                                        ; implicit-def: $vgpr15
; %bb.2913:                             ;   in Loop: Header=BB33_2659 Depth=3
	s_andn2_saveexec_b64 s[28:29], s[28:29]
	s_cbranch_execz .LBB33_2658
; %bb.2914:                             ;   in Loop: Header=BB33_2659 Depth=3
	v_or_b32_e32 v11, 0x10000, v15
	v_cmp_eq_u32_sdwa vcc, v15, v3 src0_sel:WORD_0 src1_sel:DWORD
	s_nop 1
	v_cndmask_b32_e32 v11, v11, v15, vcc
	s_branch .LBB33_2658
.LBB33_2915:                            ;   in Loop: Header=BB33_2581 Depth=2
	s_or_b64 exec, exec, s[26:27]
	scratch_load_dword v109, off, s33 offset:216 ; 4-byte Folded Reload
	scratch_load_dword v110, off, s33 offset:220 ; 4-byte Folded Reload
	;; [unrolled: 1-line block ×3, first 2 shown]
	scratch_load_dwordx2 v[84:85], off, s33 offset:184 ; 8-byte Folded Reload
	scratch_load_dwordx2 v[124:125], off, s33 offset:228 ; 8-byte Folded Reload
	;; [unrolled: 1-line block ×4, first 2 shown]
	scratch_load_dword v81, off, s33 offset:200 ; 4-byte Folded Reload
	scratch_load_dword v0, off, s33 offset:244 ; 4-byte Folded Reload
	v_mov_b32_e32 v102, 0xc8
	v_mov_b32_e32 v103, 0x90
	;; [unrolled: 1-line block ×4, first 2 shown]
.LBB33_2916:                            ;   in Loop: Header=BB33_2581 Depth=2
	s_or_b64 exec, exec, s[24:25]
	s_waitcnt vmcnt(0)
	v_lshlrev_b32_e32 v12, 13, v0
	v_cmp_ne_u32_e32 vcc, v5, v12
	s_mov_b64 s[22:23], 0
	v_mov_b32_e32 v18, 0
                                        ; implicit-def: $vgpr19
	s_and_saveexec_b64 s[50:51], vcc
	s_cbranch_execz .LBB33_2922
; %bb.2917:                             ;   in Loop: Header=BB33_2581 Depth=2
	v_lshlrev_b32_e32 v0, 6, v2
	v_sub_u32_e32 v0, v110, v0
	v_sub_u32_e32 v8, v5, v12
	v_ashrrev_i32_e32 v2, 31, v0
	v_lshrrev_b32_e32 v2, 26, v2
	v_ashrrev_i32_e32 v10, 31, v8
	v_add_u32_e32 v2, v0, v2
	v_lshrrev_b32_e32 v10, 22, v10
	v_ashrrev_i32_e32 v9, 6, v2
	v_and_b32_e32 v2, 0xffffffc0, v2
	v_add_u32_e32 v10, v8, v10
	v_sub_u32_e32 v2, v0, v2
	v_and_b32_e32 v13, 0xfffffc00, v10
	v_lshlrev_b32_e32 v0, 4, v2
	v_sub_u32_e32 v14, v8, v13
	v_lshl_add_u32 v0, v9, 10, v0
	v_ashrrev_i32_e32 v11, 10, v10
	v_cmp_lt_i32_e32 vcc, 15, v14
	v_sub_u32_e32 v16, v8, v0
	s_nop 0
	v_addc_co_u32_e64 v8, s[22:23], 0, v11, vcc
	v_sub_u32_e32 v15, v8, v9
	v_cmp_lt_i32_e64 s[22:23], 15, v16
	s_and_saveexec_b64 s[52:53], s[22:23]
	s_cbranch_execz .LBB33_2921
; %bb.2918:                             ;   in Loop: Header=BB33_2581 Depth=2
	s_and_b32 s74, s63, 1
	v_add_u32_e32 v8, v0, v12
	s_cmp_eq_u64 s[74:75], 0
	v_ashrrev_i32_e32 v9, 31, v8
	s_mov_b64 s[54:55], 0
	s_cselect_b64 s[22:23], -1, 0
.LBB33_2919:                            ;   Parent Loop BB33_47 Depth=1
                                        ;     Parent Loop BB33_2581 Depth=2
                                        ; =>    This Inner Loop Header: Depth=3
	v_lshl_add_u64 v[22:23], v[28:29], 0, v[8:9]
	v_lshl_add_u64 v[18:19], v[118:119], 0, v[8:9]
	global_load_dwordx4 v[18:21], v[18:19], off nt
	s_nop 0
	global_load_dwordx4 v[22:25], v[22:23], off nt
	v_sub_u32_e32 v16, v16, v76
	v_lshl_add_u64 v[10:11], v[62:63], 0, v[8:9]
	v_sub_u32_e32 v15, v15, v60
	v_lshl_add_u64 v[8:9], v[8:9], 0, v[76:77]
	s_waitcnt vmcnt(1)
	v_and_b32_e32 v0, 0xffff0000, v18
	s_waitcnt vmcnt(0)
	v_and_b32_e32 v17, 0xffff0000, v22
	v_lshlrev_b32_e32 v18, 16, v18
	v_lshlrev_b32_e32 v22, 16, v22
	v_max_f32_e32 v22, v22, v22
	v_max_f32_e32 v18, v18, v18
	v_min_f32_e32 v26, v18, v22
	v_max_f32_e32 v18, v18, v22
	v_cndmask_b32_e64 v18, v18, v26, s[22:23]
	v_and_b32_e32 v22, 0x7f800000, v18
	v_cmp_eq_u32_e64 s[24:25], s87, v22
	v_bfe_u32 v22, v18, 16, 1
	v_cmp_eq_u32_sdwa s[26:27], v18, v3 src0_sel:WORD_0 src1_sel:DWORD
	v_or_b32_e32 v26, 0x10000, v18
	v_max_f32_e32 v17, v17, v17
	v_max_f32_e32 v0, v0, v0
	v_add3_u32 v22, v18, v22, s96
	v_cndmask_b32_e64 v18, v26, v18, s[26:27]
	v_min_f32_e32 v26, v0, v17
	v_max_f32_e32 v0, v0, v17
	v_cndmask_b32_e64 v0, v0, v26, s[22:23]
	v_and_b32_e32 v17, 0x7f800000, v0
	v_cmp_eq_u32_e64 s[26:27], s87, v17
	v_bfe_u32 v17, v0, 16, 1
	v_cmp_eq_u32_sdwa s[28:29], v0, v3 src0_sel:WORD_0 src1_sel:DWORD
	v_or_b32_e32 v26, 0x10000, v0
	v_add3_u32 v17, v0, v17, s96
	v_cndmask_b32_e64 v0, v26, v0, s[28:29]
	v_and_b32_e32 v26, 0xffff0000, v19
	v_and_b32_e32 v27, 0xffff0000, v23
	v_lshlrev_b32_e32 v19, 16, v19
	v_lshlrev_b32_e32 v23, 16, v23
	v_max_f32_e32 v23, v23, v23
	v_max_f32_e32 v19, v19, v19
	v_min_f32_e32 v32, v19, v23
	v_max_f32_e32 v19, v19, v23
	v_cndmask_b32_e64 v19, v19, v32, s[22:23]
	v_and_b32_e32 v23, 0x7f800000, v19
	v_cmp_eq_u32_e64 s[28:29], s87, v23
	v_bfe_u32 v23, v19, 16, 1
	v_cmp_eq_u32_sdwa s[40:41], v19, v3 src0_sel:WORD_0 src1_sel:DWORD
	v_or_b32_e32 v32, 0x10000, v19
	v_max_f32_e32 v27, v27, v27
	v_max_f32_e32 v26, v26, v26
	v_add3_u32 v23, v19, v23, s96
	v_cndmask_b32_e64 v19, v32, v19, s[40:41]
	v_min_f32_e32 v32, v26, v27
	v_max_f32_e32 v26, v26, v27
	v_cndmask_b32_e64 v26, v26, v32, s[22:23]
	v_and_b32_e32 v27, 0x7f800000, v26
	v_cmp_eq_u32_e64 s[40:41], s87, v27
	v_bfe_u32 v27, v26, 16, 1
	v_cmp_eq_u32_sdwa s[42:43], v26, v3 src0_sel:WORD_0 src1_sel:DWORD
	v_or_b32_e32 v32, 0x10000, v26
	v_add3_u32 v27, v26, v27, s96
	v_cndmask_b32_e64 v26, v32, v26, s[42:43]
	v_and_b32_e32 v32, 0xffff0000, v20
	;; [unrolled: 28-line block ×3, first 2 shown]
	v_and_b32_e32 v35, 0xffff0000, v25
	v_lshlrev_b32_e32 v21, 16, v21
	v_lshlrev_b32_e32 v25, 16, v25
	v_max_f32_e32 v25, v25, v25
	v_max_f32_e32 v21, v21, v21
	v_min_f32_e32 v36, v21, v25
	v_max_f32_e32 v21, v21, v25
	v_cndmask_b32_e64 v21, v21, v36, s[22:23]
	v_and_b32_e32 v25, 0x7f800000, v21
	v_cmp_eq_u32_e64 s[46:47], s87, v25
	v_bfe_u32 v25, v21, 16, 1
	v_cmp_eq_u32_sdwa s[56:57], v21, v3 src0_sel:WORD_0 src1_sel:DWORD
	v_or_b32_e32 v36, 0x10000, v21
	v_max_f32_e32 v35, v35, v35
	v_max_f32_e32 v34, v34, v34
	v_add3_u32 v25, v21, v25, s96
	v_cndmask_b32_e64 v21, v36, v21, s[56:57]
	v_min_f32_e32 v36, v34, v35
	v_max_f32_e32 v34, v34, v35
	v_cndmask_b32_e64 v34, v34, v36, s[22:23]
	v_cndmask_b32_e64 v0, v17, v0, s[26:27]
	;; [unrolled: 1-line block ×3, first 2 shown]
	v_and_b32_e32 v35, 0x7f800000, v34
	v_cndmask_b32_e64 v18, v22, v18, s[24:25]
	v_cndmask_b32_e64 v19, v27, v26, s[40:41]
	v_lshrrev_b32_e32 v17, 16, v17
	v_cmp_eq_u32_e64 s[56:57], s87, v35
	v_bfe_u32 v35, v34, 16, 1
	v_cmp_eq_u32_sdwa s[58:59], v34, v3 src0_sel:WORD_0 src1_sel:DWORD
	v_or_b32_e32 v36, 0x10000, v34
	v_cndmask_b32_e64 v20, v24, v20, s[42:43]
	v_and_or_b32 v19, v19, s97, v17
	v_lshrrev_b32_e32 v17, 16, v18
	v_add3_u32 v35, v34, v35, s96
	v_cndmask_b32_e64 v34, v36, v34, s[58:59]
	v_cndmask_b32_e64 v22, v33, v32, s[44:45]
	;; [unrolled: 1-line block ×3, first 2 shown]
	v_and_or_b32 v18, v0, s97, v17
	v_lshrrev_b32_e32 v0, 16, v20
	v_cndmask_b32_e64 v23, v35, v34, s[56:57]
	v_and_or_b32 v20, v22, s97, v0
	v_lshrrev_b32_e32 v0, 16, v21
	v_cmp_gt_i32_e64 s[24:25], 16, v16
	v_and_or_b32 v21, v23, s97, v0
	s_or_b64 s[54:55], s[24:25], s[54:55]
	global_store_dwordx4 v[10:11], v[18:21], off
	s_andn2_b64 exec, exec, s[54:55]
	s_cbranch_execnz .LBB33_2919
; %bb.2920:                             ;   in Loop: Header=BB33_2581 Depth=2
	s_or_b64 exec, exec, s[54:55]
.LBB33_2921:                            ;   in Loop: Header=BB33_2581 Depth=2
	s_or_b64 exec, exec, s[52:53]
	v_and_b32_e32 v0, 14, v5
	v_sub_u32_e32 v5, v14, v0
	v_cndmask_b32_e32 v5, 0, v5, vcc
	v_add3_u32 v18, v13, v12, v5
	v_cndmask_b32_e32 v5, v14, v0, vcc
	v_cmp_lt_i32_e32 vcc, 0, v15
	s_nop 1
	v_cndmask_b32_e32 v0, 0, v60, vcc
	v_sub_u32_e32 v0, v0, v15
	v_cmp_ne_u32_e32 vcc, 0, v5
	v_lshl_add_u32 v19, v0, 6, v2
	s_and_b64 s[22:23], vcc, exec
.LBB33_2922:                            ;   in Loop: Header=BB33_2581 Depth=2
	s_or_b64 exec, exec, s[50:51]
	s_and_saveexec_b64 s[24:25], s[22:23]
	s_cbranch_execz .LBB33_2995
.LBB33_2923:                            ;   in Loop: Header=BB33_2581 Depth=2
	v_ashrrev_i32_e32 v0, 31, v19
	v_ashrrev_i32_e32 v8, 31, v5
	v_lshrrev_b32_e32 v0, 26, v0
	v_lshrrev_b32_e32 v8, 21, v8
	v_add_u32_e32 v0, v19, v0
	v_add_u32_e32 v8, v5, v8
	v_ashrrev_i32_e32 v2, 6, v0
	v_ashrrev_i32_e32 v21, 11, v8
	v_sub_u32_e32 v20, v21, v2
	v_cmp_lt_i32_e32 vcc, 0, v20
	s_and_saveexec_b64 s[26:27], vcc
	s_cbranch_execz .LBB33_2991
; %bb.2924:                             ;   in Loop: Header=BB33_2581 Depth=2
	v_and_b32_e32 v0, 0x7fffffc0, v0
	v_sub_u32_e32 v0, v19, v0
	v_lshlrev_b32_e32 v0, 1, v0
	v_lshlrev_b32_e32 v8, 11, v2
	s_and_b32 s74, s63, 1
	v_add3_u32 v8, v0, v18, v8
	s_cmp_eq_u64 s[74:75], 0
	v_ashrrev_i32_e32 v9, 31, v8
	s_mov_b64 s[28:29], 0
	s_cselect_b64 vcc, -1, 0
	v_mov_b64_e32 v[10:11], v[62:63]
	v_mov_b64_e32 v[12:13], v[118:119]
	;; [unrolled: 1-line block ×3, first 2 shown]
	s_branch .LBB33_2926
.LBB33_2925:                            ;   in Loop: Header=BB33_2926 Depth=3
	s_or_b64 exec, exec, s[40:41]
	v_sub_u32_e32 v20, v20, v60
	v_cmp_gt_i32_e64 s[22:23], 1, v20
	v_lshl_add_u64 v[14:15], v[14:15], 0, v[78:79]
	v_lshl_add_u64 v[12:13], v[12:13], 0, v[78:79]
	s_or_b64 s[28:29], s[22:23], s[28:29]
	v_lshl_add_u64 v[10:11], v[10:11], 0, v[78:79]
	flat_store_short_d16_hi v[16:17], v22 offset:1920 nt
	s_andn2_b64 exec, exec, s[28:29]
	s_cbranch_execz .LBB33_2990
.LBB33_2926:                            ;   Parent Loop BB33_47 Depth=1
                                        ;     Parent Loop BB33_2581 Depth=2
                                        ; =>    This Inner Loop Header: Depth=3
	v_lshl_add_u64 v[70:71], v[8:9], 0, v[12:13]
	v_lshl_add_u64 v[16:17], v[8:9], 0, v[14:15]
	flat_load_ushort v48, v[70:71] offset:1024 nt
	flat_load_ushort v38, v[70:71] offset:1152 nt
	;; [unrolled: 1-line block ×15, first 2 shown]
	s_nop 0
	flat_load_ushort v71, v[70:71] nt
	s_nop 0
	flat_load_ushort v70, v[16:17] offset:128 nt
	flat_load_ushort v68, v[16:17] offset:256 nt
	flat_load_ushort v66, v[16:17] offset:384 nt
	flat_load_ushort v64, v[16:17] offset:512 nt
	flat_load_ushort v54, v[16:17] offset:640 nt
	flat_load_ushort v52, v[16:17] offset:768 nt
	flat_load_ushort v0, v[16:17] offset:896 nt
	flat_load_ushort v80, v[16:17] nt
	flat_load_ushort v49, v[16:17] offset:1024 nt
	flat_load_ushort v39, v[16:17] offset:1152 nt
	;; [unrolled: 1-line block ×8, first 2 shown]
	s_waitcnt vmcnt(0) lgkmcnt(0)
	v_lshlrev_b32_e32 v16, 16, v71
	v_max_f32_e32 v16, v16, v16
	v_lshlrev_b32_e32 v17, 16, v80
	v_max_f32_e32 v17, v17, v17
	v_min_f32_e32 v71, v16, v17
	v_max_f32_e32 v16, v16, v17
	v_cndmask_b32_e32 v16, v16, v71, vcc
	v_and_b32_e32 v17, 0x7f800000, v16
	v_cmp_ne_u32_e64 s[22:23], s87, v17
                                        ; implicit-def: $vgpr71
	s_and_saveexec_b64 s[40:41], s[22:23]
	s_xor_b64 s[22:23], exec, s[40:41]
; %bb.2927:                             ;   in Loop: Header=BB33_2926 Depth=3
	v_bfe_u32 v17, v16, 16, 1
	v_add3_u32 v71, v16, v17, s96
                                        ; implicit-def: $vgpr16
; %bb.2928:                             ;   in Loop: Header=BB33_2926 Depth=3
	s_andn2_saveexec_b64 s[40:41], s[22:23]
; %bb.2929:                             ;   in Loop: Header=BB33_2926 Depth=3
	v_or_b32_e32 v17, 0x10000, v16
	v_cmp_eq_u32_sdwa s[22:23], v16, v3 src0_sel:WORD_0 src1_sel:DWORD
	s_nop 1
	v_cndmask_b32_e64 v71, v17, v16, s[22:23]
; %bb.2930:                             ;   in Loop: Header=BB33_2926 Depth=3
	s_or_b64 exec, exec, s[40:41]
	v_lshlrev_b32_e32 v69, 16, v69
	v_lshlrev_b32_e32 v70, 16, v70
	v_lshl_add_u64 v[16:17], v[8:9], 0, v[10:11]
	v_max_f32_e32 v70, v70, v70
	v_max_f32_e32 v69, v69, v69
	flat_store_short_d16_hi v[16:17], v71 nt
	v_min_f32_e32 v71, v69, v70
	v_max_f32_e32 v69, v69, v70
	v_cndmask_b32_e32 v69, v69, v71, vcc
	v_and_b32_e32 v70, 0x7f800000, v69
	v_cmp_ne_u32_e64 s[22:23], s87, v70
                                        ; implicit-def: $vgpr70
	s_and_saveexec_b64 s[40:41], s[22:23]
	s_xor_b64 s[22:23], exec, s[40:41]
; %bb.2931:                             ;   in Loop: Header=BB33_2926 Depth=3
	v_bfe_u32 v70, v69, 16, 1
	v_add3_u32 v70, v69, v70, s96
                                        ; implicit-def: $vgpr69
; %bb.2932:                             ;   in Loop: Header=BB33_2926 Depth=3
	s_andn2_saveexec_b64 s[40:41], s[22:23]
; %bb.2933:                             ;   in Loop: Header=BB33_2926 Depth=3
	v_or_b32_e32 v70, 0x10000, v69
	v_cmp_eq_u32_sdwa s[22:23], v69, v3 src0_sel:WORD_0 src1_sel:DWORD
	s_nop 1
	v_cndmask_b32_e64 v70, v70, v69, s[22:23]
; %bb.2934:                             ;   in Loop: Header=BB33_2926 Depth=3
	s_or_b64 exec, exec, s[40:41]
	v_lshlrev_b32_e32 v67, 16, v67
	v_lshlrev_b32_e32 v68, 16, v68
	v_max_f32_e32 v68, v68, v68
	v_max_f32_e32 v67, v67, v67
	v_min_f32_e32 v69, v67, v68
	v_max_f32_e32 v67, v67, v68
	v_cndmask_b32_e32 v67, v67, v69, vcc
	v_and_b32_e32 v68, 0x7f800000, v67
	v_cmp_ne_u32_e64 s[22:23], s87, v68
	flat_store_short_d16_hi v[16:17], v70 offset:128 nt
                                        ; implicit-def: $vgpr68
	s_and_saveexec_b64 s[40:41], s[22:23]
	s_xor_b64 s[22:23], exec, s[40:41]
; %bb.2935:                             ;   in Loop: Header=BB33_2926 Depth=3
	v_bfe_u32 v68, v67, 16, 1
	v_add3_u32 v68, v67, v68, s96
                                        ; implicit-def: $vgpr67
; %bb.2936:                             ;   in Loop: Header=BB33_2926 Depth=3
	s_andn2_saveexec_b64 s[40:41], s[22:23]
; %bb.2937:                             ;   in Loop: Header=BB33_2926 Depth=3
	v_or_b32_e32 v68, 0x10000, v67
	v_cmp_eq_u32_sdwa s[22:23], v67, v3 src0_sel:WORD_0 src1_sel:DWORD
	s_nop 1
	v_cndmask_b32_e64 v68, v68, v67, s[22:23]
; %bb.2938:                             ;   in Loop: Header=BB33_2926 Depth=3
	s_or_b64 exec, exec, s[40:41]
	v_lshlrev_b32_e32 v65, 16, v65
	v_lshlrev_b32_e32 v66, 16, v66
	v_max_f32_e32 v66, v66, v66
	v_max_f32_e32 v65, v65, v65
	v_min_f32_e32 v67, v65, v66
	v_max_f32_e32 v65, v65, v66
	v_cndmask_b32_e32 v65, v65, v67, vcc
	v_and_b32_e32 v66, 0x7f800000, v65
	v_cmp_ne_u32_e64 s[22:23], s87, v66
	flat_store_short_d16_hi v[16:17], v68 offset:256 nt
                                        ; implicit-def: $vgpr66
	s_and_saveexec_b64 s[40:41], s[22:23]
	s_xor_b64 s[22:23], exec, s[40:41]
; %bb.2939:                             ;   in Loop: Header=BB33_2926 Depth=3
	v_bfe_u32 v66, v65, 16, 1
	v_add3_u32 v66, v65, v66, s96
                                        ; implicit-def: $vgpr65
; %bb.2940:                             ;   in Loop: Header=BB33_2926 Depth=3
	s_andn2_saveexec_b64 s[40:41], s[22:23]
; %bb.2941:                             ;   in Loop: Header=BB33_2926 Depth=3
	v_or_b32_e32 v66, 0x10000, v65
	v_cmp_eq_u32_sdwa s[22:23], v65, v3 src0_sel:WORD_0 src1_sel:DWORD
	s_nop 1
	v_cndmask_b32_e64 v66, v66, v65, s[22:23]
; %bb.2942:                             ;   in Loop: Header=BB33_2926 Depth=3
	s_or_b64 exec, exec, s[40:41]
	v_lshlrev_b32_e32 v55, 16, v55
	v_lshlrev_b32_e32 v64, 16, v64
	v_max_f32_e32 v64, v64, v64
	v_max_f32_e32 v55, v55, v55
	v_min_f32_e32 v65, v55, v64
	v_max_f32_e32 v55, v55, v64
	v_cndmask_b32_e32 v55, v55, v65, vcc
	v_and_b32_e32 v64, 0x7f800000, v55
	v_cmp_ne_u32_e64 s[22:23], s87, v64
	flat_store_short_d16_hi v[16:17], v66 offset:384 nt
                                        ; implicit-def: $vgpr64
	s_and_saveexec_b64 s[40:41], s[22:23]
	s_xor_b64 s[22:23], exec, s[40:41]
; %bb.2943:                             ;   in Loop: Header=BB33_2926 Depth=3
	v_bfe_u32 v64, v55, 16, 1
	v_add3_u32 v64, v55, v64, s96
                                        ; implicit-def: $vgpr55
; %bb.2944:                             ;   in Loop: Header=BB33_2926 Depth=3
	s_andn2_saveexec_b64 s[40:41], s[22:23]
; %bb.2945:                             ;   in Loop: Header=BB33_2926 Depth=3
	v_or_b32_e32 v64, 0x10000, v55
	v_cmp_eq_u32_sdwa s[22:23], v55, v3 src0_sel:WORD_0 src1_sel:DWORD
	s_nop 1
	v_cndmask_b32_e64 v64, v64, v55, s[22:23]
; %bb.2946:                             ;   in Loop: Header=BB33_2926 Depth=3
	s_or_b64 exec, exec, s[40:41]
	v_lshlrev_b32_e32 v53, 16, v53
	v_lshlrev_b32_e32 v54, 16, v54
	v_max_f32_e32 v54, v54, v54
	v_max_f32_e32 v53, v53, v53
	v_min_f32_e32 v55, v53, v54
	v_max_f32_e32 v53, v53, v54
	v_cndmask_b32_e32 v53, v53, v55, vcc
	v_and_b32_e32 v54, 0x7f800000, v53
	v_cmp_ne_u32_e64 s[22:23], s87, v54
	flat_store_short_d16_hi v[16:17], v64 offset:512 nt
                                        ; implicit-def: $vgpr54
	s_and_saveexec_b64 s[40:41], s[22:23]
	s_xor_b64 s[22:23], exec, s[40:41]
; %bb.2947:                             ;   in Loop: Header=BB33_2926 Depth=3
	v_bfe_u32 v54, v53, 16, 1
	v_add3_u32 v54, v53, v54, s96
                                        ; implicit-def: $vgpr53
; %bb.2948:                             ;   in Loop: Header=BB33_2926 Depth=3
	s_andn2_saveexec_b64 s[40:41], s[22:23]
; %bb.2949:                             ;   in Loop: Header=BB33_2926 Depth=3
	v_or_b32_e32 v54, 0x10000, v53
	v_cmp_eq_u32_sdwa s[22:23], v53, v3 src0_sel:WORD_0 src1_sel:DWORD
	s_nop 1
	v_cndmask_b32_e64 v54, v54, v53, s[22:23]
; %bb.2950:                             ;   in Loop: Header=BB33_2926 Depth=3
	s_or_b64 exec, exec, s[40:41]
	v_lshlrev_b32_e32 v51, 16, v51
	v_lshlrev_b32_e32 v52, 16, v52
	v_max_f32_e32 v52, v52, v52
	v_max_f32_e32 v51, v51, v51
	v_min_f32_e32 v53, v51, v52
	v_max_f32_e32 v51, v51, v52
	v_cndmask_b32_e32 v51, v51, v53, vcc
	v_and_b32_e32 v52, 0x7f800000, v51
	v_cmp_ne_u32_e64 s[22:23], s87, v52
	flat_store_short_d16_hi v[16:17], v54 offset:640 nt
                                        ; implicit-def: $vgpr52
	s_and_saveexec_b64 s[40:41], s[22:23]
	s_xor_b64 s[22:23], exec, s[40:41]
; %bb.2951:                             ;   in Loop: Header=BB33_2926 Depth=3
	v_bfe_u32 v52, v51, 16, 1
	v_add3_u32 v52, v51, v52, s96
                                        ; implicit-def: $vgpr51
; %bb.2952:                             ;   in Loop: Header=BB33_2926 Depth=3
	s_andn2_saveexec_b64 s[40:41], s[22:23]
; %bb.2953:                             ;   in Loop: Header=BB33_2926 Depth=3
	v_or_b32_e32 v52, 0x10000, v51
	v_cmp_eq_u32_sdwa s[22:23], v51, v3 src0_sel:WORD_0 src1_sel:DWORD
	s_nop 1
	v_cndmask_b32_e64 v52, v52, v51, s[22:23]
; %bb.2954:                             ;   in Loop: Header=BB33_2926 Depth=3
	s_or_b64 exec, exec, s[40:41]
	v_lshlrev_b32_e32 v50, 16, v50
	v_lshlrev_b32_e32 v0, 16, v0
	v_max_f32_e32 v0, v0, v0
	v_max_f32_e32 v50, v50, v50
	v_min_f32_e32 v51, v50, v0
	v_max_f32_e32 v0, v50, v0
	v_cndmask_b32_e32 v0, v0, v51, vcc
	v_and_b32_e32 v50, 0x7f800000, v0
	v_cmp_ne_u32_e64 s[22:23], s87, v50
	flat_store_short_d16_hi v[16:17], v52 offset:768 nt
                                        ; implicit-def: $vgpr50
	s_and_saveexec_b64 s[40:41], s[22:23]
	s_xor_b64 s[22:23], exec, s[40:41]
; %bb.2955:                             ;   in Loop: Header=BB33_2926 Depth=3
	v_bfe_u32 v50, v0, 16, 1
	v_add3_u32 v50, v0, v50, s96
                                        ; implicit-def: $vgpr0
; %bb.2956:                             ;   in Loop: Header=BB33_2926 Depth=3
	s_andn2_saveexec_b64 s[40:41], s[22:23]
; %bb.2957:                             ;   in Loop: Header=BB33_2926 Depth=3
	v_or_b32_e32 v50, 0x10000, v0
	v_cmp_eq_u32_sdwa s[22:23], v0, v3 src0_sel:WORD_0 src1_sel:DWORD
	s_nop 1
	v_cndmask_b32_e64 v50, v50, v0, s[22:23]
; %bb.2958:                             ;   in Loop: Header=BB33_2926 Depth=3
	s_or_b64 exec, exec, s[40:41]
	v_lshlrev_b32_e32 v0, 16, v48
	v_lshlrev_b32_e32 v48, 16, v49
	v_max_f32_e32 v48, v48, v48
	v_max_f32_e32 v0, v0, v0
	v_min_f32_e32 v49, v0, v48
	v_max_f32_e32 v0, v0, v48
	v_cndmask_b32_e32 v0, v0, v49, vcc
	v_and_b32_e32 v48, 0x7f800000, v0
	v_cmp_ne_u32_e64 s[22:23], s87, v48
	flat_store_short_d16_hi v[16:17], v50 offset:896 nt
                                        ; implicit-def: $vgpr48
	s_and_saveexec_b64 s[40:41], s[22:23]
	s_xor_b64 s[22:23], exec, s[40:41]
; %bb.2959:                             ;   in Loop: Header=BB33_2926 Depth=3
	v_bfe_u32 v48, v0, 16, 1
	v_add3_u32 v48, v0, v48, s96
                                        ; implicit-def: $vgpr0
; %bb.2960:                             ;   in Loop: Header=BB33_2926 Depth=3
	s_andn2_saveexec_b64 s[40:41], s[22:23]
; %bb.2961:                             ;   in Loop: Header=BB33_2926 Depth=3
	v_or_b32_e32 v48, 0x10000, v0
	v_cmp_eq_u32_sdwa s[22:23], v0, v3 src0_sel:WORD_0 src1_sel:DWORD
	s_nop 1
	v_cndmask_b32_e64 v48, v48, v0, s[22:23]
; %bb.2962:                             ;   in Loop: Header=BB33_2926 Depth=3
	s_or_b64 exec, exec, s[40:41]
	v_lshlrev_b32_e32 v0, 16, v38
	v_lshlrev_b32_e32 v38, 16, v39
	v_max_f32_e32 v38, v38, v38
	v_max_f32_e32 v0, v0, v0
	v_min_f32_e32 v39, v0, v38
	v_max_f32_e32 v0, v0, v38
	v_cndmask_b32_e32 v0, v0, v39, vcc
	v_and_b32_e32 v38, 0x7f800000, v0
	v_cmp_ne_u32_e64 s[22:23], s87, v38
	flat_store_short_d16_hi v[16:17], v48 offset:1024 nt
                                        ; implicit-def: $vgpr38
	s_and_saveexec_b64 s[40:41], s[22:23]
	s_xor_b64 s[22:23], exec, s[40:41]
; %bb.2963:                             ;   in Loop: Header=BB33_2926 Depth=3
	v_bfe_u32 v38, v0, 16, 1
	v_add3_u32 v38, v0, v38, s96
                                        ; implicit-def: $vgpr0
; %bb.2964:                             ;   in Loop: Header=BB33_2926 Depth=3
	s_andn2_saveexec_b64 s[40:41], s[22:23]
; %bb.2965:                             ;   in Loop: Header=BB33_2926 Depth=3
	v_or_b32_e32 v38, 0x10000, v0
	v_cmp_eq_u32_sdwa s[22:23], v0, v3 src0_sel:WORD_0 src1_sel:DWORD
	s_nop 1
	v_cndmask_b32_e64 v38, v38, v0, s[22:23]
; %bb.2966:                             ;   in Loop: Header=BB33_2926 Depth=3
	s_or_b64 exec, exec, s[40:41]
	v_lshlrev_b32_e32 v0, 16, v36
	v_lshlrev_b32_e32 v36, 16, v37
	v_max_f32_e32 v36, v36, v36
	v_max_f32_e32 v0, v0, v0
	v_min_f32_e32 v37, v0, v36
	v_max_f32_e32 v0, v0, v36
	v_cndmask_b32_e32 v0, v0, v37, vcc
	v_and_b32_e32 v36, 0x7f800000, v0
	v_cmp_ne_u32_e64 s[22:23], s87, v36
	flat_store_short_d16_hi v[16:17], v38 offset:1152 nt
                                        ; implicit-def: $vgpr36
	s_and_saveexec_b64 s[40:41], s[22:23]
	s_xor_b64 s[22:23], exec, s[40:41]
; %bb.2967:                             ;   in Loop: Header=BB33_2926 Depth=3
	v_bfe_u32 v36, v0, 16, 1
	v_add3_u32 v36, v0, v36, s96
                                        ; implicit-def: $vgpr0
; %bb.2968:                             ;   in Loop: Header=BB33_2926 Depth=3
	s_andn2_saveexec_b64 s[40:41], s[22:23]
; %bb.2969:                             ;   in Loop: Header=BB33_2926 Depth=3
	v_or_b32_e32 v36, 0x10000, v0
	v_cmp_eq_u32_sdwa s[22:23], v0, v3 src0_sel:WORD_0 src1_sel:DWORD
	s_nop 1
	v_cndmask_b32_e64 v36, v36, v0, s[22:23]
; %bb.2970:                             ;   in Loop: Header=BB33_2926 Depth=3
	s_or_b64 exec, exec, s[40:41]
	v_lshlrev_b32_e32 v0, 16, v34
	v_lshlrev_b32_e32 v34, 16, v35
	v_max_f32_e32 v34, v34, v34
	v_max_f32_e32 v0, v0, v0
	v_min_f32_e32 v35, v0, v34
	v_max_f32_e32 v0, v0, v34
	v_cndmask_b32_e32 v0, v0, v35, vcc
	v_and_b32_e32 v34, 0x7f800000, v0
	v_cmp_ne_u32_e64 s[22:23], s87, v34
	flat_store_short_d16_hi v[16:17], v36 offset:1280 nt
                                        ; implicit-def: $vgpr34
	s_and_saveexec_b64 s[40:41], s[22:23]
	s_xor_b64 s[22:23], exec, s[40:41]
; %bb.2971:                             ;   in Loop: Header=BB33_2926 Depth=3
	v_bfe_u32 v34, v0, 16, 1
	v_add3_u32 v34, v0, v34, s96
                                        ; implicit-def: $vgpr0
; %bb.2972:                             ;   in Loop: Header=BB33_2926 Depth=3
	s_andn2_saveexec_b64 s[40:41], s[22:23]
; %bb.2973:                             ;   in Loop: Header=BB33_2926 Depth=3
	v_or_b32_e32 v34, 0x10000, v0
	v_cmp_eq_u32_sdwa s[22:23], v0, v3 src0_sel:WORD_0 src1_sel:DWORD
	s_nop 1
	v_cndmask_b32_e64 v34, v34, v0, s[22:23]
; %bb.2974:                             ;   in Loop: Header=BB33_2926 Depth=3
	s_or_b64 exec, exec, s[40:41]
	v_lshlrev_b32_e32 v0, 16, v32
	v_lshlrev_b32_e32 v32, 16, v33
	v_max_f32_e32 v32, v32, v32
	v_max_f32_e32 v0, v0, v0
	v_min_f32_e32 v33, v0, v32
	v_max_f32_e32 v0, v0, v32
	v_cndmask_b32_e32 v0, v0, v33, vcc
	v_and_b32_e32 v32, 0x7f800000, v0
	v_cmp_ne_u32_e64 s[22:23], s87, v32
	flat_store_short_d16_hi v[16:17], v34 offset:1408 nt
                                        ; implicit-def: $vgpr32
	s_and_saveexec_b64 s[40:41], s[22:23]
	s_xor_b64 s[22:23], exec, s[40:41]
; %bb.2975:                             ;   in Loop: Header=BB33_2926 Depth=3
	v_bfe_u32 v32, v0, 16, 1
	v_add3_u32 v32, v0, v32, s96
                                        ; implicit-def: $vgpr0
; %bb.2976:                             ;   in Loop: Header=BB33_2926 Depth=3
	s_andn2_saveexec_b64 s[40:41], s[22:23]
; %bb.2977:                             ;   in Loop: Header=BB33_2926 Depth=3
	v_or_b32_e32 v32, 0x10000, v0
	v_cmp_eq_u32_sdwa s[22:23], v0, v3 src0_sel:WORD_0 src1_sel:DWORD
	s_nop 1
	v_cndmask_b32_e64 v32, v32, v0, s[22:23]
; %bb.2978:                             ;   in Loop: Header=BB33_2926 Depth=3
	s_or_b64 exec, exec, s[40:41]
	v_lshlrev_b32_e32 v0, 16, v26
	v_lshlrev_b32_e32 v26, 16, v27
	v_max_f32_e32 v26, v26, v26
	v_max_f32_e32 v0, v0, v0
	v_min_f32_e32 v27, v0, v26
	v_max_f32_e32 v0, v0, v26
	v_cndmask_b32_e32 v0, v0, v27, vcc
	v_and_b32_e32 v26, 0x7f800000, v0
	v_cmp_ne_u32_e64 s[22:23], s87, v26
	flat_store_short_d16_hi v[16:17], v32 offset:1536 nt
                                        ; implicit-def: $vgpr26
	s_and_saveexec_b64 s[40:41], s[22:23]
	s_xor_b64 s[22:23], exec, s[40:41]
; %bb.2979:                             ;   in Loop: Header=BB33_2926 Depth=3
	v_bfe_u32 v26, v0, 16, 1
	v_add3_u32 v26, v0, v26, s96
                                        ; implicit-def: $vgpr0
; %bb.2980:                             ;   in Loop: Header=BB33_2926 Depth=3
	s_andn2_saveexec_b64 s[40:41], s[22:23]
; %bb.2981:                             ;   in Loop: Header=BB33_2926 Depth=3
	v_or_b32_e32 v26, 0x10000, v0
	v_cmp_eq_u32_sdwa s[22:23], v0, v3 src0_sel:WORD_0 src1_sel:DWORD
	s_nop 1
	v_cndmask_b32_e64 v26, v26, v0, s[22:23]
; %bb.2982:                             ;   in Loop: Header=BB33_2926 Depth=3
	s_or_b64 exec, exec, s[40:41]
	v_lshlrev_b32_e32 v0, 16, v24
	v_lshlrev_b32_e32 v24, 16, v25
	v_max_f32_e32 v24, v24, v24
	v_max_f32_e32 v0, v0, v0
	v_min_f32_e32 v25, v0, v24
	v_max_f32_e32 v0, v0, v24
	v_cndmask_b32_e32 v0, v0, v25, vcc
	v_and_b32_e32 v24, 0x7f800000, v0
	v_cmp_ne_u32_e64 s[22:23], s87, v24
	flat_store_short_d16_hi v[16:17], v26 offset:1664 nt
                                        ; implicit-def: $vgpr24
	s_and_saveexec_b64 s[40:41], s[22:23]
	s_xor_b64 s[22:23], exec, s[40:41]
; %bb.2983:                             ;   in Loop: Header=BB33_2926 Depth=3
	v_bfe_u32 v24, v0, 16, 1
	v_add3_u32 v24, v0, v24, s96
                                        ; implicit-def: $vgpr0
; %bb.2984:                             ;   in Loop: Header=BB33_2926 Depth=3
	s_andn2_saveexec_b64 s[40:41], s[22:23]
; %bb.2985:                             ;   in Loop: Header=BB33_2926 Depth=3
	v_or_b32_e32 v24, 0x10000, v0
	v_cmp_eq_u32_sdwa s[22:23], v0, v3 src0_sel:WORD_0 src1_sel:DWORD
	s_nop 1
	v_cndmask_b32_e64 v24, v24, v0, s[22:23]
; %bb.2986:                             ;   in Loop: Header=BB33_2926 Depth=3
	s_or_b64 exec, exec, s[40:41]
	v_lshlrev_b32_e32 v0, 16, v22
	v_lshlrev_b32_e32 v22, 16, v23
	v_max_f32_e32 v22, v22, v22
	v_max_f32_e32 v0, v0, v0
	v_min_f32_e32 v23, v0, v22
	v_max_f32_e32 v0, v0, v22
	v_cndmask_b32_e32 v0, v0, v23, vcc
	v_and_b32_e32 v22, 0x7f800000, v0
	v_cmp_ne_u32_e64 s[22:23], s87, v22
	flat_store_short_d16_hi v[16:17], v24 offset:1792 nt
                                        ; implicit-def: $vgpr22
	s_and_saveexec_b64 s[40:41], s[22:23]
	s_xor_b64 s[22:23], exec, s[40:41]
; %bb.2987:                             ;   in Loop: Header=BB33_2926 Depth=3
	v_bfe_u32 v22, v0, 16, 1
	v_add3_u32 v22, v0, v22, s96
                                        ; implicit-def: $vgpr0
; %bb.2988:                             ;   in Loop: Header=BB33_2926 Depth=3
	s_andn2_saveexec_b64 s[40:41], s[22:23]
	s_cbranch_execz .LBB33_2925
; %bb.2989:                             ;   in Loop: Header=BB33_2926 Depth=3
	v_or_b32_e32 v22, 0x10000, v0
	v_cmp_eq_u32_sdwa s[22:23], v0, v3 src0_sel:WORD_0 src1_sel:DWORD
	s_nop 1
	v_cndmask_b32_e64 v22, v22, v0, s[22:23]
	s_branch .LBB33_2925
.LBB33_2990:                            ;   in Loop: Header=BB33_2581 Depth=2
	s_or_b64 exec, exec, s[28:29]
.LBB33_2991:                            ;   in Loop: Header=BB33_2581 Depth=2
	s_or_b64 exec, exec, s[26:27]
	v_lshlrev_b32_e32 v0, 11, v21
	v_cmp_ne_u32_e32 vcc, v5, v0
	s_and_b64 exec, exec, vcc
	s_cbranch_execz .LBB33_2995
; %bb.2992:                             ;   in Loop: Header=BB33_2581 Depth=2
	v_lshlrev_b32_e32 v2, 6, v2
	v_sub_u32_e32 v2, v19, v2
	v_lshlrev_b32_e32 v8, 6, v20
	v_sub_u32_e32 v2, v2, v8
	v_ashrrev_i32_e32 v8, 31, v2
	v_lshrrev_b32_e32 v8, 26, v8
	v_add_u32_e32 v8, v2, v8
	v_and_b32_e32 v9, 0x7fffffc0, v8
	v_sub_u32_e32 v2, v2, v9
	v_lshlrev_b32_e32 v8, 1, v8
	v_and_b32_e32 v8, 0xffffff80, v8
	v_lshlrev_b32_e32 v2, 1, v2
	v_add3_u32 v2, v8, v2, v0
	v_sub_u32_e32 v0, v5, v2
	v_cmp_lt_i32_e32 vcc, 1, v0
	s_and_b64 exec, exec, vcc
	s_cbranch_execz .LBB33_2995
; %bb.2993:                             ;   in Loop: Header=BB33_2581 Depth=2
	s_and_b32 s74, s63, 1
	v_add_u32_e32 v8, v2, v18
	s_cmp_eq_u64 s[74:75], 0
	v_ashrrev_i32_e32 v9, 31, v8
	s_mov_b64 s[26:27], 0
	s_cselect_b64 vcc, -1, 0
.LBB33_2994:                            ;   Parent Loop BB33_47 Depth=1
                                        ;     Parent Loop BB33_2581 Depth=2
                                        ; =>    This Inner Loop Header: Depth=3
	v_lshl_add_u64 v[12:13], v[118:119], 0, v[8:9]
	v_lshl_add_u64 v[10:11], v[28:29], 0, v[8:9]
	flat_load_ushort v2, v[12:13] nt
	flat_load_ushort v5, v[10:11] nt
	v_sub_u32_e32 v0, v0, v88
	v_cmp_gt_i32_e64 s[22:23], 2, v0
	s_or_b64 s[26:27], s[22:23], s[26:27]
	v_lshl_add_u64 v[10:11], v[62:63], 0, v[8:9]
	v_lshl_add_u64 v[8:9], v[8:9], 0, v[88:89]
	s_waitcnt vmcnt(0) lgkmcnt(0)
	v_lshlrev_b32_e32 v2, 16, v2
	v_lshlrev_b32_e32 v5, 16, v5
	v_max_f32_e32 v5, v5, v5
	v_max_f32_e32 v2, v2, v2
	v_min_f32_e32 v12, v2, v5
	v_max_f32_e32 v2, v2, v5
	v_cndmask_b32_e32 v2, v2, v12, vcc
	v_and_b32_e32 v5, 0x7f800000, v2
	v_bfe_u32 v12, v2, 16, 1
	v_or_b32_e32 v13, 0x10000, v2
	v_cmp_eq_u32_sdwa s[22:23], v2, v3 src0_sel:WORD_0 src1_sel:DWORD
	v_add3_u32 v12, v2, v12, s96
	s_nop 0
	v_cndmask_b32_e64 v2, v13, v2, s[22:23]
	v_cmp_eq_u32_e64 s[22:23], s87, v5
	s_nop 1
	v_cndmask_b32_e64 v2, v12, v2, s[22:23]
	flat_store_short_d16_hi v[10:11], v2 nt
	s_andn2_b64 exec, exec, s[26:27]
	s_cbranch_execnz .LBB33_2994
.LBB33_2995:                            ;   in Loop: Header=BB33_2581 Depth=2
	s_or_b64 exec, exec, s[24:25]
	v_cmp_lt_i32_e64 s[22:23], 0, v81
	s_and_saveexec_b64 s[24:25], s[4:5]
	s_cbranch_execz .LBB33_2652
.LBB33_2996:                            ;   in Loop: Header=BB33_2581 Depth=2
	s_and_saveexec_b64 s[26:27], s[76:77]
	s_xor_b64 s[26:27], exec, s[26:27]
	s_cbranch_execz .LBB33_3011
; %bb.2997:                             ;   in Loop: Header=BB33_2581 Depth=2
	s_and_saveexec_b64 s[28:29], s[12:13]
	s_cbranch_execz .LBB33_3010
; %bb.2998:                             ;   in Loop: Header=BB33_2581 Depth=2
	s_mov_b64 s[42:43], exec
	v_mbcnt_lo_u32_b32 v0, s42, 0
	v_mbcnt_hi_u32_b32 v0, s43, v0
	v_cmp_eq_u32_e32 vcc, 0, v0
	s_waitcnt lgkmcnt(0)
	s_and_saveexec_b64 s[40:41], vcc
	s_cbranch_execz .LBB33_3000
; %bb.2999:                             ;   in Loop: Header=BB33_2581 Depth=2
	s_bcnt1_i32_b64 s42, s[42:43]
	v_mov_b32_e32 v2, s42
	ds_add_u64 v0, v[2:3]
	s_trap 2
.LBB33_3000:                            ;   in Loop: Header=BB33_2581 Depth=2
	s_or_b64 exec, exec, s[40:41]
	s_trap 2
	ds_read_b64 v[8:9], v0
	s_waitcnt lgkmcnt(0)
	v_lshl_add_u64 v[46:47], v[46:47], 0, v[60:61]
	v_cmp_lt_u64_e32 vcc, v[8:9], v[46:47]
	s_and_saveexec_b64 s[40:41], vcc
	s_cbranch_execz .LBB33_3009
; %bb.3001:                             ;   in Loop: Header=BB33_2581 Depth=2
	s_mov_b32 s63, 0
	s_mov_b64 s[42:43], 0
                                        ; implicit-def: $sgpr44_sgpr45
                                        ; implicit-def: $sgpr46_sgpr47
	s_branch .LBB33_3003
.LBB33_3002:                            ;   in Loop: Header=BB33_3003 Depth=3
	s_or_b64 exec, exec, s[58:59]
	s_and_b64 s[56:57], exec, vcc
	s_or_b64 s[42:43], s[56:57], s[42:43]
	s_andn2_b64 s[44:45], s[44:45], exec
	s_and_b64 s[56:57], s[46:47], exec
	s_or_b64 s[44:45], s[44:45], s[56:57]
	s_andn2_b64 exec, exec, s[42:43]
	s_cbranch_execz .LBB33_3007
.LBB33_3003:                            ;   Parent Loop BB33_47 Depth=1
                                        ;     Parent Loop BB33_2581 Depth=2
                                        ; =>    This Inner Loop Header: Depth=3
	s_add_i32 s63, s63, 1
	s_cmpk_lg_i32 s63, 0x2710
	s_cselect_b64 s[56:57], -1, 0
	s_and_b64 vcc, exec, s[56:57]
	s_cbranch_vccz .LBB33_3005
; %bb.3004:                             ;   in Loop: Header=BB33_3003 Depth=3
	s_mov_b64 vcc, -1
	s_or_b64 s[46:47], s[46:47], exec
	s_and_saveexec_b64 s[58:59], s[56:57]
	s_cbranch_execz .LBB33_3002
	s_branch .LBB33_3006
.LBB33_3005:                            ;   in Loop: Header=BB33_3003 Depth=3
	s_trap 2
	ds_read_b64 v[8:9], v0
	s_andn2_b64 s[56:57], s[56:57], exec
	s_mov_b32 s63, 0
	s_waitcnt vmcnt(0) lgkmcnt(0)
	flat_load_dword v0, v[8:9] sc0 sc1
	s_waitcnt vmcnt(0) lgkmcnt(0)
	buffer_inv sc0 sc1
	v_cmp_eq_u32_e32 vcc, 0, v0
	s_and_b64 s[58:59], vcc, exec
	s_or_b64 s[56:57], s[56:57], s[58:59]
	s_mov_b64 vcc, -1
	s_or_b64 s[46:47], s[46:47], exec
	s_and_saveexec_b64 s[58:59], s[56:57]
	s_cbranch_execz .LBB33_3002
.LBB33_3006:                            ;   in Loop: Header=BB33_3003 Depth=3
	s_sleep 1
	s_trap 2
	ds_read_b64 v[8:9], v0
	s_waitcnt lgkmcnt(0)
	s_andn2_b64 s[46:47], s[46:47], exec
	v_cmp_ge_u64_e32 vcc, v[8:9], v[46:47]
	s_orn2_b64 vcc, vcc, exec
	s_branch .LBB33_3002
.LBB33_3007:                            ;   in Loop: Header=BB33_2581 Depth=2
	s_or_b64 exec, exec, s[42:43]
	s_and_saveexec_b64 s[42:43], s[44:45]
	s_xor_b64 s[42:43], exec, s[42:43]
	s_cbranch_execz .LBB33_3009
; %bb.3008:                             ;   in Loop: Header=BB33_2581 Depth=2
	ds_write_b32 v0, v1
	s_trap 2
.LBB33_3009:                            ;   in Loop: Header=BB33_2581 Depth=2
	s_or_b64 exec, exec, s[40:41]
	;;#ASMSTART
	s_wakeup
	;;#ASMEND
.LBB33_3010:                            ;   in Loop: Header=BB33_2581 Depth=2
	s_or_b64 exec, exec, s[28:29]
.LBB33_3011:                            ;   in Loop: Header=BB33_2581 Depth=2
	s_andn2_saveexec_b64 s[26:27], s[26:27]
	s_cbranch_execz .LBB33_3013
; %bb.3012:                             ;   in Loop: Header=BB33_2581 Depth=2
	s_waitcnt lgkmcnt(0)
	s_barrier
.LBB33_3013:                            ;   in Loop: Header=BB33_2581 Depth=2
	s_or_b64 exec, exec, s[26:27]
	s_or_b64 exec, exec, s[24:25]
	s_and_saveexec_b64 s[24:25], s[20:21]
	s_xor_b64 s[24:25], exec, s[24:25]
	s_cbranch_execnz .LBB33_2653
.LBB33_3014:                            ;   in Loop: Header=BB33_2581 Depth=2
	s_andn2_saveexec_b64 s[22:23], s[24:25]
	s_cbranch_execz .LBB33_3033
.LBB33_3015:                            ;   in Loop: Header=BB33_2581 Depth=2
	s_and_saveexec_b64 s[24:25], s[76:77]
	s_xor_b64 s[24:25], exec, s[24:25]
	s_cbranch_execz .LBB33_3030
; %bb.3016:                             ;   in Loop: Header=BB33_2581 Depth=2
	s_and_saveexec_b64 s[26:27], s[12:13]
	s_cbranch_execz .LBB33_3029
; %bb.3017:                             ;   in Loop: Header=BB33_2581 Depth=2
	s_mov_b64 s[40:41], exec
	v_mbcnt_lo_u32_b32 v0, s40, 0
	v_mbcnt_hi_u32_b32 v0, s41, v0
	v_cmp_eq_u32_e32 vcc, 0, v0
	;;#ASMSTART
	s_waitcnt lgkmcnt(0) vmcnt(0)
	;;#ASMEND
	s_and_saveexec_b64 s[28:29], vcc
	s_cbranch_execz .LBB33_3019
; %bb.3018:                             ;   in Loop: Header=BB33_2581 Depth=2
	s_bcnt1_i32_b64 s40, s[40:41]
	v_mov_b32_e32 v2, s40
	s_waitcnt lgkmcnt(0)
	ds_add_u64 v0, v[2:3]
	s_trap 2
.LBB33_3019:                            ;   in Loop: Header=BB33_2581 Depth=2
	s_or_b64 exec, exec, s[28:29]
	s_trap 2
	ds_read_b64 v[8:9], v0
	s_waitcnt lgkmcnt(0)
	v_lshl_add_u64 v[46:47], v[46:47], 0, v[60:61]
	v_cmp_lt_u64_e32 vcc, v[8:9], v[46:47]
	s_and_saveexec_b64 s[28:29], vcc
	s_cbranch_execz .LBB33_3028
; %bb.3020:                             ;   in Loop: Header=BB33_2581 Depth=2
	s_mov_b32 s63, 0
	s_mov_b64 s[40:41], 0
                                        ; implicit-def: $sgpr42_sgpr43
                                        ; implicit-def: $sgpr44_sgpr45
	s_branch .LBB33_3022
.LBB33_3021:                            ;   in Loop: Header=BB33_3022 Depth=3
	s_or_b64 exec, exec, s[56:57]
	s_and_b64 s[46:47], exec, s[58:59]
	s_or_b64 s[40:41], s[46:47], s[40:41]
	s_andn2_b64 s[42:43], s[42:43], exec
	s_and_b64 s[46:47], s[44:45], exec
	s_or_b64 s[42:43], s[42:43], s[46:47]
	s_andn2_b64 exec, exec, s[40:41]
	s_cbranch_execz .LBB33_3026
.LBB33_3022:                            ;   Parent Loop BB33_47 Depth=1
                                        ;     Parent Loop BB33_2581 Depth=2
                                        ; =>    This Inner Loop Header: Depth=3
	s_add_i32 s63, s63, 1
	s_cmpk_lg_i32 s63, 0x2710
	s_cselect_b64 s[46:47], -1, 0
	s_and_b64 vcc, exec, s[46:47]
	s_cbranch_vccz .LBB33_3024
; %bb.3023:                             ;   in Loop: Header=BB33_3022 Depth=3
	s_mov_b64 s[58:59], -1
	s_or_b64 s[44:45], s[44:45], exec
	s_and_saveexec_b64 s[56:57], s[46:47]
	s_cbranch_execz .LBB33_3021
	s_branch .LBB33_3025
.LBB33_3024:                            ;   in Loop: Header=BB33_3022 Depth=3
	s_trap 2
	ds_read_b64 v[8:9], v0
	s_andn2_b64 s[46:47], s[46:47], exec
	s_mov_b32 s63, 0
	s_waitcnt vmcnt(0) lgkmcnt(0)
	flat_load_dword v0, v[8:9] sc0 sc1
	s_waitcnt vmcnt(0) lgkmcnt(0)
	buffer_inv sc0 sc1
	v_cmp_eq_u32_e32 vcc, 0, v0
	s_and_b64 s[56:57], vcc, exec
	s_or_b64 s[46:47], s[46:47], s[56:57]
	s_mov_b64 s[58:59], -1
	s_or_b64 s[44:45], s[44:45], exec
	s_and_saveexec_b64 s[56:57], s[46:47]
	s_cbranch_execz .LBB33_3021
.LBB33_3025:                            ;   in Loop: Header=BB33_3022 Depth=3
	s_sleep 1
	s_trap 2
	ds_read_b64 v[8:9], v0
	s_waitcnt lgkmcnt(0)
	s_andn2_b64 s[44:45], s[44:45], exec
	v_cmp_ge_u64_e32 vcc, v[8:9], v[46:47]
	s_orn2_b64 s[58:59], vcc, exec
	s_branch .LBB33_3021
.LBB33_3026:                            ;   in Loop: Header=BB33_2581 Depth=2
	s_or_b64 exec, exec, s[40:41]
	s_and_saveexec_b64 s[40:41], s[42:43]
	s_xor_b64 s[40:41], exec, s[40:41]
	s_cbranch_execz .LBB33_3028
; %bb.3027:                             ;   in Loop: Header=BB33_2581 Depth=2
	ds_write_b32 v0, v1
	s_trap 2
.LBB33_3028:                            ;   in Loop: Header=BB33_2581 Depth=2
	s_or_b64 exec, exec, s[28:29]
	;;#ASMSTART
	s_wakeup
	;;#ASMEND
.LBB33_3029:                            ;   in Loop: Header=BB33_2581 Depth=2
	s_or_b64 exec, exec, s[26:27]
.LBB33_3030:                            ;   in Loop: Header=BB33_2581 Depth=2
	s_andn2_saveexec_b64 s[24:25], s[24:25]
	s_cbranch_execz .LBB33_3032
; %bb.3031:                             ;   in Loop: Header=BB33_2581 Depth=2
	;;#ASMSTART
	s_waitcnt lgkmcnt(0) vmcnt(0)
	;;#ASMEND
	s_barrier
.LBB33_3032:                            ;   in Loop: Header=BB33_2581 Depth=2
	s_or_b64 exec, exec, s[24:25]
.LBB33_3033:                            ;   in Loop: Header=BB33_2581 Depth=2
	s_or_b64 exec, exec, s[22:23]
	v_and_b32_e32 v0, 32, v58
	v_cmp_ne_u32_e32 vcc, 0, v0
	s_and_saveexec_b64 s[22:23], vcc
	s_cbranch_execz .LBB33_2580
; %bb.3034:                             ;   in Loop: Header=BB33_2581 Depth=2
	v_lshl_add_u64 v[116:117], v[116:117], 0, 2
	flat_store_dwordx2 v[40:41], v[116:117] sc0 sc1
	s_branch .LBB33_2580
.LBB33_3035:                            ;   in Loop: Header=BB33_47 Depth=1
	s_or_b64 exec, exec, s[38:39]
.LBB33_3036:                            ;   in Loop: Header=BB33_47 Depth=1
	s_or_b64 exec, exec, s[60:61]
	v_cmp_gt_i32_e32 vcc, 2, v0
	s_mov_b64 s[24:25], exec
	scratch_load_dwordx4 v[20:23], off, s33 offset:272 ; 16-byte Folded Reload
	scratch_load_dwordx2 v[16:17], off, s33 offset:248 ; 8-byte Folded Reload
	scratch_load_dwordx2 v[18:19], off, s33 offset:288 ; 8-byte Folded Reload
	s_and_b64 s[22:23], s[24:25], vcc
	s_mov_b64 exec, s[22:23]
	s_cbranch_execz .LBB33_46
; %bb.3037:                             ;   in Loop: Header=BB33_47 Depth=1
	v_cmp_eq_u32_e64 s[28:29], 0, v0
	s_mov_b64 s[26:27], 0
	s_branch .LBB33_3039
.LBB33_3038:                            ;   in Loop: Header=BB33_3039 Depth=2
	s_or_b64 exec, exec, s[22:23]
	v_add_u32_e32 v4, v59, v4
	s_mov_b64 s[28:29], 0
	s_andn2_b64 exec, exec, s[26:27]
	s_cbranch_execz .LBB33_45
.LBB33_3039:                            ;   Parent Loop BB33_47 Depth=1
                                        ; =>  This Loop Header: Depth=2
                                        ;       Child Loop BB33_3045 Depth 3
                                        ;       Child Loop BB33_3069 Depth 3
	;; [unrolled: 1-line block ×3, first 2 shown]
	v_and_b32_e32 v0, 4, v58
	v_cmp_ne_u32_e32 vcc, 0, v0
	s_and_saveexec_b64 s[40:41], vcc
	s_cbranch_execz .LBB33_3061
; %bb.3040:                             ;   in Loop: Header=BB33_3039 Depth=2
	v_lshl_add_u64 v[8:9], v[116:117], 0, 2
	s_waitcnt vmcnt(0) lgkmcnt(0)
	v_cmp_lt_u64_e32 vcc, v[56:57], v[8:9]
	s_and_saveexec_b64 s[42:43], vcc
	s_cbranch_execz .LBB33_3052
; %bb.3041:                             ;   in Loop: Header=BB33_3039 Depth=2
	v_and_b32_e32 v0, 64, v58
	s_mov_b32 s62, 0
	v_cmp_eq_u32_e32 vcc, 0, v0
	s_mov_b64 s[44:45], 0
                                        ; implicit-def: $sgpr46_sgpr47
                                        ; implicit-def: $sgpr56_sgpr57
                                        ; implicit-def: $sgpr58_sgpr59
	s_branch .LBB33_3045
.LBB33_3042:                            ;   in Loop: Header=BB33_3045 Depth=3
	s_waitcnt vmcnt(0) lgkmcnt(0)
	v_cmp_ge_u64_e64 s[22:23], v[56:57], v[8:9]
	s_or_b64 s[48:49], s[48:49], exec
	s_orn2_b64 s[38:39], s[22:23], exec
.LBB33_3043:                            ;   in Loop: Header=BB33_3045 Depth=3
	s_or_b64 exec, exec, s[52:53]
	s_andn2_b64 s[22:23], s[58:59], exec
	s_and_b64 s[58:59], s[48:49], exec
	s_or_b64 s[58:59], s[22:23], s[58:59]
	s_andn2_b64 s[22:23], s[56:57], exec
	s_and_b64 s[56:57], s[38:39], exec
	s_or_b64 s[56:57], s[22:23], s[56:57]
.LBB33_3044:                            ;   in Loop: Header=BB33_3045 Depth=3
	s_or_b64 exec, exec, s[60:61]
	s_and_b64 s[22:23], exec, s[56:57]
	s_or_b64 s[44:45], s[22:23], s[44:45]
	s_andn2_b64 s[22:23], s[46:47], exec
	s_and_b64 s[46:47], s[58:59], exec
	s_or_b64 s[46:47], s[22:23], s[46:47]
	s_andn2_b64 exec, exec, s[44:45]
	s_cbranch_execz .LBB33_3049
.LBB33_3045:                            ;   Parent Loop BB33_47 Depth=1
                                        ;     Parent Loop BB33_3039 Depth=2
                                        ; =>    This Inner Loop Header: Depth=3
	s_sleep 1
	s_waitcnt vmcnt(0) lgkmcnt(0)
	flat_load_dwordx2 v[56:57], v[40:41] sc0 sc1
	s_or_b64 s[58:59], s[58:59], exec
	s_or_b64 s[56:57], s[56:57], exec
                                        ; implicit-def: $vgpr0
	s_and_saveexec_b64 s[60:61], vcc
	s_cbranch_execz .LBB33_3044
; %bb.3046:                             ;   in Loop: Header=BB33_3045 Depth=3
	s_cmpk_lt_i32 s62, 0x270f
	s_cselect_b64 s[50:51], -1, 0
	s_cmpk_gt_i32 s62, 0x270e
	s_mov_b64 s[38:39], -1
	s_cbranch_scc0 .LBB33_3048
; %bb.3047:                             ;   in Loop: Header=BB33_3045 Depth=3
	s_trap 2
	ds_read_b64 v[10:11], v0
	s_andn2_b64 s[50:51], s[50:51], exec
	s_mov_b32 s62, 0
	s_mov_b64 s[48:49], 0
	s_waitcnt vmcnt(0) lgkmcnt(0)
	flat_load_dword v0, v[10:11] sc0 sc1
	s_waitcnt vmcnt(0) lgkmcnt(0)
	buffer_inv sc0 sc1
	v_cmp_eq_u32_e64 s[22:23], 0, v0
	s_and_b64 s[22:23], s[22:23], exec
	s_or_b64 s[50:51], s[50:51], s[22:23]
	s_and_saveexec_b64 s[52:53], s[50:51]
	s_cbranch_execz .LBB33_3043
	s_branch .LBB33_3042
.LBB33_3048:                            ;   in Loop: Header=BB33_3045 Depth=3
	s_add_i32 s62, s62, 1
	s_mov_b64 s[48:49], -1
                                        ; implicit-def: $vgpr0
	s_and_saveexec_b64 s[52:53], s[50:51]
	s_cbranch_execz .LBB33_3043
	s_branch .LBB33_3042
.LBB33_3049:                            ;   in Loop: Header=BB33_3039 Depth=2
	s_or_b64 exec, exec, s[44:45]
	s_xor_b64 s[22:23], s[46:47], -1
	s_and_saveexec_b64 s[44:45], s[22:23]
	s_xor_b64 s[22:23], exec, s[44:45]
	s_cbranch_execz .LBB33_3051
; %bb.3050:                             ;   in Loop: Header=BB33_3039 Depth=2
	v_or_b32_e32 v58, 64, v58
	s_waitcnt lgkmcnt(0)
	ds_write_b32 v0, v0
	s_trap 2
.LBB33_3051:                            ;   in Loop: Header=BB33_3039 Depth=2
	s_or_b64 exec, exec, s[22:23]
.LBB33_3052:                            ;   in Loop: Header=BB33_3039 Depth=2
	s_or_b64 exec, exec, s[42:43]
	v_and_b32_e32 v0, 0x100, v58
	v_cmp_ne_u32_e32 vcc, 0, v0
	v_and_b32_e32 v0, 7, v116
	s_mov_b64 s[22:23], -1
	;;#ASMSTART
	s_wakeup
	;;#ASMEND
                                        ; implicit-def: $vgpr10_vgpr11
	s_and_saveexec_b64 s[42:43], vcc
	s_cbranch_execz .LBB33_3056
; %bb.3053:                             ;   in Loop: Header=BB33_3039 Depth=2
	v_mad_u64_u32 v[12:13], s[22:23], v0, 24, v[6:7]
	flat_load_dword v2, v[12:13]
                                        ; implicit-def: $vgpr10_vgpr11
	s_waitcnt vmcnt(0) lgkmcnt(0)
	v_cmp_ne_u32_e32 vcc, 1, v2
	v_cmp_eq_u32_e64 s[22:23], 1, v2
	s_and_saveexec_b64 s[44:45], s[22:23]
	s_cbranch_execz .LBB33_3055
; %bb.3054:                             ;   in Loop: Header=BB33_3039 Depth=2
	flat_load_dword v10, v[12:13] offset:4 sc0 sc1
	s_waitcnt vmcnt(0) lgkmcnt(0)
	v_ashrrev_i32_e32 v11, 31, v10
	v_lshrrev_b64 v[10:11], 1, v[10:11]
.LBB33_3055:                            ;   in Loop: Header=BB33_3039 Depth=2
	s_or_b64 exec, exec, s[44:45]
	s_orn2_b64 s[22:23], vcc, exec
.LBB33_3056:                            ;   in Loop: Header=BB33_3039 Depth=2
	s_or_b64 exec, exec, s[42:43]
	s_and_saveexec_b64 s[42:43], s[22:23]
; %bb.3057:                             ;   in Loop: Header=BB33_3039 Depth=2
	v_mad_i64_i32 v[10:11], s[22:23], v0, v30, 0
; %bb.3058:                             ;   in Loop: Header=BB33_3039 Depth=2
	s_or_b64 exec, exec, s[42:43]
	v_lshl_add_u64 v[10:11], v[10:11], 1, v[42:43]
	ds_write_b64 v0, v[10:11] offset:720
	v_and_b32_e32 v0, 0x2000, v58
	v_cmp_ne_u32_e32 vcc, 0, v0
	s_and_saveexec_b64 s[22:23], vcc
	s_cbranch_execz .LBB33_3060
; %bb.3059:                             ;   in Loop: Header=BB33_3039 Depth=2
	ds_read_b64 v[10:11], v0 offset:872
	s_waitcnt lgkmcnt(0)
	v_lshl_add_u64 v[10:11], v[10:11], 0, 1
	ds_write_b64 v0, v[10:11] offset:872
.LBB33_3060:                            ;   in Loop: Header=BB33_3039 Depth=2
	s_or_b64 exec, exec, s[22:23]
	v_mov_b64_e32 v[116:117], v[8:9]
.LBB33_3061:                            ;   in Loop: Header=BB33_3039 Depth=2
	s_or_b64 exec, exec, s[40:41]
	s_xor_b64 s[22:23], s[28:29], -1
	s_and_b64 s[22:23], exec, s[22:23]
	s_or_b64 s[26:27], s[22:23], s[26:27]
	s_and_saveexec_b64 s[22:23], s[4:5]
	s_cbranch_execz .LBB33_3080
; %bb.3062:                             ;   in Loop: Header=BB33_3039 Depth=2
	s_and_saveexec_b64 s[28:29], s[76:77]
	s_xor_b64 s[28:29], exec, s[28:29]
	s_cbranch_execz .LBB33_3077
; %bb.3063:                             ;   in Loop: Header=BB33_3039 Depth=2
	s_and_saveexec_b64 s[40:41], s[12:13]
	s_cbranch_execz .LBB33_3076
; %bb.3064:                             ;   in Loop: Header=BB33_3039 Depth=2
	s_mov_b64 s[44:45], exec
	v_mbcnt_lo_u32_b32 v0, s44, 0
	v_mbcnt_hi_u32_b32 v0, s45, v0
	v_cmp_eq_u32_e32 vcc, 0, v0
	s_waitcnt lgkmcnt(0)
	s_and_saveexec_b64 s[42:43], vcc
	s_cbranch_execz .LBB33_3066
; %bb.3065:                             ;   in Loop: Header=BB33_3039 Depth=2
	s_bcnt1_i32_b64 s44, s[44:45]
	v_mov_b32_e32 v2, s44
	ds_add_u64 v0, v[2:3]
	s_trap 2
.LBB33_3066:                            ;   in Loop: Header=BB33_3039 Depth=2
	s_or_b64 exec, exec, s[42:43]
	s_trap 2
	ds_read_b64 v[8:9], v0
	s_waitcnt lgkmcnt(0)
	v_lshl_add_u64 v[46:47], v[46:47], 0, v[60:61]
	v_cmp_lt_u64_e32 vcc, v[8:9], v[46:47]
	s_and_saveexec_b64 s[42:43], vcc
	s_cbranch_execz .LBB33_3075
; %bb.3067:                             ;   in Loop: Header=BB33_3039 Depth=2
	s_mov_b32 s62, 0
	s_mov_b64 s[44:45], 0
                                        ; implicit-def: $sgpr46_sgpr47
                                        ; implicit-def: $sgpr56_sgpr57
	s_branch .LBB33_3069
.LBB33_3068:                            ;   in Loop: Header=BB33_3069 Depth=3
	s_or_b64 exec, exec, s[60:61]
	s_and_b64 s[58:59], exec, vcc
	s_or_b64 s[44:45], s[58:59], s[44:45]
	s_andn2_b64 s[46:47], s[46:47], exec
	s_and_b64 s[58:59], s[56:57], exec
	s_or_b64 s[46:47], s[46:47], s[58:59]
	s_andn2_b64 exec, exec, s[44:45]
	s_cbranch_execz .LBB33_3073
.LBB33_3069:                            ;   Parent Loop BB33_47 Depth=1
                                        ;     Parent Loop BB33_3039 Depth=2
                                        ; =>    This Inner Loop Header: Depth=3
	s_add_i32 s62, s62, 1
	s_cmpk_lg_i32 s62, 0x2710
	s_cselect_b64 s[58:59], -1, 0
	s_and_b64 vcc, exec, s[58:59]
	s_cbranch_vccz .LBB33_3071
; %bb.3070:                             ;   in Loop: Header=BB33_3069 Depth=3
	s_mov_b64 vcc, -1
	s_or_b64 s[56:57], s[56:57], exec
	s_and_saveexec_b64 s[60:61], s[58:59]
	s_cbranch_execz .LBB33_3068
	s_branch .LBB33_3072
.LBB33_3071:                            ;   in Loop: Header=BB33_3069 Depth=3
	s_trap 2
	ds_read_b64 v[8:9], v0
	s_andn2_b64 s[58:59], s[58:59], exec
	s_mov_b32 s62, 0
	s_waitcnt vmcnt(0) lgkmcnt(0)
	flat_load_dword v0, v[8:9] sc0 sc1
	s_waitcnt vmcnt(0) lgkmcnt(0)
	buffer_inv sc0 sc1
	v_cmp_eq_u32_e32 vcc, 0, v0
	s_and_b64 s[60:61], vcc, exec
	s_or_b64 s[58:59], s[58:59], s[60:61]
	s_mov_b64 vcc, -1
	s_or_b64 s[56:57], s[56:57], exec
	s_and_saveexec_b64 s[60:61], s[58:59]
	s_cbranch_execz .LBB33_3068
.LBB33_3072:                            ;   in Loop: Header=BB33_3069 Depth=3
	s_sleep 1
	s_trap 2
	ds_read_b64 v[8:9], v0
	s_waitcnt lgkmcnt(0)
	s_andn2_b64 s[56:57], s[56:57], exec
	v_cmp_ge_u64_e32 vcc, v[8:9], v[46:47]
	s_orn2_b64 vcc, vcc, exec
	s_branch .LBB33_3068
.LBB33_3073:                            ;   in Loop: Header=BB33_3039 Depth=2
	s_or_b64 exec, exec, s[44:45]
	s_and_saveexec_b64 s[44:45], s[46:47]
	s_xor_b64 s[44:45], exec, s[44:45]
	s_cbranch_execz .LBB33_3075
; %bb.3074:                             ;   in Loop: Header=BB33_3039 Depth=2
	ds_write_b32 v0, v1
	s_trap 2
.LBB33_3075:                            ;   in Loop: Header=BB33_3039 Depth=2
	s_or_b64 exec, exec, s[42:43]
	;;#ASMSTART
	s_wakeup
	;;#ASMEND
.LBB33_3076:                            ;   in Loop: Header=BB33_3039 Depth=2
	s_or_b64 exec, exec, s[40:41]
.LBB33_3077:                            ;   in Loop: Header=BB33_3039 Depth=2
	s_andn2_saveexec_b64 s[28:29], s[28:29]
	s_cbranch_execz .LBB33_3079
; %bb.3078:                             ;   in Loop: Header=BB33_3039 Depth=2
	s_waitcnt lgkmcnt(0)
	s_barrier
.LBB33_3079:                            ;   in Loop: Header=BB33_3039 Depth=2
	s_or_b64 exec, exec, s[28:29]
.LBB33_3080:                            ;   in Loop: Header=BB33_3039 Depth=2
	s_or_b64 exec, exec, s[22:23]
	v_sub_u32_e32 v0, v31, v4
	v_min_i32_e32 v59, v59, v0
	s_and_saveexec_b64 s[22:23], s[20:21]
	s_xor_b64 s[22:23], exec, s[22:23]
	s_cbranch_execz .LBB33_3084
; %bb.3081:                             ;   in Loop: Header=BB33_3039 Depth=2
	s_trap 2
	ds_read_b32 v0, v0
	v_cmp_lt_i32_e32 vcc, 0, v59
	v_and_b32_e32 v2, 16, v58
	s_waitcnt lgkmcnt(0)
	v_readfirstlane_b32 s28, v0
	s_cmp_eq_u32 s28, 0
	s_cselect_b64 s[28:29], -1, 0
	s_and_b64 s[28:29], vcc, s[28:29]
	v_cmp_ne_u32_e32 vcc, 0, v2
	s_and_b64 s[40:41], vcc, s[28:29]
	s_and_saveexec_b64 s[28:29], s[40:41]
	s_cbranch_execz .LBB33_3083
; %bb.3082:                             ;   in Loop: Header=BB33_3039 Depth=2
	buffer_wbl2 sc1
	s_waitcnt vmcnt(0)
	buffer_inv sc1
.LBB33_3083:                            ;   in Loop: Header=BB33_3039 Depth=2
	s_or_b64 exec, exec, s[28:29]
.LBB33_3084:                            ;   in Loop: Header=BB33_3039 Depth=2
	s_andn2_saveexec_b64 s[22:23], s[22:23]
	s_cbranch_execz .LBB33_3103
; %bb.3085:                             ;   in Loop: Header=BB33_3039 Depth=2
	s_and_saveexec_b64 s[28:29], s[76:77]
	s_xor_b64 s[28:29], exec, s[28:29]
	s_cbranch_execz .LBB33_3100
; %bb.3086:                             ;   in Loop: Header=BB33_3039 Depth=2
	s_and_saveexec_b64 s[40:41], s[12:13]
	s_cbranch_execz .LBB33_3099
; %bb.3087:                             ;   in Loop: Header=BB33_3039 Depth=2
	s_mov_b64 s[44:45], exec
	v_mbcnt_lo_u32_b32 v0, s44, 0
	v_mbcnt_hi_u32_b32 v0, s45, v0
	v_cmp_eq_u32_e32 vcc, 0, v0
	;;#ASMSTART
	s_waitcnt lgkmcnt(0) vmcnt(0)
	;;#ASMEND
	s_and_saveexec_b64 s[42:43], vcc
	s_cbranch_execz .LBB33_3089
; %bb.3088:                             ;   in Loop: Header=BB33_3039 Depth=2
	s_bcnt1_i32_b64 s44, s[44:45]
	v_mov_b32_e32 v2, s44
	s_waitcnt lgkmcnt(0)
	ds_add_u64 v0, v[2:3]
	s_trap 2
.LBB33_3089:                            ;   in Loop: Header=BB33_3039 Depth=2
	s_or_b64 exec, exec, s[42:43]
	s_trap 2
	ds_read_b64 v[8:9], v0
	s_waitcnt lgkmcnt(0)
	v_lshl_add_u64 v[46:47], v[46:47], 0, v[60:61]
	v_cmp_lt_u64_e32 vcc, v[8:9], v[46:47]
	s_and_saveexec_b64 s[42:43], vcc
	s_cbranch_execz .LBB33_3098
; %bb.3090:                             ;   in Loop: Header=BB33_3039 Depth=2
	s_mov_b32 s62, 0
	s_mov_b64 s[44:45], 0
                                        ; implicit-def: $sgpr46_sgpr47
                                        ; implicit-def: $sgpr56_sgpr57
	s_branch .LBB33_3092
.LBB33_3091:                            ;   in Loop: Header=BB33_3092 Depth=3
	s_or_b64 exec, exec, s[60:61]
	s_and_b64 s[58:59], exec, vcc
	s_or_b64 s[44:45], s[58:59], s[44:45]
	s_andn2_b64 s[46:47], s[46:47], exec
	s_and_b64 s[58:59], s[56:57], exec
	s_or_b64 s[46:47], s[46:47], s[58:59]
	s_andn2_b64 exec, exec, s[44:45]
	s_cbranch_execz .LBB33_3096
.LBB33_3092:                            ;   Parent Loop BB33_47 Depth=1
                                        ;     Parent Loop BB33_3039 Depth=2
                                        ; =>    This Inner Loop Header: Depth=3
	s_add_i32 s62, s62, 1
	s_cmpk_lg_i32 s62, 0x2710
	s_cselect_b64 s[58:59], -1, 0
	s_and_b64 vcc, exec, s[58:59]
	s_cbranch_vccz .LBB33_3094
; %bb.3093:                             ;   in Loop: Header=BB33_3092 Depth=3
	s_mov_b64 vcc, -1
	s_or_b64 s[56:57], s[56:57], exec
	s_and_saveexec_b64 s[60:61], s[58:59]
	s_cbranch_execz .LBB33_3091
	s_branch .LBB33_3095
.LBB33_3094:                            ;   in Loop: Header=BB33_3092 Depth=3
	s_trap 2
	ds_read_b64 v[8:9], v0
	s_andn2_b64 s[58:59], s[58:59], exec
	s_mov_b32 s62, 0
	s_waitcnt vmcnt(0) lgkmcnt(0)
	flat_load_dword v0, v[8:9] sc0 sc1
	s_waitcnt vmcnt(0) lgkmcnt(0)
	buffer_inv sc0 sc1
	v_cmp_eq_u32_e32 vcc, 0, v0
	s_and_b64 s[60:61], vcc, exec
	s_or_b64 s[58:59], s[58:59], s[60:61]
	s_mov_b64 vcc, -1
	s_or_b64 s[56:57], s[56:57], exec
	s_and_saveexec_b64 s[60:61], s[58:59]
	s_cbranch_execz .LBB33_3091
.LBB33_3095:                            ;   in Loop: Header=BB33_3092 Depth=3
	s_sleep 1
	s_trap 2
	ds_read_b64 v[8:9], v0
	s_waitcnt lgkmcnt(0)
	s_andn2_b64 s[56:57], s[56:57], exec
	v_cmp_ge_u64_e32 vcc, v[8:9], v[46:47]
	s_orn2_b64 vcc, vcc, exec
	s_branch .LBB33_3091
.LBB33_3096:                            ;   in Loop: Header=BB33_3039 Depth=2
	s_or_b64 exec, exec, s[44:45]
	s_and_saveexec_b64 s[44:45], s[46:47]
	s_xor_b64 s[44:45], exec, s[44:45]
	s_cbranch_execz .LBB33_3098
; %bb.3097:                             ;   in Loop: Header=BB33_3039 Depth=2
	ds_write_b32 v0, v1
	s_trap 2
.LBB33_3098:                            ;   in Loop: Header=BB33_3039 Depth=2
	s_or_b64 exec, exec, s[42:43]
	;;#ASMSTART
	s_wakeup
	;;#ASMEND
.LBB33_3099:                            ;   in Loop: Header=BB33_3039 Depth=2
	s_or_b64 exec, exec, s[40:41]
.LBB33_3100:                            ;   in Loop: Header=BB33_3039 Depth=2
	s_andn2_saveexec_b64 s[28:29], s[28:29]
	s_cbranch_execz .LBB33_3102
; %bb.3101:                             ;   in Loop: Header=BB33_3039 Depth=2
	;;#ASMSTART
	s_waitcnt lgkmcnt(0) vmcnt(0)
	;;#ASMEND
	s_barrier
.LBB33_3102:                            ;   in Loop: Header=BB33_3039 Depth=2
	s_or_b64 exec, exec, s[28:29]
.LBB33_3103:                            ;   in Loop: Header=BB33_3039 Depth=2
	s_or_b64 exec, exec, s[22:23]
	v_and_b32_e32 v0, 32, v58
	v_cmp_ne_u32_e32 vcc, 0, v0
	s_and_saveexec_b64 s[22:23], vcc
	s_cbranch_execz .LBB33_3038
; %bb.3104:                             ;   in Loop: Header=BB33_3039 Depth=2
	v_lshl_add_u64 v[116:117], v[116:117], 0, 2
	flat_store_dwordx2 v[40:41], v[116:117] sc0 sc1
	s_branch .LBB33_3038
.LBB33_3105:
	s_or_b64 exec, exec, s[78:79]
	scratch_load_dword v18, off, s33 offset:312 ; 4-byte Folded Reload
	scratch_load_dword v31, off, s33 offset:316 ; 4-byte Folded Reload
	;; [unrolled: 1-line block ×3, first 2 shown]
	v_readlane_b32 s24, v126, 2
	v_readlane_b32 s25, v126, 3
.LBB33_3106:
	v_readlane_b32 s0, v126, 0
	v_readlane_b32 s1, v126, 1
	s_or_b64 exec, exec, s[0:1]
	v_and_b32_e32 v0, 0x800, v58
	v_cmp_eq_u32_e32 vcc, 0, v0
	s_and_saveexec_b64 s[2:3], vcc
	s_cbranch_execz .LBB33_3139
; %bb.3107:
	v_and_b32_e32 v0, 48, v58
	v_cmp_ne_u32_e32 vcc, 0, v0
	s_and_saveexec_b64 s[0:1], vcc
	s_cbranch_execz .LBB33_3109
; %bb.3108:
	scratch_load_dwordx2 v[0:1], off, s33 offset:304 ; 8-byte Folded Reload
	s_waitcnt vmcnt(0)
	flat_store_dwordx2 v[0:1], v[116:117] offset:104
.LBB33_3109:
	s_or_b64 exec, exec, s[0:1]
	s_movk_i32 s0, 0x88
	v_and_b32_e32 v0, 0x88, v58
	v_cmp_eq_u32_e32 vcc, s0, v0
	s_and_saveexec_b64 s[4:5], vcc
	s_cbranch_execz .LBB33_3119
; %bb.3110:
	v_add_u32_e32 v0, 6, v116
	v_and_b32_e32 v0, 7, v0
	v_mad_u64_u32 v[2:3], s[0:1], v0, 24, v[6:7]
	flat_load_dwordx2 v[0:1], v[2:3] offset:8 sc0 sc1
	s_waitcnt vmcnt(0)
	v_and_b32_e32 v4, 64, v58
	v_cmp_eq_u32_e64 s[0:1], 0, v4
	s_mov_b32 s18, 0
	s_waitcnt lgkmcnt(0)
	v_cmp_ne_u64_e32 vcc, -1, v[0:1]
	s_and_b64 s[0:1], vcc, s[0:1]
	s_and_b64 exec, exec, s[0:1]
	s_cbranch_execz .LBB33_3119
; %bb.3111:
	s_mov_b64 s[0:1], 0
                                        ; implicit-def: $sgpr6_sgpr7
                                        ; implicit-def: $sgpr10_sgpr11
	s_branch .LBB33_3114
.LBB33_3112:                            ;   in Loop: Header=BB33_3114 Depth=1
	flat_load_dwordx2 v[4:5], v[2:3] offset:8 sc0 sc1
	s_waitcnt vmcnt(0)
	s_andn2_b64 s[10:11], s[10:11], exec
	s_waitcnt lgkmcnt(0)
	v_cmp_eq_u64_e32 vcc, -1, v[4:5]
	s_orn2_b64 s[14:15], vcc, exec
.LBB33_3113:                            ;   in Loop: Header=BB33_3114 Depth=1
	s_or_b64 exec, exec, s[16:17]
	s_and_b64 s[12:13], exec, s[14:15]
	s_or_b64 s[0:1], s[12:13], s[0:1]
	s_andn2_b64 s[6:7], s[6:7], exec
	s_and_b64 s[12:13], s[10:11], exec
	s_or_b64 s[6:7], s[6:7], s[12:13]
	s_andn2_b64 exec, exec, s[0:1]
	s_cbranch_execz .LBB33_3117
.LBB33_3114:                            ; =>This Inner Loop Header: Depth=1
	s_cmpk_lt_i32 s18, 0x270f
	s_cselect_b64 s[12:13], -1, 0
	s_and_b64 vcc, exec, s[12:13]
	s_cbranch_vccnz .LBB33_3116
; %bb.3115:                             ;   in Loop: Header=BB33_3114 Depth=1
	s_trap 2
	ds_read_b64 v[0:1], v0
	s_andn2_b64 s[12:13], s[12:13], exec
	s_mov_b32 s18, 0
	s_waitcnt lgkmcnt(0)
	flat_load_dword v0, v[0:1] sc0 sc1
	s_waitcnt vmcnt(0) lgkmcnt(0)
	buffer_inv sc0 sc1
	v_cmp_eq_u32_e32 vcc, 0, v0
	s_and_b64 s[14:15], vcc, exec
	s_or_b64 s[12:13], s[12:13], s[14:15]
	s_mov_b64 s[14:15], -1
	s_or_b64 s[10:11], s[10:11], exec
	s_and_saveexec_b64 s[16:17], s[12:13]
	s_cbranch_execz .LBB33_3113
	s_branch .LBB33_3112
.LBB33_3116:                            ;   in Loop: Header=BB33_3114 Depth=1
	s_add_i32 s18, s18, 1
                                        ; implicit-def: $vgpr0
	s_mov_b64 s[14:15], -1
	s_or_b64 s[10:11], s[10:11], exec
	s_and_saveexec_b64 s[16:17], s[12:13]
	s_cbranch_execz .LBB33_3113
	s_branch .LBB33_3112
.LBB33_3117:
	s_or_b64 exec, exec, s[0:1]
	s_and_saveexec_b64 s[0:1], s[6:7]
	s_xor_b64 s[0:1], exec, s[0:1]
	s_cbranch_execz .LBB33_3119
; %bb.3118:
	ds_write_b32 v0, v0
	s_trap 2
.LBB33_3119:
	s_or_b64 exec, exec, s[4:5]
	v_and_b32_e32 v0, 0x2000, v58
	v_cmp_ne_u32_e32 vcc, 0, v0
	s_and_saveexec_b64 s[0:1], vcc
	s_cbranch_execz .LBB33_3121
; %bb.3120:
	s_trap 2
	scratch_load_dwordx2 v[2:3], off, s33 offset:324 ; 8-byte Folded Reload
	ds_read_b64 v[0:1], v0
	s_waitcnt vmcnt(0) lgkmcnt(0)
	flat_store_dwordx2 v[2:3], v[0:1] offset:16
.LBB33_3121:
	s_or_b64 exec, exec, s[0:1]
	s_waitcnt vmcnt(0)
	v_cmp_ne_u32_e32 vcc, 64, v18
	s_and_b64 exec, exec, vcc
	s_cbranch_execz .LBB33_3139
; %bb.3122:
	v_cmp_ne_u32_sdwa s[0:1], v18, v19 src0_sel:DWORD src1_sel:WORD_0
	s_and_saveexec_b64 s[4:5], s[0:1]
	s_xor_b64 s[0:1], exec, s[4:5]
	s_cbranch_execz .LBB33_3137
; %bb.3123:
	v_and_b32_e32 v0, 63, v31
	v_cmp_eq_u32_e32 vcc, 0, v0
	s_and_saveexec_b64 s[4:5], vcc
	s_cbranch_execz .LBB33_3136
; %bb.3124:
	s_mov_b64 s[10:11], exec
	v_mbcnt_lo_u32_b32 v0, s10, 0
	v_mbcnt_hi_u32_b32 v0, s11, v0
	v_cmp_eq_u32_e32 vcc, 0, v0
	s_waitcnt lgkmcnt(0)
	s_and_saveexec_b64 s[6:7], vcc
	s_cbranch_execz .LBB33_3126
; %bb.3125:
	s_bcnt1_i32_b64 s10, s[10:11]
	v_mov_b32_e32 v0, s10
	v_mov_b32_e32 v1, 0
	ds_add_u64 v0, v[0:1]
	s_trap 2
.LBB33_3126:
	s_or_b64 exec, exec, s[6:7]
	s_trap 2
	ds_read_b64 v[2:3], v0
	s_waitcnt lgkmcnt(0)
	v_lshrrev_b32_e32 v0, 6, v18
	v_mov_b32_e32 v1, 0
	v_lshl_add_u64 v[0:1], v[46:47], 0, v[0:1]
	v_cmp_lt_u64_e32 vcc, v[2:3], v[0:1]
	s_and_saveexec_b64 s[6:7], vcc
	s_cbranch_execz .LBB33_3135
; %bb.3127:
	s_mov_b32 s22, 0
	s_mov_b64 s[10:11], 0
                                        ; implicit-def: $sgpr12_sgpr13
                                        ; implicit-def: $sgpr14_sgpr15
	s_branch .LBB33_3129
.LBB33_3128:                            ;   in Loop: Header=BB33_3129 Depth=1
	s_or_b64 exec, exec, s[18:19]
	s_and_b64 s[16:17], exec, s[20:21]
	s_or_b64 s[10:11], s[16:17], s[10:11]
	s_andn2_b64 s[12:13], s[12:13], exec
	s_and_b64 s[16:17], s[14:15], exec
	s_or_b64 s[12:13], s[12:13], s[16:17]
	s_andn2_b64 exec, exec, s[10:11]
	s_cbranch_execz .LBB33_3133
.LBB33_3129:                            ; =>This Inner Loop Header: Depth=1
	s_add_i32 s22, s22, 1
	s_cmpk_lg_i32 s22, 0x2710
	s_cselect_b64 s[16:17], -1, 0
	s_and_b64 vcc, exec, s[16:17]
	s_cbranch_vccz .LBB33_3131
; %bb.3130:                             ;   in Loop: Header=BB33_3129 Depth=1
	s_mov_b64 s[20:21], -1
	s_or_b64 s[14:15], s[14:15], exec
	s_and_saveexec_b64 s[18:19], s[16:17]
	s_cbranch_execz .LBB33_3128
	s_branch .LBB33_3132
.LBB33_3131:                            ;   in Loop: Header=BB33_3129 Depth=1
	s_trap 2
	ds_read_b64 v[2:3], v0
	s_andn2_b64 s[16:17], s[16:17], exec
	s_mov_b32 s22, 0
	s_waitcnt lgkmcnt(0)
	flat_load_dword v2, v[2:3] sc0 sc1
	s_waitcnt vmcnt(0) lgkmcnt(0)
	buffer_inv sc0 sc1
	v_cmp_eq_u32_e32 vcc, 0, v2
	s_and_b64 s[18:19], vcc, exec
	s_or_b64 s[16:17], s[16:17], s[18:19]
	s_mov_b64 s[20:21], -1
	s_or_b64 s[14:15], s[14:15], exec
	s_and_saveexec_b64 s[18:19], s[16:17]
	s_cbranch_execz .LBB33_3128
.LBB33_3132:                            ;   in Loop: Header=BB33_3129 Depth=1
	s_sleep 1
	s_trap 2
	ds_read_b64 v[2:3], v0
	s_waitcnt lgkmcnt(0)
	s_andn2_b64 s[14:15], s[14:15], exec
	v_cmp_ge_u64_e32 vcc, v[2:3], v[0:1]
	s_orn2_b64 s[20:21], vcc, exec
	s_branch .LBB33_3128
.LBB33_3133:
	s_or_b64 exec, exec, s[10:11]
	s_and_saveexec_b64 s[10:11], s[12:13]
	s_xor_b64 s[10:11], exec, s[10:11]
	s_cbranch_execz .LBB33_3135
; %bb.3134:
	v_mov_b32_e32 v0, 1
	ds_write_b32 v0, v0
	s_trap 2
.LBB33_3135:
	s_or_b64 exec, exec, s[6:7]
	;;#ASMSTART
	s_wakeup
	;;#ASMEND
.LBB33_3136:
	s_or_b64 exec, exec, s[4:5]
.LBB33_3137:
	s_andn2_saveexec_b64 s[0:1], s[0:1]
	s_cbranch_execz .LBB33_3139
; %bb.3138:
	s_waitcnt lgkmcnt(0)
	s_barrier
.LBB33_3139:
	s_or_b64 exec, exec, s[2:3]
.LBB33_3140:
	s_andn2_saveexec_b64 s[22:23], s[24:25]
	s_cbranch_execz .LBB33_3142
; %bb.3141:
	s_getpc_b64 s[0:1]
	s_add_u32 s0, s0, __PRETTY_FUNCTION__._ZN10PrimitivesI12hip_bfloat1610FuncMinMaxIS0_E12FanSymmetricILi1EELi0E11ProtoSimpleILi2ELi2ELi1ELi4ELi0ELi0EELi0ELb0ELi0ELi0ELi1EEC2EiiPKiS9_PKvPvmhhhP15ncclDevWorkCollP14ncclDevWorkP2pii@rel32@lo+4
	s_addc_u32 s1, s1, __PRETTY_FUNCTION__._ZN10PrimitivesI12hip_bfloat1610FuncMinMaxIS0_E12FanSymmetricILi1EELi0E11ProtoSimpleILi2ELi2ELi1ELi4ELi0ELi0EELi0ELb0ELi0ELi0ELi1EEC2EiiPKiS9_PKvPvmhhhP15ncclDevWorkCollP14ncclDevWorkP2pii@rel32@hi+12
	s_getpc_b64 s[2:3]
	s_add_u32 s2, s2, __assert_fail@rel32@lo+4
	s_addc_u32 s3, s3, __assert_fail@rel32@hi+12
	v_mov_b32_e32 v0, s0
	v_mov_b32_e32 v1, s1
	s_swappc_b64 s[30:31], s[2:3]
	; divergent unreachable
.LBB33_3142:
	s_or_b64 exec, exec, s[22:23]
	scratch_load_dword v125, off, s33       ; 4-byte Folded Reload
	scratch_load_dword v124, off, s33 offset:4 ; 4-byte Folded Reload
	scratch_load_dword v123, off, s33 offset:8 ; 4-byte Folded Reload
	;; [unrolled: 1-line block ×35, first 2 shown]
	s_waitcnt lgkmcnt(0)
	scratch_load_dword v57, off, s33 offset:144 ; 4-byte Folded Reload
	scratch_load_dword v56, off, s33 offset:148 ; 4-byte Folded Reload
	scratch_load_dword v47, off, s33 offset:152 ; 4-byte Folded Reload
	scratch_load_dword v46, off, s33 offset:156 ; 4-byte Folded Reload
	scratch_load_dword v45, off, s33 offset:160 ; 4-byte Folded Reload
	scratch_load_dword v44, off, s33 offset:164 ; 4-byte Folded Reload
	scratch_load_dword v43, off, s33 offset:168 ; 4-byte Folded Reload
	scratch_load_dword v42, off, s33 offset:172 ; 4-byte Folded Reload
	scratch_load_dword v41, off, s33 offset:176 ; 4-byte Folded Reload
	scratch_load_dword v40, off, s33 offset:180 ; 4-byte Folded Reload
	v_readlane_b32 s30, v127, 32
	v_readlane_b32 s31, v127, 33
	;; [unrolled: 1-line block ×34, first 2 shown]
	s_mov_b32 s32, s33
	v_readlane_b32 s0, v127, 34
	s_or_saveexec_b64 s[2:3], -1
	scratch_load_dword v127, off, s33 offset:332 ; 4-byte Folded Reload
	scratch_load_dword v126, off, s33 offset:336 ; 4-byte Folded Reload
	s_mov_b64 exec, s[2:3]
	s_mov_b32 s33, s0
	s_waitcnt vmcnt(0)
	s_setpc_b64 s[30:31]
.Lfunc_end33:
	.size	_ZN12_GLOBAL__N_17runRingI12hip_bfloat1610FuncMinMaxIS1_E11ProtoSimpleILi2ELi2ELi1ELi4ELi0ELi0EELi0ELi1ELi4ELi0EEEviiP15ncclDevWorkColl, .Lfunc_end33-_ZN12_GLOBAL__N_17runRingI12hip_bfloat1610FuncMinMaxIS1_E11ProtoSimpleILi2ELi2ELi1ELi4ELi0ELi0EELi0ELi1ELi4ELi0EEEviiP15ncclDevWorkColl
                                        ; -- End function
	.set .L_ZN12_GLOBAL__N_17runRingI12hip_bfloat1610FuncMinMaxIS1_E11ProtoSimpleILi2ELi2ELi1ELi4ELi0ELi0EELi0ELi1ELi4ELi0EEEviiP15ncclDevWorkColl.num_vgpr, max(128, .L__assert_fail.num_vgpr)
	.set .L_ZN12_GLOBAL__N_17runRingI12hip_bfloat1610FuncMinMaxIS1_E11ProtoSimpleILi2ELi2ELi1ELi4ELi0ELi0EELi0ELi1ELi4ELi0EEEviiP15ncclDevWorkColl.num_agpr, max(0, .L__assert_fail.num_agpr)
	.set .L_ZN12_GLOBAL__N_17runRingI12hip_bfloat1610FuncMinMaxIS1_E11ProtoSimpleILi2ELi2ELi1ELi4ELi0ELi0EELi0ELi1ELi4ELi0EEEviiP15ncclDevWorkColl.numbered_sgpr, max(98, .L__assert_fail.numbered_sgpr)
	.set .L_ZN12_GLOBAL__N_17runRingI12hip_bfloat1610FuncMinMaxIS1_E11ProtoSimpleILi2ELi2ELi1ELi4ELi0ELi0EELi0ELi1ELi4ELi0EEEviiP15ncclDevWorkColl.num_named_barrier, max(0, .L__assert_fail.num_named_barrier)
	.set .L_ZN12_GLOBAL__N_17runRingI12hip_bfloat1610FuncMinMaxIS1_E11ProtoSimpleILi2ELi2ELi1ELi4ELi0ELi0EELi0ELi1ELi4ELi0EEEviiP15ncclDevWorkColl.private_seg_size, 352+max(.L__assert_fail.private_seg_size)
	.set .L_ZN12_GLOBAL__N_17runRingI12hip_bfloat1610FuncMinMaxIS1_E11ProtoSimpleILi2ELi2ELi1ELi4ELi0ELi0EELi0ELi1ELi4ELi0EEEviiP15ncclDevWorkColl.uses_vcc, or(1, .L__assert_fail.uses_vcc)
	.set .L_ZN12_GLOBAL__N_17runRingI12hip_bfloat1610FuncMinMaxIS1_E11ProtoSimpleILi2ELi2ELi1ELi4ELi0ELi0EELi0ELi1ELi4ELi0EEEviiP15ncclDevWorkColl.uses_flat_scratch, or(0, .L__assert_fail.uses_flat_scratch)
	.set .L_ZN12_GLOBAL__N_17runRingI12hip_bfloat1610FuncMinMaxIS1_E11ProtoSimpleILi2ELi2ELi1ELi4ELi0ELi0EELi0ELi1ELi4ELi0EEEviiP15ncclDevWorkColl.has_dyn_sized_stack, or(0, .L__assert_fail.has_dyn_sized_stack)
	.set .L_ZN12_GLOBAL__N_17runRingI12hip_bfloat1610FuncMinMaxIS1_E11ProtoSimpleILi2ELi2ELi1ELi4ELi0ELi0EELi0ELi1ELi4ELi0EEEviiP15ncclDevWorkColl.has_recursion, or(1, .L__assert_fail.has_recursion)
	.set .L_ZN12_GLOBAL__N_17runRingI12hip_bfloat1610FuncMinMaxIS1_E11ProtoSimpleILi2ELi2ELi1ELi4ELi0ELi0EELi0ELi1ELi4ELi0EEEviiP15ncclDevWorkColl.has_indirect_call, or(0, .L__assert_fail.has_indirect_call)
	.section	.AMDGPU.csdata,"",@progbits
; Function info:
; codeLenInByte = 99732
; TotalNumSgprs: 104
; NumVgprs: 128
; NumAgprs: 0
; TotalNumVgprs: 128
; ScratchSize: 416
; MemoryBound: 1
	.text
	.p2align	2                               ; -- Begin function _Z51ncclDevFunc_AllReduce_RING_SIMPLE_MinMax_bf16_1_0_4v
	.type	_Z51ncclDevFunc_AllReduce_RING_SIMPLE_MinMax_bf16_1_0_4v,@function
_Z51ncclDevFunc_AllReduce_RING_SIMPLE_MinMax_bf16_1_0_4v: ; @_Z51ncclDevFunc_AllReduce_RING_SIMPLE_MinMax_bf16_1_0_4v
; %bb.0:
	s_waitcnt vmcnt(0) expcnt(0) lgkmcnt(0)
	s_mov_b32 s0, s33
	s_mov_b32 s33, s32
	s_or_saveexec_b64 s[2:3], -1
	scratch_store_dword off, v44, s33 offset:24 ; 4-byte Folded Spill
	scratch_store_dword off, v45, s33 offset:28 ; 4-byte Folded Spill
	s_mov_b64 exec, s[2:3]
	v_writelane_b32 v45, s0, 38
	v_writelane_b32 v45, s100, 36
	;; [unrolled: 1-line block ×3, first 2 shown]
	s_add_i32 s32, s32, 48
	scratch_store_dword off, v40, s33 offset:16 ; 4-byte Folded Spill
	scratch_store_dword off, v41, s33 offset:12 ; 4-byte Folded Spill
	;; [unrolled: 1-line block ×4, first 2 shown]
	scratch_store_dword off, v126, s33      ; 4-byte Folded Spill
	v_writelane_b32 v45, s34, 0
	v_writelane_b32 v45, s35, 1
	;; [unrolled: 1-line block ×35, first 2 shown]
	s_nop 1
	v_writelane_b32 v45, s31, 35
	s_trap 2
	ds_read_b32 v0, v0
	v_mov_b32_e32 v40, v31
                                        ; implicit-def: $vgpr44 : SGPR spill to VGPR lane
	v_and_b32_e32 v41, 0x3ff, v40
	s_mov_b32 s99, s12
	v_writelane_b32 v44, s8, 0
	s_waitcnt lgkmcnt(0)
	v_cmp_lt_i32_e32 vcc, v41, v0
	v_writelane_b32 v44, s9, 1
	s_and_saveexec_b64 s[0:1], vcc
	s_cbranch_execz .LBB34_5
; %bb.1:
	v_readlane_b32 s4, v44, 0
	v_readlane_b32 s5, v44, 1
	s_load_dword s2, s[4:5], 0x0
	v_mov_b32_e32 v1, 0
	s_mov_b32 s6, 0
	v_mov_b32_e32 v4, v41
                                        ; implicit-def: $vgpr2
	s_waitcnt lgkmcnt(0)
	s_cmp_lt_u32 s99, s2
	s_cselect_b32 s2, 12, 18
	s_add_u32 s2, s4, s2
	s_addc_u32 s3, s5, 0
	global_load_ushort v1, v1, s[2:3]
	s_trap 2
	ds_read_b32 v3, v0
	s_mov_b64 s[2:3], 0
	s_waitcnt vmcnt(0) lgkmcnt(0)
	v_mul_lo_u32 v3, v3, v1
	s_branch .LBB34_3
.LBB34_2:                               ;   in Loop: Header=BB34_3 Depth=1
	s_or_b64 exec, exec, s[4:5]
	v_add_u32_e32 v4, v4, v1
	v_cmp_ge_i32_e32 vcc, v4, v0
	s_or_b64 s[2:3], vcc, s[2:3]
	v_add_u32_e32 v2, v2, v3
	s_andn2_b64 exec, exec, s[2:3]
	s_cbranch_execz .LBB34_5
.LBB34_3:                               ; =>This Inner Loop Header: Depth=1
	ds_read_b32 v5, v2
	s_waitcnt lgkmcnt(0)
	v_and_b32_e32 v5, 0x1000000, v5
	v_cmp_ne_u32_e32 vcc, 0, v5
	s_and_saveexec_b64 s[4:5], vcc
	s_cbranch_execz .LBB34_2
; %bb.4:                                ;   in Loop: Header=BB34_3 Depth=1
	ds_read_b64 v[6:7], v2 offset:104
	s_waitcnt lgkmcnt(0)
	flat_load_ushort v5, v[6:7]
	v_mov_b32_e32 v7, s6
	s_waitcnt vmcnt(0) lgkmcnt(0)
	v_and_b32_e32 v6, 0xffff, v5
	ds_write_b64 v2, v[6:7] offset:104
	s_branch .LBB34_2
.LBB34_5:
	s_or_b64 exec, exec, s[0:1]
	s_waitcnt lgkmcnt(0)
	s_barrier
	s_trap 2
	ds_read_b32 v0, v0
	s_waitcnt lgkmcnt(0)
	v_cmp_gt_i32_e32 vcc, 1, v0
	s_cbranch_vccnz .LBB34_16
; %bb.6:
	s_mov_b32 s98, 0
	v_mov_b32_e32 v43, 6
	s_branch .LBB34_8
.LBB34_7:                               ;   in Loop: Header=BB34_8 Depth=1
	s_or_b64 exec, exec, s[2:3]
	s_trap 2
	ds_read_b32 v0, v0
	s_add_i32 s98, s98, 1
	s_waitcnt lgkmcnt(0)
	v_cmp_lt_i32_e32 vcc, s98, v0
	s_cbranch_vccz .LBB34_16
.LBB34_8:                               ; =>This Inner Loop Header: Depth=1
	s_trap 2
	ds_read_b32 v0, v0
	s_cmp_eq_u32 s98, 0
	s_cbranch_scc1 .LBB34_11
; %bb.9:                                ;   in Loop: Header=BB34_8 Depth=1
	s_trap 2
	s_waitcnt lgkmcnt(0)
	ds_read_b32 v1, v0
	s_waitcnt lgkmcnt(0)
	v_xor_b32_e32 v1, v1, v0
	v_and_b32_e32 v1, 0xff0000, v1
	v_cmp_eq_u32_e32 vcc, 0, v1
	s_cbranch_vccnz .LBB34_11
; %bb.10:                               ;   in Loop: Header=BB34_8 Depth=1
	s_barrier
	ds_read_b32 v0, v0
.LBB34_11:                              ;   in Loop: Header=BB34_8 Depth=1
	s_waitcnt lgkmcnt(0)
	v_lshlrev_b32_sdwa v42, v43, v0 dst_sel:DWORD dst_unused:UNUSED_PAD src0_sel:DWORD src1_sel:BYTE_2
	v_cmp_lt_u32_e32 vcc, v41, v42
	s_and_saveexec_b64 s[2:3], vcc
	s_cbranch_execz .LBB34_7
; %bb.12:                               ;   in Loop: Header=BB34_8 Depth=1
	v_cmp_lt_i32_e32 vcc, -1, v0
	s_mov_b64 s[4:5], src_shared_base
	s_mov_b64 s[0:1], -1
	v_writelane_b32 v44, s2, 2
	s_nop 1
	v_writelane_b32 v44, s3, 3
	s_cbranch_vccnz .LBB34_14
; %bb.13:                               ;   in Loop: Header=BB34_8 Depth=1
	v_readlane_b32 s8, v44, 0
	v_readlane_b32 s9, v44, 1
	v_mov_b32_e32 v3, s5
	v_writelane_b32 v44, s4, 4
	s_getpc_b64 s[0:1]
	s_add_u32 s0, s0, _ZN12_GLOBAL__N_17runRingI12hip_bfloat1610FuncMinMaxIS1_E11ProtoSimpleILi1ELi4ELi1ELi4ELi0ELi0EELi0ELi1ELi4ELi0EEEviiP15ncclDevWorkColl@rel32@lo+4
	s_addc_u32 s1, s1, _ZN12_GLOBAL__N_17runRingI12hip_bfloat1610FuncMinMaxIS1_E11ProtoSimpleILi1ELi4ELi1ELi4ELi0ELi0EELi0ELi1ELi4ELi0EEEviiP15ncclDevWorkColl@rel32@hi+12
	s_mov_b32 s12, s99
	v_mov_b32_e32 v31, v40
	v_mov_b32_e32 v0, v41
	;; [unrolled: 1-line block ×3, first 2 shown]
	v_writelane_b32 v44, s5, 5
	s_or_saveexec_b64 s[100:101], -1
	scratch_store_dword off, v44, s33 offset:20 ; 4-byte Folded Spill
	s_mov_b64 exec, s[100:101]
	s_swappc_b64 s[30:31], s[0:1]
	s_or_saveexec_b64 s[100:101], -1
	scratch_load_dword v44, off, s33 offset:20 ; 4-byte Folded Reload
	s_mov_b64 exec, s[100:101]
	s_waitcnt vmcnt(0)
	v_readlane_b32 s4, v44, 4
	v_readlane_b32 s2, v44, 2
	;; [unrolled: 1-line block ×4, first 2 shown]
	s_mov_b64 s[0:1], 0
.LBB34_14:                              ;   in Loop: Header=BB34_8 Depth=1
	s_andn2_b64 vcc, exec, s[0:1]
	s_cbranch_vccnz .LBB34_7
; %bb.15:                               ;   in Loop: Header=BB34_8 Depth=1
	v_readlane_b32 s8, v44, 0
	s_getpc_b64 s[0:1]
	s_add_u32 s0, s0, _ZN12_GLOBAL__N_17runRingI12hip_bfloat1610FuncMinMaxIS1_E11ProtoSimpleILi2ELi2ELi1ELi4ELi0ELi0EELi0ELi1ELi4ELi0EEEviiP15ncclDevWorkColl@rel32@lo+4
	s_addc_u32 s1, s1, _ZN12_GLOBAL__N_17runRingI12hip_bfloat1610FuncMinMaxIS1_E11ProtoSimpleILi2ELi2ELi1ELi4ELi0ELi0EELi0ELi1ELi4ELi0EEEviiP15ncclDevWorkColl@rel32@hi+12
	v_readlane_b32 s9, v44, 1
	s_mov_b32 s12, s99
	v_mov_b32_e32 v31, v40
	v_mov_b32_e32 v0, v41
	;; [unrolled: 1-line block ×4, first 2 shown]
	s_or_saveexec_b64 s[100:101], -1
	scratch_store_dword off, v44, s33 offset:20 ; 4-byte Folded Spill
	s_mov_b64 exec, s[100:101]
	s_swappc_b64 s[30:31], s[0:1]
	s_or_saveexec_b64 s[100:101], -1
	scratch_load_dword v44, off, s33 offset:20 ; 4-byte Folded Reload
	s_mov_b64 exec, s[100:101]
	s_waitcnt vmcnt(0)
	v_readlane_b32 s2, v44, 2
	v_readlane_b32 s3, v44, 3
	s_branch .LBB34_7
.LBB34_16:
	scratch_load_dword v126, off, s33       ; 4-byte Folded Reload
	scratch_load_dword v43, off, s33 offset:4 ; 4-byte Folded Reload
	scratch_load_dword v42, off, s33 offset:8 ; 4-byte Folded Reload
	;; [unrolled: 1-line block ×4, first 2 shown]
	v_readlane_b32 s30, v45, 34
	v_readlane_b32 s31, v45, 35
	;; [unrolled: 1-line block ×36, first 2 shown]
	s_mov_b32 s32, s33
	v_readlane_b32 s0, v45, 38
	v_readlane_b32 s100, v45, 36
	;; [unrolled: 1-line block ×3, first 2 shown]
	s_or_saveexec_b64 s[2:3], -1
	scratch_load_dword v44, off, s33 offset:24 ; 4-byte Folded Reload
	scratch_load_dword v45, off, s33 offset:28 ; 4-byte Folded Reload
	s_mov_b64 exec, s[2:3]
	s_mov_b32 s33, s0
	s_waitcnt vmcnt(0)
	s_setpc_b64 s[30:31]
.Lfunc_end34:
	.size	_Z51ncclDevFunc_AllReduce_RING_SIMPLE_MinMax_bf16_1_0_4v, .Lfunc_end34-_Z51ncclDevFunc_AllReduce_RING_SIMPLE_MinMax_bf16_1_0_4v
                                        ; -- End function
	.set .L_Z51ncclDevFunc_AllReduce_RING_SIMPLE_MinMax_bf16_1_0_4v.num_vgpr, max(127, .L_ZN12_GLOBAL__N_17runRingI12hip_bfloat1610FuncMinMaxIS1_E11ProtoSimpleILi1ELi4ELi1ELi4ELi0ELi0EELi0ELi1ELi4ELi0EEEviiP15ncclDevWorkColl.num_vgpr, .L_ZN12_GLOBAL__N_17runRingI12hip_bfloat1610FuncMinMaxIS1_E11ProtoSimpleILi2ELi2ELi1ELi4ELi0ELi0EELi0ELi1ELi4ELi0EEEviiP15ncclDevWorkColl.num_vgpr)
	.set .L_Z51ncclDevFunc_AllReduce_RING_SIMPLE_MinMax_bf16_1_0_4v.num_agpr, max(0, .L_ZN12_GLOBAL__N_17runRingI12hip_bfloat1610FuncMinMaxIS1_E11ProtoSimpleILi1ELi4ELi1ELi4ELi0ELi0EELi0ELi1ELi4ELi0EEEviiP15ncclDevWorkColl.num_agpr, .L_ZN12_GLOBAL__N_17runRingI12hip_bfloat1610FuncMinMaxIS1_E11ProtoSimpleILi2ELi2ELi1ELi4ELi0ELi0EELi0ELi1ELi4ELi0EEEviiP15ncclDevWorkColl.num_agpr)
	.set .L_Z51ncclDevFunc_AllReduce_RING_SIMPLE_MinMax_bf16_1_0_4v.numbered_sgpr, max(102, .L_ZN12_GLOBAL__N_17runRingI12hip_bfloat1610FuncMinMaxIS1_E11ProtoSimpleILi1ELi4ELi1ELi4ELi0ELi0EELi0ELi1ELi4ELi0EEEviiP15ncclDevWorkColl.numbered_sgpr, .L_ZN12_GLOBAL__N_17runRingI12hip_bfloat1610FuncMinMaxIS1_E11ProtoSimpleILi2ELi2ELi1ELi4ELi0ELi0EELi0ELi1ELi4ELi0EEEviiP15ncclDevWorkColl.numbered_sgpr)
	.set .L_Z51ncclDevFunc_AllReduce_RING_SIMPLE_MinMax_bf16_1_0_4v.num_named_barrier, max(0, .L_ZN12_GLOBAL__N_17runRingI12hip_bfloat1610FuncMinMaxIS1_E11ProtoSimpleILi1ELi4ELi1ELi4ELi0ELi0EELi0ELi1ELi4ELi0EEEviiP15ncclDevWorkColl.num_named_barrier, .L_ZN12_GLOBAL__N_17runRingI12hip_bfloat1610FuncMinMaxIS1_E11ProtoSimpleILi2ELi2ELi1ELi4ELi0ELi0EELi0ELi1ELi4ELi0EEEviiP15ncclDevWorkColl.num_named_barrier)
	.set .L_Z51ncclDevFunc_AllReduce_RING_SIMPLE_MinMax_bf16_1_0_4v.private_seg_size, 48+max(.L_ZN12_GLOBAL__N_17runRingI12hip_bfloat1610FuncMinMaxIS1_E11ProtoSimpleILi1ELi4ELi1ELi4ELi0ELi0EELi0ELi1ELi4ELi0EEEviiP15ncclDevWorkColl.private_seg_size, .L_ZN12_GLOBAL__N_17runRingI12hip_bfloat1610FuncMinMaxIS1_E11ProtoSimpleILi2ELi2ELi1ELi4ELi0ELi0EELi0ELi1ELi4ELi0EEEviiP15ncclDevWorkColl.private_seg_size)
	.set .L_Z51ncclDevFunc_AllReduce_RING_SIMPLE_MinMax_bf16_1_0_4v.uses_vcc, or(1, .L_ZN12_GLOBAL__N_17runRingI12hip_bfloat1610FuncMinMaxIS1_E11ProtoSimpleILi1ELi4ELi1ELi4ELi0ELi0EELi0ELi1ELi4ELi0EEEviiP15ncclDevWorkColl.uses_vcc, .L_ZN12_GLOBAL__N_17runRingI12hip_bfloat1610FuncMinMaxIS1_E11ProtoSimpleILi2ELi2ELi1ELi4ELi0ELi0EELi0ELi1ELi4ELi0EEEviiP15ncclDevWorkColl.uses_vcc)
	.set .L_Z51ncclDevFunc_AllReduce_RING_SIMPLE_MinMax_bf16_1_0_4v.uses_flat_scratch, or(0, .L_ZN12_GLOBAL__N_17runRingI12hip_bfloat1610FuncMinMaxIS1_E11ProtoSimpleILi1ELi4ELi1ELi4ELi0ELi0EELi0ELi1ELi4ELi0EEEviiP15ncclDevWorkColl.uses_flat_scratch, .L_ZN12_GLOBAL__N_17runRingI12hip_bfloat1610FuncMinMaxIS1_E11ProtoSimpleILi2ELi2ELi1ELi4ELi0ELi0EELi0ELi1ELi4ELi0EEEviiP15ncclDevWorkColl.uses_flat_scratch)
	.set .L_Z51ncclDevFunc_AllReduce_RING_SIMPLE_MinMax_bf16_1_0_4v.has_dyn_sized_stack, or(0, .L_ZN12_GLOBAL__N_17runRingI12hip_bfloat1610FuncMinMaxIS1_E11ProtoSimpleILi1ELi4ELi1ELi4ELi0ELi0EELi0ELi1ELi4ELi0EEEviiP15ncclDevWorkColl.has_dyn_sized_stack, .L_ZN12_GLOBAL__N_17runRingI12hip_bfloat1610FuncMinMaxIS1_E11ProtoSimpleILi2ELi2ELi1ELi4ELi0ELi0EELi0ELi1ELi4ELi0EEEviiP15ncclDevWorkColl.has_dyn_sized_stack)
	.set .L_Z51ncclDevFunc_AllReduce_RING_SIMPLE_MinMax_bf16_1_0_4v.has_recursion, or(1, .L_ZN12_GLOBAL__N_17runRingI12hip_bfloat1610FuncMinMaxIS1_E11ProtoSimpleILi1ELi4ELi1ELi4ELi0ELi0EELi0ELi1ELi4ELi0EEEviiP15ncclDevWorkColl.has_recursion, .L_ZN12_GLOBAL__N_17runRingI12hip_bfloat1610FuncMinMaxIS1_E11ProtoSimpleILi2ELi2ELi1ELi4ELi0ELi0EELi0ELi1ELi4ELi0EEEviiP15ncclDevWorkColl.has_recursion)
	.set .L_Z51ncclDevFunc_AllReduce_RING_SIMPLE_MinMax_bf16_1_0_4v.has_indirect_call, or(0, .L_ZN12_GLOBAL__N_17runRingI12hip_bfloat1610FuncMinMaxIS1_E11ProtoSimpleILi1ELi4ELi1ELi4ELi0ELi0EELi0ELi1ELi4ELi0EEEviiP15ncclDevWorkColl.has_indirect_call, .L_ZN12_GLOBAL__N_17runRingI12hip_bfloat1610FuncMinMaxIS1_E11ProtoSimpleILi2ELi2ELi1ELi4ELi0ELi0EELi0ELi1ELi4ELi0EEEviiP15ncclDevWorkColl.has_indirect_call)
	.section	.AMDGPU.csdata,"",@progbits
; Function info:
; codeLenInByte = 1536
; TotalNumSgprs: 108
; NumVgprs: 128
; NumAgprs: 0
; TotalNumVgprs: 128
; ScratchSize: 464
; MemoryBound: 0
	.text
	.p2align	2                               ; -- Begin function _ZN12_GLOBAL__N_17runRingI12hip_bfloat1610FuncMinMaxIS1_E11ProtoSimpleILi1ELi4ELi1ELi4ELi0ELi0EELi0ELi1ELi4ELi1EEEviiP15ncclDevWorkColl
	.type	_ZN12_GLOBAL__N_17runRingI12hip_bfloat1610FuncMinMaxIS1_E11ProtoSimpleILi1ELi4ELi1ELi4ELi0ELi0EELi0ELi1ELi4ELi1EEEviiP15ncclDevWorkColl,@function
_ZN12_GLOBAL__N_17runRingI12hip_bfloat1610FuncMinMaxIS1_E11ProtoSimpleILi1ELi4ELi1ELi4ELi0ELi0EELi0ELi1ELi4ELi1EEEviiP15ncclDevWorkColl: ; @_ZN12_GLOBAL__N_17runRingI12hip_bfloat1610FuncMinMaxIS1_E11ProtoSimpleILi1ELi4ELi1ELi4ELi0ELi0EELi0ELi1ELi4ELi1EEEviiP15ncclDevWorkColl
; %bb.0:
	s_waitcnt vmcnt(0) expcnt(0) lgkmcnt(0)
	s_mov_b32 s0, s33
	s_mov_b32 s33, s32
	s_or_saveexec_b64 s[2:3], -1
	scratch_store_dword off, v127, s33 offset:508 ; 4-byte Folded Spill
	scratch_store_dword off, v126, s33 offset:512 ; 4-byte Folded Spill
	s_mov_b64 exec, s[2:3]
	v_writelane_b32 v127, s0, 34
	s_addk_i32 s32, 0x210
	scratch_store_dword off, v40, s33 offset:180 ; 4-byte Folded Spill
	scratch_store_dword off, v41, s33 offset:176 ; 4-byte Folded Spill
	;; [unrolled: 1-line block ×45, first 2 shown]
	scratch_store_dword off, v125, s33      ; 4-byte Folded Spill
	v_writelane_b32 v127, s34, 0
	v_writelane_b32 v127, s35, 1
	;; [unrolled: 1-line block ×33, first 2 shown]
	s_nop 1
	v_writelane_b32 v127, s31, 33
	s_trap 2
	flat_load_dword v5, v[2:3]
	ds_read_b32 v6, v0
                                        ; implicit-def: $vgpr18_vgpr19
                                        ; implicit-def: $vgpr8_vgpr9
                                        ; kill: killed $vgpr8_vgpr9
                                        ; implicit-def: $vgpr82_vgpr83
	s_waitcnt lgkmcnt(0)
	v_readfirstlane_b32 s70, v6
	s_waitcnt vmcnt(0)
	v_cmp_ne_u32_sdwa s[0:1], v6, v5 src0_sel:DWORD src1_sel:BYTE_0
	s_and_saveexec_b64 s[2:3], s[0:1]
	s_xor_b64 s[0:1], exec, s[2:3]
	s_cbranch_execz .LBB35_6
; %bb.1:
	v_not_b32_sdwa v4, v5 dst_sel:DWORD dst_unused:UNUSED_PAD src0_sel:BYTE_0
	v_cmp_ne_u32_sdwa s[2:3], v6, v5 src0_sel:DWORD src1_sel:BYTE_1
                                        ; implicit-def: $vgpr18_vgpr19
                                        ; implicit-def: $vgpr8_vgpr9
                                        ; kill: killed $vgpr8_vgpr9
                                        ; implicit-def: $vgpr82_vgpr83
	s_and_saveexec_b64 s[4:5], s[2:3]
	s_xor_b64 s[2:3], exec, s[4:5]
	s_cbranch_execz .LBB35_3
; %bb.2:
	flat_load_dwordx4 v[8:11], v[2:3] offset:72
	flat_load_dwordx2 v[12:13], v[2:3] offset:96
	v_add_u32_e32 v4, v6, v4
	v_ashrrev_i32_e32 v5, 31, v4
	s_waitcnt vmcnt(0) lgkmcnt(0)
	v_mul_lo_u32 v5, v10, v5
	v_mad_u64_u32 v[6:7], s[4:5], v10, v4, v[8:9]
	v_mul_lo_u32 v4, v11, v4
	v_add3_u32 v7, v4, v7, v5
	v_lshrrev_b64 v[18:19], 13, v[12:13]
	scratch_store_dwordx2 off, v[6:7], s33 offset:424 ; 8-byte Folded Spill
	v_mov_b64_e32 v[82:83], v[10:11]
                                        ; implicit-def: $vgpr5
                                        ; implicit-def: $vgpr4
.LBB35_3:
	s_andn2_saveexec_b64 s[2:3], s[2:3]
	s_cbranch_execz .LBB35_5
; %bb.4:
	flat_load_dwordx4 v[6:9], v[2:3] offset:72
	flat_load_dwordx4 v[82:85], v[2:3] offset:88
	v_add_u32_sdwa v5, v5, v4 dst_sel:DWORD dst_unused:UNUSED_PAD src0_sel:BYTE_1 src1_sel:DWORD
	v_ashrrev_i32_e32 v4, 31, v5
	s_waitcnt vmcnt(0) lgkmcnt(0)
	v_mul_lo_u32 v4, v8, v4
	v_mad_u64_u32 v[6:7], s[4:5], v8, v5, v[6:7]
	v_mul_lo_u32 v5, v9, v5
	v_add3_u32 v7, v5, v7, v4
	v_lshrrev_b32_e32 v18, 2, v85
	scratch_store_dwordx2 off, v[6:7], s33 offset:424 ; 8-byte Folded Spill
.LBB35_5:
	s_or_b64 exec, exec, s[2:3]
.LBB35_6:
	s_andn2_saveexec_b64 s[0:1], s[0:1]
	s_cbranch_execz .LBB35_8
; %bb.7:
	flat_load_dwordx2 v[4:5], v[2:3] offset:96
	flat_load_dwordx2 v[82:83], v[2:3] offset:72
	s_waitcnt vmcnt(0) lgkmcnt(0)
	v_lshlrev_b64 v[18:19], 8, v[4:5]
	v_mov_b64_e32 v[4:5], 0
	scratch_store_dwordx2 off, v[4:5], s33 offset:424 ; 8-byte Folded Spill
.LBB35_8:
	s_or_b64 exec, exec, s[0:1]
	s_trap 2
	ds_read_b64 v[4:5], v0
	s_waitcnt lgkmcnt(0)
	v_cmp_ne_u32_e32 vcc, -1, v4
	s_nop 1
	v_cndmask_b32_e64 v19, 0, 1, vcc
	v_cmp_ne_u32_e32 vcc, -1, v5
	s_nop 1
	v_addc_co_u32_e64 v6, s[0:1], 0, v19, vcc
	v_lshlrev_b32_e32 v4, 1, v6
	v_cmp_le_u32_e64 s[0:1], v4, v1
	s_and_saveexec_b64 s[2:3], s[0:1]
	s_xor_b64 s[2:3], exec, s[2:3]
                                        ; implicit-def: $vgpr126 : SGPR spill to VGPR lane
	v_writelane_b32 v126, s2, 0
	s_nop 1
	v_writelane_b32 v126, s3, 1
	s_cbranch_execz .LBB35_3646
; %bb.9:
	flat_load_dwordx4 v[10:13], v[2:3] offset:16
	flat_load_dwordx2 v[14:15], v[2:3] offset:104
	flat_load_ushort v5, v[2:3] offset:8
	flat_load_dword v4, v[2:3] offset:4
	s_trap 2
	s_load_dword s0, s[8:9], 0x0
	v_mov_b32_e32 v7, 0
	v_mov_b32_e32 v106, 4
	s_waitcnt lgkmcnt(0)
	s_cmp_lt_u32 s12, s0
	s_cselect_b32 s0, 12, 18
	s_add_u32 s0, s8, s0
	s_addc_u32 s1, s9, 0
	global_load_ushort v20, v7, s[0:1]
	ds_read_b32 v7, v0
	v_cmp_ge_u32_e64 s[0:1], v0, v19
	s_waitcnt lgkmcnt(0)
	v_readfirstlane_b32 s12, v7
	s_and_saveexec_b64 s[2:3], s[0:1]
	s_cbranch_execz .LBB35_19
; %bb.10:
	v_cmp_ge_u32_e64 s[0:1], v0, v6
                                        ; implicit-def: $vgpr106
	s_and_saveexec_b64 s[4:5], s[0:1]
	s_xor_b64 s[0:1], exec, s[4:5]
	s_cbranch_execz .LBB35_16
; %bb.11:
	v_cndmask_b32_e64 v7, 0, 1, vcc
	v_sub_u32_e32 v7, v1, v7
	v_cmp_ge_u32_e32 vcc, v0, v7
	s_and_saveexec_b64 s[4:5], vcc
	s_xor_b64 s[4:5], exec, s[4:5]
; %bb.12:
                                        ; implicit-def: $vgpr6
; %bb.13:
	s_or_saveexec_b64 s[4:5], s[4:5]
	v_mov_b32_e32 v106, 16
	s_xor_b64 exec, exec, s[4:5]
; %bb.14:
	v_sub_u32_e32 v6, v1, v6
	v_cmp_lt_i32_e32 vcc, v0, v6
	s_nop 1
	v_cndmask_b32_e64 v106, 32, 0, vcc
; %bb.15:
	s_or_b64 exec, exec, s[4:5]
.LBB35_16:
	s_andn2_saveexec_b64 s[0:1], s[0:1]
; %bb.17:
	v_mov_b32_e32 v106, 8
; %bb.18:
	s_or_b64 exec, exec, s[0:1]
.LBB35_19:
	s_or_b64 exec, exec, s[2:3]
	v_and_b32_e32 v6, 36, v106
	v_cmp_ne_u32_e32 vcc, 0, v6
	v_mov_b32_e32 v8, -1
	s_and_saveexec_b64 s[0:1], vcc
	s_cbranch_execz .LBB35_21
; %bb.20:
	s_trap 2
	ds_read_b32 v8, v0
.LBB35_21:
	s_or_b64 exec, exec, s[0:1]
	v_and_b32_e32 v6, 24, v106
	v_cmp_ne_u32_e64 s[0:1], 0, v6
	s_and_saveexec_b64 s[2:3], s[0:1]
	s_cbranch_execz .LBB35_23
; %bb.22:
	s_trap 2
	s_waitcnt lgkmcnt(0)
	ds_read_b32 v8, v0
.LBB35_23:
	s_or_b64 exec, exec, s[2:3]
	s_waitcnt vmcnt(0)
	v_lshrrev_b64 v[4:5], 31, v[4:5]
	v_and_b32_e32 v6, 3, v4
	v_mov_b64_e32 v[4:5], 0
	scratch_store_dwordx2 off, v[4:5], s33 offset:472 ; 8-byte Folded Spill
                                        ; implicit-def: $vgpr4_vgpr5
	s_waitcnt lgkmcnt(0)
	v_ashrrev_i32_e32 v9, 31, v8
                                        ; kill: killed $vgpr4_vgpr5
                                        ; implicit-def: $vgpr4
	v_mov_b64_e32 v[16:17], 0
	scratch_store_dwordx2 off, v[4:5], s33 offset:360 ; 8-byte Folded Spill
                                        ; implicit-def: $vgpr4_vgpr5
	scratch_store_dwordx4 off, v[16:19], s33 offset:288 ; 16-byte Folded Spill
                                        ; implicit-def: $vgpr16_vgpr17
                                        ; kill: killed $vgpr16_vgpr17
                                        ; implicit-def: $vgpr46_vgpr47
                                        ; implicit-def: $vgpr40_vgpr41
	s_and_saveexec_b64 s[0:1], vcc
	s_cbranch_execz .LBB35_33
; %bb.24:
	s_trap 2
	ds_read_b64 v[4:5], v0
	v_and_b32_e32 v7, 0xffff, v6
	s_movk_i32 s2, 0xa8
	s_waitcnt lgkmcnt(0)
	v_lshl_add_u64 v[4:5], v[8:9], 3, v[4:5]
	flat_load_dwordx2 v[4:5], v[4:5]
	s_waitcnt vmcnt(0) lgkmcnt(0)
	v_mad_u64_u32 v[16:17], s[2:3], v7, s2, v[4:5]
	flat_load_dword v4, v[16:17] offset:640
	s_waitcnt vmcnt(0) lgkmcnt(0)
	v_cmp_eq_u32_e32 vcc, 1, v4
                                        ; implicit-def: $vgpr4_vgpr5
                                        ; kill: killed $vgpr4_vgpr5
	s_and_saveexec_b64 s[2:3], vcc
	s_cbranch_execz .LBB35_26
; %bb.25:
	flat_load_dwordx2 v[22:23], v[16:17] offset:648
	v_or_b32_e32 v106, 0x2000, v106
	s_waitcnt vmcnt(0) lgkmcnt(0)
	flat_load_dwordx2 v[4:5], v[22:23]
	s_trap 2
	scratch_store_dwordx2 off, v[22:23], s33 offset:500 ; 8-byte Folded Spill
	s_waitcnt vmcnt(0) lgkmcnt(0)
	ds_write_b64 v0, v[4:5]
	flat_load_dwordx2 v[4:5], v[22:23] offset:8
	s_waitcnt vmcnt(0) lgkmcnt(0)
	ds_write_b64 v0, v[4:5]
	flat_load_dwordx2 v[4:5], v[22:23] offset:16
	s_waitcnt vmcnt(0) lgkmcnt(0)
	ds_write_b64 v0, v[4:5]
.LBB35_26:
	s_or_b64 exec, exec, s[2:3]
	flat_load_dwordx2 v[4:5], v[16:17] offset:608
	v_and_b32_e32 v7, 32, v106
	v_cmp_ne_u32_e32 vcc, 0, v7
                                        ; implicit-def: $vgpr40_vgpr41
	s_waitcnt vmcnt(0) lgkmcnt(0)
	v_lshl_add_u64 v[4:5], v[4:5], 0, 3
	v_and_b32_e32 v4, -4, v4
	s_and_saveexec_b64 s[2:3], vcc
	s_cbranch_execz .LBB35_28
; %bb.27:
	flat_load_dwordx2 v[40:41], v[16:17] offset:560
	s_waitcnt vmcnt(0) lgkmcnt(0)
	flat_store_dwordx2 v[40:41], v[4:5] sc0 sc1
.LBB35_28:
	s_or_b64 exec, exec, s[2:3]
	s_mov_b64 s[2:3], 0x1f8
	v_lshl_add_u64 v[22:23], v[16:17], 0, s[2:3]
	scratch_store_dwordx2 off, v[22:23], s33 offset:472 ; 8-byte Folded Spill
	v_and_b32_e32 v7, 4, v106
	v_mov_b64_e32 v[22:23], 0
	v_cmp_ne_u32_e32 vcc, 0, v7
	scratch_store_dwordx4 off, v[22:25], s33 offset:288 ; 16-byte Folded Spill
                                        ; implicit-def: $vgpr22
	scratch_store_dwordx2 off, v[22:23], s33 offset:360 ; 8-byte Folded Spill
                                        ; implicit-def: $vgpr22_vgpr23
                                        ; kill: killed $vgpr22_vgpr23
                                        ; implicit-def: $vgpr46_vgpr47
	s_and_saveexec_b64 s[2:3], vcc
	s_cbranch_execz .LBB35_32
; %bb.29:
	v_and_b32_e32 v7, 0x800, v106
	v_cmp_eq_u32_e32 vcc, 0, v7
	s_and_saveexec_b64 s[4:5], vcc
	s_cbranch_execz .LBB35_31
; %bb.30:
	s_trap 2
	scratch_load_dwordx2 v[22:23], off, s33 offset:472 ; 8-byte Folded Reload
	s_waitcnt vmcnt(0)
	ds_write_b64 v0, v[22:23]
.LBB35_31:
	s_or_b64 exec, exec, s[4:5]
	flat_load_dwordx2 v[40:41], v[16:17] offset:552
                                        ; kill: killed $vgpr16_vgpr17
	s_waitcnt vmcnt(0) lgkmcnt(0)
	flat_load_dwordx2 v[46:47], v[40:41] sc0 sc1
	flat_load_dword v7, v[16:17] offset:576
	flat_load_dwordx2 v[24:25], v[16:17] offset:600
	flat_load_dwordx2 v[22:23], v[16:17] offset:520
	v_or_b32_e32 v16, 0x100, v106
	s_waitcnt vmcnt(0) lgkmcnt(0)
	v_cmp_eq_u64_e32 vcc, 0, v[24:25]
	scratch_store_dwordx2 off, v[22:23], s33 offset:272 ; 8-byte Folded Spill
	v_ashrrev_i32_e32 v22, 1, v7
	scratch_store_dwordx2 off, v[22:23], s33 offset:360 ; 8-byte Folded Spill
	v_mov_b64_e32 v[22:23], v[24:25]
	v_cndmask_b32_e32 v106, v16, v106, vcc
	scratch_store_dwordx4 off, v[22:25], s33 offset:288 ; 16-byte Folded Spill
.LBB35_32:
	s_or_b64 exec, exec, s[2:3]
.LBB35_33:
	s_or_b64 exec, exec, s[0:1]
	v_and_b32_e32 v7, 24, v106
	v_cmp_ne_u32_e32 vcc, 0, v7
                                        ; implicit-def: $vgpr16_vgpr17
                                        ; kill: killed $vgpr16_vgpr17
	s_and_saveexec_b64 s[0:1], vcc
	s_cbranch_execz .LBB35_41
; %bb.34:
	s_trap 2
	ds_read_b64 v[4:5], v0
	v_and_b32_e32 v6, 0xffff, v6
	s_movk_i32 s2, 0xa8
	s_waitcnt lgkmcnt(0)
	v_lshl_add_u64 v[4:5], v[8:9], 3, v[4:5]
	flat_load_dwordx2 v[4:5], v[4:5]
	s_waitcnt vmcnt(0) lgkmcnt(0)
	v_mad_u64_u32 v[4:5], s[2:3], v6, s2, v[4:5]
	flat_load_dwordx4 v[6:9], v[4:5] offset:96
	s_waitcnt vmcnt(0) lgkmcnt(0)
	v_cmp_eq_u64_e32 vcc, 0, v[6:7]
	scratch_store_dwordx2 off, v[4:5], s33 offset:472 ; 8-byte Folded Spill
	v_or_b32_e32 v4, 0x100, v106
	v_cndmask_b32_e32 v106, v4, v106, vcc
	v_and_b32_e32 v4, 16, v106
	v_cmp_ne_u32_e32 vcc, 0, v4
	scratch_store_dwordx4 off, v[6:9], s33 offset:288 ; 16-byte Folded Spill
                                        ; implicit-def: $vgpr4_vgpr5
                                        ; kill: killed $vgpr4_vgpr5
	s_and_saveexec_b64 s[2:3], vcc
	s_cbranch_execz .LBB35_36
; %bb.35:
	scratch_load_dwordx2 v[4:5], off, s33 offset:472 ; 8-byte Folded Reload
	s_waitcnt vmcnt(0)
	flat_load_dwordx2 v[40:41], v[4:5] offset:48
	flat_load_dwordx2 v[6:7], v[4:5] offset:120
	s_nop 0
	flat_load_dwordx2 v[4:5], v[4:5] offset:16
	s_waitcnt vmcnt(0) lgkmcnt(0)
	scratch_store_dwordx2 off, v[6:7], s33 offset:304 ; 8-byte Folded Spill
	scratch_store_dwordx2 off, v[4:5], s33 offset:272 ; 8-byte Folded Spill
.LBB35_36:
	s_or_b64 exec, exec, s[2:3]
	scratch_load_dwordx4 v[4:7], off, s33 offset:288 ; 16-byte Folded Reload
	s_waitcnt vmcnt(0)
	v_lshl_add_u64 v[4:5], v[6:7], 0, 3
	v_and_b32_e32 v6, 8, v106
	v_and_b32_e32 v4, -4, v4
	v_cmp_ne_u32_e32 vcc, 0, v6
	s_and_saveexec_b64 s[2:3], vcc
	s_cbranch_execz .LBB35_40
; %bb.37:
	v_and_b32_e32 v6, 0x800, v106
	v_cmp_eq_u32_e32 vcc, 0, v6
	s_and_saveexec_b64 s[4:5], vcc
	s_cbranch_execz .LBB35_39
; %bb.38:
	s_trap 2
	scratch_load_dwordx2 v[6:7], off, s33 offset:472 ; 8-byte Folded Reload
	s_waitcnt vmcnt(0)
	ds_write_b64 v0, v[6:7]
.LBB35_39:
	s_or_b64 exec, exec, s[4:5]
	scratch_load_dwordx2 v[8:9], off, s33 offset:472 ; 8-byte Folded Reload
	s_waitcnt vmcnt(0)
	flat_load_dwordx2 v[40:41], v[8:9] offset:56
	s_waitcnt vmcnt(0) lgkmcnt(0)
	flat_load_dwordx2 v[46:47], v[40:41] sc0 sc1
	flat_load_dword v6, v[8:9] offset:72
	s_nop 0
	flat_load_dwordx2 v[8:9], v[8:9] offset:16
	s_waitcnt vmcnt(0) lgkmcnt(0)
	v_ashrrev_i32_e32 v6, 1, v6
	scratch_store_dwordx2 off, v[8:9], s33 offset:272 ; 8-byte Folded Spill
	scratch_store_dwordx2 off, v[6:7], s33 offset:360 ; 8-byte Folded Spill
.LBB35_40:
	s_or_b64 exec, exec, s[2:3]
.LBB35_41:
	s_or_b64 exec, exec, s[0:1]
	v_cmp_eq_u32_e64 s[0:1], 0, v0
	s_and_saveexec_b64 s[2:3], s[0:1]
	s_cbranch_execz .LBB35_43
; %bb.42:
	flat_load_dwordx2 v[6:7], v[2:3] offset:32
	v_mov_b32_e32 v8, v12
	v_mov_b32_e32 v9, v13
	ds_write2_b64 v0, v[8:9], v[10:11] offset1:1
	s_trap 2
	s_waitcnt vmcnt(0) lgkmcnt(0)
	ds_write_b64 v0, v[6:7]
	ds_write_b64 v0, v[14:15]
.LBB35_43:
	s_or_b64 exec, exec, s[2:3]
	v_mov_b64_e32 v[56:57], 0
	s_trap 2
	v_cmp_lt_i64_e32 vcc, 0, v[82:83]
	s_mov_b64 s[2:3], exec
	v_writelane_b32 v126, s2, 2
	s_nop 1
	v_writelane_b32 v126, s3, 3
	s_and_b64 s[2:3], s[2:3], vcc
	s_mov_b64 exec, s[2:3]
	s_cbranch_execz .LBB35_3612
; %bb.44:
	scratch_load_dwordx2 v[8:9], off, s33 offset:360 ; 8-byte Folded Reload
	flat_load_dword v6, v[2:3] offset:4
	s_ashr_i32 s13, s12, 31
	scratch_store_dword off, v20, s33 offset:484 ; 4-byte Folded Spill
	scratch_store_dword off, v31, s33 offset:488 ; 4-byte Folded Spill
	s_lshr_b32 s13, s13, 29
	s_add_i32 s12, s12, s13
	s_ashr_i32 s71, s70, 31
	s_ashr_i32 s13, s12, 4
	s_add_u32 s36, s70, -1
	s_addc_u32 s37, s71, -1
	s_add_i32 s82, s70, s70
	s_not_b32 s22, s70
	v_mov_b32_e32 v7, v0
	s_cmp_gt_i32 s70, 0
	v_writelane_b32 v126, s8, 4
	v_and_b32_e32 v2, 0x1fffff00, v18
	v_and_b32_e32 v0, 63, v31
	v_mov_b32_e32 v31, v7
	s_cselect_b32 s22, s22, -1
	s_ashr_i32 s12, s12, 31
	v_writelane_b32 v126, s9, 5
	v_and_b32_e32 v10, 63, v31
	s_lshr_b32 s12, s12, 29
	v_cmp_ge_u32_e64 s[2:3], v7, v1
	v_lshrrev_b32_e32 v60, 6, v1
	v_lshrrev_b32_e32 v11, 6, v31
	v_mov_b32_e32 v7, 0xffffe000
	s_add_i32 s83, s22, s82
	s_add_i32 s13, s13, s12
	v_lshl_add_u32 v14, v60, 13, v7
	s_ashr_i32 s84, s83, 31
	s_ashr_i32 s85, s13, 3
	v_mov_b32_e32 v3, 0
	s_mov_b64 s[88:89], 0x2000
	v_ashrrev_i32_e32 v15, 31, v14
	s_cmp_gt_i32 s70, 2
	v_cmp_eq_u32_e64 s[16:17], 0, v10
	v_cmp_lt_u32_e64 s[18:19], v10, v19
	v_lshlrev_b32_e32 v16, 11, v60
	v_lshlrev_b32_e32 v58, 7, v60
	v_cmp_le_u32_e64 s[20:21], v10, v19
	v_mov_b32_e32 v19, v3
	s_cselect_b64 s[38:39], -1, 0
	s_add_i32 s86, s33, 0xf0
	s_add_i32 s87, s33, 0xd0
	v_mov_b32_e32 v17, v3
	s_add_i32 s12, s70, 1
	v_mov_b32_e32 v13, v3
	v_add_u32_e32 v104, 0xffffff80, v58
	v_cmp_ne_u32_sdwa s[78:79], v1, v20 src0_sel:DWORD src1_sel:WORD_0
	s_mov_b64 s[94:95], 0x80
	v_lshlrev_b32_e32 v84, 10, v60
	v_add_u32_e32 v94, 0xfffff800, v16
	v_ashrrev_i32_e32 v105, 31, v104
	v_cmp_eq_u32_e64 s[4:5], 64, v1
	v_cmp_ne_u32_e64 s[6:7], 64, v1
	s_mov_b64 s[92:93], 0x800
	s_mov_b64 s[34:35], 0x1000
	v_add_u32_e32 v92, 0xfffffc00, v84
	v_ashrrev_i32_e32 v95, 31, v94
	s_mov_b32 s77, 0
	s_movk_i32 s80, 0xfc00
	s_mov_b64 s[90:91], 0x400
	s_movk_i32 s81, 0xff80
	s_mov_b64 s[30:31], 0
	v_mov_b32_e32 v61, v3
	v_ashrrev_i32_e32 v93, 31, v92
	v_lshl_add_u64 v[120:121], v[94:95], 0, s[92:93]
	v_mov_b32_e32 v85, v3
	s_movk_i32 s75, 0x1000
	s_movk_i32 s50, 0x108
	s_mov_b32 s51, 0x7f800000
	s_movk_i32 s72, 0x7fff
	s_mov_b32 s73, 0xffff0000
	v_mov_b64_e32 v[98:99], 0
	v_mov_b64_e32 v[56:57], 0
	;; [unrolled: 1-line block ×3, first 2 shown]
	v_mov_b32_e32 v107, v58
	v_lshl_add_u64 v[86:87], v[92:93], 0, s[90:91]
	s_waitcnt vmcnt(0)
	v_ashrrev_i32_e32 v9, 31, v8
	scratch_store_dwordx2 off, v[8:9], s33 offset:384 ; 8-byte Folded Spill
	s_trap 2
	scratch_load_dwordx2 v[8:9], off, s33 offset:304 ; 8-byte Folded Reload
	v_mov_b32_e32 v97, v3
	scratch_store_dwordx2 off, v[14:15], s33 offset:456 ; 8-byte Folded Spill
	v_lshl_add_u64 v[14:15], v[14:15], 0, s[88:89]
	scratch_store_dwordx2 off, v[14:15], s33 offset:336 ; 8-byte Folded Spill
	s_waitcnt vmcnt(0)
	v_cmp_eq_u64_e64 s[10:11], 0, v[8:9]
	v_cmp_ne_u64_e64 s[8:9], 0, v[8:9]
	v_mad_i64_i32 v[8:9], s[14:15], v2, s70, 0
	v_cmp_eq_u32_e64 s[14:15], 0, v0
	v_lshlrev_b32_e32 v0, 4, v10
	v_lshl_or_b32 v12, v11, 13, v0
	v_lshl_or_b32 v18, v11, 12, v0
	s_waitcnt lgkmcnt(0)
	v_and_b32_e32 v0, 1, v6
	v_cmp_eq_u32_e64 s[22:23], 1, v0
	v_lshlrev_b32_e32 v10, 12, v60
	v_mov_b64_e32 v[6:7], v[8:9]
	s_xor_b64 s[48:49], s[22:23], -1
	v_mov_b32_e32 v11, v3
	v_lshlrev_b32_e32 v0, 1, v1
	v_or_b32_e32 v8, 0xc00, v18
	v_mov_b32_e32 v9, v3
	scratch_store_dwordx2 off, v[10:11], s33 offset:328 ; 8-byte Folded Spill
	scratch_store_dwordx2 off, v[16:17], s33 offset:280 ; 8-byte Folded Spill
	scratch_store_dword off, v1, s33 offset:480 ; 4-byte Folded Spill
	v_and_b32_e32 v96, 0x7f80, v0
	s_cmp_ge_i32 s12, s70
	scratch_store_dwordx2 off, v[18:19], s33 offset:320 ; 8-byte Folded Spill
	scratch_store_dwordx2 off, v[8:9], s33 offset:492 ; 8-byte Folded Spill
	;; [unrolled: 1-line block ×3, first 2 shown]
	v_or_b32_e32 v8, 0x1c00, v12
	v_add_u32_e32 v20, 0xfffff000, v10
	v_add_u32_e32 v0, 0xffffff80, v96
	s_cselect_b32 s13, s70, 0
	scratch_store_dwordx2 off, v[8:9], s33 offset:464 ; 8-byte Folded Spill
	v_mov_b32_e32 v8, v3
	v_ashrrev_i32_e32 v21, 31, v20
	v_ashrrev_i32_e32 v1, 31, v0
	s_sub_i32 s96, s12, s13
	scratch_store_dwordx2 off, v[8:9], s33 offset:392 ; 8-byte Folded Spill
	v_lshl_add_u64 v[8:9], v[104:105], 0, s[94:95]
	s_ashr_i32 s97, s96, 31
	s_add_i32 s74, s70, -2
	scratch_store_dwordx2 off, v[8:9], s33 offset:416 ; 8-byte Folded Spill
	scratch_store_dwordx2 off, v[20:21], s33 offset:264 ; 8-byte Folded Spill
	v_lshl_add_u64 v[116:117], v[20:21], 0, s[34:35]
	scratch_store_dwordx2 off, v[0:1], s33 offset:368 ; 8-byte Folded Spill
	v_lshl_add_u64 v[0:1], v[0:1], 0, s[94:95]
	scratch_store_dwordx2 off, v[0:1], s33 offset:376 ; 8-byte Folded Spill
	scratch_store_dwordx2 off, v[6:7], s33 offset:448 ; 8-byte Folded Spill
	scratch_store_dwordx4 off, v[82:85], s33 offset:432 ; 16-byte Folded Spill
	scratch_store_dwordx2 off, v[84:85], s33 offset:256 ; 8-byte Folded Spill
	scratch_store_dwordx2 off, v[86:87], s33 offset:312 ; 8-byte Folded Spill
	;; [unrolled: 1-line block ×3, first 2 shown]
	s_branch .LBB35_47
.LBB35_45:                              ;   in Loop: Header=BB35_47 Depth=1
	s_or_b64 exec, exec, s[24:25]
.LBB35_46:                              ;   in Loop: Header=BB35_47 Depth=1
	s_or_b64 exec, exec, s[26:27]
	scratch_load_dwordx2 v[6:7], off, s33 offset:448 ; 8-byte Folded Reload
	s_waitcnt vmcnt(0)
	v_lshl_add_u64 v[98:99], v[98:99], 0, v[6:7]
	v_cmp_ge_i64_e32 vcc, v[98:99], v[82:83]
	s_or_b64 s[30:31], vcc, s[30:31]
	s_andn2_b64 exec, exec, s[30:31]
	s_cbranch_execz .LBB35_3611
.LBB35_47:                              ; =>This Loop Header: Depth=1
                                        ;     Child Loop BB35_62 Depth 2
                                        ;     Child Loop BB35_86 Depth 2
	;; [unrolled: 1-line block ×13, first 2 shown]
                                        ;       Child Loop BB35_305 Depth 3
                                        ;       Child Loop BB35_333 Depth 3
	;; [unrolled: 1-line block ×5, first 2 shown]
                                        ;         Child Loop BB35_779 Depth 4
                                        ;         Child Loop BB35_816 Depth 4
                                        ;       Child Loop BB35_893 Depth 3
                                        ;       Child Loop BB35_1096 Depth 3
                                        ;         Child Loop BB35_1097 Depth 4
                                        ;         Child Loop BB35_1106 Depth 4
                                        ;       Child Loop BB35_1125 Depth 3
                                        ;       Child Loop BB35_1144 Depth 3
	;; [unrolled: 1-line block ×5, first 2 shown]
                                        ;     Child Loop BB35_1246 Depth 2
                                        ;     Child Loop BB35_1281 Depth 2
	;; [unrolled: 1-line block ×9, first 2 shown]
                                        ;       Child Loop BB35_1682 Depth 3
                                        ;     Child Loop BB35_1690 Depth 2
                                        ;     Child Loop BB35_1822 Depth 2
                                        ;       Child Loop BB35_1827 Depth 3
                                        ;     Child Loop BB35_2283 Depth 2
                                        ;     Child Loop BB35_2306 Depth 2
                                        ;     Child Loop BB35_1253 Depth 2
                                        ;     Child Loop BB35_1309 Depth 2
                                        ;     Child Loop BB35_1351 Depth 2
                                        ;     Child Loop BB35_2324 Depth 2
                                        ;       Child Loop BB35_2337 Depth 3
                                        ;       Child Loop BB35_2377 Depth 3
	;; [unrolled: 1-line block ×9, first 2 shown]
                                        ;         Child Loop BB35_2618 Depth 4
                                        ;       Child Loop BB35_2626 Depth 3
                                        ;       Child Loop BB35_2694 Depth 3
                                        ;         Child Loop BB35_2695 Depth 4
                                        ;       Child Loop BB35_3051 Depth 3
                                        ;       Child Loop BB35_3070 Depth 3
	;; [unrolled: 1-line block ×5, first 2 shown]
                                        ;     Child Loop BB35_3097 Depth 2
                                        ;     Child Loop BB35_3121 Depth 2
	;; [unrolled: 1-line block ×12, first 2 shown]
	v_sub_co_u32_e32 v72, vcc, v82, v98
	scratch_store_dwordx2 off, v[98:99], s33 offset:400 ; 8-byte Folded Spill
	s_nop 0
	v_subb_co_u32_e32 v73, vcc, v83, v99, vcc
	v_cmp_lt_i64_e32 vcc, v[72:73], v[6:7]
	s_and_saveexec_b64 s[26:27], vcc
	s_cbranch_execz .LBB35_53
; %bb.48:                               ;   in Loop: Header=BB35_47 Depth=1
	v_lshl_add_u64 v[0:1], s[36:37], 0, v[72:73]
	v_or_b32_e32 v7, s71, v1
	v_mov_b32_e32 v6, v3
	v_cmp_ne_u64_e32 vcc, 0, v[6:7]
                                        ; implicit-def: $vgpr8_vgpr9
	s_and_saveexec_b64 s[12:13], vcc
	s_xor_b64 s[28:29], exec, s[12:13]
	s_cbranch_execz .LBB35_50
; %bb.49:                               ;   in Loop: Header=BB35_47 Depth=1
	s_ashr_i32 s40, s71, 31
	s_add_u32 s12, s70, s40
	s_mov_b32 s41, s40
	s_addc_u32 s13, s71, s40
	s_xor_b64 s[42:43], s[12:13], s[40:41]
	v_cvt_f32_u32_e32 v2, s42
	v_cvt_f32_u32_e32 v6, s43
	s_sub_u32 s24, 0, s42
	s_subb_u32 s25, 0, s43
	v_fmac_f32_e32 v2, 0x4f800000, v6
	v_rcp_f32_e32 v2, v2
	s_nop 0
	v_mul_f32_e32 v2, 0x5f7ffffc, v2
	v_mul_f32_e32 v6, 0x2f800000, v2
	v_trunc_f32_e32 v6, v6
	v_fmac_f32_e32 v2, 0xcf800000, v6
	v_cvt_u32_f32_e32 v6, v6
	v_cvt_u32_f32_e32 v2, v2
	v_readfirstlane_b32 s41, v6
	v_readfirstlane_b32 s12, v2
	s_mul_i32 s13, s24, s41
	s_mul_hi_u32 s45, s24, s12
	s_mul_i32 s44, s25, s12
	s_add_i32 s13, s45, s13
	s_add_i32 s13, s13, s44
	s_mul_i32 s46, s24, s12
	s_mul_i32 s45, s12, s13
	s_mul_hi_u32 s47, s12, s46
	s_mul_hi_u32 s44, s12, s13
	s_add_u32 s45, s47, s45
	s_addc_u32 s44, 0, s44
	s_mul_hi_u32 s56, s41, s46
	s_mul_i32 s46, s41, s46
	s_add_u32 s45, s45, s46
	s_mul_hi_u32 s47, s41, s13
	s_addc_u32 s44, s44, s56
	s_addc_u32 s45, s47, 0
	s_mul_i32 s13, s41, s13
	s_add_u32 s13, s44, s13
	s_addc_u32 s44, 0, s45
	s_add_u32 s45, s12, s13
	s_cselect_b64 s[12:13], -1, 0
	s_cmp_lg_u64 s[12:13], 0
	s_addc_u32 s41, s41, s44
	s_mul_i32 s12, s24, s41
	s_mul_hi_u32 s13, s24, s45
	s_add_i32 s12, s13, s12
	s_mul_i32 s25, s25, s45
	s_add_i32 s12, s12, s25
	s_mul_i32 s24, s24, s45
	s_mul_hi_u32 s25, s41, s24
	s_mul_i32 s44, s41, s24
	s_mul_i32 s47, s45, s12
	s_mul_hi_u32 s24, s45, s24
	s_mul_hi_u32 s46, s45, s12
	s_add_u32 s24, s24, s47
	s_addc_u32 s46, 0, s46
	s_add_u32 s24, s24, s44
	s_mul_hi_u32 s13, s41, s12
	s_addc_u32 s24, s46, s25
	s_addc_u32 s13, s13, 0
	s_mul_i32 s12, s41, s12
	s_add_u32 s12, s24, s12
	s_addc_u32 s24, 0, s13
	s_add_u32 s25, s45, s12
	v_ashrrev_i32_e32 v6, 31, v1
	s_cselect_b64 s[12:13], -1, 0
	v_mov_b32_e32 v7, v6
	s_cmp_lg_u64 s[12:13], 0
	v_lshl_add_u64 v[0:1], v[0:1], 0, v[6:7]
	s_addc_u32 s24, s41, s24
	v_xor_b32_e32 v12, v0, v6
	v_xor_b32_e32 v7, v1, v6
	v_mad_u64_u32 v[0:1], s[12:13], v12, s24, 0
	v_mul_hi_u32 v2, v12, s25
	v_lshl_add_u64 v[0:1], v[2:3], 0, v[0:1]
	v_mad_u64_u32 v[10:11], s[12:13], v7, s25, 0
	v_add_co_u32_e32 v0, vcc, v0, v10
	v_mad_u64_u32 v[8:9], s[12:13], v7, s24, 0
	s_nop 0
	v_addc_co_u32_e32 v2, vcc, v1, v11, vcc
	s_nop 1
	v_addc_co_u32_e32 v9, vcc, 0, v9, vcc
	v_lshl_add_u64 v[0:1], v[2:3], 0, v[8:9]
	v_mul_lo_u32 v2, s43, v0
	v_mul_lo_u32 v10, s42, v1
	v_mad_u64_u32 v[8:9], s[12:13], s42, v0, 0
	v_add3_u32 v2, v9, v10, v2
	v_sub_u32_e32 v9, v7, v2
	v_mov_b32_e32 v10, s43
	v_sub_co_u32_e32 v12, vcc, v12, v8
	s_nop 1
	v_subb_co_u32_e64 v8, s[24:25], v9, v10, vcc
	v_subrev_co_u32_e64 v9, s[24:25], s42, v12
	v_subb_co_u32_e32 v2, vcc, v7, v2, vcc
	s_nop 0
	v_subbrev_co_u32_e64 v8, s[24:25], 0, v8, s[24:25]
	v_cmp_le_u32_e64 s[24:25], s43, v8
	v_cmp_le_u32_e32 vcc, s43, v2
	s_nop 0
	v_cndmask_b32_e64 v10, 0, -1, s[24:25]
	v_cmp_le_u32_e64 s[24:25], s42, v9
	v_cndmask_b32_e64 v7, 0, -1, vcc
	v_cmp_le_u32_e32 vcc, s42, v12
	v_cndmask_b32_e64 v9, 0, -1, s[24:25]
	v_cmp_eq_u32_e64 s[24:25], s43, v8
	s_nop 1
	v_cndmask_b32_e64 v13, v10, v9, s[24:25]
	v_lshl_add_u64 v[8:9], v[0:1], 0, 2
	v_lshl_add_u64 v[10:11], v[0:1], 0, 1
	v_cmp_ne_u32_e64 s[24:25], 0, v13
	s_nop 1
	v_cndmask_b32_e64 v9, v11, v9, s[24:25]
	v_cndmask_b32_e64 v11, 0, -1, vcc
	v_cmp_eq_u32_e32 vcc, s43, v2
	s_nop 1
	v_cndmask_b32_e32 v2, v7, v11, vcc
	v_cmp_ne_u32_e32 vcc, 0, v2
	v_cndmask_b32_e64 v2, v10, v8, s[24:25]
	s_nop 0
	v_cndmask_b32_e32 v0, v0, v2, vcc
	v_xor_b32_e32 v2, s40, v6
	v_cndmask_b32_e32 v1, v1, v9, vcc
	v_xor_b32_e32 v0, v0, v2
	v_xor_b32_e32 v1, v1, v2
	v_sub_co_u32_e32 v8, vcc, v0, v2
	s_nop 1
	v_subb_co_u32_e32 v9, vcc, v1, v2, vcc
                                        ; implicit-def: $vgpr0_vgpr1
.LBB35_50:                              ;   in Loop: Header=BB35_47 Depth=1
	s_andn2_saveexec_b64 s[24:25], s[28:29]
	s_cbranch_execz .LBB35_52
; %bb.51:                               ;   in Loop: Header=BB35_47 Depth=1
	v_cvt_f32_u32_e32 v1, s70
	s_sub_i32 s12, 0, s70
	v_rcp_iflag_f32_e32 v1, v1
	s_nop 0
	v_mul_f32_e32 v1, 0x4f7ffffe, v1
	v_cvt_u32_f32_e32 v1, v1
	v_mul_lo_u32 v2, s12, v1
	v_mul_hi_u32 v2, v1, v2
	v_add_u32_e32 v1, v1, v2
	v_mul_hi_u32 v1, v0, v1
	v_mul_lo_u32 v2, v1, s70
	v_sub_u32_e32 v0, v0, v2
	v_add_u32_e32 v6, 1, v1
	v_subrev_u32_e32 v2, s70, v0
	v_cmp_le_u32_e32 vcc, s70, v0
	s_nop 1
	v_cndmask_b32_e32 v0, v0, v2, vcc
	v_cndmask_b32_e32 v1, v1, v6, vcc
	v_add_u32_e32 v2, 1, v1
	v_cmp_le_u32_e32 vcc, s70, v0
	s_nop 1
	v_cndmask_b32_e32 v2, v1, v2, vcc
	v_mov_b64_e32 v[8:9], v[2:3]
.LBB35_52:                              ;   in Loop: Header=BB35_47 Depth=1
	s_or_b64 exec, exec, s[24:25]
	v_lshl_add_u64 v[62:63], v[8:9], 0, 7
	v_and_b32_e32 v62, -8, v62
.LBB35_53:                              ;   in Loop: Header=BB35_47 Depth=1
	s_or_b64 exec, exec, s[26:27]
	v_mul_lo_u32 v0, v63, s83
	v_mul_lo_u32 v1, v62, s84
	v_mad_u64_u32 v[8:9], s[12:13], v62, s83, 0
	v_add3_u32 v9, v9, v1, v0
	scratch_load_dwordx2 v[0:1], off, s33 offset:424 ; 8-byte Folded Reload
	scratch_load_dwordx2 v[6:7], off, s33 offset:400 ; 8-byte Folded Reload
	s_waitcnt vmcnt(0)
	v_lshl_add_u64 v[0:1], v[6:7], 0, v[0:1]
	scratch_store_dwordx2 off, v[0:1], s33 offset:352 ; 8-byte Folded Spill
	v_sub_co_u32_e32 v0, vcc, v72, v8
	s_nop 1
	v_subb_co_u32_e32 v1, vcc, v73, v9, vcc
	v_cmp_lt_i64_e32 vcc, v[62:63], v[0:1]
	v_mov_b32_e32 v1, 0
	s_nop 0
	v_cndmask_b32_e32 v2, v0, v62, vcc
	v_max_i32_e32 v6, 0, v2
	v_add_u32_e32 v0, 15, v6
	v_ashrrev_i32_e32 v7, 31, v0
	v_lshrrev_b32_e32 v7, 28, v7
	v_add_u32_e32 v0, v0, v7
	v_cmp_gt_i32_e32 vcc, 1, v2
	v_and_b32_e32 v0, -16, v0
	s_or_b64 s[26:27], s[2:3], vcc
	v_max_i32_e32 v0, s85, v0
	s_xor_b64 s[12:13], s[26:27], -1
	s_and_saveexec_b64 s[28:29], s[12:13]
	s_cbranch_execz .LBB35_222
; %bb.54:                               ;   in Loop: Header=BB35_47 Depth=1
	s_and_saveexec_b64 s[24:25], s[0:1]
	s_cbranch_execz .LBB35_56
; %bb.55:                               ;   in Loop: Header=BB35_47 Depth=1
	s_trap 2
	scratch_load_dwordx2 v[12:13], off, s33 offset:352 ; 8-byte Folded Reload
	ds_read_b64 v[10:11], v0
	s_waitcnt vmcnt(0) lgkmcnt(0)
	v_lshl_add_u64 v[10:11], v[12:13], 1, v[10:11]
	v_lshl_add_u64 v[8:9], v[8:9], 1, v[10:11]
	ds_write_b64 v0, v[8:9]
	scratch_load_dwordx2 v[8:9], off, s33 offset:392 ; 8-byte Folded Reload
	s_waitcnt vmcnt(0)
	ds_write_b64 v0, v[8:9]
.LBB35_56:                              ;   in Loop: Header=BB35_47 Depth=1
	s_or_b64 exec, exec, s[24:25]
	v_and_b32_e32 v1, 8, v106
	v_min_i32_e32 v0, v0, v6
	v_cmp_ne_u32_e32 vcc, 0, v1
	s_and_saveexec_b64 s[40:41], vcc
	s_cbranch_execz .LBB35_78
; %bb.57:                               ;   in Loop: Header=BB35_47 Depth=1
	s_waitcnt lgkmcnt(0)
	v_lshl_add_u64 v[10:11], v[46:47], 0, 8
	v_lshl_add_u64 v[8:9], v[4:5], 0, 4
	v_cmp_lt_u64_e32 vcc, v[10:11], v[8:9]
	s_and_saveexec_b64 s[42:43], vcc
	s_cbranch_execz .LBB35_69
; %bb.58:                               ;   in Loop: Header=BB35_47 Depth=1
	v_and_b32_e32 v1, 64, v106
	s_mov_b32 s12, 0
	v_cmp_eq_u32_e32 vcc, 0, v1
	s_mov_b64 s[44:45], 0
                                        ; implicit-def: $sgpr46_sgpr47
                                        ; implicit-def: $sgpr56_sgpr57
                                        ; implicit-def: $sgpr58_sgpr59
	s_branch .LBB35_62
.LBB35_59:                              ;   in Loop: Header=BB35_62 Depth=2
	s_waitcnt vmcnt(0) lgkmcnt(0)
	v_lshl_add_u64 v[10:11], v[46:47], 0, 8
	v_cmp_ge_u64_e64 s[24:25], v[10:11], v[8:9]
	s_or_b64 s[52:53], s[52:53], exec
	s_orn2_b64 s[62:63], s[24:25], exec
.LBB35_60:                              ;   in Loop: Header=BB35_62 Depth=2
	s_or_b64 exec, exec, s[64:65]
	s_andn2_b64 s[24:25], s[58:59], exec
	s_and_b64 s[58:59], s[52:53], exec
	s_or_b64 s[58:59], s[24:25], s[58:59]
	s_andn2_b64 s[24:25], s[56:57], exec
	s_and_b64 s[56:57], s[62:63], exec
	s_or_b64 s[56:57], s[24:25], s[56:57]
.LBB35_61:                              ;   in Loop: Header=BB35_62 Depth=2
	s_or_b64 exec, exec, s[60:61]
	s_and_b64 s[24:25], exec, s[56:57]
	s_or_b64 s[44:45], s[24:25], s[44:45]
	s_andn2_b64 s[24:25], s[46:47], exec
	s_and_b64 s[46:47], s[58:59], exec
	s_or_b64 s[46:47], s[24:25], s[46:47]
	s_andn2_b64 exec, exec, s[44:45]
	s_cbranch_execz .LBB35_66
.LBB35_62:                              ;   Parent Loop BB35_47 Depth=1
                                        ; =>  This Inner Loop Header: Depth=2
	s_sleep 1
	s_waitcnt vmcnt(0) lgkmcnt(0)
	flat_load_dwordx2 v[46:47], v[40:41] sc0 sc1
	s_or_b64 s[58:59], s[58:59], exec
	s_or_b64 s[56:57], s[56:57], exec
                                        ; implicit-def: $vgpr1
	s_and_saveexec_b64 s[60:61], vcc
	s_cbranch_execz .LBB35_61
; %bb.63:                               ;   in Loop: Header=BB35_62 Depth=2
	s_cmpk_lt_i32 s12, 0x270f
	s_cselect_b64 s[54:55], -1, 0
	s_cmpk_gt_i32 s12, 0x270e
	s_mov_b64 s[62:63], -1
	s_cbranch_scc0 .LBB35_65
; %bb.64:                               ;   in Loop: Header=BB35_62 Depth=2
	s_trap 2
	ds_read_b64 v[10:11], v0
	s_andn2_b64 s[54:55], s[54:55], exec
	s_mov_b32 s12, 0
	s_mov_b64 s[52:53], 0
	s_waitcnt vmcnt(0) lgkmcnt(0)
	flat_load_dword v1, v[10:11] sc0 sc1
	s_waitcnt vmcnt(0) lgkmcnt(0)
	buffer_inv sc0 sc1
	v_cmp_eq_u32_e64 s[24:25], 0, v1
	s_and_b64 s[24:25], s[24:25], exec
	s_or_b64 s[54:55], s[54:55], s[24:25]
	s_and_saveexec_b64 s[64:65], s[54:55]
	s_cbranch_execz .LBB35_60
	s_branch .LBB35_59
.LBB35_65:                              ;   in Loop: Header=BB35_62 Depth=2
	s_add_i32 s12, s12, 1
	s_mov_b64 s[52:53], -1
                                        ; implicit-def: $vgpr1
	s_and_saveexec_b64 s[64:65], s[54:55]
	s_cbranch_execz .LBB35_60
	s_branch .LBB35_59
.LBB35_66:                              ;   in Loop: Header=BB35_47 Depth=1
	s_or_b64 exec, exec, s[44:45]
	s_xor_b64 s[12:13], s[46:47], -1
	s_and_saveexec_b64 s[24:25], s[12:13]
	s_xor_b64 s[24:25], exec, s[24:25]
	s_cbranch_execz .LBB35_68
; %bb.67:                               ;   in Loop: Header=BB35_47 Depth=1
	v_or_b32_e32 v106, 64, v106
	s_waitcnt lgkmcnt(0)
	ds_write_b32 v0, v1
	s_trap 2
.LBB35_68:                              ;   in Loop: Header=BB35_47 Depth=1
	s_or_b64 exec, exec, s[24:25]
.LBB35_69:                              ;   in Loop: Header=BB35_47 Depth=1
	s_or_b64 exec, exec, s[42:43]
	v_and_b32_e32 v1, 0x100, v106
	v_cmp_ne_u32_e32 vcc, 0, v1
	v_and_b32_e32 v2, 7, v4
	s_mov_b64 s[24:25], -1
	;;#ASMSTART
	s_wakeup
	;;#ASMEND
                                        ; implicit-def: $vgpr4_vgpr5
	s_and_saveexec_b64 s[42:43], vcc
	s_cbranch_execz .LBB35_73
; %bb.70:                               ;   in Loop: Header=BB35_47 Depth=1
	scratch_load_dwordx4 v[10:13], off, s33 offset:288 ; 16-byte Folded Reload
	v_ashrrev_i32_e32 v1, 31, v0
	v_lshlrev_b64 v[4:5], 1, v[0:1]
	s_waitcnt vmcnt(0)
	v_mad_u64_u32 v[10:11], s[12:13], v2, 24, v[10:11]
	flat_load_dword v7, v[10:11]
	s_waitcnt vmcnt(0) lgkmcnt(0)
	v_cmp_ne_u32_e32 vcc, 1, v7
	v_cmp_eq_u32_e64 s[24:25], 1, v7
	flat_store_dwordx2 v[10:11], v[4:5] offset:8
                                        ; implicit-def: $vgpr4_vgpr5
	s_and_saveexec_b64 s[44:45], s[24:25]
	s_cbranch_execz .LBB35_72
; %bb.71:                               ;   in Loop: Header=BB35_47 Depth=1
	flat_load_dword v4, v[10:11] offset:4 sc0 sc1
	s_waitcnt vmcnt(0) lgkmcnt(0)
	v_ashrrev_i32_e32 v5, 31, v4
	v_lshrrev_b64 v[4:5], 1, v[4:5]
.LBB35_72:                              ;   in Loop: Header=BB35_47 Depth=1
	s_or_b64 exec, exec, s[44:45]
	s_orn2_b64 s[24:25], vcc, exec
.LBB35_73:                              ;   in Loop: Header=BB35_47 Depth=1
	s_or_b64 exec, exec, s[42:43]
	s_and_saveexec_b64 s[42:43], s[24:25]
	s_cbranch_execz .LBB35_75
; %bb.74:                               ;   in Loop: Header=BB35_47 Depth=1
	scratch_load_dwordx2 v[4:5], off, s33 offset:360 ; 8-byte Folded Reload
	s_waitcnt vmcnt(0)
	v_mad_i64_i32 v[4:5], s[12:13], v2, v4, 0
.LBB35_75:                              ;   in Loop: Header=BB35_47 Depth=1
	s_or_b64 exec, exec, s[42:43]
	scratch_load_dwordx2 v[10:11], off, s33 offset:272 ; 8-byte Folded Reload
	v_and_b32_e32 v1, 0x2000, v106
	v_cmp_ne_u32_e32 vcc, 0, v1
	s_waitcnt vmcnt(0)
	v_lshl_add_u64 v[4:5], v[4:5], 1, v[10:11]
	ds_write_b64 v0, v[4:5] offset:784
	s_and_saveexec_b64 s[24:25], vcc
	s_cbranch_execz .LBB35_77
; %bb.76:                               ;   in Loop: Header=BB35_47 Depth=1
	ds_read_b64 v[4:5], v0 offset:872
	s_waitcnt lgkmcnt(0)
	v_lshl_add_u64 v[4:5], v[4:5], 0, 1
	ds_write_b64 v0, v[4:5] offset:872
.LBB35_77:                              ;   in Loop: Header=BB35_47 Depth=1
	s_or_b64 exec, exec, s[24:25]
	v_mov_b64_e32 v[4:5], v[8:9]
.LBB35_78:                              ;   in Loop: Header=BB35_47 Depth=1
	s_or_b64 exec, exec, s[40:41]
	s_and_saveexec_b64 s[24:25], s[6:7]
	s_cbranch_execz .LBB35_97
; %bb.79:                               ;   in Loop: Header=BB35_47 Depth=1
	s_and_saveexec_b64 s[12:13], s[78:79]
	s_xor_b64 s[40:41], exec, s[12:13]
	s_cbranch_execz .LBB35_94
; %bb.80:                               ;   in Loop: Header=BB35_47 Depth=1
	s_and_saveexec_b64 s[42:43], s[14:15]
	s_cbranch_execz .LBB35_93
; %bb.81:                               ;   in Loop: Header=BB35_47 Depth=1
	s_mov_b64 s[46:47], exec
	v_mbcnt_lo_u32_b32 v1, s46, 0
	v_mbcnt_hi_u32_b32 v1, s47, v1
	v_cmp_eq_u32_e32 vcc, 0, v1
	s_waitcnt lgkmcnt(0)
	s_and_saveexec_b64 s[44:45], vcc
	s_cbranch_execz .LBB35_83
; %bb.82:                               ;   in Loop: Header=BB35_47 Depth=1
	s_bcnt1_i32_b64 s12, s[46:47]
	v_mov_b32_e32 v2, s12
	ds_add_u64 v0, v[2:3]
	s_trap 2
.LBB35_83:                              ;   in Loop: Header=BB35_47 Depth=1
	s_or_b64 exec, exec, s[44:45]
	s_trap 2
	ds_read_b64 v[8:9], v0
	s_waitcnt lgkmcnt(0)
	v_lshl_add_u64 v[56:57], v[56:57], 0, v[60:61]
	v_cmp_lt_u64_e32 vcc, v[8:9], v[56:57]
	s_and_saveexec_b64 s[44:45], vcc
	s_cbranch_execz .LBB35_92
; %bb.84:                               ;   in Loop: Header=BB35_47 Depth=1
	s_mov_b32 s12, 0
	s_mov_b64 s[46:47], 0
                                        ; implicit-def: $sgpr56_sgpr57
                                        ; implicit-def: $sgpr58_sgpr59
	s_branch .LBB35_86
.LBB35_85:                              ;   in Loop: Header=BB35_86 Depth=2
	s_or_b64 exec, exec, s[62:63]
	s_and_b64 s[60:61], exec, vcc
	s_or_b64 s[46:47], s[60:61], s[46:47]
	s_andn2_b64 s[56:57], s[56:57], exec
	s_and_b64 s[60:61], s[58:59], exec
	s_or_b64 s[56:57], s[56:57], s[60:61]
	s_andn2_b64 exec, exec, s[46:47]
	s_cbranch_execz .LBB35_90
.LBB35_86:                              ;   Parent Loop BB35_47 Depth=1
                                        ; =>  This Inner Loop Header: Depth=2
	s_add_i32 s12, s12, 1
	s_cmpk_lg_i32 s12, 0x2710
	s_cselect_b64 s[60:61], -1, 0
	s_and_b64 vcc, exec, s[60:61]
	s_cbranch_vccz .LBB35_88
; %bb.87:                               ;   in Loop: Header=BB35_86 Depth=2
	s_mov_b64 vcc, -1
	s_or_b64 s[58:59], s[58:59], exec
	s_and_saveexec_b64 s[62:63], s[60:61]
	s_cbranch_execz .LBB35_85
	s_branch .LBB35_89
.LBB35_88:                              ;   in Loop: Header=BB35_86 Depth=2
	s_trap 2
	ds_read_b64 v[8:9], v0
	s_andn2_b64 s[60:61], s[60:61], exec
	s_mov_b32 s12, 0
	s_waitcnt vmcnt(0) lgkmcnt(0)
	flat_load_dword v1, v[8:9] sc0 sc1
	s_waitcnt vmcnt(0) lgkmcnt(0)
	buffer_inv sc0 sc1
	v_cmp_eq_u32_e32 vcc, 0, v1
	s_and_b64 s[62:63], vcc, exec
	s_or_b64 s[60:61], s[60:61], s[62:63]
	s_mov_b64 vcc, -1
	s_or_b64 s[58:59], s[58:59], exec
	s_and_saveexec_b64 s[62:63], s[60:61]
	s_cbranch_execz .LBB35_85
.LBB35_89:                              ;   in Loop: Header=BB35_86 Depth=2
	s_sleep 1
	s_trap 2
	ds_read_b64 v[8:9], v0
	s_waitcnt lgkmcnt(0)
	s_andn2_b64 s[58:59], s[58:59], exec
	v_cmp_ge_u64_e32 vcc, v[8:9], v[56:57]
	s_orn2_b64 vcc, vcc, exec
	s_branch .LBB35_85
.LBB35_90:                              ;   in Loop: Header=BB35_47 Depth=1
	s_or_b64 exec, exec, s[46:47]
	s_and_saveexec_b64 s[12:13], s[56:57]
	s_xor_b64 s[12:13], exec, s[12:13]
	s_cbranch_execz .LBB35_92
; %bb.91:                               ;   in Loop: Header=BB35_47 Depth=1
	v_mov_b32_e32 v1, 1
	ds_write_b32 v0, v1
	s_trap 2
.LBB35_92:                              ;   in Loop: Header=BB35_47 Depth=1
	s_or_b64 exec, exec, s[44:45]
	;;#ASMSTART
	s_wakeup
	;;#ASMEND
.LBB35_93:                              ;   in Loop: Header=BB35_47 Depth=1
	s_or_b64 exec, exec, s[42:43]
.LBB35_94:                              ;   in Loop: Header=BB35_47 Depth=1
	s_andn2_saveexec_b64 s[40:41], s[40:41]
	s_cbranch_execz .LBB35_96
; %bb.95:                               ;   in Loop: Header=BB35_47 Depth=1
	s_waitcnt lgkmcnt(0)
	s_barrier
.LBB35_96:                              ;   in Loop: Header=BB35_47 Depth=1
	s_or_b64 exec, exec, s[40:41]
.LBB35_97:                              ;   in Loop: Header=BB35_47 Depth=1
	s_or_b64 exec, exec, s[24:25]
	s_trap 2
	ds_read_b32 v1, v0
	v_and_b32_e32 v2, 0x4000, v106
	v_cmp_ne_u32_e32 vcc, 0, v2
	s_xor_b64 s[12:13], s[4:5], -1
	s_and_b64 s[12:13], s[12:13], vcc
	s_and_saveexec_b64 s[24:25], s[12:13]
	s_cbranch_execz .LBB35_116
; %bb.98:                               ;   in Loop: Header=BB35_47 Depth=1
	s_and_saveexec_b64 s[12:13], s[78:79]
	s_xor_b64 s[40:41], exec, s[12:13]
	s_cbranch_execz .LBB35_113
; %bb.99:                               ;   in Loop: Header=BB35_47 Depth=1
	s_and_saveexec_b64 s[42:43], s[14:15]
	s_cbranch_execz .LBB35_112
; %bb.100:                              ;   in Loop: Header=BB35_47 Depth=1
	s_mov_b64 s[46:47], exec
	v_mbcnt_lo_u32_b32 v2, s46, 0
	v_mbcnt_hi_u32_b32 v2, s47, v2
	v_cmp_eq_u32_e32 vcc, 0, v2
	s_waitcnt lgkmcnt(0)
	s_and_saveexec_b64 s[44:45], vcc
	s_cbranch_execz .LBB35_102
; %bb.101:                              ;   in Loop: Header=BB35_47 Depth=1
	s_bcnt1_i32_b64 s12, s[46:47]
	v_mov_b32_e32 v2, s12
	ds_add_u64 v0, v[2:3]
	s_trap 2
.LBB35_102:                             ;   in Loop: Header=BB35_47 Depth=1
	s_or_b64 exec, exec, s[44:45]
	s_trap 2
	ds_read_b64 v[8:9], v0
	s_waitcnt lgkmcnt(0)
	v_lshl_add_u64 v[56:57], v[56:57], 0, v[60:61]
	v_cmp_lt_u64_e32 vcc, v[8:9], v[56:57]
	s_and_saveexec_b64 s[44:45], vcc
	s_cbranch_execz .LBB35_111
; %bb.103:                              ;   in Loop: Header=BB35_47 Depth=1
	s_mov_b32 s12, 0
	s_mov_b64 s[46:47], 0
                                        ; implicit-def: $sgpr56_sgpr57
                                        ; implicit-def: $sgpr58_sgpr59
	s_branch .LBB35_105
.LBB35_104:                             ;   in Loop: Header=BB35_105 Depth=2
	s_or_b64 exec, exec, s[62:63]
	s_and_b64 s[60:61], exec, vcc
	s_or_b64 s[46:47], s[60:61], s[46:47]
	s_andn2_b64 s[56:57], s[56:57], exec
	s_and_b64 s[60:61], s[58:59], exec
	s_or_b64 s[56:57], s[56:57], s[60:61]
	s_andn2_b64 exec, exec, s[46:47]
	s_cbranch_execz .LBB35_109
.LBB35_105:                             ;   Parent Loop BB35_47 Depth=1
                                        ; =>  This Inner Loop Header: Depth=2
	s_add_i32 s12, s12, 1
	s_cmpk_lg_i32 s12, 0x2710
	s_cselect_b64 s[60:61], -1, 0
	s_and_b64 vcc, exec, s[60:61]
	s_cbranch_vccz .LBB35_107
; %bb.106:                              ;   in Loop: Header=BB35_105 Depth=2
	s_mov_b64 vcc, -1
	s_or_b64 s[58:59], s[58:59], exec
	s_and_saveexec_b64 s[62:63], s[60:61]
	s_cbranch_execz .LBB35_104
	s_branch .LBB35_108
.LBB35_107:                             ;   in Loop: Header=BB35_105 Depth=2
	s_trap 2
	ds_read_b64 v[8:9], v0
	s_andn2_b64 s[60:61], s[60:61], exec
	s_mov_b32 s12, 0
	s_waitcnt vmcnt(0) lgkmcnt(0)
	flat_load_dword v2, v[8:9] sc0 sc1
	s_waitcnt vmcnt(0) lgkmcnt(0)
	buffer_inv sc0 sc1
	v_cmp_eq_u32_e32 vcc, 0, v2
	s_and_b64 s[62:63], vcc, exec
	s_or_b64 s[60:61], s[60:61], s[62:63]
	s_mov_b64 vcc, -1
	s_or_b64 s[58:59], s[58:59], exec
	s_and_saveexec_b64 s[62:63], s[60:61]
	s_cbranch_execz .LBB35_104
.LBB35_108:                             ;   in Loop: Header=BB35_105 Depth=2
	s_sleep 1
	s_trap 2
	ds_read_b64 v[8:9], v0
	s_waitcnt lgkmcnt(0)
	s_andn2_b64 s[58:59], s[58:59], exec
	v_cmp_ge_u64_e32 vcc, v[8:9], v[56:57]
	s_orn2_b64 vcc, vcc, exec
	s_branch .LBB35_104
.LBB35_109:                             ;   in Loop: Header=BB35_47 Depth=1
	s_or_b64 exec, exec, s[46:47]
	s_and_saveexec_b64 s[12:13], s[56:57]
	s_xor_b64 s[12:13], exec, s[12:13]
	s_cbranch_execz .LBB35_111
; %bb.110:                              ;   in Loop: Header=BB35_47 Depth=1
	v_mov_b32_e32 v2, 1
	ds_write_b32 v0, v2
	s_trap 2
.LBB35_111:                             ;   in Loop: Header=BB35_47 Depth=1
	s_or_b64 exec, exec, s[44:45]
	;;#ASMSTART
	s_wakeup
	;;#ASMEND
.LBB35_112:                             ;   in Loop: Header=BB35_47 Depth=1
	s_or_b64 exec, exec, s[42:43]
.LBB35_113:                             ;   in Loop: Header=BB35_47 Depth=1
	s_andn2_saveexec_b64 s[40:41], s[40:41]
	s_cbranch_execz .LBB35_115
; %bb.114:                              ;   in Loop: Header=BB35_47 Depth=1
	s_waitcnt lgkmcnt(0)
	s_barrier
.LBB35_115:                             ;   in Loop: Header=BB35_47 Depth=1
	s_or_b64 exec, exec, s[40:41]
.LBB35_116:                             ;   in Loop: Header=BB35_47 Depth=1
	s_or_b64 exec, exec, s[24:25]
	s_trap 2
	s_waitcnt lgkmcnt(0)
	ds_read_b64 v[28:29], v0
	s_waitcnt lgkmcnt(0)
	v_cmp_eq_u64_e32 vcc, 0, v[28:29]
	s_cbranch_vccnz .LBB35_124
; %bb.117:                              ;   in Loop: Header=BB35_47 Depth=1
	s_trap 2
	ds_read_b64 v[44:45], v0
	s_waitcnt lgkmcnt(0)
	v_cmp_eq_u64_e32 vcc, 0, v[44:45]
	s_cbranch_vccnz .LBB35_124
; %bb.118:                              ;   in Loop: Header=BB35_47 Depth=1
	s_mov_b64 s[40:41], -1
	s_and_saveexec_b64 s[24:25], s[16:17]
	s_cbranch_execz .LBB35_120
; %bb.119:                              ;   in Loop: Header=BB35_47 Depth=1
	ds_read_b32 v2, v0 offset:720
	s_waitcnt lgkmcnt(0)
	v_and_b32_e32 v2, 15, v2
	v_cmp_eq_u32_e32 vcc, 0, v2
	s_orn2_b64 s[40:41], vcc, exec
.LBB35_120:                             ;   in Loop: Header=BB35_47 Depth=1
	s_or_b64 exec, exec, s[24:25]
	s_and_saveexec_b64 s[24:25], s[18:19]
	s_cbranch_execz .LBB35_122
; %bb.121:                              ;   in Loop: Header=BB35_47 Depth=1
	ds_read_b32 v2, v0 offset:784
	s_waitcnt lgkmcnt(0)
	v_and_b32_e32 v2, 15, v2
	v_cmp_eq_u32_e32 vcc, 0, v2
	s_and_b64 s[12:13], s[40:41], vcc
	s_andn2_b64 s[40:41], s[40:41], exec
	s_and_b64 s[12:13], s[12:13], exec
	s_or_b64 s[40:41], s[40:41], s[12:13]
.LBB35_122:                             ;   in Loop: Header=BB35_47 Depth=1
	s_or_b64 exec, exec, s[24:25]
	s_xor_b64 s[12:13], s[40:41], -1
	v_cmp_eq_u32_e64 s[24:25], 0, v1
	v_cndmask_b32_e64 v1, 0, 1, s[12:13]
	s_mov_b64 s[42:43], -1
	v_cmp_ne_u32_e32 vcc, 0, v1
	s_cbranch_vccz .LBB35_125
; %bb.123:                              ;   in Loop: Header=BB35_47 Depth=1
	s_mov_b64 s[42:43], 0
	s_mov_b64 s[40:41], -1
	s_branch .LBB35_126
.LBB35_124:                             ;   in Loop: Header=BB35_47 Depth=1
	s_mov_b64 s[24:25], 0
	s_and_saveexec_b64 s[40:41], s[6:7]
	s_cbranch_execnz .LBB35_176
	s_branch .LBB35_194
.LBB35_125:                             ;   in Loop: Header=BB35_47 Depth=1
	s_mov_b64 s[40:41], 0
.LBB35_126:                             ;   in Loop: Header=BB35_47 Depth=1
	v_cndmask_b32_e64 v1, 0, v0, s[24:25]
	v_lshlrev_b32_e32 v2, 1, v1
	s_andn2_b64 vcc, exec, s[42:43]
	v_mov_b32_e32 v7, 0
	s_cbranch_vccnz .LBB35_134
; %bb.127:                              ;   in Loop: Header=BB35_47 Depth=1
	v_ashrrev_i32_e32 v7, 31, v2
	v_lshrrev_b32_e32 v7, 19, v7
	v_add_u32_e32 v7, v2, v7
	v_ashrrev_i32_e32 v7, 13, v7
	v_lshrrev_b32_e32 v8, 6, v31
	v_sub_u32_e32 v30, v7, v8
	scratch_load_dwordx2 v[8:9], off, s33 offset:408 ; 8-byte Folded Reload
	v_cmp_lt_i32_e32 vcc, 0, v30
	s_mov_b64 s[42:43], 0
                                        ; implicit-def: $vgpr12_vgpr13
                                        ; implicit-def: $vgpr16_vgpr17
                                        ; implicit-def: $vgpr20_vgpr21
                                        ; implicit-def: $vgpr24_vgpr25
                                        ; implicit-def: $vgpr32_vgpr33
                                        ; implicit-def: $vgpr36_vgpr37
                                        ; implicit-def: $vgpr48_vgpr49
	s_waitcnt vmcnt(0)
	v_lshl_add_u64 v[58:59], v[44:45], 0, v[8:9]
                                        ; implicit-def: $vgpr8_vgpr9
	s_and_saveexec_b64 s[24:25], vcc
	s_cbranch_execz .LBB35_136
; %bb.128:                              ;   in Loop: Header=BB35_47 Depth=1
	scratch_load_dwordx2 v[8:9], off, s33 offset:408 ; 8-byte Folded Reload
	s_mov_b64 s[46:47], 0
                                        ; implicit-def: $sgpr44_sgpr45
                                        ; implicit-def: $vgpr12_vgpr13
                                        ; implicit-def: $vgpr16_vgpr17
                                        ; implicit-def: $vgpr20_vgpr21
                                        ; implicit-def: $vgpr24_vgpr25
                                        ; implicit-def: $vgpr32_vgpr33
                                        ; implicit-def: $vgpr36_vgpr37
                                        ; implicit-def: $vgpr48_vgpr49
	s_waitcnt vmcnt(0)
	v_lshl_add_u64 v[108:109], v[28:29], 0, v[8:9]
                                        ; implicit-def: $vgpr8_vgpr9
	s_branch .LBB35_130
.LBB35_129:                             ;   in Loop: Header=BB35_130 Depth=2
	s_or_b64 exec, exec, s[56:57]
	global_store_dwordx4 v[58:59], v[52:55], off
	global_store_dwordx4 v[58:59], v[64:67], off offset:1024
	global_store_dwordx4 v[58:59], v[68:71], off offset:2048
	;; [unrolled: 1-line block ×3, first 2 shown]
	v_add_co_u32_e32 v52, vcc, s75, v58
	v_sub_u32_e32 v30, v30, v118
	s_nop 0
	v_addc_co_u32_e32 v53, vcc, 0, v59, vcc
	v_cmp_gt_i32_e32 vcc, 1, v30
	s_or_b64 s[42:43], vcc, s[42:43]
	global_store_dwordx4 v[52:53], v[84:87], off
	global_store_dwordx4 v[52:53], v[96:99], off offset:1024
	global_store_dwordx4 v[52:53], v[100:103], off offset:2048
	;; [unrolled: 1-line block ×3, first 2 shown]
	s_waitcnt vmcnt(8)
	v_lshl_add_u64 v[52:53], v[58:59], 0, v[124:125]
	s_andn2_b64 s[12:13], s[44:45], exec
	s_and_b64 s[44:45], s[46:47], exec
	v_lshl_add_u64 v[58:59], v[52:53], 0, s[88:89]
	v_lshl_add_u64 v[108:109], v[108:109], 0, v[124:125]
	s_or_b64 s[44:45], s[12:13], s[44:45]
	s_andn2_b64 exec, exec, s[42:43]
	s_cbranch_execz .LBB35_135
.LBB35_130:                             ;   Parent Loop BB35_47 Depth=1
                                        ; =>  This Inner Loop Header: Depth=2
	v_add_co_u32_e32 v112, vcc, 0x1000, v108
	global_load_dwordx4 v[52:55], v[108:109], off nt
	global_load_dwordx4 v[64:67], v[108:109], off offset:1024 nt
	global_load_dwordx4 v[68:71], v[108:109], off offset:2048 nt
	;; [unrolled: 1-line block ×3, first 2 shown]
	v_addc_co_u32_e32 v113, vcc, 0, v109, vcc
	global_load_dwordx4 v[84:87], v[112:113], off nt
	global_load_dwordx4 v[96:99], v[112:113], off offset:1024 nt
	global_load_dwordx4 v[100:103], v[112:113], off offset:2048 nt
	s_nop 0
	global_load_dwordx4 v[112:115], v[112:113], off offset:3072 nt
	s_and_saveexec_b64 s[56:57], s[46:47]
	s_cbranch_execz .LBB35_132
; %bb.131:                              ;   in Loop: Header=BB35_130 Depth=2
	v_add_co_u32_e32 v118, vcc, 0x1000, v58
	global_store_dwordx4 v[58:59], v[8:11], off
	global_store_dwordx4 v[58:59], v[12:15], off offset:1024
	global_store_dwordx4 v[58:59], v[16:19], off offset:2048
	;; [unrolled: 1-line block ×3, first 2 shown]
	v_addc_co_u32_e32 v119, vcc, 0, v59, vcc
	global_store_dwordx4 v[118:119], v[24:27], off
	global_store_dwordx4 v[118:119], v[32:35], off offset:1024
	global_store_dwordx4 v[118:119], v[36:39], off offset:2048
	;; [unrolled: 1-line block ×3, first 2 shown]
	scratch_load_dwordx2 v[118:119], off, s33 offset:336 ; 8-byte Folded Reload
	s_waitcnt vmcnt(0)
	v_lshl_add_u64 v[58:59], v[58:59], 0, v[118:119]
.LBB35_132:                             ;   in Loop: Header=BB35_130 Depth=2
	s_or_b64 exec, exec, s[56:57]
	scratch_load_dwordx2 v[118:119], off, s33 offset:336 ; 8-byte Folded Reload
	v_sub_u32_e32 v30, v30, v60
	v_cmp_lt_i32_e64 s[46:47], 0, v30
	v_mov_b64_e32 v[124:125], 0
	s_waitcnt vmcnt(0)
	v_lshl_add_u64 v[108:109], v[108:109], 0, v[118:119]
	v_mov_b32_e32 v118, 0
	s_and_saveexec_b64 s[56:57], s[46:47]
	s_cbranch_execz .LBB35_129
; %bb.133:                              ;   in Loop: Header=BB35_130 Depth=2
	v_add_co_u32_e32 v48, vcc, s75, v108
	global_load_dwordx4 v[8:11], v[108:109], off nt
	global_load_dwordx4 v[12:15], v[108:109], off offset:1024 nt
	global_load_dwordx4 v[16:19], v[108:109], off offset:2048 nt
	;; [unrolled: 1-line block ×3, first 2 shown]
	v_addc_co_u32_e32 v49, vcc, 0, v109, vcc
	global_load_dwordx4 v[24:27], v[48:49], off nt
	global_load_dwordx4 v[32:35], v[48:49], off offset:1024 nt
	global_load_dwordx4 v[36:39], v[48:49], off offset:2048 nt
	s_nop 0
	global_load_dwordx4 v[48:51], v[48:49], off offset:3072 nt
	v_lshl_add_u64 v[108:109], v[108:109], 0, s[88:89]
	scratch_load_dwordx2 v[124:125], off, s33 offset:456 ; 8-byte Folded Reload
	v_mov_b32_e32 v118, v60
	s_branch .LBB35_129
.LBB35_134:                             ;   in Loop: Header=BB35_47 Depth=1
	v_mov_b32_e32 v8, v31
	v_and_b32_e32 v14, 63, v31
	s_and_saveexec_b64 s[24:25], s[40:41]
	s_cbranch_execnz .LBB35_155
	s_branch .LBB35_175
.LBB35_135:                             ;   in Loop: Header=BB35_47 Depth=1
	s_or_b64 exec, exec, s[42:43]
	s_and_b64 s[42:43], s[44:45], exec
.LBB35_136:                             ;   in Loop: Header=BB35_47 Depth=1
	s_or_b64 exec, exec, s[24:25]
	s_and_saveexec_b64 s[24:25], s[42:43]
	s_cbranch_execz .LBB35_138
; %bb.137:                              ;   in Loop: Header=BB35_47 Depth=1
	global_store_dwordx4 v[58:59], v[8:11], off
	global_store_dwordx4 v[58:59], v[12:15], off offset:1024
	global_store_dwordx4 v[58:59], v[16:19], off offset:2048
	;; [unrolled: 1-line block ×3, first 2 shown]
	v_add_co_u32_e32 v8, vcc, 0x1000, v58
	s_nop 1
	v_addc_co_u32_e32 v9, vcc, 0, v59, vcc
	global_store_dwordx4 v[8:9], v[24:27], off
	global_store_dwordx4 v[8:9], v[32:35], off offset:1024
	global_store_dwordx4 v[8:9], v[36:39], off offset:2048
	;; [unrolled: 1-line block ×3, first 2 shown]
.LBB35_138:                             ;   in Loop: Header=BB35_47 Depth=1
	s_or_b64 exec, exec, s[24:25]
	v_lshlrev_b32_e32 v20, 13, v7
	v_cmp_ne_u32_e32 vcc, v2, v20
                                        ; implicit-def: $vgpr7
                                        ; implicit-def: $vgpr8
                                        ; implicit-def: $vgpr14
	s_mov_b64 s[42:43], exec
	s_and_b64 s[12:13], s[42:43], vcc
	v_mov_b32_e32 v58, v107
	s_mov_b64 exec, s[12:13]
	s_cbranch_execz .LBB35_154
; %bb.139:                              ;   in Loop: Header=BB35_47 Depth=1
	v_lshlrev_b32_e32 v7, 6, v30
	v_and_b32_e32 v9, 63, v31
	v_sub_u32_e32 v7, v9, v7
	v_ashrrev_i32_e32 v9, 31, v7
	v_lshrrev_b32_e32 v9, 26, v9
	v_add_u32_e32 v9, v7, v9
	v_sub_u32_e32 v8, v2, v20
	v_ashrrev_i32_e32 v11, 6, v9
	v_and_b32_e32 v9, 0xffffffc0, v9
	v_sub_u32_e32 v21, v7, v9
	v_ashrrev_i32_e32 v9, 31, v8
	v_lshrrev_b32_e32 v9, 22, v9
	v_add_u32_e32 v9, v8, v9
	v_and_b32_e32 v22, 0xfffffc00, v9
	v_lshlrev_b32_e32 v7, 4, v21
	v_sub_u32_e32 v24, v8, v22
	v_lshl_add_u32 v7, v11, 10, v7
	v_ashrrev_i32_e32 v12, 10, v9
	v_cmp_lt_i32_e32 vcc, 15, v24
	v_add_u32_e32 v10, v7, v20
	v_sub_u32_e32 v7, v8, v7
	v_addc_co_u32_e64 v8, s[24:25], 0, v12, vcc
	v_sub_u32_e32 v23, v8, v11
	v_ashrrev_i32_e32 v11, 31, v10
	v_lshl_add_u64 v[16:17], v[10:11], 0, v[44:45]
	v_cmp_lt_i32_e64 s[24:25], 15, v7
	s_mov_b64 s[46:47], 0
                                        ; implicit-def: $vgpr8_vgpr9
	s_and_saveexec_b64 s[44:45], s[24:25]
	s_cbranch_execz .LBB35_149
; %bb.140:                              ;   in Loop: Header=BB35_47 Depth=1
	v_lshl_add_u64 v[18:19], v[10:11], 0, v[28:29]
	s_mov_b64 s[58:59], 0
                                        ; implicit-def: $sgpr56_sgpr57
                                        ; implicit-def: $vgpr8_vgpr9
	s_branch .LBB35_142
.LBB35_141:                             ;   in Loop: Header=BB35_142 Depth=2
	s_or_b64 exec, exec, s[24:25]
	v_cmp_gt_i32_e64 s[24:25], 16, v7
	s_or_b64 s[46:47], s[24:25], s[46:47]
	s_andn2_b64 s[12:13], s[56:57], exec
	s_and_b64 s[24:25], s[58:59], exec
	s_or_b64 s[56:57], s[12:13], s[24:25]
	s_andn2_b64 exec, exec, s[46:47]
	s_cbranch_execz .LBB35_148
.LBB35_142:                             ;   Parent Loop BB35_47 Depth=1
                                        ; =>  This Inner Loop Header: Depth=2
	global_load_dwordx4 v[12:15], v[18:19], off nt
	s_and_saveexec_b64 s[24:25], s[58:59]
	s_cbranch_execz .LBB35_144
; %bb.143:                              ;   in Loop: Header=BB35_142 Depth=2
	scratch_load_dwordx2 v[26:27], off, s33 offset:312 ; 8-byte Folded Reload
	s_waitcnt vmcnt(0)
	v_lshl_add_u64 v[26:27], v[16:17], 0, v[26:27]
	global_store_dwordx4 v[16:17], v[8:11], off
	v_mov_b64_e32 v[16:17], v[26:27]
.LBB35_144:                             ;   in Loop: Header=BB35_142 Depth=2
	s_or_b64 exec, exec, s[24:25]
	scratch_load_dwordx2 v[26:27], off, s33 offset:312 ; 8-byte Folded Reload
	s_waitcnt vmcnt(0)
	v_lshl_add_u64 v[18:19], v[18:19], 0, v[26:27]
	scratch_load_dwordx2 v[26:27], off, s33 offset:256 ; 8-byte Folded Reload
	s_waitcnt vmcnt(0)
	v_sub_u32_e32 v7, v7, v26
	v_cmp_lt_i32_e64 s[58:59], 15, v7
	s_and_saveexec_b64 s[24:25], s[58:59]
	s_cbranch_execz .LBB35_146
; %bb.145:                              ;   in Loop: Header=BB35_142 Depth=2
	global_load_dwordx4 v[8:11], v[18:19], off nt
	v_lshl_add_u64 v[18:19], v[18:19], 0, s[90:91]
.LBB35_146:                             ;   in Loop: Header=BB35_142 Depth=2
	s_or_b64 exec, exec, s[24:25]
	v_sub_u32_e32 v23, v23, v60
	global_store_dwordx4 v[16:17], v[12:15], off
	v_lshl_add_u64 v[16:17], v[16:17], 0, s[90:91]
	s_and_saveexec_b64 s[24:25], s[58:59]
	s_cbranch_execz .LBB35_141
; %bb.147:                              ;   in Loop: Header=BB35_142 Depth=2
	scratch_load_dwordx2 v[12:13], off, s33 offset:256 ; 8-byte Folded Reload
	v_sub_u32_e32 v23, v23, v60
	v_lshl_add_u64 v[18:19], v[18:19], 0, v[92:93]
	v_lshl_add_u64 v[16:17], v[16:17], 0, v[92:93]
	s_waitcnt vmcnt(0)
	v_sub_u32_e32 v7, v7, v12
	s_branch .LBB35_141
.LBB35_148:                             ;   in Loop: Header=BB35_47 Depth=1
	s_or_b64 exec, exec, s[46:47]
	s_and_b64 s[46:47], s[56:57], exec
.LBB35_149:                             ;   in Loop: Header=BB35_47 Depth=1
	s_or_b64 exec, exec, s[44:45]
	s_and_saveexec_b64 s[24:25], s[46:47]
	s_cbranch_execz .LBB35_151
; %bb.150:                              ;   in Loop: Header=BB35_47 Depth=1
	s_waitcnt vmcnt(1)
	global_store_dwordx4 v[16:17], v[8:11], off
.LBB35_151:                             ;   in Loop: Header=BB35_47 Depth=1
	s_or_b64 exec, exec, s[24:25]
	s_waitcnt vmcnt(1)
	v_and_b32_e32 v9, 14, v2
	v_cndmask_b32_e32 v2, v24, v9, vcc
	v_cmp_ne_u32_e64 s[24:25], 0, v2
	s_mov_b64 s[46:47], s[40:41]
                                        ; implicit-def: $vgpr7
                                        ; implicit-def: $vgpr8
                                        ; implicit-def: $vgpr14
	s_and_saveexec_b64 s[44:45], s[24:25]
	s_cbranch_execz .LBB35_153
; %bb.152:                              ;   in Loop: Header=BB35_47 Depth=1
	v_sub_u32_e32 v7, v24, v9
	v_cndmask_b32_e32 v7, 0, v7, vcc
	v_cmp_lt_i32_e32 vcc, 0, v23
	v_add3_u32 v7, v22, v20, v7
	s_or_b64 s[46:47], s[40:41], exec
	v_cndmask_b32_e32 v8, 0, v60, vcc
	v_sub_u32_e32 v8, v8, v23
	v_lshl_add_u32 v8, v8, 6, v21
	v_ashrrev_i32_e32 v9, 31, v8
	v_lshrrev_b32_e32 v9, 26, v9
	v_add_u32_e32 v9, v8, v9
	v_and_b32_e32 v9, 0xffffffc0, v9
	v_sub_u32_e32 v14, v8, v9
.LBB35_153:                             ;   in Loop: Header=BB35_47 Depth=1
	s_or_b64 exec, exec, s[44:45]
	s_andn2_b64 s[12:13], s[40:41], exec
	s_and_b64 s[24:25], s[46:47], exec
	s_or_b64 s[40:41], s[12:13], s[24:25]
.LBB35_154:                             ;   in Loop: Header=BB35_47 Depth=1
	s_or_b64 exec, exec, s[42:43]
	s_and_saveexec_b64 s[24:25], s[40:41]
	s_cbranch_execz .LBB35_175
.LBB35_155:                             ;   in Loop: Header=BB35_47 Depth=1
	v_ashrrev_i32_e32 v9, 31, v8
	v_lshrrev_b32_e32 v9, 26, v9
	v_add_u32_e32 v8, v8, v9
	v_ashrrev_i32_e32 v8, 6, v8
	v_lshlrev_b32_e32 v9, 11, v8
	v_lshlrev_b32_e32 v10, 1, v14
	v_add3_u32 v10, v7, v10, v9
	v_ashrrev_i32_e32 v9, 31, v2
	v_lshrrev_b32_e32 v9, 21, v9
	v_add_u32_e32 v9, v2, v9
	v_ashrrev_i32_e32 v15, 11, v9
	v_sub_u32_e32 v12, v15, v8
	v_ashrrev_i32_e32 v11, 31, v10
	v_lshl_add_u64 v[8:9], v[44:45], 0, v[10:11]
	v_cmp_lt_i32_e32 vcc, 0, v12
	s_mov_b64 s[42:43], 0
                                        ; implicit-def: $vgpr16
                                        ; implicit-def: $vgpr17
                                        ; implicit-def: $vgpr18
                                        ; implicit-def: $vgpr19
                                        ; implicit-def: $vgpr20
                                        ; implicit-def: $vgpr21
                                        ; implicit-def: $vgpr22
                                        ; implicit-def: $vgpr23
                                        ; implicit-def: $vgpr24
                                        ; implicit-def: $vgpr25
                                        ; implicit-def: $vgpr26
                                        ; implicit-def: $vgpr27
                                        ; implicit-def: $vgpr30
                                        ; implicit-def: $vgpr32
                                        ; implicit-def: $vgpr33
                                        ; implicit-def: $vgpr34
	s_and_saveexec_b64 s[40:41], vcc
	s_cbranch_execz .LBB35_163
; %bb.156:                              ;   in Loop: Header=BB35_47 Depth=1
	v_lshl_add_u64 v[10:11], v[10:11], 0, v[28:29]
	s_mov_b64 s[46:47], 0
                                        ; implicit-def: $sgpr44_sgpr45
                                        ; implicit-def: $vgpr16
                                        ; implicit-def: $vgpr17
                                        ; implicit-def: $vgpr18
                                        ; implicit-def: $vgpr19
                                        ; implicit-def: $vgpr20
                                        ; implicit-def: $vgpr21
                                        ; implicit-def: $vgpr22
                                        ; implicit-def: $vgpr23
                                        ; implicit-def: $vgpr24
                                        ; implicit-def: $vgpr25
                                        ; implicit-def: $vgpr26
                                        ; implicit-def: $vgpr27
                                        ; implicit-def: $vgpr30
                                        ; implicit-def: $vgpr32
                                        ; implicit-def: $vgpr33
                                        ; implicit-def: $vgpr34
	s_branch .LBB35_158
.LBB35_157:                             ;   in Loop: Header=BB35_158 Depth=2
	s_or_b64 exec, exec, s[56:57]
	s_waitcnt vmcnt(0) lgkmcnt(0)
	flat_store_short v[8:9], v35 nt
	flat_store_short v[8:9], v36 offset:128 nt
	flat_store_short v[8:9], v37 offset:256 nt
	;; [unrolled: 1-line block ×15, first 2 shown]
	v_lshl_add_u64 v[8:9], v[8:9], 0, v[12:13]
	v_lshl_add_u64 v[10:11], v[10:11], 0, v[12:13]
	v_sub_u32_e32 v12, v67, v68
	v_cmp_gt_i32_e32 vcc, 1, v12
	s_or_b64 s[42:43], vcc, s[42:43]
	s_andn2_b64 s[12:13], s[44:45], exec
	s_and_b64 s[44:45], s[46:47], exec
	v_lshl_add_u64 v[8:9], v[8:9], 0, s[92:93]
	s_or_b64 s[44:45], s[12:13], s[44:45]
	s_andn2_b64 exec, exec, s[42:43]
	s_cbranch_execz .LBB35_162
.LBB35_158:                             ;   Parent Loop BB35_47 Depth=1
                                        ; =>  This Inner Loop Header: Depth=2
	flat_load_ushort v35, v[10:11] nt
	flat_load_ushort v36, v[10:11] offset:128 nt
	flat_load_ushort v37, v[10:11] offset:256 nt
	;; [unrolled: 1-line block ×15, first 2 shown]
	s_and_saveexec_b64 s[56:57], s[46:47]
	s_cbranch_execz .LBB35_160
; %bb.159:                              ;   in Loop: Header=BB35_158 Depth=2
	flat_store_short v[8:9], v16 nt
	flat_store_short v[8:9], v17 offset:128 nt
	flat_store_short v[8:9], v18 offset:256 nt
	;; [unrolled: 1-line block ×15, first 2 shown]
	v_lshl_add_u64 v[8:9], v[8:9], 0, v[120:121]
.LBB35_160:                             ;   in Loop: Header=BB35_158 Depth=2
	s_or_b64 exec, exec, s[56:57]
	v_sub_u32_e32 v67, v12, v60
	v_lshl_add_u64 v[10:11], v[10:11], 0, v[120:121]
	v_mov_b32_e32 v68, 0
	v_cmp_lt_i32_e64 s[46:47], 0, v67
	v_mov_b64_e32 v[12:13], 0
	s_and_saveexec_b64 s[56:57], s[46:47]
	s_cbranch_execz .LBB35_157
; %bb.161:                              ;   in Loop: Header=BB35_158 Depth=2
	flat_load_ushort v16, v[10:11] nt
	flat_load_ushort v17, v[10:11] offset:128 nt
	flat_load_ushort v18, v[10:11] offset:256 nt
	;; [unrolled: 1-line block ×15, first 2 shown]
	v_lshl_add_u64 v[10:11], v[10:11], 0, s[92:93]
	v_mov_b32_e32 v68, v60
	v_mov_b64_e32 v[12:13], v[94:95]
	s_branch .LBB35_157
.LBB35_162:                             ;   in Loop: Header=BB35_47 Depth=1
	s_or_b64 exec, exec, s[42:43]
	s_and_b64 s[42:43], s[44:45], exec
.LBB35_163:                             ;   in Loop: Header=BB35_47 Depth=1
	s_or_b64 exec, exec, s[40:41]
	s_and_saveexec_b64 s[40:41], s[42:43]
	s_cbranch_execz .LBB35_165
; %bb.164:                              ;   in Loop: Header=BB35_47 Depth=1
	flat_store_short v[8:9], v16 nt
	flat_store_short v[8:9], v17 offset:128 nt
	flat_store_short v[8:9], v18 offset:256 nt
	;; [unrolled: 1-line block ×15, first 2 shown]
.LBB35_165:                             ;   in Loop: Header=BB35_47 Depth=1
	s_or_b64 exec, exec, s[40:41]
	v_lshlrev_b32_e32 v8, 11, v15
	v_cmp_ne_u32_e32 vcc, v2, v8
	s_and_b64 exec, exec, vcc
	s_cbranch_execz .LBB35_175
; %bb.166:                              ;   in Loop: Header=BB35_47 Depth=1
	v_lshlrev_b32_e32 v9, 6, v12
	v_sub_u32_e32 v9, v14, v9
	v_ashrrev_i32_e32 v10, 31, v9
	v_lshrrev_b32_e32 v10, 26, v10
	v_add_u32_e32 v10, v9, v10
	v_and_b32_e32 v11, 0x7fffffc0, v10
	v_sub_u32_e32 v9, v9, v11
	v_lshlrev_b32_e32 v10, 1, v10
	v_and_b32_e32 v10, 0xffffff80, v10
	v_lshlrev_b32_e32 v9, 1, v9
	v_add3_u32 v8, v10, v9, v8
	v_sub_u32_e32 v12, v2, v8
	v_cmp_lt_i32_e32 vcc, 1, v12
	s_and_b64 exec, exec, vcc
	s_cbranch_execz .LBB35_175
; %bb.167:                              ;   in Loop: Header=BB35_47 Depth=1
	v_add_u32_e32 v10, v8, v7
	v_ashrrev_i32_e32 v11, 31, v10
	v_lshl_add_u64 v[8:9], v[44:45], 0, v[10:11]
	v_lshl_add_u64 v[10:11], v[10:11], 0, v[28:29]
	s_mov_b64 s[44:45], 0
	s_mov_b64 s[40:41], 0
                                        ; implicit-def: $sgpr42_sgpr43
                                        ; implicit-def: $vgpr2
	s_branch .LBB35_169
.LBB35_168:                             ;   in Loop: Header=BB35_169 Depth=2
	s_or_b64 exec, exec, s[46:47]
	s_waitcnt lgkmcnt(0)
	flat_store_short v[8:9], v7 nt
	v_lshl_add_u64 v[8:9], v[8:9], 0, v[12:13]
	v_lshl_add_u64 v[10:11], v[10:11], 0, v[12:13]
	v_sub_u32_e32 v12, v14, v15
	v_cmp_gt_i32_e32 vcc, 2, v12
	s_or_b64 s[40:41], vcc, s[40:41]
	s_andn2_b64 s[12:13], s[42:43], exec
	s_and_b64 s[42:43], s[44:45], exec
	v_lshl_add_u64 v[8:9], v[8:9], 0, s[94:95]
	s_or_b64 s[42:43], s[12:13], s[42:43]
	s_andn2_b64 exec, exec, s[40:41]
	s_cbranch_execz .LBB35_173
.LBB35_169:                             ;   Parent Loop BB35_47 Depth=1
                                        ; =>  This Inner Loop Header: Depth=2
	flat_load_ushort v7, v[10:11] nt
	s_and_saveexec_b64 s[46:47], s[44:45]
	s_cbranch_execz .LBB35_171
; %bb.170:                              ;   in Loop: Header=BB35_169 Depth=2
	scratch_load_dwordx2 v[14:15], off, s33 offset:416 ; 8-byte Folded Reload
	s_waitcnt vmcnt(0)
	v_lshl_add_u64 v[14:15], v[8:9], 0, v[14:15]
	flat_store_short v[8:9], v2 nt
	v_mov_b64_e32 v[8:9], v[14:15]
.LBB35_171:                             ;   in Loop: Header=BB35_169 Depth=2
	s_or_b64 exec, exec, s[46:47]
	scratch_load_dwordx2 v[14:15], off, s33 offset:416 ; 8-byte Folded Reload
	s_waitcnt vmcnt(0)
	v_lshl_add_u64 v[10:11], v[10:11], 0, v[14:15]
	v_sub_u32_e32 v14, v12, v58
	v_cmp_lt_i32_e64 s[44:45], 1, v14
	v_mov_b64_e32 v[12:13], 0
	v_mov_b32_e32 v15, 0
	s_and_saveexec_b64 s[46:47], s[44:45]
	s_cbranch_execz .LBB35_168
; %bb.172:                              ;   in Loop: Header=BB35_169 Depth=2
	flat_load_ushort v2, v[10:11] nt
	v_lshl_add_u64 v[10:11], v[10:11], 0, s[94:95]
	v_mov_b32_e32 v15, v58
	v_mov_b64_e32 v[12:13], v[104:105]
	s_branch .LBB35_168
.LBB35_173:                             ;   in Loop: Header=BB35_47 Depth=1
	s_or_b64 exec, exec, s[40:41]
	s_and_b64 exec, exec, s[42:43]
	s_cbranch_execz .LBB35_175
; %bb.174:                              ;   in Loop: Header=BB35_47 Depth=1
	s_waitcnt vmcnt(0)
	flat_store_short v[8:9], v2 nt
.LBB35_175:                             ;   in Loop: Header=BB35_47 Depth=1
	s_or_b64 exec, exec, s[24:25]
	v_cmp_lt_i32_e64 s[24:25], 0, v1
	s_and_saveexec_b64 s[40:41], s[6:7]
	s_cbranch_execz .LBB35_194
.LBB35_176:                             ;   in Loop: Header=BB35_47 Depth=1
	s_and_saveexec_b64 s[12:13], s[78:79]
	s_xor_b64 s[42:43], exec, s[12:13]
	s_cbranch_execz .LBB35_191
; %bb.177:                              ;   in Loop: Header=BB35_47 Depth=1
	s_and_saveexec_b64 s[44:45], s[14:15]
	s_cbranch_execz .LBB35_190
; %bb.178:                              ;   in Loop: Header=BB35_47 Depth=1
	s_mov_b64 s[56:57], exec
	v_mbcnt_lo_u32_b32 v1, s56, 0
	v_mbcnt_hi_u32_b32 v1, s57, v1
	v_cmp_eq_u32_e32 vcc, 0, v1
	s_waitcnt lgkmcnt(0)
	s_and_saveexec_b64 s[46:47], vcc
	s_cbranch_execz .LBB35_180
; %bb.179:                              ;   in Loop: Header=BB35_47 Depth=1
	s_bcnt1_i32_b64 s12, s[56:57]
	s_waitcnt vmcnt(0)
	v_mov_b32_e32 v2, s12
	ds_add_u64 v0, v[2:3]
	s_trap 2
.LBB35_180:                             ;   in Loop: Header=BB35_47 Depth=1
	s_or_b64 exec, exec, s[46:47]
	s_trap 2
	ds_read_b64 v[8:9], v0
	s_waitcnt lgkmcnt(0)
	v_lshl_add_u64 v[56:57], v[56:57], 0, v[60:61]
	v_cmp_lt_u64_e32 vcc, v[8:9], v[56:57]
	s_and_saveexec_b64 s[46:47], vcc
	s_cbranch_execz .LBB35_189
; %bb.181:                              ;   in Loop: Header=BB35_47 Depth=1
	s_mov_b32 s12, 0
	s_mov_b64 s[56:57], 0
                                        ; implicit-def: $sgpr58_sgpr59
                                        ; implicit-def: $sgpr60_sgpr61
	s_branch .LBB35_183
.LBB35_182:                             ;   in Loop: Header=BB35_183 Depth=2
	s_or_b64 exec, exec, s[52:53]
	s_and_b64 s[62:63], exec, vcc
	s_or_b64 s[56:57], s[62:63], s[56:57]
	s_andn2_b64 s[58:59], s[58:59], exec
	s_and_b64 s[62:63], s[60:61], exec
	s_or_b64 s[58:59], s[58:59], s[62:63]
	s_andn2_b64 exec, exec, s[56:57]
	s_cbranch_execz .LBB35_187
.LBB35_183:                             ;   Parent Loop BB35_47 Depth=1
                                        ; =>  This Inner Loop Header: Depth=2
	s_add_i32 s12, s12, 1
	s_cmpk_lg_i32 s12, 0x2710
	s_cselect_b64 s[62:63], -1, 0
	s_and_b64 vcc, exec, s[62:63]
	s_cbranch_vccz .LBB35_185
; %bb.184:                              ;   in Loop: Header=BB35_183 Depth=2
	s_mov_b64 vcc, -1
	s_or_b64 s[60:61], s[60:61], exec
	s_and_saveexec_b64 s[52:53], s[62:63]
	s_cbranch_execz .LBB35_182
	s_branch .LBB35_186
.LBB35_185:                             ;   in Loop: Header=BB35_183 Depth=2
	s_trap 2
	ds_read_b64 v[8:9], v0
	s_andn2_b64 s[62:63], s[62:63], exec
	s_mov_b32 s12, 0
	s_waitcnt vmcnt(0) lgkmcnt(0)
	flat_load_dword v1, v[8:9] sc0 sc1
	s_waitcnt vmcnt(0) lgkmcnt(0)
	buffer_inv sc0 sc1
	v_cmp_eq_u32_e32 vcc, 0, v1
	s_and_b64 vcc, vcc, exec
	s_or_b64 s[62:63], s[62:63], vcc
	s_mov_b64 vcc, -1
	s_or_b64 s[60:61], s[60:61], exec
	s_and_saveexec_b64 s[52:53], s[62:63]
	s_cbranch_execz .LBB35_182
.LBB35_186:                             ;   in Loop: Header=BB35_183 Depth=2
	s_sleep 1
	s_trap 2
	ds_read_b64 v[8:9], v0
	s_waitcnt lgkmcnt(0)
	s_andn2_b64 s[60:61], s[60:61], exec
	v_cmp_ge_u64_e32 vcc, v[8:9], v[56:57]
	s_orn2_b64 vcc, vcc, exec
	s_branch .LBB35_182
.LBB35_187:                             ;   in Loop: Header=BB35_47 Depth=1
	s_or_b64 exec, exec, s[56:57]
	s_and_saveexec_b64 s[12:13], s[58:59]
	s_xor_b64 s[12:13], exec, s[12:13]
	s_cbranch_execz .LBB35_189
; %bb.188:                              ;   in Loop: Header=BB35_47 Depth=1
	v_mov_b32_e32 v1, 1
	ds_write_b32 v0, v1
	s_trap 2
.LBB35_189:                             ;   in Loop: Header=BB35_47 Depth=1
	s_or_b64 exec, exec, s[46:47]
	;;#ASMSTART
	s_wakeup
	;;#ASMEND
.LBB35_190:                             ;   in Loop: Header=BB35_47 Depth=1
	s_or_b64 exec, exec, s[44:45]
.LBB35_191:                             ;   in Loop: Header=BB35_47 Depth=1
	s_andn2_saveexec_b64 s[42:43], s[42:43]
	s_cbranch_execz .LBB35_193
; %bb.192:                              ;   in Loop: Header=BB35_47 Depth=1
	s_waitcnt lgkmcnt(0)
	s_barrier
.LBB35_193:                             ;   in Loop: Header=BB35_47 Depth=1
	s_or_b64 exec, exec, s[42:43]
.LBB35_194:                             ;   in Loop: Header=BB35_47 Depth=1
	s_or_b64 exec, exec, s[40:41]
	v_and_b32_e32 v1, 16, v106
	s_and_saveexec_b64 s[12:13], s[22:23]
	s_xor_b64 s[40:41], exec, s[12:13]
	s_cbranch_execz .LBB35_199
; %bb.195:                              ;   in Loop: Header=BB35_47 Depth=1
	s_waitcnt vmcnt(0)
	v_and_b32_e32 v2, 16, v106
	v_cmp_ne_u32_e32 vcc, 0, v2
	v_and_b32_e32 v1, 16, v106
	s_and_b64 s[12:13], vcc, s[24:25]
	s_and_saveexec_b64 s[24:25], s[12:13]
	s_cbranch_execz .LBB35_197
; %bb.196:                              ;   in Loop: Header=BB35_47 Depth=1
	v_mov_b32_e32 v1, 1
	buffer_wbl2 sc1
	s_waitcnt lgkmcnt(0)
	buffer_inv sc1
.LBB35_197:                             ;   in Loop: Header=BB35_47 Depth=1
	s_or_b64 exec, exec, s[24:25]
	s_andn2_saveexec_b64 s[24:25], s[40:41]
	s_cbranch_execnz .LBB35_200
.LBB35_198:                             ;   in Loop: Header=BB35_47 Depth=1
	s_or_b64 exec, exec, s[24:25]
	v_cmp_ne_u32_e32 vcc, 0, v1
	s_and_saveexec_b64 s[24:25], vcc
	s_cbranch_execnz .LBB35_218
	s_branch .LBB35_221
.LBB35_199:                             ;   in Loop: Header=BB35_47 Depth=1
	s_andn2_saveexec_b64 s[24:25], s[40:41]
	s_cbranch_execz .LBB35_198
.LBB35_200:                             ;   in Loop: Header=BB35_47 Depth=1
	s_and_saveexec_b64 s[12:13], s[78:79]
	s_xor_b64 s[40:41], exec, s[12:13]
	s_cbranch_execz .LBB35_215
; %bb.201:                              ;   in Loop: Header=BB35_47 Depth=1
	s_and_saveexec_b64 s[42:43], s[14:15]
	s_cbranch_execz .LBB35_214
; %bb.202:                              ;   in Loop: Header=BB35_47 Depth=1
	s_mov_b64 s[46:47], exec
	s_waitcnt vmcnt(0)
	v_mbcnt_lo_u32_b32 v2, s46, 0
	v_mbcnt_hi_u32_b32 v2, s47, v2
	v_cmp_eq_u32_e32 vcc, 0, v2
	;;#ASMSTART
	s_waitcnt lgkmcnt(0) vmcnt(0)
	;;#ASMEND
	s_and_saveexec_b64 s[44:45], vcc
	s_cbranch_execz .LBB35_204
; %bb.203:                              ;   in Loop: Header=BB35_47 Depth=1
	s_bcnt1_i32_b64 s12, s[46:47]
	v_mov_b32_e32 v2, s12
	s_waitcnt lgkmcnt(0)
	ds_add_u64 v0, v[2:3]
	s_trap 2
.LBB35_204:                             ;   in Loop: Header=BB35_47 Depth=1
	s_or_b64 exec, exec, s[44:45]
	s_trap 2
	ds_read_b64 v[8:9], v0
	s_waitcnt lgkmcnt(0)
	v_lshl_add_u64 v[56:57], v[56:57], 0, v[60:61]
	v_cmp_lt_u64_e32 vcc, v[8:9], v[56:57]
	s_and_saveexec_b64 s[44:45], vcc
	s_cbranch_execz .LBB35_213
; %bb.205:                              ;   in Loop: Header=BB35_47 Depth=1
	s_mov_b32 s12, 0
	s_mov_b64 s[46:47], 0
                                        ; implicit-def: $sgpr56_sgpr57
                                        ; implicit-def: $sgpr58_sgpr59
	s_branch .LBB35_207
.LBB35_206:                             ;   in Loop: Header=BB35_207 Depth=2
	s_or_b64 exec, exec, s[62:63]
	s_and_b64 s[60:61], exec, vcc
	s_or_b64 s[46:47], s[60:61], s[46:47]
	s_andn2_b64 s[56:57], s[56:57], exec
	s_and_b64 s[60:61], s[58:59], exec
	s_or_b64 s[56:57], s[56:57], s[60:61]
	s_andn2_b64 exec, exec, s[46:47]
	s_cbranch_execz .LBB35_211
.LBB35_207:                             ;   Parent Loop BB35_47 Depth=1
                                        ; =>  This Inner Loop Header: Depth=2
	s_add_i32 s12, s12, 1
	s_cmpk_lg_i32 s12, 0x2710
	s_cselect_b64 s[60:61], -1, 0
	s_and_b64 vcc, exec, s[60:61]
	s_cbranch_vccz .LBB35_209
; %bb.208:                              ;   in Loop: Header=BB35_207 Depth=2
	s_mov_b64 vcc, -1
	s_or_b64 s[58:59], s[58:59], exec
	s_and_saveexec_b64 s[62:63], s[60:61]
	s_cbranch_execz .LBB35_206
	s_branch .LBB35_210
.LBB35_209:                             ;   in Loop: Header=BB35_207 Depth=2
	s_trap 2
	ds_read_b64 v[8:9], v0
	s_andn2_b64 s[60:61], s[60:61], exec
	s_mov_b32 s12, 0
	s_waitcnt lgkmcnt(0)
	flat_load_dword v2, v[8:9] sc0 sc1
	s_waitcnt vmcnt(0) lgkmcnt(0)
	buffer_inv sc0 sc1
	v_cmp_eq_u32_e32 vcc, 0, v2
	s_and_b64 s[62:63], vcc, exec
	s_or_b64 s[60:61], s[60:61], s[62:63]
	s_mov_b64 vcc, -1
	s_or_b64 s[58:59], s[58:59], exec
	s_and_saveexec_b64 s[62:63], s[60:61]
	s_cbranch_execz .LBB35_206
.LBB35_210:                             ;   in Loop: Header=BB35_207 Depth=2
	s_sleep 1
	s_trap 2
	ds_read_b64 v[8:9], v0
	s_waitcnt lgkmcnt(0)
	s_andn2_b64 s[58:59], s[58:59], exec
	v_cmp_ge_u64_e32 vcc, v[8:9], v[56:57]
	s_orn2_b64 vcc, vcc, exec
	s_branch .LBB35_206
.LBB35_211:                             ;   in Loop: Header=BB35_47 Depth=1
	s_or_b64 exec, exec, s[46:47]
	s_and_saveexec_b64 s[12:13], s[56:57]
	s_xor_b64 s[12:13], exec, s[12:13]
	s_cbranch_execz .LBB35_213
; %bb.212:                              ;   in Loop: Header=BB35_47 Depth=1
	v_mov_b32_e32 v2, 1
	ds_write_b32 v0, v2
	s_trap 2
.LBB35_213:                             ;   in Loop: Header=BB35_47 Depth=1
	s_or_b64 exec, exec, s[44:45]
	;;#ASMSTART
	s_wakeup
	;;#ASMEND
.LBB35_214:                             ;   in Loop: Header=BB35_47 Depth=1
	s_or_b64 exec, exec, s[42:43]
.LBB35_215:                             ;   in Loop: Header=BB35_47 Depth=1
	s_andn2_saveexec_b64 s[40:41], s[40:41]
	s_cbranch_execz .LBB35_217
; %bb.216:                              ;   in Loop: Header=BB35_47 Depth=1
	;;#ASMSTART
	s_waitcnt lgkmcnt(0) vmcnt(0)
	;;#ASMEND
	s_barrier
.LBB35_217:                             ;   in Loop: Header=BB35_47 Depth=1
	s_or_b64 exec, exec, s[40:41]
	s_or_b64 exec, exec, s[24:25]
	v_cmp_ne_u32_e32 vcc, 0, v1
	s_and_saveexec_b64 s[24:25], vcc
	s_cbranch_execz .LBB35_221
.LBB35_218:                             ;   in Loop: Header=BB35_47 Depth=1
	s_and_saveexec_b64 s[40:41], s[8:9]
	s_cbranch_execz .LBB35_220
; %bb.219:                              ;   in Loop: Header=BB35_47 Depth=1
	scratch_load_dwordx2 v[8:9], off, s33 offset:304 ; 8-byte Folded Reload
	v_mov_b32_e32 v1, 1
	s_waitcnt vmcnt(0)
	flat_store_dword v[8:9], v1 sc0 sc1
.LBB35_220:                             ;   in Loop: Header=BB35_47 Depth=1
	s_or_b64 exec, exec, s[40:41]
	v_lshl_add_u64 v[4:5], v[4:5], 0, 4
	flat_store_dwordx2 v[40:41], v[4:5] sc0 sc1
.LBB35_221:                             ;   in Loop: Header=BB35_47 Depth=1
	s_or_b64 exec, exec, s[24:25]
	v_mov_b32_e32 v1, v0
.LBB35_222:                             ;   in Loop: Header=BB35_47 Depth=1
	s_or_b64 exec, exec, s[28:29]
	s_and_saveexec_b64 s[28:29], s[26:27]
	s_cbranch_execz .LBB35_292
; %bb.223:                              ;   in Loop: Header=BB35_47 Depth=1
	v_sub_u32_e32 v1, v6, v1
	v_min_i32_e32 v0, v0, v1
	v_and_b32_e32 v1, 8, v106
	v_cmp_ne_u32_e32 vcc, 0, v1
	s_and_saveexec_b64 s[26:27], vcc
	s_cbranch_execz .LBB35_245
; %bb.224:                              ;   in Loop: Header=BB35_47 Depth=1
	s_waitcnt lgkmcnt(0)
	v_lshl_add_u64 v[6:7], v[46:47], 0, 8
	v_lshl_add_u64 v[8:9], v[4:5], 0, 4
	v_cmp_lt_u64_e32 vcc, v[6:7], v[8:9]
	s_and_saveexec_b64 s[40:41], vcc
	s_cbranch_execz .LBB35_236
; %bb.225:                              ;   in Loop: Header=BB35_47 Depth=1
	v_and_b32_e32 v1, 64, v106
	s_mov_b32 s12, 0
	v_cmp_eq_u32_e32 vcc, 0, v1
	s_mov_b64 s[42:43], 0
                                        ; implicit-def: $sgpr44_sgpr45
                                        ; implicit-def: $sgpr46_sgpr47
                                        ; implicit-def: $sgpr56_sgpr57
	s_branch .LBB35_229
.LBB35_226:                             ;   in Loop: Header=BB35_229 Depth=2
	s_waitcnt vmcnt(0) lgkmcnt(0)
	v_lshl_add_u64 v[6:7], v[46:47], 0, 8
	v_cmp_ge_u64_e64 s[24:25], v[6:7], v[8:9]
	s_or_b64 s[62:63], s[62:63], exec
	s_orn2_b64 s[60:61], s[24:25], exec
.LBB35_227:                             ;   in Loop: Header=BB35_229 Depth=2
	s_or_b64 exec, exec, s[54:55]
	s_andn2_b64 s[24:25], s[56:57], exec
	s_and_b64 s[56:57], s[62:63], exec
	s_or_b64 s[56:57], s[24:25], s[56:57]
	s_andn2_b64 s[24:25], s[46:47], exec
	s_and_b64 s[46:47], s[60:61], exec
	s_or_b64 s[46:47], s[24:25], s[46:47]
.LBB35_228:                             ;   in Loop: Header=BB35_229 Depth=2
	s_or_b64 exec, exec, s[58:59]
	s_and_b64 s[24:25], exec, s[46:47]
	s_or_b64 s[42:43], s[24:25], s[42:43]
	s_andn2_b64 s[24:25], s[44:45], exec
	s_and_b64 s[44:45], s[56:57], exec
	s_or_b64 s[44:45], s[24:25], s[44:45]
	s_andn2_b64 exec, exec, s[42:43]
	s_cbranch_execz .LBB35_233
.LBB35_229:                             ;   Parent Loop BB35_47 Depth=1
                                        ; =>  This Inner Loop Header: Depth=2
	s_sleep 1
	s_waitcnt vmcnt(0) lgkmcnt(0)
	flat_load_dwordx2 v[46:47], v[40:41] sc0 sc1
	s_or_b64 s[56:57], s[56:57], exec
	s_or_b64 s[46:47], s[46:47], exec
                                        ; implicit-def: $vgpr1
	s_and_saveexec_b64 s[58:59], vcc
	s_cbranch_execz .LBB35_228
; %bb.230:                              ;   in Loop: Header=BB35_229 Depth=2
	s_cmpk_lt_i32 s12, 0x270f
	s_cselect_b64 s[52:53], -1, 0
	s_cmpk_gt_i32 s12, 0x270e
	s_mov_b64 s[60:61], -1
	s_cbranch_scc0 .LBB35_232
; %bb.231:                              ;   in Loop: Header=BB35_229 Depth=2
	s_trap 2
	ds_read_b64 v[6:7], v0
	s_andn2_b64 s[52:53], s[52:53], exec
	s_mov_b32 s12, 0
	s_mov_b64 s[62:63], 0
	s_waitcnt vmcnt(0) lgkmcnt(0)
	flat_load_dword v1, v[6:7] sc0 sc1
	s_waitcnt vmcnt(0) lgkmcnt(0)
	buffer_inv sc0 sc1
	v_cmp_eq_u32_e64 s[24:25], 0, v1
	s_and_b64 s[24:25], s[24:25], exec
	s_or_b64 s[52:53], s[52:53], s[24:25]
	s_and_saveexec_b64 s[54:55], s[52:53]
	s_cbranch_execz .LBB35_227
	s_branch .LBB35_226
.LBB35_232:                             ;   in Loop: Header=BB35_229 Depth=2
	s_add_i32 s12, s12, 1
	s_mov_b64 s[62:63], -1
                                        ; implicit-def: $vgpr1
	s_and_saveexec_b64 s[54:55], s[52:53]
	s_cbranch_execz .LBB35_227
	s_branch .LBB35_226
.LBB35_233:                             ;   in Loop: Header=BB35_47 Depth=1
	s_or_b64 exec, exec, s[42:43]
	s_xor_b64 s[12:13], s[44:45], -1
	s_and_saveexec_b64 s[24:25], s[12:13]
	s_xor_b64 s[24:25], exec, s[24:25]
	s_cbranch_execz .LBB35_235
; %bb.234:                              ;   in Loop: Header=BB35_47 Depth=1
	v_or_b32_e32 v106, 64, v106
	s_waitcnt lgkmcnt(0)
	ds_write_b32 v0, v1
	s_trap 2
.LBB35_235:                             ;   in Loop: Header=BB35_47 Depth=1
	s_or_b64 exec, exec, s[24:25]
.LBB35_236:                             ;   in Loop: Header=BB35_47 Depth=1
	s_or_b64 exec, exec, s[40:41]
	v_and_b32_e32 v1, 0x100, v106
	v_cmp_ne_u32_e32 vcc, 0, v1
	s_waitcnt vmcnt(0)
	v_and_b32_e32 v2, 7, v4
	s_mov_b64 s[24:25], -1
	;;#ASMSTART
	s_wakeup
	;;#ASMEND
                                        ; implicit-def: $vgpr4_vgpr5
	s_and_saveexec_b64 s[40:41], vcc
	s_cbranch_execz .LBB35_240
; %bb.237:                              ;   in Loop: Header=BB35_47 Depth=1
	scratch_load_dwordx4 v[4:7], off, s33 offset:288 ; 16-byte Folded Reload
	v_ashrrev_i32_e32 v1, 31, v0
	s_waitcnt vmcnt(0)
	v_mad_u64_u32 v[10:11], s[12:13], v2, 24, v[4:5]
	flat_load_dword v6, v[10:11]
	v_lshlrev_b64 v[4:5], 1, v[0:1]
	flat_store_dwordx2 v[10:11], v[4:5] offset:8
                                        ; implicit-def: $vgpr4_vgpr5
	s_waitcnt vmcnt(0) lgkmcnt(0)
	v_cmp_ne_u32_e32 vcc, 1, v6
	v_cmp_eq_u32_e64 s[24:25], 1, v6
	s_and_saveexec_b64 s[42:43], s[24:25]
	s_cbranch_execz .LBB35_239
; %bb.238:                              ;   in Loop: Header=BB35_47 Depth=1
	flat_load_dword v4, v[10:11] offset:4 sc0 sc1
	s_waitcnt vmcnt(0) lgkmcnt(0)
	v_ashrrev_i32_e32 v5, 31, v4
	v_lshrrev_b64 v[4:5], 1, v[4:5]
.LBB35_239:                             ;   in Loop: Header=BB35_47 Depth=1
	s_or_b64 exec, exec, s[42:43]
	s_orn2_b64 s[24:25], vcc, exec
.LBB35_240:                             ;   in Loop: Header=BB35_47 Depth=1
	s_or_b64 exec, exec, s[40:41]
	s_and_saveexec_b64 s[40:41], s[24:25]
	s_cbranch_execz .LBB35_242
; %bb.241:                              ;   in Loop: Header=BB35_47 Depth=1
	scratch_load_dwordx2 v[4:5], off, s33 offset:360 ; 8-byte Folded Reload
	s_waitcnt vmcnt(0)
	v_mad_i64_i32 v[4:5], s[12:13], v2, v4, 0
.LBB35_242:                             ;   in Loop: Header=BB35_47 Depth=1
	s_or_b64 exec, exec, s[40:41]
	scratch_load_dwordx2 v[6:7], off, s33 offset:272 ; 8-byte Folded Reload
	v_and_b32_e32 v1, 0x2000, v106
	v_cmp_ne_u32_e32 vcc, 0, v1
	s_waitcnt vmcnt(0)
	v_lshl_add_u64 v[4:5], v[4:5], 1, v[6:7]
	ds_write_b64 v0, v[4:5] offset:784
	s_and_saveexec_b64 s[24:25], vcc
	s_cbranch_execz .LBB35_244
; %bb.243:                              ;   in Loop: Header=BB35_47 Depth=1
	ds_read_b64 v[4:5], v0 offset:872
	s_waitcnt lgkmcnt(0)
	v_lshl_add_u64 v[4:5], v[4:5], 0, 1
	ds_write_b64 v0, v[4:5] offset:872
.LBB35_244:                             ;   in Loop: Header=BB35_47 Depth=1
	s_or_b64 exec, exec, s[24:25]
	v_mov_b64_e32 v[4:5], v[8:9]
.LBB35_245:                             ;   in Loop: Header=BB35_47 Depth=1
	s_or_b64 exec, exec, s[26:27]
	s_and_saveexec_b64 s[24:25], s[6:7]
	s_cbranch_execz .LBB35_264
; %bb.246:                              ;   in Loop: Header=BB35_47 Depth=1
	s_and_saveexec_b64 s[12:13], s[78:79]
	s_xor_b64 s[26:27], exec, s[12:13]
	s_cbranch_execz .LBB35_261
; %bb.247:                              ;   in Loop: Header=BB35_47 Depth=1
	s_and_saveexec_b64 s[40:41], s[14:15]
	s_cbranch_execz .LBB35_260
; %bb.248:                              ;   in Loop: Header=BB35_47 Depth=1
	s_mov_b64 s[44:45], exec
	v_mbcnt_lo_u32_b32 v1, s44, 0
	v_mbcnt_hi_u32_b32 v1, s45, v1
	v_cmp_eq_u32_e32 vcc, 0, v1
	s_waitcnt lgkmcnt(0)
	s_and_saveexec_b64 s[42:43], vcc
	s_cbranch_execz .LBB35_250
; %bb.249:                              ;   in Loop: Header=BB35_47 Depth=1
	s_bcnt1_i32_b64 s12, s[44:45]
	s_waitcnt vmcnt(0)
	v_mov_b32_e32 v2, s12
	ds_add_u64 v0, v[2:3]
	s_trap 2
.LBB35_250:                             ;   in Loop: Header=BB35_47 Depth=1
	s_or_b64 exec, exec, s[42:43]
	s_trap 2
	ds_read_b64 v[6:7], v0
	s_waitcnt lgkmcnt(0)
	v_lshl_add_u64 v[56:57], v[56:57], 0, v[60:61]
	v_cmp_lt_u64_e32 vcc, v[6:7], v[56:57]
	s_and_saveexec_b64 s[42:43], vcc
	s_cbranch_execz .LBB35_259
; %bb.251:                              ;   in Loop: Header=BB35_47 Depth=1
	s_mov_b32 s12, 0
	s_mov_b64 s[44:45], 0
                                        ; implicit-def: $sgpr46_sgpr47
                                        ; implicit-def: $sgpr56_sgpr57
	s_branch .LBB35_253
.LBB35_252:                             ;   in Loop: Header=BB35_253 Depth=2
	s_or_b64 exec, exec, s[60:61]
	s_and_b64 s[58:59], exec, s[62:63]
	s_or_b64 s[44:45], s[58:59], s[44:45]
	s_andn2_b64 s[46:47], s[46:47], exec
	s_and_b64 s[58:59], s[56:57], exec
	s_or_b64 s[46:47], s[46:47], s[58:59]
	s_andn2_b64 exec, exec, s[44:45]
	s_cbranch_execz .LBB35_257
.LBB35_253:                             ;   Parent Loop BB35_47 Depth=1
                                        ; =>  This Inner Loop Header: Depth=2
	s_add_i32 s12, s12, 1
	s_cmpk_lg_i32 s12, 0x2710
	s_cselect_b64 s[58:59], -1, 0
	s_and_b64 vcc, exec, s[58:59]
	s_cbranch_vccz .LBB35_255
; %bb.254:                              ;   in Loop: Header=BB35_253 Depth=2
	s_mov_b64 s[62:63], -1
	s_or_b64 s[56:57], s[56:57], exec
	s_and_saveexec_b64 s[60:61], s[58:59]
	s_cbranch_execz .LBB35_252
	s_branch .LBB35_256
.LBB35_255:                             ;   in Loop: Header=BB35_253 Depth=2
	s_trap 2
	ds_read_b64 v[6:7], v0
	s_andn2_b64 s[58:59], s[58:59], exec
	s_mov_b32 s12, 0
	s_waitcnt vmcnt(0) lgkmcnt(0)
	flat_load_dword v1, v[6:7] sc0 sc1
	s_waitcnt vmcnt(0) lgkmcnt(0)
	buffer_inv sc0 sc1
	v_cmp_eq_u32_e32 vcc, 0, v1
	s_and_b64 s[60:61], vcc, exec
	s_or_b64 s[58:59], s[58:59], s[60:61]
	s_mov_b64 s[62:63], -1
	s_or_b64 s[56:57], s[56:57], exec
	s_and_saveexec_b64 s[60:61], s[58:59]
	s_cbranch_execz .LBB35_252
.LBB35_256:                             ;   in Loop: Header=BB35_253 Depth=2
	s_sleep 1
	s_trap 2
	ds_read_b64 v[6:7], v0
	s_waitcnt lgkmcnt(0)
	s_andn2_b64 s[56:57], s[56:57], exec
	v_cmp_ge_u64_e32 vcc, v[6:7], v[56:57]
	s_orn2_b64 s[62:63], vcc, exec
	s_branch .LBB35_252
.LBB35_257:                             ;   in Loop: Header=BB35_47 Depth=1
	s_or_b64 exec, exec, s[44:45]
	s_and_saveexec_b64 s[12:13], s[46:47]
	s_xor_b64 s[12:13], exec, s[12:13]
	s_cbranch_execz .LBB35_259
; %bb.258:                              ;   in Loop: Header=BB35_47 Depth=1
	v_mov_b32_e32 v1, 1
	ds_write_b32 v0, v1
	s_trap 2
.LBB35_259:                             ;   in Loop: Header=BB35_47 Depth=1
	s_or_b64 exec, exec, s[42:43]
	;;#ASMSTART
	s_wakeup
	;;#ASMEND
.LBB35_260:                             ;   in Loop: Header=BB35_47 Depth=1
	s_or_b64 exec, exec, s[40:41]
.LBB35_261:                             ;   in Loop: Header=BB35_47 Depth=1
	s_andn2_saveexec_b64 s[26:27], s[26:27]
	s_cbranch_execz .LBB35_263
; %bb.262:                              ;   in Loop: Header=BB35_47 Depth=1
	s_waitcnt lgkmcnt(0)
	s_barrier
.LBB35_263:                             ;   in Loop: Header=BB35_47 Depth=1
	s_or_b64 exec, exec, s[26:27]
.LBB35_264:                             ;   in Loop: Header=BB35_47 Depth=1
	s_or_b64 exec, exec, s[24:25]
	v_and_b32_e32 v1, 16, v106
	s_and_saveexec_b64 s[12:13], s[22:23]
	s_xor_b64 s[24:25], exec, s[12:13]
	s_cbranch_execz .LBB35_269
; %bb.265:                              ;   in Loop: Header=BB35_47 Depth=1
	s_trap 2
	s_waitcnt vmcnt(0)
	ds_read_b32 v2, v0
	v_cmp_lt_i32_e32 vcc, 0, v0
	v_and_b32_e32 v0, 16, v106
	v_and_b32_e32 v1, 16, v106
	s_waitcnt lgkmcnt(0)
	v_readfirstlane_b32 s12, v2
	s_cmp_eq_u32 s12, 0
	s_cselect_b64 s[12:13], -1, 0
	s_and_b64 s[12:13], vcc, s[12:13]
	v_cmp_ne_u32_e32 vcc, 0, v0
	s_and_b64 s[12:13], vcc, s[12:13]
	s_and_saveexec_b64 s[26:27], s[12:13]
	s_cbranch_execz .LBB35_267
; %bb.266:                              ;   in Loop: Header=BB35_47 Depth=1
	v_mov_b32_e32 v1, 1
	buffer_wbl2 sc1
	buffer_inv sc1
.LBB35_267:                             ;   in Loop: Header=BB35_47 Depth=1
	s_or_b64 exec, exec, s[26:27]
	s_andn2_saveexec_b64 s[24:25], s[24:25]
	s_cbranch_execnz .LBB35_270
.LBB35_268:                             ;   in Loop: Header=BB35_47 Depth=1
	s_or_b64 exec, exec, s[24:25]
	v_cmp_ne_u32_e32 vcc, 0, v1
	s_and_saveexec_b64 s[24:25], vcc
	s_cbranch_execnz .LBB35_288
	s_branch .LBB35_291
.LBB35_269:                             ;   in Loop: Header=BB35_47 Depth=1
	s_andn2_saveexec_b64 s[24:25], s[24:25]
	s_cbranch_execz .LBB35_268
.LBB35_270:                             ;   in Loop: Header=BB35_47 Depth=1
	s_and_saveexec_b64 s[12:13], s[78:79]
	s_xor_b64 s[26:27], exec, s[12:13]
	s_cbranch_execz .LBB35_285
; %bb.271:                              ;   in Loop: Header=BB35_47 Depth=1
	s_and_saveexec_b64 s[40:41], s[14:15]
	s_cbranch_execz .LBB35_284
; %bb.272:                              ;   in Loop: Header=BB35_47 Depth=1
	s_mov_b64 s[44:45], exec
	v_mbcnt_lo_u32_b32 v0, s44, 0
	v_mbcnt_hi_u32_b32 v0, s45, v0
	v_cmp_eq_u32_e32 vcc, 0, v0
	;;#ASMSTART
	s_waitcnt lgkmcnt(0) vmcnt(0)
	;;#ASMEND
	s_and_saveexec_b64 s[42:43], vcc
	s_cbranch_execz .LBB35_274
; %bb.273:                              ;   in Loop: Header=BB35_47 Depth=1
	s_bcnt1_i32_b64 s12, s[44:45]
	s_waitcnt vmcnt(0)
	v_mov_b32_e32 v2, s12
	s_waitcnt lgkmcnt(0)
	ds_add_u64 v0, v[2:3]
	s_trap 2
.LBB35_274:                             ;   in Loop: Header=BB35_47 Depth=1
	s_or_b64 exec, exec, s[42:43]
	s_trap 2
	ds_read_b64 v[6:7], v0
	s_waitcnt lgkmcnt(0)
	v_lshl_add_u64 v[56:57], v[56:57], 0, v[60:61]
	v_cmp_lt_u64_e32 vcc, v[6:7], v[56:57]
	s_and_saveexec_b64 s[42:43], vcc
	s_cbranch_execz .LBB35_283
; %bb.275:                              ;   in Loop: Header=BB35_47 Depth=1
	s_mov_b32 s12, 0
	s_mov_b64 s[44:45], 0
                                        ; implicit-def: $sgpr46_sgpr47
                                        ; implicit-def: $sgpr56_sgpr57
	s_branch .LBB35_277
.LBB35_276:                             ;   in Loop: Header=BB35_277 Depth=2
	s_or_b64 exec, exec, s[60:61]
	s_and_b64 s[58:59], exec, s[62:63]
	s_or_b64 s[44:45], s[58:59], s[44:45]
	s_andn2_b64 s[46:47], s[46:47], exec
	s_and_b64 s[58:59], s[56:57], exec
	s_or_b64 s[46:47], s[46:47], s[58:59]
	s_andn2_b64 exec, exec, s[44:45]
	s_cbranch_execz .LBB35_281
.LBB35_277:                             ;   Parent Loop BB35_47 Depth=1
                                        ; =>  This Inner Loop Header: Depth=2
	s_add_i32 s12, s12, 1
	s_cmpk_lg_i32 s12, 0x2710
	s_cselect_b64 s[58:59], -1, 0
	s_and_b64 vcc, exec, s[58:59]
	s_cbranch_vccz .LBB35_279
; %bb.278:                              ;   in Loop: Header=BB35_277 Depth=2
	s_mov_b64 s[62:63], -1
	s_or_b64 s[56:57], s[56:57], exec
	s_and_saveexec_b64 s[60:61], s[58:59]
	s_cbranch_execz .LBB35_276
	s_branch .LBB35_280
.LBB35_279:                             ;   in Loop: Header=BB35_277 Depth=2
	s_trap 2
	ds_read_b64 v[6:7], v0
	s_andn2_b64 s[58:59], s[58:59], exec
	s_mov_b32 s12, 0
	s_waitcnt vmcnt(0) lgkmcnt(0)
	flat_load_dword v0, v[6:7] sc0 sc1
	s_waitcnt vmcnt(0) lgkmcnt(0)
	buffer_inv sc0 sc1
	v_cmp_eq_u32_e32 vcc, 0, v0
	s_and_b64 s[60:61], vcc, exec
	s_or_b64 s[58:59], s[58:59], s[60:61]
	s_mov_b64 s[62:63], -1
	s_or_b64 s[56:57], s[56:57], exec
	s_and_saveexec_b64 s[60:61], s[58:59]
	s_cbranch_execz .LBB35_276
.LBB35_280:                             ;   in Loop: Header=BB35_277 Depth=2
	s_sleep 1
	s_trap 2
	ds_read_b64 v[6:7], v0
	s_waitcnt lgkmcnt(0)
	s_andn2_b64 s[56:57], s[56:57], exec
	v_cmp_ge_u64_e32 vcc, v[6:7], v[56:57]
	s_orn2_b64 s[62:63], vcc, exec
	s_branch .LBB35_276
.LBB35_281:                             ;   in Loop: Header=BB35_47 Depth=1
	s_or_b64 exec, exec, s[44:45]
	s_and_saveexec_b64 s[12:13], s[46:47]
	s_xor_b64 s[12:13], exec, s[12:13]
	s_cbranch_execz .LBB35_283
; %bb.282:                              ;   in Loop: Header=BB35_47 Depth=1
	v_mov_b32_e32 v0, 1
	ds_write_b32 v0, v0
	s_trap 2
.LBB35_283:                             ;   in Loop: Header=BB35_47 Depth=1
	s_or_b64 exec, exec, s[42:43]
	;;#ASMSTART
	s_wakeup
	;;#ASMEND
.LBB35_284:                             ;   in Loop: Header=BB35_47 Depth=1
	s_or_b64 exec, exec, s[40:41]
.LBB35_285:                             ;   in Loop: Header=BB35_47 Depth=1
	s_andn2_saveexec_b64 s[26:27], s[26:27]
	s_cbranch_execz .LBB35_287
; %bb.286:                              ;   in Loop: Header=BB35_47 Depth=1
	;;#ASMSTART
	s_waitcnt lgkmcnt(0) vmcnt(0)
	;;#ASMEND
	s_barrier
.LBB35_287:                             ;   in Loop: Header=BB35_47 Depth=1
	s_or_b64 exec, exec, s[26:27]
	s_or_b64 exec, exec, s[24:25]
	v_cmp_ne_u32_e32 vcc, 0, v1
	s_and_saveexec_b64 s[24:25], vcc
	s_cbranch_execz .LBB35_291
.LBB35_288:                             ;   in Loop: Header=BB35_47 Depth=1
	s_and_saveexec_b64 s[26:27], s[8:9]
	s_cbranch_execz .LBB35_290
; %bb.289:                              ;   in Loop: Header=BB35_47 Depth=1
	scratch_load_dwordx2 v[0:1], off, s33 offset:304 ; 8-byte Folded Reload
	s_waitcnt vmcnt(0)
	v_mov_b32_e32 v2, 1
	flat_store_dword v[0:1], v2 sc0 sc1
.LBB35_290:                             ;   in Loop: Header=BB35_47 Depth=1
	s_or_b64 exec, exec, s[26:27]
	v_lshl_add_u64 v[4:5], v[4:5], 0, 4
	flat_store_dwordx2 v[40:41], v[4:5] sc0 sc1
.LBB35_291:                             ;   in Loop: Header=BB35_47 Depth=1
	s_or_b64 exec, exec, s[24:25]
.LBB35_292:                             ;   in Loop: Header=BB35_47 Depth=1
	s_or_b64 exec, exec, s[28:29]
	v_cndmask_b32_e64 v0, 0, 1, s[38:39]
	v_cmp_ne_u32_e64 s[24:25], 1, v0
	s_andn2_b64 vcc, exec, s[38:39]
	s_cbranch_vccnz .LBB35_1233
; %bb.293:                              ;   in Loop: Header=BB35_47 Depth=1
	s_mov_b32 s76, 2
	s_branch .LBB35_296
.LBB35_294:                             ;   in Loop: Header=BB35_296 Depth=2
	s_or_b64 exec, exec, s[26:27]
.LBB35_295:                             ;   in Loop: Header=BB35_296 Depth=2
	s_or_b64 exec, exec, s[28:29]
	s_add_i32 s76, s76, 1
	s_cmp_eq_u32 s76, s70
	s_cbranch_scc1 .LBB35_1233
.LBB35_296:                             ;   Parent Loop BB35_47 Depth=1
                                        ; =>  This Loop Header: Depth=2
                                        ;       Child Loop BB35_305 Depth 3
                                        ;       Child Loop BB35_333 Depth 3
	;; [unrolled: 1-line block ×5, first 2 shown]
                                        ;         Child Loop BB35_779 Depth 4
                                        ;         Child Loop BB35_816 Depth 4
                                        ;       Child Loop BB35_893 Depth 3
                                        ;       Child Loop BB35_1096 Depth 3
                                        ;         Child Loop BB35_1097 Depth 4
                                        ;         Child Loop BB35_1106 Depth 4
                                        ;       Child Loop BB35_1125 Depth 3
                                        ;       Child Loop BB35_1144 Depth 3
	;; [unrolled: 1-line block ×5, first 2 shown]
	s_sub_i32 s12, s82, s76
	s_cmp_ge_i32 s12, s70
	s_cselect_b32 s13, s70, 0
	s_sub_i32 s12, s12, s13
	s_ashr_i32 s13, s12, 31
	s_waitcnt vmcnt(0)
	v_mul_lo_u32 v2, v62, s13
	v_mul_lo_u32 v6, v63, s12
	v_mad_u64_u32 v[0:1], s[12:13], v62, s12, 0
	v_add3_u32 v1, v1, v2, v6
	v_sub_co_u32_e32 v6, vcc, v72, v0
	s_nop 1
	v_subb_co_u32_e32 v7, vcc, v73, v1, vcc
	v_cmp_lt_i64_e32 vcc, v[62:63], v[6:7]
	s_nop 1
	v_cndmask_b32_e32 v2, v6, v62, vcc
	v_max_i32_e32 v30, 0, v2
	v_add_u32_e32 v6, 15, v30
	v_ashrrev_i32_e32 v7, 31, v6
	v_lshrrev_b32_e32 v7, 28, v7
	v_add_u32_e32 v6, v6, v7
	v_cmp_gt_i32_e32 vcc, 1, v2
	v_and_b32_e32 v6, -16, v6
	s_or_b64 s[42:43], s[2:3], vcc
	s_waitcnt lgkmcnt(0)
	v_max_i32_e32 v28, s85, v6
	s_xor_b64 s[12:13], s[42:43], -1
	v_mov_b32_e32 v2, 0
	s_and_saveexec_b64 s[44:45], s[12:13]
	s_cbranch_execz .LBB35_1160
; %bb.297:                              ;   in Loop: Header=BB35_296 Depth=2
	s_and_saveexec_b64 s[26:27], s[0:1]
	s_cbranch_execz .LBB35_299
; %bb.298:                              ;   in Loop: Header=BB35_296 Depth=2
	s_trap 2
	scratch_load_dwordx2 v[8:9], off, s33 offset:352 ; 8-byte Folded Reload
	ds_read_b64 v[6:7], v0
	s_waitcnt vmcnt(0) lgkmcnt(0)
	v_lshl_add_u64 v[6:7], v[8:9], 1, v[6:7]
	v_lshl_add_u64 v[0:1], v[0:1], 1, v[6:7]
	ds_write_b64 v0, v[0:1]
	scratch_load_dwordx2 v[0:1], off, s33 offset:392 ; 8-byte Folded Reload
	s_waitcnt vmcnt(0)
	ds_write_b64 v0, v[0:1]
.LBB35_299:                             ;   in Loop: Header=BB35_296 Depth=2
	s_or_b64 exec, exec, s[26:27]
	v_and_b32_e32 v0, 12, v106
	v_min_i32_e32 v28, v28, v30
	v_cmp_ne_u32_e32 vcc, 0, v0
	s_and_saveexec_b64 s[28:29], vcc
	s_cbranch_execz .LBB35_325
; %bb.300:                              ;   in Loop: Header=BB35_296 Depth=2
	v_and_b32_e32 v2, 8, v106
	s_waitcnt lgkmcnt(0)
	v_lshl_add_u64 v[6:7], v[46:47], 0, v[2:3]
	v_lshl_add_u64 v[0:1], v[4:5], 0, 4
	v_cmp_lt_u64_e32 vcc, v[6:7], v[0:1]
	s_and_saveexec_b64 s[40:41], vcc
	s_cbranch_execz .LBB35_312
; %bb.301:                              ;   in Loop: Header=BB35_296 Depth=2
	v_and_b32_e32 v5, 64, v106
	s_mov_b32 s12, 0
	v_cmp_eq_u32_e32 vcc, 0, v5
	s_mov_b64 s[46:47], 0
                                        ; implicit-def: $sgpr56_sgpr57
                                        ; implicit-def: $sgpr58_sgpr59
                                        ; implicit-def: $sgpr60_sgpr61
	s_branch .LBB35_305
.LBB35_302:                             ;   in Loop: Header=BB35_305 Depth=3
	s_waitcnt vmcnt(0) lgkmcnt(0)
	v_lshl_add_u64 v[6:7], v[46:47], 0, v[2:3]
	v_cmp_ge_u64_e64 s[26:27], v[6:7], v[0:1]
	s_or_b64 s[54:55], s[54:55], exec
	s_orn2_b64 s[52:53], s[26:27], exec
.LBB35_303:                             ;   in Loop: Header=BB35_305 Depth=3
	s_or_b64 exec, exec, s[66:67]
	s_andn2_b64 s[26:27], s[60:61], exec
	s_and_b64 s[60:61], s[54:55], exec
	s_or_b64 s[60:61], s[26:27], s[60:61]
	s_andn2_b64 s[26:27], s[58:59], exec
	s_and_b64 s[58:59], s[52:53], exec
	s_or_b64 s[58:59], s[26:27], s[58:59]
.LBB35_304:                             ;   in Loop: Header=BB35_305 Depth=3
	s_or_b64 exec, exec, s[62:63]
	s_and_b64 s[26:27], exec, s[58:59]
	s_or_b64 s[46:47], s[26:27], s[46:47]
	s_andn2_b64 s[26:27], s[56:57], exec
	s_and_b64 s[56:57], s[60:61], exec
	s_or_b64 s[56:57], s[26:27], s[56:57]
	s_andn2_b64 exec, exec, s[46:47]
	s_cbranch_execz .LBB35_309
.LBB35_305:                             ;   Parent Loop BB35_47 Depth=1
                                        ;     Parent Loop BB35_296 Depth=2
                                        ; =>    This Inner Loop Header: Depth=3
	s_sleep 1
	s_waitcnt vmcnt(0) lgkmcnt(0)
	flat_load_dwordx2 v[46:47], v[40:41] sc0 sc1
	s_or_b64 s[60:61], s[60:61], exec
	s_or_b64 s[58:59], s[58:59], exec
                                        ; implicit-def: $vgpr5
	s_and_saveexec_b64 s[62:63], vcc
	s_cbranch_execz .LBB35_304
; %bb.306:                              ;   in Loop: Header=BB35_305 Depth=3
	s_cmpk_lt_i32 s12, 0x270f
	s_cselect_b64 s[64:65], -1, 0
	s_cmpk_gt_i32 s12, 0x270e
	s_mov_b64 s[52:53], -1
	s_cbranch_scc0 .LBB35_308
; %bb.307:                              ;   in Loop: Header=BB35_305 Depth=3
	s_trap 2
	ds_read_b64 v[6:7], v0
	s_andn2_b64 s[64:65], s[64:65], exec
	s_mov_b32 s12, 0
	s_mov_b64 s[54:55], 0
	s_waitcnt vmcnt(0) lgkmcnt(0)
	flat_load_dword v5, v[6:7] sc0 sc1
	s_waitcnt vmcnt(0) lgkmcnt(0)
	buffer_inv sc0 sc1
	v_cmp_eq_u32_e64 s[26:27], 0, v5
	s_and_b64 s[26:27], s[26:27], exec
	s_or_b64 s[64:65], s[64:65], s[26:27]
	s_and_saveexec_b64 s[66:67], s[64:65]
	s_cbranch_execz .LBB35_303
	s_branch .LBB35_302
.LBB35_308:                             ;   in Loop: Header=BB35_305 Depth=3
	s_add_i32 s12, s12, 1
	s_mov_b64 s[54:55], -1
                                        ; implicit-def: $vgpr5
	s_and_saveexec_b64 s[66:67], s[64:65]
	s_cbranch_execz .LBB35_303
	s_branch .LBB35_302
.LBB35_309:                             ;   in Loop: Header=BB35_296 Depth=2
	s_or_b64 exec, exec, s[46:47]
	s_xor_b64 s[12:13], s[56:57], -1
	s_and_saveexec_b64 s[26:27], s[12:13]
	s_xor_b64 s[26:27], exec, s[26:27]
	s_cbranch_execz .LBB35_311
; %bb.310:                              ;   in Loop: Header=BB35_296 Depth=2
	v_or_b32_e32 v106, 64, v106
	s_waitcnt lgkmcnt(0)
	ds_write_b32 v0, v5
	s_trap 2
.LBB35_311:                             ;   in Loop: Header=BB35_296 Depth=2
	s_or_b64 exec, exec, s[26:27]
.LBB35_312:                             ;   in Loop: Header=BB35_296 Depth=2
	s_or_b64 exec, exec, s[40:41]
	v_and_b32_e32 v5, 0x108, v106
	v_cmp_ne_u32_e32 vcc, s50, v5
	;;#ASMSTART
	s_wakeup
	;;#ASMEND
                                        ; implicit-def: $vgpr8_vgpr9
	s_and_saveexec_b64 s[12:13], vcc
	s_xor_b64 s[26:27], exec, s[12:13]
; %bb.313:                              ;   in Loop: Header=BB35_296 Depth=2
	v_and_b32_e32 v8, 7, v4
	v_mov_b32_e32 v9, v3
                                        ; implicit-def: $vgpr4_vgpr5
; %bb.314:                              ;   in Loop: Header=BB35_296 Depth=2
	s_andn2_saveexec_b64 s[26:27], s[26:27]
	s_cbranch_execz .LBB35_316
; %bb.315:                              ;   in Loop: Header=BB35_296 Depth=2
	v_and_b32_e32 v8, 7, v4
	scratch_load_dwordx4 v[4:7], off, s33 offset:288 ; 16-byte Folded Reload
	v_ashrrev_i32_e32 v29, 31, v28
	v_mov_b32_e32 v9, v3
	s_waitcnt vmcnt(0)
	v_lshlrev_b64 v[6:7], 1, v[28:29]
	v_mad_u64_u32 v[4:5], s[12:13], v8, 24, v[4:5]
	flat_store_dwordx2 v[4:5], v[6:7] offset:8
.LBB35_316:                             ;   in Loop: Header=BB35_296 Depth=2
	s_or_b64 exec, exec, s[26:27]
	v_and_b32_e32 v4, 0x100, v106
	v_cmp_ne_u32_e32 vcc, 0, v4
	s_mov_b64 s[26:27], -1
                                        ; implicit-def: $vgpr4_vgpr5
	s_and_saveexec_b64 s[40:41], vcc
	s_cbranch_execz .LBB35_320
; %bb.317:                              ;   in Loop: Header=BB35_296 Depth=2
	scratch_load_dwordx4 v[4:7], off, s33 offset:288 ; 16-byte Folded Reload
	s_waitcnt vmcnt(0)
	v_mad_u64_u32 v[10:11], s[12:13], v8, 24, v[4:5]
	v_mov_b32_e32 v4, v11
	v_mad_u64_u32 v[4:5], s[12:13], v9, 24, v[4:5]
	v_mov_b32_e32 v11, v4
	flat_load_dword v4, v[10:11]
	s_waitcnt vmcnt(0) lgkmcnt(0)
	v_cmp_ne_u32_e32 vcc, 1, v4
	v_cmp_eq_u32_e64 s[26:27], 1, v4
                                        ; implicit-def: $vgpr4_vgpr5
	s_and_saveexec_b64 s[46:47], s[26:27]
	s_cbranch_execz .LBB35_319
; %bb.318:                              ;   in Loop: Header=BB35_296 Depth=2
	flat_load_dword v4, v[10:11] offset:4 sc0 sc1
	s_waitcnt vmcnt(0) lgkmcnt(0)
	v_ashrrev_i32_e32 v5, 31, v4
	v_lshrrev_b64 v[4:5], 1, v[4:5]
.LBB35_319:                             ;   in Loop: Header=BB35_296 Depth=2
	s_or_b64 exec, exec, s[46:47]
	s_orn2_b64 s[26:27], vcc, exec
.LBB35_320:                             ;   in Loop: Header=BB35_296 Depth=2
	s_or_b64 exec, exec, s[40:41]
	s_and_saveexec_b64 s[40:41], s[26:27]
	s_cbranch_execz .LBB35_322
; %bb.321:                              ;   in Loop: Header=BB35_296 Depth=2
	scratch_load_dwordx2 v[4:5], off, s33 offset:360 ; 8-byte Folded Reload
	scratch_load_dwordx2 v[10:11], off, s33 offset:384 ; 8-byte Folded Reload
	s_waitcnt vmcnt(0)
	v_mul_lo_u32 v6, v9, v4
	v_mul_lo_u32 v7, v8, v11
	v_mad_u64_u32 v[4:5], s[12:13], v8, v4, 0
	v_add3_u32 v5, v5, v7, v6
.LBB35_322:                             ;   in Loop: Header=BB35_296 Depth=2
	s_or_b64 exec, exec, s[40:41]
	v_cmp_eq_u32_e32 vcc, 0, v2
	v_mov_b32_e32 v2, 0xc8
	v_mov_b32_e32 v6, 0x90
	v_cndmask_b32_e32 v2, v2, v6, vcc
	scratch_load_dwordx2 v[6:7], off, s33 offset:272 ; 8-byte Folded Reload
	v_add_u32_e32 v2, v0, v2
	s_waitcnt vmcnt(0)
	v_lshl_add_u64 v[4:5], v[4:5], 1, v[6:7]
	ds_write_b64 v2, v[4:5] offset:584
	v_and_b32_e32 v2, 0x2000, v106
	v_cmp_ne_u32_e32 vcc, 0, v2
	s_and_saveexec_b64 s[26:27], vcc
	s_cbranch_execz .LBB35_324
; %bb.323:                              ;   in Loop: Header=BB35_296 Depth=2
	ds_read_b64 v[4:5], v0 offset:872
	s_waitcnt lgkmcnt(0)
	v_lshl_add_u64 v[4:5], v[4:5], 0, 1
	ds_write_b64 v0, v[4:5] offset:872
.LBB35_324:                             ;   in Loop: Header=BB35_296 Depth=2
	s_or_b64 exec, exec, s[26:27]
	v_mov_b64_e32 v[4:5], v[0:1]
.LBB35_325:                             ;   in Loop: Header=BB35_296 Depth=2
	s_or_b64 exec, exec, s[28:29]
	s_and_saveexec_b64 s[26:27], s[6:7]
	s_cbranch_execz .LBB35_344
; %bb.326:                              ;   in Loop: Header=BB35_296 Depth=2
	s_and_saveexec_b64 s[12:13], s[78:79]
	s_xor_b64 s[28:29], exec, s[12:13]
	s_cbranch_execz .LBB35_341
; %bb.327:                              ;   in Loop: Header=BB35_296 Depth=2
	s_and_saveexec_b64 s[40:41], s[14:15]
	s_cbranch_execz .LBB35_340
; %bb.328:                              ;   in Loop: Header=BB35_296 Depth=2
	s_mov_b64 s[56:57], exec
	v_mbcnt_lo_u32_b32 v0, s56, 0
	v_mbcnt_hi_u32_b32 v0, s57, v0
	v_cmp_eq_u32_e32 vcc, 0, v0
	s_waitcnt lgkmcnt(0)
	s_and_saveexec_b64 s[46:47], vcc
	s_cbranch_execz .LBB35_330
; %bb.329:                              ;   in Loop: Header=BB35_296 Depth=2
	s_bcnt1_i32_b64 s12, s[56:57]
	v_mov_b32_e32 v2, s12
	ds_add_u64 v0, v[2:3]
	s_trap 2
.LBB35_330:                             ;   in Loop: Header=BB35_296 Depth=2
	s_or_b64 exec, exec, s[46:47]
	s_trap 2
	ds_read_b64 v[0:1], v0
	s_waitcnt lgkmcnt(0)
	v_lshl_add_u64 v[56:57], v[56:57], 0, v[60:61]
	v_cmp_lt_u64_e32 vcc, v[0:1], v[56:57]
	s_and_saveexec_b64 s[46:47], vcc
	s_cbranch_execz .LBB35_339
; %bb.331:                              ;   in Loop: Header=BB35_296 Depth=2
	s_mov_b32 s12, 0
	s_mov_b64 s[56:57], 0
                                        ; implicit-def: $sgpr58_sgpr59
                                        ; implicit-def: $sgpr60_sgpr61
	s_branch .LBB35_333
.LBB35_332:                             ;   in Loop: Header=BB35_333 Depth=3
	s_or_b64 exec, exec, s[52:53]
	s_and_b64 s[62:63], exec, vcc
	s_or_b64 s[56:57], s[62:63], s[56:57]
	s_andn2_b64 s[58:59], s[58:59], exec
	s_and_b64 s[62:63], s[60:61], exec
	s_or_b64 s[58:59], s[58:59], s[62:63]
	s_andn2_b64 exec, exec, s[56:57]
	s_cbranch_execz .LBB35_337
.LBB35_333:                             ;   Parent Loop BB35_47 Depth=1
                                        ;     Parent Loop BB35_296 Depth=2
                                        ; =>    This Inner Loop Header: Depth=3
	s_add_i32 s12, s12, 1
	s_cmpk_lg_i32 s12, 0x2710
	s_cselect_b64 s[62:63], -1, 0
	s_and_b64 vcc, exec, s[62:63]
	s_cbranch_vccz .LBB35_335
; %bb.334:                              ;   in Loop: Header=BB35_333 Depth=3
	s_mov_b64 vcc, -1
	s_or_b64 s[60:61], s[60:61], exec
	s_and_saveexec_b64 s[52:53], s[62:63]
	s_cbranch_execz .LBB35_332
	s_branch .LBB35_336
.LBB35_335:                             ;   in Loop: Header=BB35_333 Depth=3
	s_trap 2
	ds_read_b64 v[0:1], v0
	s_andn2_b64 s[62:63], s[62:63], exec
	s_mov_b32 s12, 0
	s_waitcnt lgkmcnt(0)
	flat_load_dword v0, v[0:1] sc0 sc1
	s_waitcnt vmcnt(0) lgkmcnt(0)
	buffer_inv sc0 sc1
	v_cmp_eq_u32_e32 vcc, 0, v0
	s_and_b64 vcc, vcc, exec
	s_or_b64 s[62:63], s[62:63], vcc
	s_mov_b64 vcc, -1
	s_or_b64 s[60:61], s[60:61], exec
	s_and_saveexec_b64 s[52:53], s[62:63]
	s_cbranch_execz .LBB35_332
.LBB35_336:                             ;   in Loop: Header=BB35_333 Depth=3
	s_sleep 1
	s_trap 2
	ds_read_b64 v[0:1], v0
	s_waitcnt lgkmcnt(0)
	s_andn2_b64 s[60:61], s[60:61], exec
	v_cmp_ge_u64_e32 vcc, v[0:1], v[56:57]
	s_orn2_b64 vcc, vcc, exec
	s_branch .LBB35_332
.LBB35_337:                             ;   in Loop: Header=BB35_296 Depth=2
	s_or_b64 exec, exec, s[56:57]
	s_and_saveexec_b64 s[12:13], s[58:59]
	s_xor_b64 s[12:13], exec, s[12:13]
	s_cbranch_execz .LBB35_339
; %bb.338:                              ;   in Loop: Header=BB35_296 Depth=2
	v_mov_b32_e32 v0, 1
	ds_write_b32 v0, v0
	s_trap 2
.LBB35_339:                             ;   in Loop: Header=BB35_296 Depth=2
	s_or_b64 exec, exec, s[46:47]
	;;#ASMSTART
	s_wakeup
	;;#ASMEND
.LBB35_340:                             ;   in Loop: Header=BB35_296 Depth=2
	s_or_b64 exec, exec, s[40:41]
.LBB35_341:                             ;   in Loop: Header=BB35_296 Depth=2
	s_andn2_saveexec_b64 s[28:29], s[28:29]
	s_cbranch_execz .LBB35_343
; %bb.342:                              ;   in Loop: Header=BB35_296 Depth=2
	s_waitcnt lgkmcnt(0)
	s_barrier
.LBB35_343:                             ;   in Loop: Header=BB35_296 Depth=2
	s_or_b64 exec, exec, s[28:29]
.LBB35_344:                             ;   in Loop: Header=BB35_296 Depth=2
	s_or_b64 exec, exec, s[26:27]
	s_trap 2
	ds_read_b32 v6, v0
	v_and_b32_e32 v0, 0x4000, v106
	v_cmp_ne_u32_e32 vcc, 0, v0
	s_xor_b64 s[12:13], s[4:5], -1
	s_and_b64 s[12:13], s[12:13], vcc
	s_and_saveexec_b64 s[26:27], s[12:13]
	s_cbranch_execz .LBB35_363
; %bb.345:                              ;   in Loop: Header=BB35_296 Depth=2
	s_and_saveexec_b64 s[12:13], s[78:79]
	s_xor_b64 s[28:29], exec, s[12:13]
	s_cbranch_execz .LBB35_360
; %bb.346:                              ;   in Loop: Header=BB35_296 Depth=2
	s_and_saveexec_b64 s[40:41], s[14:15]
	s_cbranch_execz .LBB35_359
; %bb.347:                              ;   in Loop: Header=BB35_296 Depth=2
	s_mov_b64 s[56:57], exec
	v_mbcnt_lo_u32_b32 v0, s56, 0
	v_mbcnt_hi_u32_b32 v0, s57, v0
	v_cmp_eq_u32_e32 vcc, 0, v0
	s_waitcnt lgkmcnt(0)
	s_and_saveexec_b64 s[46:47], vcc
	s_cbranch_execz .LBB35_349
; %bb.348:                              ;   in Loop: Header=BB35_296 Depth=2
	s_bcnt1_i32_b64 s12, s[56:57]
	v_mov_b32_e32 v2, s12
	ds_add_u64 v0, v[2:3]
	s_trap 2
.LBB35_349:                             ;   in Loop: Header=BB35_296 Depth=2
	s_or_b64 exec, exec, s[46:47]
	s_trap 2
	ds_read_b64 v[0:1], v0
	s_waitcnt lgkmcnt(0)
	v_lshl_add_u64 v[56:57], v[56:57], 0, v[60:61]
	v_cmp_lt_u64_e32 vcc, v[0:1], v[56:57]
	s_and_saveexec_b64 s[46:47], vcc
	s_cbranch_execz .LBB35_358
; %bb.350:                              ;   in Loop: Header=BB35_296 Depth=2
	s_mov_b32 s12, 0
	s_mov_b64 s[56:57], 0
                                        ; implicit-def: $sgpr58_sgpr59
                                        ; implicit-def: $sgpr60_sgpr61
	s_branch .LBB35_352
.LBB35_351:                             ;   in Loop: Header=BB35_352 Depth=3
	s_or_b64 exec, exec, s[52:53]
	s_and_b64 s[62:63], exec, vcc
	s_or_b64 s[56:57], s[62:63], s[56:57]
	s_andn2_b64 s[58:59], s[58:59], exec
	s_and_b64 s[62:63], s[60:61], exec
	s_or_b64 s[58:59], s[58:59], s[62:63]
	s_andn2_b64 exec, exec, s[56:57]
	s_cbranch_execz .LBB35_356
.LBB35_352:                             ;   Parent Loop BB35_47 Depth=1
                                        ;     Parent Loop BB35_296 Depth=2
                                        ; =>    This Inner Loop Header: Depth=3
	s_add_i32 s12, s12, 1
	s_cmpk_lg_i32 s12, 0x2710
	s_cselect_b64 s[62:63], -1, 0
	s_and_b64 vcc, exec, s[62:63]
	s_cbranch_vccz .LBB35_354
; %bb.353:                              ;   in Loop: Header=BB35_352 Depth=3
	s_mov_b64 vcc, -1
	s_or_b64 s[60:61], s[60:61], exec
	s_and_saveexec_b64 s[52:53], s[62:63]
	s_cbranch_execz .LBB35_351
	s_branch .LBB35_355
.LBB35_354:                             ;   in Loop: Header=BB35_352 Depth=3
	s_trap 2
	ds_read_b64 v[0:1], v0
	s_andn2_b64 s[62:63], s[62:63], exec
	s_mov_b32 s12, 0
	s_waitcnt lgkmcnt(0)
	flat_load_dword v0, v[0:1] sc0 sc1
	s_waitcnt vmcnt(0) lgkmcnt(0)
	buffer_inv sc0 sc1
	v_cmp_eq_u32_e32 vcc, 0, v0
	s_and_b64 vcc, vcc, exec
	s_or_b64 s[62:63], s[62:63], vcc
	s_mov_b64 vcc, -1
	s_or_b64 s[60:61], s[60:61], exec
	s_and_saveexec_b64 s[52:53], s[62:63]
	s_cbranch_execz .LBB35_351
.LBB35_355:                             ;   in Loop: Header=BB35_352 Depth=3
	s_sleep 1
	s_trap 2
	ds_read_b64 v[0:1], v0
	s_waitcnt lgkmcnt(0)
	s_andn2_b64 s[60:61], s[60:61], exec
	v_cmp_ge_u64_e32 vcc, v[0:1], v[56:57]
	s_orn2_b64 vcc, vcc, exec
	s_branch .LBB35_351
.LBB35_356:                             ;   in Loop: Header=BB35_296 Depth=2
	s_or_b64 exec, exec, s[56:57]
	s_and_saveexec_b64 s[12:13], s[58:59]
	s_xor_b64 s[12:13], exec, s[12:13]
	s_cbranch_execz .LBB35_358
; %bb.357:                              ;   in Loop: Header=BB35_296 Depth=2
	v_mov_b32_e32 v0, 1
	ds_write_b32 v0, v0
	s_trap 2
.LBB35_358:                             ;   in Loop: Header=BB35_296 Depth=2
	s_or_b64 exec, exec, s[46:47]
	;;#ASMSTART
	s_wakeup
	;;#ASMEND
.LBB35_359:                             ;   in Loop: Header=BB35_296 Depth=2
	s_or_b64 exec, exec, s[40:41]
.LBB35_360:                             ;   in Loop: Header=BB35_296 Depth=2
	s_andn2_saveexec_b64 s[28:29], s[28:29]
	s_cbranch_execz .LBB35_362
; %bb.361:                              ;   in Loop: Header=BB35_296 Depth=2
	s_waitcnt lgkmcnt(0)
	s_barrier
.LBB35_362:                             ;   in Loop: Header=BB35_296 Depth=2
	s_or_b64 exec, exec, s[28:29]
.LBB35_363:                             ;   in Loop: Header=BB35_296 Depth=2
	s_or_b64 exec, exec, s[26:27]
	s_trap 2
	ds_read_b64 v[0:1], v0
	s_waitcnt lgkmcnt(0)
	v_cmp_eq_u64_e32 vcc, 0, v[0:1]
	s_cbranch_vccnz .LBB35_371
; %bb.364:                              ;   in Loop: Header=BB35_296 Depth=2
	s_trap 2
	ds_read_b64 v[58:59], v0
	s_waitcnt lgkmcnt(0)
	v_cmp_eq_u64_e32 vcc, 0, v[58:59]
	s_cbranch_vccnz .LBB35_376
; %bb.365:                              ;   in Loop: Header=BB35_296 Depth=2
	s_trap 2
	ds_read_b64 v[8:9], v0
	s_mov_b64 s[28:29], -1
	s_waitcnt lgkmcnt(0)
	v_readfirstlane_b32 s13, v8
	s_and_saveexec_b64 s[26:27], s[20:21]
	s_cbranch_execz .LBB35_367
; %bb.366:                              ;   in Loop: Header=BB35_296 Depth=2
	ds_read_b32 v2, v0 offset:720
	s_waitcnt lgkmcnt(0)
	v_and_b32_e32 v2, 15, v2
	v_cmp_eq_u32_e32 vcc, 0, v2
	s_orn2_b64 s[28:29], vcc, exec
.LBB35_367:                             ;   in Loop: Header=BB35_296 Depth=2
	s_or_b64 exec, exec, s[26:27]
	s_and_saveexec_b64 s[26:27], s[18:19]
	s_cbranch_execz .LBB35_369
; %bb.368:                              ;   in Loop: Header=BB35_296 Depth=2
	ds_read_b32 v2, v0 offset:784
	s_waitcnt lgkmcnt(0)
	v_and_b32_e32 v2, 15, v2
	v_cmp_eq_u32_e32 vcc, 0, v2
	s_and_b64 s[40:41], s[28:29], vcc
	s_andn2_b64 s[28:29], s[28:29], exec
	s_and_b64 s[40:41], s[40:41], exec
	s_or_b64 s[28:29], s[28:29], s[40:41]
.LBB35_369:                             ;   in Loop: Header=BB35_296 Depth=2
	s_or_b64 exec, exec, s[26:27]
	s_xor_b64 s[28:29], s[28:29], -1
	v_cndmask_b32_e64 v2, 0, 1, s[28:29]
	v_cmp_eq_u32_e64 s[26:27], 0, v6
	s_mov_b64 s[40:41], -1
	v_cmp_ne_u32_e32 vcc, 0, v2
	s_cbranch_vccz .LBB35_377
; %bb.370:                              ;   in Loop: Header=BB35_296 Depth=2
	s_and_b32 s12, s13, 1
	s_mov_b64 s[40:41], 0
	s_mov_b64 s[46:47], -1
	s_branch .LBB35_378
.LBB35_371:                             ;   in Loop: Header=BB35_296 Depth=2
	s_mov_b64 s[26:27], 0
	s_and_saveexec_b64 s[28:29], s[6:7]
	s_cbranch_execnz .LBB35_1118
.LBB35_372:                             ;   in Loop: Header=BB35_296 Depth=2
	s_or_b64 exec, exec, s[28:29]
                                        ; implicit-def: $vgpr0
	s_and_saveexec_b64 s[12:13], s[22:23]
	s_xor_b64 s[28:29], exec, s[12:13]
	s_cbranch_execz .LBB35_1136
.LBB35_373:                             ;   in Loop: Header=BB35_296 Depth=2
	v_and_b32_e32 v1, 16, v106
	v_cmp_ne_u32_e32 vcc, 0, v1
	v_and_b32_e32 v0, 16, v106
	s_and_b64 s[12:13], vcc, s[26:27]
	s_and_saveexec_b64 s[26:27], s[12:13]
	s_cbranch_execz .LBB35_375
; %bb.374:                              ;   in Loop: Header=BB35_296 Depth=2
	v_mov_b32_e32 v0, 1
	buffer_wbl2 sc1
	s_waitcnt vmcnt(0) lgkmcnt(0)
	buffer_inv sc1
.LBB35_375:                             ;   in Loop: Header=BB35_296 Depth=2
	s_or_b64 exec, exec, s[26:27]
	s_andn2_saveexec_b64 s[26:27], s[28:29]
	s_cbranch_execz .LBB35_1155
	s_branch .LBB35_1137
.LBB35_376:                             ;   in Loop: Header=BB35_296 Depth=2
	s_mov_b64 s[26:27], 0
	v_mov_b32_e32 v58, v107
	s_and_saveexec_b64 s[28:29], s[6:7]
	s_cbranch_execnz .LBB35_1118
	s_branch .LBB35_372
.LBB35_377:                             ;   in Loop: Header=BB35_296 Depth=2
	s_mov_b64 s[46:47], 0
                                        ; implicit-def: $sgpr12
.LBB35_378:                             ;   in Loop: Header=BB35_296 Depth=2
	v_cndmask_b32_e64 v2, 0, v28, s[26:27]
	v_lshlrev_b32_e32 v29, 1, v2
	s_andn2_b64 vcc, exec, s[40:41]
	v_mov_b32_e32 v6, 0
	s_cbranch_vccnz .LBB35_642
; %bb.379:                              ;   in Loop: Header=BB35_296 Depth=2
	scratch_load_dwordx2 v[8:9], off, s33 offset:320 ; 8-byte Folded Reload
	v_ashrrev_i32_e32 v6, 31, v29
	v_lshrrev_b32_e32 v6, 20, v6
	v_add_u32_e32 v6, v29, v6
	v_ashrrev_i32_e32 v6, 12, v6
	v_lshrrev_b32_e32 v7, 6, v31
	v_sub_u32_e32 v7, v6, v7
	s_and_b32 s12, s13, 1
	v_cmp_lt_i32_e32 vcc, 0, v7
	s_mov_b64 s[26:27], 0
                                        ; implicit-def: $vgpr80_vgpr81
                                        ; implicit-def: $vgpr36_vgpr37
                                        ; implicit-def: $vgpr24_vgpr25
                                        ; implicit-def: $vgpr12_vgpr13
                                        ; implicit-def: $vgpr32_vgpr33
                                        ; implicit-def: $vgpr20_vgpr21
                                        ; implicit-def: $vgpr16_vgpr17
	s_waitcnt vmcnt(0)
	v_lshl_add_u64 v[108:109], v[58:59], 0, v[8:9]
                                        ; implicit-def: $vgpr8_vgpr9
	s_and_saveexec_b64 s[28:29], vcc
	s_cbranch_execz .LBB35_644
; %bb.380:                              ;   in Loop: Header=BB35_296 Depth=2
	s_trap 2
	scratch_load_dwordx2 v[10:11], off, s33 offset:320 ; 8-byte Folded Reload
	ds_read_b64 v[8:9], v0
	s_and_b32 s13, 0xffff, s12
	s_cmp_eq_u32 s13, 0
	s_mov_b64 s[58:59], 0
	s_mov_b64 s[40:41], 0
	s_cselect_b64 vcc, -1, 0
                                        ; implicit-def: $sgpr56_sgpr57
                                        ; implicit-def: $vgpr80_vgpr81
                                        ; implicit-def: $vgpr36_vgpr37
                                        ; implicit-def: $vgpr24_vgpr25
                                        ; implicit-def: $vgpr12_vgpr13
                                        ; implicit-def: $vgpr32_vgpr33
                                        ; implicit-def: $vgpr20_vgpr21
                                        ; implicit-def: $vgpr16_vgpr17
	s_waitcnt vmcnt(0)
	v_lshl_add_u64 v[44:45], v[0:1], 0, v[10:11]
	s_waitcnt lgkmcnt(0)
	v_lshl_add_u64 v[124:125], v[8:9], 0, v[10:11]
                                        ; implicit-def: $vgpr8_vgpr9
	s_branch .LBB35_382
.LBB35_381:                             ;   in Loop: Header=BB35_382 Depth=3
	s_or_b64 exec, exec, s[60:61]
	v_lshrrev_b32_e32 v55, 16, v68
	v_and_or_b32 v65, v65, s73, v55
	v_lshrrev_b32_e32 v55, 16, v99
	v_and_or_b32 v64, v64, s73, v55
	;; [unrolled: 2-line block ×9, first 2 shown]
	v_lshrrev_b32_e32 v55, 16, v74
	v_lshrrev_b32_e32 v52, 16, v52
	v_and_or_b32 v96, v100, s73, v55
	v_lshrrev_b32_e32 v55, 16, v113
	v_and_or_b32 v49, v49, s73, v52
	;; [unrolled: 2-line block ×5, first 2 shown]
	v_and_or_b32 v50, v50, s73, v52
	v_lshrrev_b32_e32 v52, 16, v54
	v_and_or_b32 v51, v51, s73, v52
	global_store_dwordx4 v[108:109], v[96:99], off
	global_store_dwordx4 v[108:109], v[84:87], off offset:1024
	global_store_dwordx4 v[108:109], v[64:67], off offset:2048
	;; [unrolled: 1-line block ×3, first 2 shown]
	scratch_load_dwordx2 v[50:51], off, s33 offset:264 ; 8-byte Folded Reload
	v_mov_b32_e32 v52, 0x1000
	v_cndmask_b32_e64 v53, 0, v117, s[58:59]
	v_cndmask_b32_e64 v52, v52, v116, s[58:59]
	v_lshl_add_u64 v[108:109], v[108:109], 0, v[52:53]
	s_waitcnt vmcnt(0)
	v_lshl_add_u64 v[48:49], v[44:45], 0, v[50:51]
	v_cndmask_b32_e64 v44, v44, v48, s[58:59]
	v_cndmask_b32_e64 v48, 0, v60, s[58:59]
	v_sub_u32_e32 v7, v7, v48
	v_cmp_gt_i32_e64 s[26:27], 1, v7
	s_or_b64 s[40:41], s[26:27], s[40:41]
	v_lshl_add_u64 v[50:51], v[124:125], 0, v[50:51]
	s_andn2_b64 s[26:27], s[56:57], exec
	s_and_b64 s[56:57], s[58:59], exec
	v_cndmask_b32_e64 v45, v45, v49, s[58:59]
	v_cndmask_b32_e64 v125, v125, v51, s[58:59]
	;; [unrolled: 1-line block ×3, first 2 shown]
	s_or_b64 s[56:57], s[26:27], s[56:57]
	s_andn2_b64 exec, exec, s[40:41]
	s_cbranch_execz .LBB35_643
.LBB35_382:                             ;   Parent Loop BB35_47 Depth=1
                                        ;     Parent Loop BB35_296 Depth=2
                                        ; =>    This Inner Loop Header: Depth=3
	global_load_dwordx4 v[100:103], v[44:45], off nt
	global_load_dwordx4 v[84:87], v[44:45], off offset:1024 nt
	global_load_dwordx4 v[64:67], v[44:45], off offset:2048 nt
	;; [unrolled: 1-line block ×3, first 2 shown]
	global_load_dwordx4 v[112:115], v[124:125], off nt
	global_load_dwordx4 v[96:99], v[124:125], off offset:1024 nt
	global_load_dwordx4 v[68:71], v[124:125], off offset:2048 nt
	;; [unrolled: 1-line block ×3, first 2 shown]
	s_and_saveexec_b64 s[60:61], s[58:59]
	s_cbranch_execz .LBB35_512
; %bb.383:                              ;   in Loop: Header=BB35_382 Depth=3
	v_lshlrev_b32_e32 v118, 16, v80
	v_lshlrev_b32_e32 v119, 16, v32
	v_max_f32_e32 v119, v119, v119
	v_max_f32_e32 v118, v118, v118
	v_min_f32_e32 v42, v118, v119
	v_max_f32_e32 v118, v118, v119
	v_cndmask_b32_e32 v118, v118, v42, vcc
	v_and_b32_e32 v119, 0x7f800000, v118
	v_cmp_ne_u32_e64 s[26:27], s51, v119
                                        ; implicit-def: $vgpr74
	s_and_saveexec_b64 s[58:59], s[26:27]
	s_xor_b64 s[26:27], exec, s[58:59]
; %bb.384:                              ;   in Loop: Header=BB35_382 Depth=3
	v_bfe_u32 v119, v118, 16, 1
	v_add3_u32 v74, v118, v119, s72
                                        ; implicit-def: $vgpr118
; %bb.385:                              ;   in Loop: Header=BB35_382 Depth=3
	s_andn2_saveexec_b64 s[58:59], s[26:27]
; %bb.386:                              ;   in Loop: Header=BB35_382 Depth=3
	v_or_b32_e32 v119, 0x10000, v118
	v_cmp_eq_u32_sdwa s[26:27], v118, v3 src0_sel:WORD_0 src1_sel:DWORD
	s_nop 1
	v_cndmask_b32_e64 v74, v119, v118, s[26:27]
; %bb.387:                              ;   in Loop: Header=BB35_382 Depth=3
	s_or_b64 exec, exec, s[58:59]
	v_and_b32_e32 v80, 0xffff0000, v80
	v_and_b32_e32 v118, 0xffff0000, v32
	v_max_f32_e32 v118, v118, v118
	v_max_f32_e32 v80, v80, v80
	v_min_f32_e32 v119, v80, v118
	v_max_f32_e32 v80, v80, v118
	v_cndmask_b32_e32 v118, v80, v119, vcc
	v_and_b32_e32 v80, 0x7f800000, v118
	v_cmp_ne_u32_e64 s[26:27], s51, v80
                                        ; implicit-def: $vgpr80
	s_and_saveexec_b64 s[58:59], s[26:27]
	s_xor_b64 s[26:27], exec, s[58:59]
; %bb.388:                              ;   in Loop: Header=BB35_382 Depth=3
	v_bfe_u32 v80, v118, 16, 1
	v_add3_u32 v80, v118, v80, s72
                                        ; implicit-def: $vgpr118
; %bb.389:                              ;   in Loop: Header=BB35_382 Depth=3
	s_andn2_saveexec_b64 s[58:59], s[26:27]
; %bb.390:                              ;   in Loop: Header=BB35_382 Depth=3
	v_or_b32_e32 v80, 0x10000, v118
	v_cmp_eq_u32_sdwa s[26:27], v118, v3 src0_sel:WORD_0 src1_sel:DWORD
	s_nop 1
	v_cndmask_b32_e64 v80, v80, v118, s[26:27]
; %bb.391:                              ;   in Loop: Header=BB35_382 Depth=3
	s_or_b64 exec, exec, s[58:59]
	v_lshlrev_b32_e32 v118, 16, v81
	v_lshlrev_b32_e32 v119, 16, v33
	v_max_f32_e32 v119, v119, v119
	v_max_f32_e32 v118, v118, v118
	v_min_f32_e32 v42, v118, v119
	v_max_f32_e32 v118, v118, v119
	v_cndmask_b32_e32 v118, v118, v42, vcc
	v_and_b32_e32 v119, 0x7f800000, v118
	v_cmp_ne_u32_e64 s[26:27], s51, v119
                                        ; implicit-def: $vgpr75
	s_and_saveexec_b64 s[58:59], s[26:27]
	s_xor_b64 s[26:27], exec, s[58:59]
; %bb.392:                              ;   in Loop: Header=BB35_382 Depth=3
	v_bfe_u32 v119, v118, 16, 1
	v_add3_u32 v75, v118, v119, s72
                                        ; implicit-def: $vgpr118
; %bb.393:                              ;   in Loop: Header=BB35_382 Depth=3
	s_andn2_saveexec_b64 s[58:59], s[26:27]
; %bb.394:                              ;   in Loop: Header=BB35_382 Depth=3
	v_or_b32_e32 v119, 0x10000, v118
	v_cmp_eq_u32_sdwa s[26:27], v118, v3 src0_sel:WORD_0 src1_sel:DWORD
	s_nop 1
	v_cndmask_b32_e64 v75, v119, v118, s[26:27]
; %bb.395:                              ;   in Loop: Header=BB35_382 Depth=3
	s_or_b64 exec, exec, s[58:59]
	v_and_b32_e32 v81, 0xffff0000, v81
	v_and_b32_e32 v118, 0xffff0000, v33
	v_max_f32_e32 v118, v118, v118
	v_max_f32_e32 v81, v81, v81
	v_min_f32_e32 v119, v81, v118
	v_max_f32_e32 v81, v81, v118
	v_cndmask_b32_e32 v118, v81, v119, vcc
	v_and_b32_e32 v81, 0x7f800000, v118
	v_cmp_ne_u32_e64 s[26:27], s51, v81
                                        ; implicit-def: $vgpr81
	s_and_saveexec_b64 s[58:59], s[26:27]
	s_xor_b64 s[26:27], exec, s[58:59]
; %bb.396:                              ;   in Loop: Header=BB35_382 Depth=3
	v_bfe_u32 v81, v118, 16, 1
	v_add3_u32 v81, v118, v81, s72
                                        ; implicit-def: $vgpr118
; %bb.397:                              ;   in Loop: Header=BB35_382 Depth=3
	s_andn2_saveexec_b64 s[58:59], s[26:27]
; %bb.398:                              ;   in Loop: Header=BB35_382 Depth=3
	v_or_b32_e32 v81, 0x10000, v118
	v_cmp_eq_u32_sdwa s[26:27], v118, v3 src0_sel:WORD_0 src1_sel:DWORD
	s_nop 1
	v_cndmask_b32_e64 v81, v81, v118, s[26:27]
; %bb.399:                              ;   in Loop: Header=BB35_382 Depth=3
	s_or_b64 exec, exec, s[58:59]
	v_lshlrev_b32_e32 v118, 16, v82
	v_lshlrev_b32_e32 v119, 16, v34
	v_max_f32_e32 v119, v119, v119
	v_max_f32_e32 v118, v118, v118
	v_min_f32_e32 v42, v118, v119
	v_max_f32_e32 v118, v118, v119
	v_cndmask_b32_e32 v118, v118, v42, vcc
	v_and_b32_e32 v119, 0x7f800000, v118
	v_cmp_ne_u32_e64 s[26:27], s51, v119
                                        ; implicit-def: $vgpr42
	s_and_saveexec_b64 s[58:59], s[26:27]
	s_xor_b64 s[26:27], exec, s[58:59]
; %bb.400:                              ;   in Loop: Header=BB35_382 Depth=3
	v_bfe_u32 v119, v118, 16, 1
	v_add3_u32 v42, v118, v119, s72
                                        ; implicit-def: $vgpr118
; %bb.401:                              ;   in Loop: Header=BB35_382 Depth=3
	s_andn2_saveexec_b64 s[58:59], s[26:27]
; %bb.402:                              ;   in Loop: Header=BB35_382 Depth=3
	v_or_b32_e32 v119, 0x10000, v118
	v_cmp_eq_u32_sdwa s[26:27], v118, v3 src0_sel:WORD_0 src1_sel:DWORD
	s_nop 1
	v_cndmask_b32_e64 v42, v119, v118, s[26:27]
; %bb.403:                              ;   in Loop: Header=BB35_382 Depth=3
	s_or_b64 exec, exec, s[58:59]
	v_and_b32_e32 v82, 0xffff0000, v82
	v_and_b32_e32 v118, 0xffff0000, v34
	v_max_f32_e32 v118, v118, v118
	v_max_f32_e32 v82, v82, v82
	v_min_f32_e32 v119, v82, v118
	v_max_f32_e32 v82, v82, v118
	v_cndmask_b32_e32 v118, v82, v119, vcc
	v_and_b32_e32 v82, 0x7f800000, v118
	v_cmp_ne_u32_e64 s[26:27], s51, v82
                                        ; implicit-def: $vgpr82
	s_and_saveexec_b64 s[58:59], s[26:27]
	s_xor_b64 s[26:27], exec, s[58:59]
; %bb.404:                              ;   in Loop: Header=BB35_382 Depth=3
	v_bfe_u32 v82, v118, 16, 1
	v_add3_u32 v82, v118, v82, s72
                                        ; implicit-def: $vgpr118
; %bb.405:                              ;   in Loop: Header=BB35_382 Depth=3
	s_andn2_saveexec_b64 s[58:59], s[26:27]
; %bb.406:                              ;   in Loop: Header=BB35_382 Depth=3
	v_or_b32_e32 v82, 0x10000, v118
	v_cmp_eq_u32_sdwa s[26:27], v118, v3 src0_sel:WORD_0 src1_sel:DWORD
	s_nop 1
	v_cndmask_b32_e64 v82, v82, v118, s[26:27]
; %bb.407:                              ;   in Loop: Header=BB35_382 Depth=3
	s_or_b64 exec, exec, s[58:59]
	v_lshlrev_b32_e32 v118, 16, v83
	v_lshlrev_b32_e32 v119, 16, v35
	v_max_f32_e32 v119, v119, v119
	v_max_f32_e32 v118, v118, v118
	v_min_f32_e32 v43, v118, v119
	v_max_f32_e32 v118, v118, v119
	v_cndmask_b32_e32 v118, v118, v43, vcc
	v_and_b32_e32 v119, 0x7f800000, v118
	v_cmp_ne_u32_e64 s[26:27], s51, v119
                                        ; implicit-def: $vgpr43
	s_and_saveexec_b64 s[58:59], s[26:27]
	s_xor_b64 s[26:27], exec, s[58:59]
; %bb.408:                              ;   in Loop: Header=BB35_382 Depth=3
	v_bfe_u32 v119, v118, 16, 1
	v_add3_u32 v43, v118, v119, s72
                                        ; implicit-def: $vgpr118
; %bb.409:                              ;   in Loop: Header=BB35_382 Depth=3
	s_andn2_saveexec_b64 s[58:59], s[26:27]
; %bb.410:                              ;   in Loop: Header=BB35_382 Depth=3
	v_or_b32_e32 v119, 0x10000, v118
	v_cmp_eq_u32_sdwa s[26:27], v118, v3 src0_sel:WORD_0 src1_sel:DWORD
	s_nop 1
	v_cndmask_b32_e64 v43, v119, v118, s[26:27]
; %bb.411:                              ;   in Loop: Header=BB35_382 Depth=3
	s_or_b64 exec, exec, s[58:59]
	v_and_b32_e32 v83, 0xffff0000, v83
	v_and_b32_e32 v118, 0xffff0000, v35
	v_max_f32_e32 v118, v118, v118
	v_max_f32_e32 v83, v83, v83
	v_min_f32_e32 v119, v83, v118
	v_max_f32_e32 v83, v83, v118
	v_cndmask_b32_e32 v118, v83, v119, vcc
	v_and_b32_e32 v83, 0x7f800000, v118
	v_cmp_ne_u32_e64 s[26:27], s51, v83
                                        ; implicit-def: $vgpr83
	s_and_saveexec_b64 s[58:59], s[26:27]
	s_xor_b64 s[26:27], exec, s[58:59]
; %bb.412:                              ;   in Loop: Header=BB35_382 Depth=3
	v_bfe_u32 v83, v118, 16, 1
	v_add3_u32 v83, v118, v83, s72
                                        ; implicit-def: $vgpr118
; %bb.413:                              ;   in Loop: Header=BB35_382 Depth=3
	s_andn2_saveexec_b64 s[58:59], s[26:27]
; %bb.414:                              ;   in Loop: Header=BB35_382 Depth=3
	v_or_b32_e32 v83, 0x10000, v118
	v_cmp_eq_u32_sdwa s[26:27], v118, v3 src0_sel:WORD_0 src1_sel:DWORD
	s_nop 1
	v_cndmask_b32_e64 v83, v83, v118, s[26:27]
; %bb.415:                              ;   in Loop: Header=BB35_382 Depth=3
	s_or_b64 exec, exec, s[58:59]
	v_lshlrev_b32_e32 v118, 16, v36
	v_lshlrev_b32_e32 v119, 16, v20
	v_max_f32_e32 v119, v119, v119
	v_max_f32_e32 v118, v118, v118
	v_min_f32_e32 v76, v118, v119
	v_max_f32_e32 v118, v118, v119
	v_cndmask_b32_e32 v118, v118, v76, vcc
	v_and_b32_e32 v119, 0x7f800000, v118
	v_cmp_ne_u32_e64 s[26:27], s51, v119
                                        ; implicit-def: $vgpr110
	s_and_saveexec_b64 s[58:59], s[26:27]
	s_xor_b64 s[26:27], exec, s[58:59]
; %bb.416:                              ;   in Loop: Header=BB35_382 Depth=3
	v_bfe_u32 v119, v118, 16, 1
	v_add3_u32 v110, v118, v119, s72
                                        ; implicit-def: $vgpr118
; %bb.417:                              ;   in Loop: Header=BB35_382 Depth=3
	s_andn2_saveexec_b64 s[58:59], s[26:27]
; %bb.418:                              ;   in Loop: Header=BB35_382 Depth=3
	v_or_b32_e32 v119, 0x10000, v118
	v_cmp_eq_u32_sdwa s[26:27], v118, v3 src0_sel:WORD_0 src1_sel:DWORD
	s_nop 1
	v_cndmask_b32_e64 v110, v119, v118, s[26:27]
; %bb.419:                              ;   in Loop: Header=BB35_382 Depth=3
	s_or_b64 exec, exec, s[58:59]
	v_and_b32_e32 v36, 0xffff0000, v36
	v_and_b32_e32 v118, 0xffff0000, v20
	v_max_f32_e32 v118, v118, v118
	v_max_f32_e32 v36, v36, v36
	v_min_f32_e32 v119, v36, v118
	v_max_f32_e32 v36, v36, v118
	v_cndmask_b32_e32 v118, v36, v119, vcc
	v_and_b32_e32 v36, 0x7f800000, v118
	v_cmp_ne_u32_e64 s[26:27], s51, v36
                                        ; implicit-def: $vgpr36
	s_and_saveexec_b64 s[58:59], s[26:27]
	s_xor_b64 s[26:27], exec, s[58:59]
; %bb.420:                              ;   in Loop: Header=BB35_382 Depth=3
	v_bfe_u32 v36, v118, 16, 1
	v_add3_u32 v36, v118, v36, s72
                                        ; implicit-def: $vgpr118
; %bb.421:                              ;   in Loop: Header=BB35_382 Depth=3
	s_andn2_saveexec_b64 s[58:59], s[26:27]
; %bb.422:                              ;   in Loop: Header=BB35_382 Depth=3
	v_or_b32_e32 v36, 0x10000, v118
	v_cmp_eq_u32_sdwa s[26:27], v118, v3 src0_sel:WORD_0 src1_sel:DWORD
	s_nop 1
	v_cndmask_b32_e64 v36, v36, v118, s[26:27]
; %bb.423:                              ;   in Loop: Header=BB35_382 Depth=3
	s_or_b64 exec, exec, s[58:59]
	v_lshlrev_b32_e32 v118, 16, v37
	v_lshlrev_b32_e32 v119, 16, v21
	v_max_f32_e32 v119, v119, v119
	v_max_f32_e32 v118, v118, v118
	v_min_f32_e32 v76, v118, v119
	v_max_f32_e32 v118, v118, v119
	v_cndmask_b32_e32 v118, v118, v76, vcc
	v_and_b32_e32 v119, 0x7f800000, v118
	v_cmp_ne_u32_e64 s[26:27], s51, v119
                                        ; implicit-def: $vgpr111
	s_and_saveexec_b64 s[58:59], s[26:27]
	s_xor_b64 s[26:27], exec, s[58:59]
; %bb.424:                              ;   in Loop: Header=BB35_382 Depth=3
	v_bfe_u32 v119, v118, 16, 1
	v_add3_u32 v111, v118, v119, s72
                                        ; implicit-def: $vgpr118
; %bb.425:                              ;   in Loop: Header=BB35_382 Depth=3
	s_andn2_saveexec_b64 s[58:59], s[26:27]
; %bb.426:                              ;   in Loop: Header=BB35_382 Depth=3
	v_or_b32_e32 v119, 0x10000, v118
	v_cmp_eq_u32_sdwa s[26:27], v118, v3 src0_sel:WORD_0 src1_sel:DWORD
	s_nop 1
	v_cndmask_b32_e64 v111, v119, v118, s[26:27]
; %bb.427:                              ;   in Loop: Header=BB35_382 Depth=3
	s_or_b64 exec, exec, s[58:59]
	v_and_b32_e32 v37, 0xffff0000, v37
	v_and_b32_e32 v118, 0xffff0000, v21
	v_max_f32_e32 v118, v118, v118
	v_max_f32_e32 v37, v37, v37
	v_min_f32_e32 v119, v37, v118
	v_max_f32_e32 v37, v37, v118
	v_cndmask_b32_e32 v118, v37, v119, vcc
	v_and_b32_e32 v37, 0x7f800000, v118
	v_cmp_ne_u32_e64 s[26:27], s51, v37
                                        ; implicit-def: $vgpr37
	s_and_saveexec_b64 s[58:59], s[26:27]
	s_xor_b64 s[26:27], exec, s[58:59]
; %bb.428:                              ;   in Loop: Header=BB35_382 Depth=3
	v_bfe_u32 v37, v118, 16, 1
	v_add3_u32 v37, v118, v37, s72
                                        ; implicit-def: $vgpr118
; %bb.429:                              ;   in Loop: Header=BB35_382 Depth=3
	s_andn2_saveexec_b64 s[58:59], s[26:27]
; %bb.430:                              ;   in Loop: Header=BB35_382 Depth=3
	v_or_b32_e32 v37, 0x10000, v118
	v_cmp_eq_u32_sdwa s[26:27], v118, v3 src0_sel:WORD_0 src1_sel:DWORD
	s_nop 1
	v_cndmask_b32_e64 v37, v37, v118, s[26:27]
; %bb.431:                              ;   in Loop: Header=BB35_382 Depth=3
	s_or_b64 exec, exec, s[58:59]
	v_lshlrev_b32_e32 v118, 16, v38
	v_lshlrev_b32_e32 v119, 16, v22
	v_max_f32_e32 v119, v119, v119
	v_max_f32_e32 v118, v118, v118
	v_min_f32_e32 v76, v118, v119
	v_max_f32_e32 v118, v118, v119
	v_cndmask_b32_e32 v118, v118, v76, vcc
	v_and_b32_e32 v119, 0x7f800000, v118
	v_cmp_ne_u32_e64 s[26:27], s51, v119
                                        ; implicit-def: $vgpr122
	s_and_saveexec_b64 s[58:59], s[26:27]
	s_xor_b64 s[26:27], exec, s[58:59]
; %bb.432:                              ;   in Loop: Header=BB35_382 Depth=3
	v_bfe_u32 v119, v118, 16, 1
	v_add3_u32 v122, v118, v119, s72
                                        ; implicit-def: $vgpr118
; %bb.433:                              ;   in Loop: Header=BB35_382 Depth=3
	s_andn2_saveexec_b64 s[58:59], s[26:27]
; %bb.434:                              ;   in Loop: Header=BB35_382 Depth=3
	v_or_b32_e32 v119, 0x10000, v118
	v_cmp_eq_u32_sdwa s[26:27], v118, v3 src0_sel:WORD_0 src1_sel:DWORD
	s_nop 1
	v_cndmask_b32_e64 v122, v119, v118, s[26:27]
; %bb.435:                              ;   in Loop: Header=BB35_382 Depth=3
	s_or_b64 exec, exec, s[58:59]
	v_and_b32_e32 v38, 0xffff0000, v38
	v_and_b32_e32 v118, 0xffff0000, v22
	v_max_f32_e32 v118, v118, v118
	v_max_f32_e32 v38, v38, v38
	v_min_f32_e32 v119, v38, v118
	v_max_f32_e32 v38, v38, v118
	v_cndmask_b32_e32 v118, v38, v119, vcc
	v_and_b32_e32 v38, 0x7f800000, v118
	v_cmp_ne_u32_e64 s[26:27], s51, v38
                                        ; implicit-def: $vgpr38
	s_and_saveexec_b64 s[58:59], s[26:27]
	s_xor_b64 s[26:27], exec, s[58:59]
; %bb.436:                              ;   in Loop: Header=BB35_382 Depth=3
	v_bfe_u32 v38, v118, 16, 1
	v_add3_u32 v38, v118, v38, s72
                                        ; implicit-def: $vgpr118
; %bb.437:                              ;   in Loop: Header=BB35_382 Depth=3
	s_andn2_saveexec_b64 s[58:59], s[26:27]
; %bb.438:                              ;   in Loop: Header=BB35_382 Depth=3
	v_or_b32_e32 v38, 0x10000, v118
	v_cmp_eq_u32_sdwa s[26:27], v118, v3 src0_sel:WORD_0 src1_sel:DWORD
	s_nop 1
	v_cndmask_b32_e64 v38, v38, v118, s[26:27]
; %bb.439:                              ;   in Loop: Header=BB35_382 Depth=3
	s_or_b64 exec, exec, s[58:59]
	v_lshlrev_b32_e32 v118, 16, v39
	v_lshlrev_b32_e32 v119, 16, v23
	v_max_f32_e32 v119, v119, v119
	v_max_f32_e32 v118, v118, v118
	v_min_f32_e32 v76, v118, v119
	v_max_f32_e32 v118, v118, v119
	v_cndmask_b32_e32 v118, v118, v76, vcc
	v_and_b32_e32 v119, 0x7f800000, v118
	v_cmp_ne_u32_e64 s[26:27], s51, v119
                                        ; implicit-def: $vgpr123
	s_and_saveexec_b64 s[58:59], s[26:27]
	s_xor_b64 s[26:27], exec, s[58:59]
; %bb.440:                              ;   in Loop: Header=BB35_382 Depth=3
	v_bfe_u32 v119, v118, 16, 1
	v_add3_u32 v123, v118, v119, s72
                                        ; implicit-def: $vgpr118
; %bb.441:                              ;   in Loop: Header=BB35_382 Depth=3
	s_andn2_saveexec_b64 s[58:59], s[26:27]
; %bb.442:                              ;   in Loop: Header=BB35_382 Depth=3
	v_or_b32_e32 v119, 0x10000, v118
	v_cmp_eq_u32_sdwa s[26:27], v118, v3 src0_sel:WORD_0 src1_sel:DWORD
	s_nop 1
	v_cndmask_b32_e64 v123, v119, v118, s[26:27]
; %bb.443:                              ;   in Loop: Header=BB35_382 Depth=3
	s_or_b64 exec, exec, s[58:59]
	v_and_b32_e32 v39, 0xffff0000, v39
	v_and_b32_e32 v118, 0xffff0000, v23
	v_max_f32_e32 v118, v118, v118
	v_max_f32_e32 v39, v39, v39
	v_min_f32_e32 v119, v39, v118
	v_max_f32_e32 v39, v39, v118
	v_cndmask_b32_e32 v118, v39, v119, vcc
	v_and_b32_e32 v39, 0x7f800000, v118
	v_cmp_ne_u32_e64 s[26:27], s51, v39
                                        ; implicit-def: $vgpr39
	s_and_saveexec_b64 s[58:59], s[26:27]
	s_xor_b64 s[26:27], exec, s[58:59]
; %bb.444:                              ;   in Loop: Header=BB35_382 Depth=3
	v_bfe_u32 v39, v118, 16, 1
	v_add3_u32 v39, v118, v39, s72
                                        ; implicit-def: $vgpr118
; %bb.445:                              ;   in Loop: Header=BB35_382 Depth=3
	s_andn2_saveexec_b64 s[58:59], s[26:27]
; %bb.446:                              ;   in Loop: Header=BB35_382 Depth=3
	v_or_b32_e32 v39, 0x10000, v118
	v_cmp_eq_u32_sdwa s[26:27], v118, v3 src0_sel:WORD_0 src1_sel:DWORD
	s_nop 1
	v_cndmask_b32_e64 v39, v39, v118, s[26:27]
; %bb.447:                              ;   in Loop: Header=BB35_382 Depth=3
	s_or_b64 exec, exec, s[58:59]
	v_lshlrev_b32_e32 v118, 16, v24
	v_lshlrev_b32_e32 v119, 16, v16
	v_max_f32_e32 v119, v119, v119
	v_max_f32_e32 v118, v118, v118
	v_min_f32_e32 v76, v118, v119
	v_max_f32_e32 v118, v118, v119
	v_cndmask_b32_e32 v118, v118, v76, vcc
	v_and_b32_e32 v119, 0x7f800000, v118
	v_cmp_ne_u32_e64 s[26:27], s51, v119
                                        ; implicit-def: $vgpr88
	s_and_saveexec_b64 s[58:59], s[26:27]
	s_xor_b64 s[26:27], exec, s[58:59]
; %bb.448:                              ;   in Loop: Header=BB35_382 Depth=3
	v_bfe_u32 v119, v118, 16, 1
	v_add3_u32 v88, v118, v119, s72
                                        ; implicit-def: $vgpr118
; %bb.449:                              ;   in Loop: Header=BB35_382 Depth=3
	s_andn2_saveexec_b64 s[58:59], s[26:27]
; %bb.450:                              ;   in Loop: Header=BB35_382 Depth=3
	v_or_b32_e32 v119, 0x10000, v118
	v_cmp_eq_u32_sdwa s[26:27], v118, v3 src0_sel:WORD_0 src1_sel:DWORD
	s_nop 1
	v_cndmask_b32_e64 v88, v119, v118, s[26:27]
; %bb.451:                              ;   in Loop: Header=BB35_382 Depth=3
	s_or_b64 exec, exec, s[58:59]
	v_and_b32_e32 v24, 0xffff0000, v24
	v_and_b32_e32 v118, 0xffff0000, v16
	v_max_f32_e32 v118, v118, v118
	v_max_f32_e32 v24, v24, v24
	v_min_f32_e32 v119, v24, v118
	v_max_f32_e32 v24, v24, v118
	v_cndmask_b32_e32 v118, v24, v119, vcc
	v_and_b32_e32 v24, 0x7f800000, v118
	v_cmp_ne_u32_e64 s[26:27], s51, v24
                                        ; implicit-def: $vgpr24
	s_and_saveexec_b64 s[58:59], s[26:27]
	s_xor_b64 s[26:27], exec, s[58:59]
; %bb.452:                              ;   in Loop: Header=BB35_382 Depth=3
	v_bfe_u32 v24, v118, 16, 1
	v_add3_u32 v24, v118, v24, s72
                                        ; implicit-def: $vgpr118
; %bb.453:                              ;   in Loop: Header=BB35_382 Depth=3
	s_andn2_saveexec_b64 s[58:59], s[26:27]
; %bb.454:                              ;   in Loop: Header=BB35_382 Depth=3
	v_or_b32_e32 v24, 0x10000, v118
	v_cmp_eq_u32_sdwa s[26:27], v118, v3 src0_sel:WORD_0 src1_sel:DWORD
	s_nop 1
	v_cndmask_b32_e64 v24, v24, v118, s[26:27]
; %bb.455:                              ;   in Loop: Header=BB35_382 Depth=3
	s_or_b64 exec, exec, s[58:59]
	v_lshlrev_b32_e32 v118, 16, v25
	v_lshlrev_b32_e32 v119, 16, v17
	v_max_f32_e32 v119, v119, v119
	v_max_f32_e32 v118, v118, v118
	v_min_f32_e32 v76, v118, v119
	v_max_f32_e32 v118, v118, v119
	v_cndmask_b32_e32 v118, v118, v76, vcc
	v_and_b32_e32 v119, 0x7f800000, v118
	v_cmp_ne_u32_e64 s[26:27], s51, v119
                                        ; implicit-def: $vgpr89
	s_and_saveexec_b64 s[58:59], s[26:27]
	s_xor_b64 s[26:27], exec, s[58:59]
; %bb.456:                              ;   in Loop: Header=BB35_382 Depth=3
	v_bfe_u32 v119, v118, 16, 1
	v_add3_u32 v89, v118, v119, s72
                                        ; implicit-def: $vgpr118
; %bb.457:                              ;   in Loop: Header=BB35_382 Depth=3
	s_andn2_saveexec_b64 s[58:59], s[26:27]
; %bb.458:                              ;   in Loop: Header=BB35_382 Depth=3
	v_or_b32_e32 v119, 0x10000, v118
	v_cmp_eq_u32_sdwa s[26:27], v118, v3 src0_sel:WORD_0 src1_sel:DWORD
	s_nop 1
	v_cndmask_b32_e64 v89, v119, v118, s[26:27]
; %bb.459:                              ;   in Loop: Header=BB35_382 Depth=3
	s_or_b64 exec, exec, s[58:59]
	v_and_b32_e32 v25, 0xffff0000, v25
	v_and_b32_e32 v118, 0xffff0000, v17
	v_max_f32_e32 v118, v118, v118
	v_max_f32_e32 v25, v25, v25
	v_min_f32_e32 v119, v25, v118
	v_max_f32_e32 v25, v25, v118
	v_cndmask_b32_e32 v118, v25, v119, vcc
	v_and_b32_e32 v25, 0x7f800000, v118
	v_cmp_ne_u32_e64 s[26:27], s51, v25
                                        ; implicit-def: $vgpr25
	s_and_saveexec_b64 s[58:59], s[26:27]
	s_xor_b64 s[26:27], exec, s[58:59]
; %bb.460:                              ;   in Loop: Header=BB35_382 Depth=3
	v_bfe_u32 v25, v118, 16, 1
	v_add3_u32 v25, v118, v25, s72
                                        ; implicit-def: $vgpr118
; %bb.461:                              ;   in Loop: Header=BB35_382 Depth=3
	s_andn2_saveexec_b64 s[58:59], s[26:27]
; %bb.462:                              ;   in Loop: Header=BB35_382 Depth=3
	v_or_b32_e32 v25, 0x10000, v118
	v_cmp_eq_u32_sdwa s[26:27], v118, v3 src0_sel:WORD_0 src1_sel:DWORD
	s_nop 1
	v_cndmask_b32_e64 v25, v25, v118, s[26:27]
; %bb.463:                              ;   in Loop: Header=BB35_382 Depth=3
	s_or_b64 exec, exec, s[58:59]
	v_lshlrev_b32_e32 v118, 16, v26
	v_lshlrev_b32_e32 v119, 16, v18
	v_max_f32_e32 v119, v119, v119
	v_max_f32_e32 v118, v118, v118
	v_min_f32_e32 v76, v118, v119
	v_max_f32_e32 v118, v118, v119
	v_cndmask_b32_e32 v118, v118, v76, vcc
	v_and_b32_e32 v119, 0x7f800000, v118
	v_cmp_ne_u32_e64 s[26:27], s51, v119
                                        ; implicit-def: $vgpr90
	s_and_saveexec_b64 s[58:59], s[26:27]
	s_xor_b64 s[26:27], exec, s[58:59]
; %bb.464:                              ;   in Loop: Header=BB35_382 Depth=3
	v_bfe_u32 v119, v118, 16, 1
	v_add3_u32 v90, v118, v119, s72
                                        ; implicit-def: $vgpr118
; %bb.465:                              ;   in Loop: Header=BB35_382 Depth=3
	s_andn2_saveexec_b64 s[58:59], s[26:27]
; %bb.466:                              ;   in Loop: Header=BB35_382 Depth=3
	v_or_b32_e32 v119, 0x10000, v118
	v_cmp_eq_u32_sdwa s[26:27], v118, v3 src0_sel:WORD_0 src1_sel:DWORD
	s_nop 1
	v_cndmask_b32_e64 v90, v119, v118, s[26:27]
; %bb.467:                              ;   in Loop: Header=BB35_382 Depth=3
	s_or_b64 exec, exec, s[58:59]
	v_and_b32_e32 v26, 0xffff0000, v26
	v_and_b32_e32 v118, 0xffff0000, v18
	v_max_f32_e32 v118, v118, v118
	v_max_f32_e32 v26, v26, v26
	v_min_f32_e32 v119, v26, v118
	v_max_f32_e32 v26, v26, v118
	v_cndmask_b32_e32 v118, v26, v119, vcc
	v_and_b32_e32 v26, 0x7f800000, v118
	v_cmp_ne_u32_e64 s[26:27], s51, v26
                                        ; implicit-def: $vgpr26
	s_and_saveexec_b64 s[58:59], s[26:27]
	s_xor_b64 s[26:27], exec, s[58:59]
; %bb.468:                              ;   in Loop: Header=BB35_382 Depth=3
	v_bfe_u32 v26, v118, 16, 1
	v_add3_u32 v26, v118, v26, s72
                                        ; implicit-def: $vgpr118
; %bb.469:                              ;   in Loop: Header=BB35_382 Depth=3
	s_andn2_saveexec_b64 s[58:59], s[26:27]
; %bb.470:                              ;   in Loop: Header=BB35_382 Depth=3
	v_or_b32_e32 v26, 0x10000, v118
	v_cmp_eq_u32_sdwa s[26:27], v118, v3 src0_sel:WORD_0 src1_sel:DWORD
	s_nop 1
	v_cndmask_b32_e64 v26, v26, v118, s[26:27]
; %bb.471:                              ;   in Loop: Header=BB35_382 Depth=3
	s_or_b64 exec, exec, s[58:59]
	v_lshlrev_b32_e32 v118, 16, v27
	v_lshlrev_b32_e32 v119, 16, v19
	v_max_f32_e32 v119, v119, v119
	v_max_f32_e32 v118, v118, v118
	v_min_f32_e32 v76, v118, v119
	v_max_f32_e32 v118, v118, v119
	v_cndmask_b32_e32 v118, v118, v76, vcc
	v_and_b32_e32 v119, 0x7f800000, v118
	v_cmp_ne_u32_e64 s[26:27], s51, v119
                                        ; implicit-def: $vgpr91
	s_and_saveexec_b64 s[58:59], s[26:27]
	s_xor_b64 s[26:27], exec, s[58:59]
; %bb.472:                              ;   in Loop: Header=BB35_382 Depth=3
	v_bfe_u32 v119, v118, 16, 1
	v_add3_u32 v91, v118, v119, s72
                                        ; implicit-def: $vgpr118
; %bb.473:                              ;   in Loop: Header=BB35_382 Depth=3
	s_andn2_saveexec_b64 s[58:59], s[26:27]
; %bb.474:                              ;   in Loop: Header=BB35_382 Depth=3
	v_or_b32_e32 v119, 0x10000, v118
	v_cmp_eq_u32_sdwa s[26:27], v118, v3 src0_sel:WORD_0 src1_sel:DWORD
	s_nop 1
	v_cndmask_b32_e64 v91, v119, v118, s[26:27]
; %bb.475:                              ;   in Loop: Header=BB35_382 Depth=3
	s_or_b64 exec, exec, s[58:59]
	v_and_b32_e32 v27, 0xffff0000, v27
	v_and_b32_e32 v118, 0xffff0000, v19
	v_max_f32_e32 v118, v118, v118
	v_max_f32_e32 v27, v27, v27
	v_min_f32_e32 v119, v27, v118
	v_max_f32_e32 v27, v27, v118
	v_cndmask_b32_e32 v118, v27, v119, vcc
	v_and_b32_e32 v27, 0x7f800000, v118
	v_cmp_ne_u32_e64 s[26:27], s51, v27
                                        ; implicit-def: $vgpr27
	s_and_saveexec_b64 s[58:59], s[26:27]
	s_xor_b64 s[26:27], exec, s[58:59]
; %bb.476:                              ;   in Loop: Header=BB35_382 Depth=3
	v_bfe_u32 v27, v118, 16, 1
	v_add3_u32 v27, v118, v27, s72
                                        ; implicit-def: $vgpr118
; %bb.477:                              ;   in Loop: Header=BB35_382 Depth=3
	s_andn2_saveexec_b64 s[58:59], s[26:27]
; %bb.478:                              ;   in Loop: Header=BB35_382 Depth=3
	v_or_b32_e32 v27, 0x10000, v118
	v_cmp_eq_u32_sdwa s[26:27], v118, v3 src0_sel:WORD_0 src1_sel:DWORD
	s_nop 1
	v_cndmask_b32_e64 v27, v27, v118, s[26:27]
; %bb.479:                              ;   in Loop: Header=BB35_382 Depth=3
	s_or_b64 exec, exec, s[58:59]
	v_lshlrev_b32_e32 v118, 16, v12
	v_lshlrev_b32_e32 v119, 16, v8
	v_max_f32_e32 v119, v119, v119
	v_max_f32_e32 v118, v118, v118
	v_min_f32_e32 v76, v118, v119
	v_max_f32_e32 v118, v118, v119
	v_cndmask_b32_e32 v119, v118, v76, vcc
	v_and_b32_e32 v118, 0x7f800000, v119
	v_cmp_ne_u32_e64 s[26:27], s51, v118
                                        ; implicit-def: $vgpr118
	s_and_saveexec_b64 s[58:59], s[26:27]
	s_xor_b64 s[26:27], exec, s[58:59]
; %bb.480:                              ;   in Loop: Header=BB35_382 Depth=3
	v_bfe_u32 v118, v119, 16, 1
	v_add3_u32 v118, v119, v118, s72
                                        ; implicit-def: $vgpr119
; %bb.481:                              ;   in Loop: Header=BB35_382 Depth=3
	s_andn2_saveexec_b64 s[58:59], s[26:27]
; %bb.482:                              ;   in Loop: Header=BB35_382 Depth=3
	v_or_b32_e32 v118, 0x10000, v119
	v_cmp_eq_u32_sdwa s[26:27], v119, v3 src0_sel:WORD_0 src1_sel:DWORD
	s_nop 1
	v_cndmask_b32_e64 v118, v118, v119, s[26:27]
; %bb.483:                              ;   in Loop: Header=BB35_382 Depth=3
	s_or_b64 exec, exec, s[58:59]
	v_and_b32_e32 v12, 0xffff0000, v12
	v_and_b32_e32 v119, 0xffff0000, v8
	v_max_f32_e32 v119, v119, v119
	v_max_f32_e32 v12, v12, v12
	v_min_f32_e32 v76, v12, v119
	v_max_f32_e32 v12, v12, v119
	v_cndmask_b32_e32 v119, v12, v76, vcc
	v_and_b32_e32 v12, 0x7f800000, v119
	v_cmp_ne_u32_e64 s[26:27], s51, v12
                                        ; implicit-def: $vgpr12
	s_and_saveexec_b64 s[58:59], s[26:27]
	s_xor_b64 s[26:27], exec, s[58:59]
; %bb.484:                              ;   in Loop: Header=BB35_382 Depth=3
	v_bfe_u32 v12, v119, 16, 1
	v_add3_u32 v12, v119, v12, s72
                                        ; implicit-def: $vgpr119
; %bb.485:                              ;   in Loop: Header=BB35_382 Depth=3
	s_andn2_saveexec_b64 s[58:59], s[26:27]
; %bb.486:                              ;   in Loop: Header=BB35_382 Depth=3
	v_or_b32_e32 v12, 0x10000, v119
	v_cmp_eq_u32_sdwa s[26:27], v119, v3 src0_sel:WORD_0 src1_sel:DWORD
	s_nop 1
	v_cndmask_b32_e64 v12, v12, v119, s[26:27]
; %bb.487:                              ;   in Loop: Header=BB35_382 Depth=3
	s_or_b64 exec, exec, s[58:59]
	v_lshlrev_b32_e32 v119, 16, v13
	v_lshlrev_b32_e32 v76, 16, v9
	v_max_f32_e32 v76, v76, v76
	v_max_f32_e32 v119, v119, v119
	v_min_f32_e32 v77, v119, v76
	v_max_f32_e32 v119, v119, v76
	v_cndmask_b32_e32 v78, v119, v77, vcc
	v_and_b32_e32 v119, 0x7f800000, v78
	v_cmp_ne_u32_e64 s[26:27], s51, v119
                                        ; implicit-def: $vgpr119
	s_and_saveexec_b64 s[58:59], s[26:27]
	s_xor_b64 s[26:27], exec, s[58:59]
; %bb.488:                              ;   in Loop: Header=BB35_382 Depth=3
	v_bfe_u32 v119, v78, 16, 1
	v_add3_u32 v119, v78, v119, s72
                                        ; implicit-def: $vgpr78
; %bb.489:                              ;   in Loop: Header=BB35_382 Depth=3
	s_andn2_saveexec_b64 s[58:59], s[26:27]
; %bb.490:                              ;   in Loop: Header=BB35_382 Depth=3
	v_or_b32_e32 v119, 0x10000, v78
	v_cmp_eq_u32_sdwa s[26:27], v78, v3 src0_sel:WORD_0 src1_sel:DWORD
	s_nop 1
	v_cndmask_b32_e64 v119, v119, v78, s[26:27]
; %bb.491:                              ;   in Loop: Header=BB35_382 Depth=3
	s_or_b64 exec, exec, s[58:59]
	v_and_b32_e32 v13, 0xffff0000, v13
	v_and_b32_e32 v76, 0xffff0000, v9
	v_max_f32_e32 v76, v76, v76
	v_max_f32_e32 v13, v13, v13
	v_min_f32_e32 v77, v13, v76
	v_max_f32_e32 v13, v13, v76
	v_cndmask_b32_e32 v78, v13, v77, vcc
	v_and_b32_e32 v13, 0x7f800000, v78
	v_cmp_ne_u32_e64 s[26:27], s51, v13
                                        ; implicit-def: $vgpr13
	s_and_saveexec_b64 s[58:59], s[26:27]
	s_xor_b64 s[26:27], exec, s[58:59]
; %bb.492:                              ;   in Loop: Header=BB35_382 Depth=3
	v_bfe_u32 v13, v78, 16, 1
	v_add3_u32 v13, v78, v13, s72
                                        ; implicit-def: $vgpr78
; %bb.493:                              ;   in Loop: Header=BB35_382 Depth=3
	s_andn2_saveexec_b64 s[58:59], s[26:27]
; %bb.494:                              ;   in Loop: Header=BB35_382 Depth=3
	v_or_b32_e32 v13, 0x10000, v78
	v_cmp_eq_u32_sdwa s[26:27], v78, v3 src0_sel:WORD_0 src1_sel:DWORD
	s_nop 1
	v_cndmask_b32_e64 v13, v13, v78, s[26:27]
; %bb.495:                              ;   in Loop: Header=BB35_382 Depth=3
	s_or_b64 exec, exec, s[58:59]
	v_lshlrev_b32_e32 v76, 16, v14
	v_lshlrev_b32_e32 v77, 16, v10
	v_max_f32_e32 v77, v77, v77
	v_max_f32_e32 v76, v76, v76
	v_min_f32_e32 v78, v76, v77
	v_max_f32_e32 v76, v76, v77
	v_cndmask_b32_e32 v79, v76, v78, vcc
	v_and_b32_e32 v76, 0x7f800000, v79
	v_cmp_ne_u32_e64 s[26:27], s51, v76
                                        ; implicit-def: $vgpr78
	s_and_saveexec_b64 s[58:59], s[26:27]
	s_xor_b64 s[26:27], exec, s[58:59]
; %bb.496:                              ;   in Loop: Header=BB35_382 Depth=3
	v_bfe_u32 v76, v79, 16, 1
	v_add3_u32 v78, v79, v76, s72
                                        ; implicit-def: $vgpr79
; %bb.497:                              ;   in Loop: Header=BB35_382 Depth=3
	s_andn2_saveexec_b64 s[58:59], s[26:27]
; %bb.498:                              ;   in Loop: Header=BB35_382 Depth=3
	v_or_b32_e32 v76, 0x10000, v79
	v_cmp_eq_u32_sdwa s[26:27], v79, v3 src0_sel:WORD_0 src1_sel:DWORD
	s_nop 1
	v_cndmask_b32_e64 v78, v76, v79, s[26:27]
; %bb.499:                              ;   in Loop: Header=BB35_382 Depth=3
	s_or_b64 exec, exec, s[58:59]
	v_and_b32_e32 v14, 0xffff0000, v14
	v_and_b32_e32 v76, 0xffff0000, v10
	v_max_f32_e32 v76, v76, v76
	v_max_f32_e32 v14, v14, v14
	v_min_f32_e32 v77, v14, v76
	v_max_f32_e32 v14, v14, v76
	v_cndmask_b32_e32 v79, v14, v77, vcc
	v_and_b32_e32 v14, 0x7f800000, v79
	v_cmp_ne_u32_e64 s[26:27], s51, v14
                                        ; implicit-def: $vgpr14
	s_and_saveexec_b64 s[58:59], s[26:27]
	s_xor_b64 s[26:27], exec, s[58:59]
; %bb.500:                              ;   in Loop: Header=BB35_382 Depth=3
	v_bfe_u32 v14, v79, 16, 1
	v_add3_u32 v14, v79, v14, s72
                                        ; implicit-def: $vgpr79
; %bb.501:                              ;   in Loop: Header=BB35_382 Depth=3
	s_andn2_saveexec_b64 s[58:59], s[26:27]
; %bb.502:                              ;   in Loop: Header=BB35_382 Depth=3
	v_or_b32_e32 v14, 0x10000, v79
	v_cmp_eq_u32_sdwa s[26:27], v79, v3 src0_sel:WORD_0 src1_sel:DWORD
	s_nop 1
	v_cndmask_b32_e64 v14, v14, v79, s[26:27]
; %bb.503:                              ;   in Loop: Header=BB35_382 Depth=3
	s_or_b64 exec, exec, s[58:59]
	v_lshlrev_b32_e32 v76, 16, v15
	v_lshlrev_b32_e32 v77, 16, v11
	v_max_f32_e32 v77, v77, v77
	v_max_f32_e32 v76, v76, v76
	v_min_f32_e32 v79, v76, v77
	v_max_f32_e32 v76, v76, v77
	v_cndmask_b32_e32 v76, v76, v79, vcc
	v_and_b32_e32 v77, 0x7f800000, v76
	v_cmp_ne_u32_e64 s[26:27], s51, v77
                                        ; implicit-def: $vgpr79
	s_and_saveexec_b64 s[58:59], s[26:27]
	s_xor_b64 s[26:27], exec, s[58:59]
; %bb.504:                              ;   in Loop: Header=BB35_382 Depth=3
	v_bfe_u32 v77, v76, 16, 1
	v_add3_u32 v79, v76, v77, s72
                                        ; implicit-def: $vgpr76
; %bb.505:                              ;   in Loop: Header=BB35_382 Depth=3
	s_andn2_saveexec_b64 s[58:59], s[26:27]
; %bb.506:                              ;   in Loop: Header=BB35_382 Depth=3
	v_or_b32_e32 v77, 0x10000, v76
	v_cmp_eq_u32_sdwa s[26:27], v76, v3 src0_sel:WORD_0 src1_sel:DWORD
	s_nop 1
	v_cndmask_b32_e64 v79, v77, v76, s[26:27]
; %bb.507:                              ;   in Loop: Header=BB35_382 Depth=3
	s_or_b64 exec, exec, s[58:59]
	v_and_b32_e32 v15, 0xffff0000, v15
	v_and_b32_e32 v76, 0xffff0000, v11
	v_max_f32_e32 v76, v76, v76
	v_max_f32_e32 v15, v15, v15
	v_min_f32_e32 v77, v15, v76
	v_max_f32_e32 v15, v15, v76
	v_cndmask_b32_e32 v76, v15, v77, vcc
	v_and_b32_e32 v15, 0x7f800000, v76
	v_cmp_ne_u32_e64 s[26:27], s51, v15
                                        ; implicit-def: $vgpr15
	s_and_saveexec_b64 s[58:59], s[26:27]
	s_xor_b64 s[26:27], exec, s[58:59]
; %bb.508:                              ;   in Loop: Header=BB35_382 Depth=3
	v_bfe_u32 v15, v76, 16, 1
	v_add3_u32 v15, v76, v15, s72
                                        ; implicit-def: $vgpr76
; %bb.509:                              ;   in Loop: Header=BB35_382 Depth=3
	s_andn2_saveexec_b64 s[58:59], s[26:27]
; %bb.510:                              ;   in Loop: Header=BB35_382 Depth=3
	v_or_b32_e32 v15, 0x10000, v76
	v_cmp_eq_u32_sdwa s[26:27], v76, v3 src0_sel:WORD_0 src1_sel:DWORD
	s_nop 1
	v_cndmask_b32_e64 v15, v15, v76, s[26:27]
; %bb.511:                              ;   in Loop: Header=BB35_382 Depth=3
	s_or_b64 exec, exec, s[58:59]
	v_lshrrev_b32_e32 v76, 16, v89
	v_and_or_b32 v25, v25, s73, v76
	v_lshrrev_b32_e32 v76, 16, v88
	v_and_or_b32 v24, v24, s73, v76
	;; [unrolled: 2-line block ×5, first 2 shown]
	v_lshrrev_b32_e32 v76, 16, v110
	v_lshrrev_b32_e32 v42, 16, v42
	;; [unrolled: 1-line block ×3, first 2 shown]
	v_and_or_b32 v36, v36, s73, v76
	v_lshrrev_b32_e32 v76, 16, v122
	v_lshrrev_b32_e32 v75, 16, v75
	;; [unrolled: 1-line block ×3, first 2 shown]
	v_and_or_b32 v82, v82, s73, v42
	v_lshrrev_b32_e32 v42, 16, v43
	v_and_or_b32 v12, v12, s73, v118
	v_lshrrev_b32_e32 v118, 16, v78
	;; [unrolled: 2-line block ×3, first 2 shown]
	v_and_or_b32 v81, v81, s73, v75
	v_and_or_b32 v80, v80, s73, v74
	;; [unrolled: 1-line block ×3, first 2 shown]
	v_lshrrev_b32_e32 v119, 16, v119
	v_and_or_b32 v14, v14, s73, v118
	v_lshrrev_b32_e32 v118, 16, v79
	v_and_or_b32 v39, v39, s73, v76
	v_and_or_b32 v13, v13, s73, v119
	;; [unrolled: 1-line block ×3, first 2 shown]
	global_store_dwordx4 v[108:109], v[80:83], off
	global_store_dwordx4 v[108:109], v[36:39], off offset:1024
	global_store_dwordx4 v[108:109], v[24:27], off offset:2048
	;; [unrolled: 1-line block ×3, first 2 shown]
	v_lshl_add_u64 v[108:109], v[108:109], 0, v[116:117]
.LBB35_512:                             ;   in Loop: Header=BB35_382 Depth=3
	s_or_b64 exec, exec, s[60:61]
	v_sub_u32_e32 v7, v7, v60
	v_lshl_add_u64 v[44:45], v[44:45], 0, v[116:117]
	v_lshl_add_u64 v[124:125], v[124:125], 0, v[116:117]
	v_cmp_lt_i32_e64 s[58:59], 0, v7
	s_and_saveexec_b64 s[26:27], s[58:59]
	s_cbranch_execz .LBB35_514
; %bb.513:                              ;   in Loop: Header=BB35_382 Depth=3
	global_load_dwordx4 v[80:83], v[44:45], off nt
	global_load_dwordx4 v[36:39], v[44:45], off offset:1024 nt
	global_load_dwordx4 v[24:27], v[44:45], off offset:2048 nt
	;; [unrolled: 1-line block ×3, first 2 shown]
	global_load_dwordx4 v[32:35], v[124:125], off nt
	global_load_dwordx4 v[20:23], v[124:125], off offset:1024 nt
	global_load_dwordx4 v[16:19], v[124:125], off offset:2048 nt
	;; [unrolled: 1-line block ×3, first 2 shown]
	v_lshl_add_u64 v[44:45], v[44:45], 0, s[34:35]
	v_lshl_add_u64 v[124:125], v[124:125], 0, s[34:35]
.LBB35_514:                             ;   in Loop: Header=BB35_382 Depth=3
	s_or_b64 exec, exec, s[26:27]
	s_waitcnt vmcnt(7)
	v_lshlrev_b32_e32 v118, 16, v100
	s_waitcnt vmcnt(3)
	v_lshlrev_b32_e32 v119, 16, v112
	v_max_f32_e32 v119, v119, v119
	v_max_f32_e32 v118, v118, v118
	v_min_f32_e32 v42, v118, v119
	v_max_f32_e32 v118, v118, v119
	v_cndmask_b32_e32 v118, v118, v42, vcc
	v_and_b32_e32 v119, 0x7f800000, v118
	v_cmp_ne_u32_e64 s[26:27], s51, v119
                                        ; implicit-def: $vgpr74
	s_and_saveexec_b64 s[60:61], s[26:27]
	s_xor_b64 s[26:27], exec, s[60:61]
; %bb.515:                              ;   in Loop: Header=BB35_382 Depth=3
	v_bfe_u32 v119, v118, 16, 1
	v_add3_u32 v74, v118, v119, s72
                                        ; implicit-def: $vgpr118
; %bb.516:                              ;   in Loop: Header=BB35_382 Depth=3
	s_andn2_saveexec_b64 s[60:61], s[26:27]
; %bb.517:                              ;   in Loop: Header=BB35_382 Depth=3
	v_or_b32_e32 v119, 0x10000, v118
	v_cmp_eq_u32_sdwa s[26:27], v118, v3 src0_sel:WORD_0 src1_sel:DWORD
	s_nop 1
	v_cndmask_b32_e64 v74, v119, v118, s[26:27]
; %bb.518:                              ;   in Loop: Header=BB35_382 Depth=3
	s_or_b64 exec, exec, s[60:61]
	v_and_b32_e32 v100, 0xffff0000, v100
	v_and_b32_e32 v112, 0xffff0000, v112
	v_max_f32_e32 v112, v112, v112
	v_max_f32_e32 v100, v100, v100
	v_min_f32_e32 v118, v100, v112
	v_max_f32_e32 v100, v100, v112
	v_cndmask_b32_e32 v112, v100, v118, vcc
	v_and_b32_e32 v100, 0x7f800000, v112
	v_cmp_ne_u32_e64 s[26:27], s51, v100
                                        ; implicit-def: $vgpr100
	s_and_saveexec_b64 s[60:61], s[26:27]
	s_xor_b64 s[26:27], exec, s[60:61]
; %bb.519:                              ;   in Loop: Header=BB35_382 Depth=3
	v_bfe_u32 v100, v112, 16, 1
	v_add3_u32 v100, v112, v100, s72
                                        ; implicit-def: $vgpr112
; %bb.520:                              ;   in Loop: Header=BB35_382 Depth=3
	s_andn2_saveexec_b64 s[60:61], s[26:27]
; %bb.521:                              ;   in Loop: Header=BB35_382 Depth=3
	v_or_b32_e32 v100, 0x10000, v112
	v_cmp_eq_u32_sdwa s[26:27], v112, v3 src0_sel:WORD_0 src1_sel:DWORD
	s_nop 1
	v_cndmask_b32_e64 v100, v100, v112, s[26:27]
; %bb.522:                              ;   in Loop: Header=BB35_382 Depth=3
	s_or_b64 exec, exec, s[60:61]
	v_lshlrev_b32_e32 v112, 16, v101
	v_lshlrev_b32_e32 v118, 16, v113
	v_max_f32_e32 v118, v118, v118
	v_max_f32_e32 v112, v112, v112
	v_min_f32_e32 v119, v112, v118
	v_max_f32_e32 v112, v112, v118
	v_cndmask_b32_e32 v118, v112, v119, vcc
	v_and_b32_e32 v112, 0x7f800000, v118
	v_cmp_ne_u32_e64 s[26:27], s51, v112
                                        ; implicit-def: $vgpr112
	s_and_saveexec_b64 s[60:61], s[26:27]
	s_xor_b64 s[26:27], exec, s[60:61]
; %bb.523:                              ;   in Loop: Header=BB35_382 Depth=3
	v_bfe_u32 v112, v118, 16, 1
	v_add3_u32 v112, v118, v112, s72
                                        ; implicit-def: $vgpr118
; %bb.524:                              ;   in Loop: Header=BB35_382 Depth=3
	s_andn2_saveexec_b64 s[60:61], s[26:27]
; %bb.525:                              ;   in Loop: Header=BB35_382 Depth=3
	v_or_b32_e32 v112, 0x10000, v118
	v_cmp_eq_u32_sdwa s[26:27], v118, v3 src0_sel:WORD_0 src1_sel:DWORD
	s_nop 1
	v_cndmask_b32_e64 v112, v112, v118, s[26:27]
; %bb.526:                              ;   in Loop: Header=BB35_382 Depth=3
	s_or_b64 exec, exec, s[60:61]
	v_and_b32_e32 v101, 0xffff0000, v101
	v_and_b32_e32 v113, 0xffff0000, v113
	v_max_f32_e32 v113, v113, v113
	v_max_f32_e32 v101, v101, v101
	v_min_f32_e32 v118, v101, v113
	v_max_f32_e32 v101, v101, v113
	v_cndmask_b32_e32 v113, v101, v118, vcc
	v_and_b32_e32 v101, 0x7f800000, v113
	v_cmp_ne_u32_e64 s[26:27], s51, v101
                                        ; implicit-def: $vgpr101
	s_and_saveexec_b64 s[60:61], s[26:27]
	s_xor_b64 s[26:27], exec, s[60:61]
; %bb.527:                              ;   in Loop: Header=BB35_382 Depth=3
	v_bfe_u32 v101, v113, 16, 1
	v_add3_u32 v101, v113, v101, s72
                                        ; implicit-def: $vgpr113
; %bb.528:                              ;   in Loop: Header=BB35_382 Depth=3
	s_andn2_saveexec_b64 s[60:61], s[26:27]
; %bb.529:                              ;   in Loop: Header=BB35_382 Depth=3
	v_or_b32_e32 v101, 0x10000, v113
	v_cmp_eq_u32_sdwa s[26:27], v113, v3 src0_sel:WORD_0 src1_sel:DWORD
	s_nop 1
	v_cndmask_b32_e64 v101, v101, v113, s[26:27]
; %bb.530:                              ;   in Loop: Header=BB35_382 Depth=3
	s_or_b64 exec, exec, s[60:61]
	v_lshlrev_b32_e32 v113, 16, v102
	v_lshlrev_b32_e32 v118, 16, v114
	v_max_f32_e32 v118, v118, v118
	v_max_f32_e32 v113, v113, v113
	v_min_f32_e32 v119, v113, v118
	v_max_f32_e32 v113, v113, v118
	v_cndmask_b32_e32 v118, v113, v119, vcc
	v_and_b32_e32 v113, 0x7f800000, v118
	v_cmp_ne_u32_e64 s[26:27], s51, v113
                                        ; implicit-def: $vgpr113
	s_and_saveexec_b64 s[60:61], s[26:27]
	s_xor_b64 s[26:27], exec, s[60:61]
; %bb.531:                              ;   in Loop: Header=BB35_382 Depth=3
	v_bfe_u32 v113, v118, 16, 1
	v_add3_u32 v113, v118, v113, s72
                                        ; implicit-def: $vgpr118
; %bb.532:                              ;   in Loop: Header=BB35_382 Depth=3
	s_andn2_saveexec_b64 s[60:61], s[26:27]
; %bb.533:                              ;   in Loop: Header=BB35_382 Depth=3
	v_or_b32_e32 v113, 0x10000, v118
	v_cmp_eq_u32_sdwa s[26:27], v118, v3 src0_sel:WORD_0 src1_sel:DWORD
	s_nop 1
	v_cndmask_b32_e64 v113, v113, v118, s[26:27]
; %bb.534:                              ;   in Loop: Header=BB35_382 Depth=3
	s_or_b64 exec, exec, s[60:61]
	v_and_b32_e32 v102, 0xffff0000, v102
	v_and_b32_e32 v114, 0xffff0000, v114
	v_max_f32_e32 v114, v114, v114
	v_max_f32_e32 v102, v102, v102
	v_min_f32_e32 v118, v102, v114
	v_max_f32_e32 v102, v102, v114
	v_cndmask_b32_e32 v114, v102, v118, vcc
	v_and_b32_e32 v102, 0x7f800000, v114
	v_cmp_ne_u32_e64 s[26:27], s51, v102
                                        ; implicit-def: $vgpr102
	s_and_saveexec_b64 s[60:61], s[26:27]
	s_xor_b64 s[26:27], exec, s[60:61]
; %bb.535:                              ;   in Loop: Header=BB35_382 Depth=3
	v_bfe_u32 v102, v114, 16, 1
	v_add3_u32 v102, v114, v102, s72
                                        ; implicit-def: $vgpr114
; %bb.536:                              ;   in Loop: Header=BB35_382 Depth=3
	s_andn2_saveexec_b64 s[60:61], s[26:27]
; %bb.537:                              ;   in Loop: Header=BB35_382 Depth=3
	v_or_b32_e32 v102, 0x10000, v114
	v_cmp_eq_u32_sdwa s[26:27], v114, v3 src0_sel:WORD_0 src1_sel:DWORD
	s_nop 1
	v_cndmask_b32_e64 v102, v102, v114, s[26:27]
; %bb.538:                              ;   in Loop: Header=BB35_382 Depth=3
	s_or_b64 exec, exec, s[60:61]
	v_lshlrev_b32_e32 v114, 16, v103
	v_lshlrev_b32_e32 v118, 16, v115
	v_max_f32_e32 v118, v118, v118
	v_max_f32_e32 v114, v114, v114
	v_min_f32_e32 v119, v114, v118
	v_max_f32_e32 v114, v114, v118
	v_cndmask_b32_e32 v118, v114, v119, vcc
	v_and_b32_e32 v114, 0x7f800000, v118
	v_cmp_ne_u32_e64 s[26:27], s51, v114
                                        ; implicit-def: $vgpr114
	s_and_saveexec_b64 s[60:61], s[26:27]
	s_xor_b64 s[26:27], exec, s[60:61]
; %bb.539:                              ;   in Loop: Header=BB35_382 Depth=3
	v_bfe_u32 v114, v118, 16, 1
	v_add3_u32 v114, v118, v114, s72
                                        ; implicit-def: $vgpr118
; %bb.540:                              ;   in Loop: Header=BB35_382 Depth=3
	s_andn2_saveexec_b64 s[60:61], s[26:27]
; %bb.541:                              ;   in Loop: Header=BB35_382 Depth=3
	v_or_b32_e32 v114, 0x10000, v118
	v_cmp_eq_u32_sdwa s[26:27], v118, v3 src0_sel:WORD_0 src1_sel:DWORD
	s_nop 1
	v_cndmask_b32_e64 v114, v114, v118, s[26:27]
; %bb.542:                              ;   in Loop: Header=BB35_382 Depth=3
	s_or_b64 exec, exec, s[60:61]
	v_and_b32_e32 v103, 0xffff0000, v103
	v_and_b32_e32 v115, 0xffff0000, v115
	v_max_f32_e32 v115, v115, v115
	v_max_f32_e32 v103, v103, v103
	v_min_f32_e32 v118, v103, v115
	v_max_f32_e32 v103, v103, v115
	v_cndmask_b32_e32 v115, v103, v118, vcc
	v_and_b32_e32 v103, 0x7f800000, v115
	v_cmp_ne_u32_e64 s[26:27], s51, v103
                                        ; implicit-def: $vgpr103
	s_and_saveexec_b64 s[60:61], s[26:27]
	s_xor_b64 s[26:27], exec, s[60:61]
; %bb.543:                              ;   in Loop: Header=BB35_382 Depth=3
	v_bfe_u32 v103, v115, 16, 1
	v_add3_u32 v103, v115, v103, s72
                                        ; implicit-def: $vgpr115
; %bb.544:                              ;   in Loop: Header=BB35_382 Depth=3
	s_andn2_saveexec_b64 s[60:61], s[26:27]
; %bb.545:                              ;   in Loop: Header=BB35_382 Depth=3
	v_or_b32_e32 v103, 0x10000, v115
	v_cmp_eq_u32_sdwa s[26:27], v115, v3 src0_sel:WORD_0 src1_sel:DWORD
	s_nop 1
	v_cndmask_b32_e64 v103, v103, v115, s[26:27]
; %bb.546:                              ;   in Loop: Header=BB35_382 Depth=3
	s_or_b64 exec, exec, s[60:61]
	v_lshlrev_b32_e32 v115, 16, v84
	s_waitcnt vmcnt(2)
	v_lshlrev_b32_e32 v118, 16, v96
	v_max_f32_e32 v118, v118, v118
	v_max_f32_e32 v115, v115, v115
	v_min_f32_e32 v119, v115, v118
	v_max_f32_e32 v115, v115, v118
	v_cndmask_b32_e32 v118, v115, v119, vcc
	v_and_b32_e32 v115, 0x7f800000, v118
	v_cmp_ne_u32_e64 s[26:27], s51, v115
                                        ; implicit-def: $vgpr115
	s_and_saveexec_b64 s[60:61], s[26:27]
	s_xor_b64 s[26:27], exec, s[60:61]
; %bb.547:                              ;   in Loop: Header=BB35_382 Depth=3
	v_bfe_u32 v115, v118, 16, 1
	v_add3_u32 v115, v118, v115, s72
                                        ; implicit-def: $vgpr118
; %bb.548:                              ;   in Loop: Header=BB35_382 Depth=3
	s_andn2_saveexec_b64 s[60:61], s[26:27]
; %bb.549:                              ;   in Loop: Header=BB35_382 Depth=3
	v_or_b32_e32 v115, 0x10000, v118
	v_cmp_eq_u32_sdwa s[26:27], v118, v3 src0_sel:WORD_0 src1_sel:DWORD
	s_nop 1
	v_cndmask_b32_e64 v115, v115, v118, s[26:27]
; %bb.550:                              ;   in Loop: Header=BB35_382 Depth=3
	s_or_b64 exec, exec, s[60:61]
	v_and_b32_e32 v84, 0xffff0000, v84
	v_and_b32_e32 v96, 0xffff0000, v96
	v_max_f32_e32 v96, v96, v96
	v_max_f32_e32 v84, v84, v84
	v_min_f32_e32 v118, v84, v96
	v_max_f32_e32 v84, v84, v96
	v_cndmask_b32_e32 v96, v84, v118, vcc
	v_and_b32_e32 v84, 0x7f800000, v96
	v_cmp_ne_u32_e64 s[26:27], s51, v84
                                        ; implicit-def: $vgpr84
	s_and_saveexec_b64 s[60:61], s[26:27]
	s_xor_b64 s[26:27], exec, s[60:61]
; %bb.551:                              ;   in Loop: Header=BB35_382 Depth=3
	v_bfe_u32 v84, v96, 16, 1
	v_add3_u32 v84, v96, v84, s72
                                        ; implicit-def: $vgpr96
; %bb.552:                              ;   in Loop: Header=BB35_382 Depth=3
	s_andn2_saveexec_b64 s[60:61], s[26:27]
; %bb.553:                              ;   in Loop: Header=BB35_382 Depth=3
	v_or_b32_e32 v84, 0x10000, v96
	v_cmp_eq_u32_sdwa s[26:27], v96, v3 src0_sel:WORD_0 src1_sel:DWORD
	s_nop 1
	v_cndmask_b32_e64 v84, v84, v96, s[26:27]
; %bb.554:                              ;   in Loop: Header=BB35_382 Depth=3
	s_or_b64 exec, exec, s[60:61]
	v_lshlrev_b32_e32 v96, 16, v85
	v_lshlrev_b32_e32 v118, 16, v97
	v_max_f32_e32 v118, v118, v118
	v_max_f32_e32 v96, v96, v96
	v_min_f32_e32 v119, v96, v118
	v_max_f32_e32 v96, v96, v118
	v_cndmask_b32_e32 v118, v96, v119, vcc
	v_and_b32_e32 v96, 0x7f800000, v118
	v_cmp_ne_u32_e64 s[26:27], s51, v96
                                        ; implicit-def: $vgpr96
	s_and_saveexec_b64 s[60:61], s[26:27]
	s_xor_b64 s[26:27], exec, s[60:61]
; %bb.555:                              ;   in Loop: Header=BB35_382 Depth=3
	v_bfe_u32 v96, v118, 16, 1
	v_add3_u32 v96, v118, v96, s72
                                        ; implicit-def: $vgpr118
; %bb.556:                              ;   in Loop: Header=BB35_382 Depth=3
	s_andn2_saveexec_b64 s[60:61], s[26:27]
; %bb.557:                              ;   in Loop: Header=BB35_382 Depth=3
	v_or_b32_e32 v96, 0x10000, v118
	v_cmp_eq_u32_sdwa s[26:27], v118, v3 src0_sel:WORD_0 src1_sel:DWORD
	s_nop 1
	v_cndmask_b32_e64 v96, v96, v118, s[26:27]
; %bb.558:                              ;   in Loop: Header=BB35_382 Depth=3
	s_or_b64 exec, exec, s[60:61]
	v_and_b32_e32 v85, 0xffff0000, v85
	v_and_b32_e32 v97, 0xffff0000, v97
	v_max_f32_e32 v97, v97, v97
	v_max_f32_e32 v85, v85, v85
	v_min_f32_e32 v118, v85, v97
	v_max_f32_e32 v85, v85, v97
	v_cndmask_b32_e32 v97, v85, v118, vcc
	v_and_b32_e32 v85, 0x7f800000, v97
	v_cmp_ne_u32_e64 s[26:27], s51, v85
                                        ; implicit-def: $vgpr85
	s_and_saveexec_b64 s[60:61], s[26:27]
	s_xor_b64 s[26:27], exec, s[60:61]
; %bb.559:                              ;   in Loop: Header=BB35_382 Depth=3
	v_bfe_u32 v85, v97, 16, 1
	v_add3_u32 v85, v97, v85, s72
                                        ; implicit-def: $vgpr97
; %bb.560:                              ;   in Loop: Header=BB35_382 Depth=3
	s_andn2_saveexec_b64 s[60:61], s[26:27]
; %bb.561:                              ;   in Loop: Header=BB35_382 Depth=3
	v_or_b32_e32 v85, 0x10000, v97
	v_cmp_eq_u32_sdwa s[26:27], v97, v3 src0_sel:WORD_0 src1_sel:DWORD
	s_nop 1
	v_cndmask_b32_e64 v85, v85, v97, s[26:27]
; %bb.562:                              ;   in Loop: Header=BB35_382 Depth=3
	s_or_b64 exec, exec, s[60:61]
	v_lshlrev_b32_e32 v97, 16, v86
	v_lshlrev_b32_e32 v118, 16, v98
	v_max_f32_e32 v118, v118, v118
	v_max_f32_e32 v97, v97, v97
	v_min_f32_e32 v119, v97, v118
	v_max_f32_e32 v97, v97, v118
	v_cndmask_b32_e32 v118, v97, v119, vcc
	v_and_b32_e32 v97, 0x7f800000, v118
	v_cmp_ne_u32_e64 s[26:27], s51, v97
                                        ; implicit-def: $vgpr97
	s_and_saveexec_b64 s[60:61], s[26:27]
	s_xor_b64 s[26:27], exec, s[60:61]
; %bb.563:                              ;   in Loop: Header=BB35_382 Depth=3
	v_bfe_u32 v97, v118, 16, 1
	v_add3_u32 v97, v118, v97, s72
                                        ; implicit-def: $vgpr118
; %bb.564:                              ;   in Loop: Header=BB35_382 Depth=3
	s_andn2_saveexec_b64 s[60:61], s[26:27]
; %bb.565:                              ;   in Loop: Header=BB35_382 Depth=3
	v_or_b32_e32 v97, 0x10000, v118
	v_cmp_eq_u32_sdwa s[26:27], v118, v3 src0_sel:WORD_0 src1_sel:DWORD
	s_nop 1
	v_cndmask_b32_e64 v97, v97, v118, s[26:27]
; %bb.566:                              ;   in Loop: Header=BB35_382 Depth=3
	s_or_b64 exec, exec, s[60:61]
	v_and_b32_e32 v86, 0xffff0000, v86
	v_and_b32_e32 v98, 0xffff0000, v98
	v_max_f32_e32 v98, v98, v98
	v_max_f32_e32 v86, v86, v86
	v_min_f32_e32 v118, v86, v98
	v_max_f32_e32 v86, v86, v98
	v_cndmask_b32_e32 v98, v86, v118, vcc
	v_and_b32_e32 v86, 0x7f800000, v98
	v_cmp_ne_u32_e64 s[26:27], s51, v86
                                        ; implicit-def: $vgpr86
	s_and_saveexec_b64 s[60:61], s[26:27]
	s_xor_b64 s[26:27], exec, s[60:61]
; %bb.567:                              ;   in Loop: Header=BB35_382 Depth=3
	v_bfe_u32 v86, v98, 16, 1
	v_add3_u32 v86, v98, v86, s72
                                        ; implicit-def: $vgpr98
; %bb.568:                              ;   in Loop: Header=BB35_382 Depth=3
	s_andn2_saveexec_b64 s[60:61], s[26:27]
; %bb.569:                              ;   in Loop: Header=BB35_382 Depth=3
	v_or_b32_e32 v86, 0x10000, v98
	v_cmp_eq_u32_sdwa s[26:27], v98, v3 src0_sel:WORD_0 src1_sel:DWORD
	s_nop 1
	v_cndmask_b32_e64 v86, v86, v98, s[26:27]
; %bb.570:                              ;   in Loop: Header=BB35_382 Depth=3
	s_or_b64 exec, exec, s[60:61]
	v_lshlrev_b32_e32 v98, 16, v87
	v_lshlrev_b32_e32 v118, 16, v99
	v_max_f32_e32 v118, v118, v118
	v_max_f32_e32 v98, v98, v98
	v_min_f32_e32 v119, v98, v118
	v_max_f32_e32 v98, v98, v118
	v_cndmask_b32_e32 v118, v98, v119, vcc
	v_and_b32_e32 v98, 0x7f800000, v118
	v_cmp_ne_u32_e64 s[26:27], s51, v98
                                        ; implicit-def: $vgpr98
	s_and_saveexec_b64 s[60:61], s[26:27]
	s_xor_b64 s[26:27], exec, s[60:61]
; %bb.571:                              ;   in Loop: Header=BB35_382 Depth=3
	v_bfe_u32 v98, v118, 16, 1
	v_add3_u32 v98, v118, v98, s72
                                        ; implicit-def: $vgpr118
; %bb.572:                              ;   in Loop: Header=BB35_382 Depth=3
	s_andn2_saveexec_b64 s[60:61], s[26:27]
; %bb.573:                              ;   in Loop: Header=BB35_382 Depth=3
	v_or_b32_e32 v98, 0x10000, v118
	v_cmp_eq_u32_sdwa s[26:27], v118, v3 src0_sel:WORD_0 src1_sel:DWORD
	s_nop 1
	v_cndmask_b32_e64 v98, v98, v118, s[26:27]
; %bb.574:                              ;   in Loop: Header=BB35_382 Depth=3
	s_or_b64 exec, exec, s[60:61]
	v_and_b32_e32 v87, 0xffff0000, v87
	v_and_b32_e32 v99, 0xffff0000, v99
	v_max_f32_e32 v99, v99, v99
	v_max_f32_e32 v87, v87, v87
	v_min_f32_e32 v118, v87, v99
	v_max_f32_e32 v87, v87, v99
	v_cndmask_b32_e32 v99, v87, v118, vcc
	v_and_b32_e32 v87, 0x7f800000, v99
	v_cmp_ne_u32_e64 s[26:27], s51, v87
                                        ; implicit-def: $vgpr87
	s_and_saveexec_b64 s[60:61], s[26:27]
	s_xor_b64 s[26:27], exec, s[60:61]
; %bb.575:                              ;   in Loop: Header=BB35_382 Depth=3
	v_bfe_u32 v87, v99, 16, 1
	v_add3_u32 v87, v99, v87, s72
                                        ; implicit-def: $vgpr99
; %bb.576:                              ;   in Loop: Header=BB35_382 Depth=3
	s_andn2_saveexec_b64 s[60:61], s[26:27]
; %bb.577:                              ;   in Loop: Header=BB35_382 Depth=3
	v_or_b32_e32 v87, 0x10000, v99
	v_cmp_eq_u32_sdwa s[26:27], v99, v3 src0_sel:WORD_0 src1_sel:DWORD
	s_nop 1
	v_cndmask_b32_e64 v87, v87, v99, s[26:27]
; %bb.578:                              ;   in Loop: Header=BB35_382 Depth=3
	s_or_b64 exec, exec, s[60:61]
	v_lshlrev_b32_e32 v99, 16, v64
	s_waitcnt vmcnt(1)
	v_lshlrev_b32_e32 v118, 16, v68
	v_max_f32_e32 v118, v118, v118
	v_max_f32_e32 v99, v99, v99
	v_min_f32_e32 v119, v99, v118
	v_max_f32_e32 v99, v99, v118
	v_cndmask_b32_e32 v118, v99, v119, vcc
	v_and_b32_e32 v99, 0x7f800000, v118
	v_cmp_ne_u32_e64 s[26:27], s51, v99
                                        ; implicit-def: $vgpr99
	s_and_saveexec_b64 s[60:61], s[26:27]
	s_xor_b64 s[26:27], exec, s[60:61]
; %bb.579:                              ;   in Loop: Header=BB35_382 Depth=3
	v_bfe_u32 v99, v118, 16, 1
	v_add3_u32 v99, v118, v99, s72
                                        ; implicit-def: $vgpr118
; %bb.580:                              ;   in Loop: Header=BB35_382 Depth=3
	s_andn2_saveexec_b64 s[60:61], s[26:27]
; %bb.581:                              ;   in Loop: Header=BB35_382 Depth=3
	v_or_b32_e32 v99, 0x10000, v118
	v_cmp_eq_u32_sdwa s[26:27], v118, v3 src0_sel:WORD_0 src1_sel:DWORD
	s_nop 1
	v_cndmask_b32_e64 v99, v99, v118, s[26:27]
; %bb.582:                              ;   in Loop: Header=BB35_382 Depth=3
	s_or_b64 exec, exec, s[60:61]
	v_and_b32_e32 v64, 0xffff0000, v64
	v_and_b32_e32 v68, 0xffff0000, v68
	v_max_f32_e32 v68, v68, v68
	v_max_f32_e32 v64, v64, v64
	v_min_f32_e32 v118, v64, v68
	v_max_f32_e32 v64, v64, v68
	v_cndmask_b32_e32 v68, v64, v118, vcc
	v_and_b32_e32 v64, 0x7f800000, v68
	v_cmp_ne_u32_e64 s[26:27], s51, v64
                                        ; implicit-def: $vgpr64
	s_and_saveexec_b64 s[60:61], s[26:27]
	s_xor_b64 s[26:27], exec, s[60:61]
; %bb.583:                              ;   in Loop: Header=BB35_382 Depth=3
	v_bfe_u32 v64, v68, 16, 1
	v_add3_u32 v64, v68, v64, s72
                                        ; implicit-def: $vgpr68
; %bb.584:                              ;   in Loop: Header=BB35_382 Depth=3
	s_andn2_saveexec_b64 s[60:61], s[26:27]
; %bb.585:                              ;   in Loop: Header=BB35_382 Depth=3
	v_or_b32_e32 v64, 0x10000, v68
	v_cmp_eq_u32_sdwa s[26:27], v68, v3 src0_sel:WORD_0 src1_sel:DWORD
	s_nop 1
	v_cndmask_b32_e64 v64, v64, v68, s[26:27]
; %bb.586:                              ;   in Loop: Header=BB35_382 Depth=3
	s_or_b64 exec, exec, s[60:61]
	v_lshlrev_b32_e32 v68, 16, v65
	v_lshlrev_b32_e32 v118, 16, v69
	v_max_f32_e32 v118, v118, v118
	v_max_f32_e32 v68, v68, v68
	v_min_f32_e32 v119, v68, v118
	v_max_f32_e32 v68, v68, v118
	v_cndmask_b32_e32 v118, v68, v119, vcc
	v_and_b32_e32 v68, 0x7f800000, v118
	v_cmp_ne_u32_e64 s[26:27], s51, v68
                                        ; implicit-def: $vgpr68
	s_and_saveexec_b64 s[60:61], s[26:27]
	s_xor_b64 s[26:27], exec, s[60:61]
; %bb.587:                              ;   in Loop: Header=BB35_382 Depth=3
	v_bfe_u32 v68, v118, 16, 1
	v_add3_u32 v68, v118, v68, s72
                                        ; implicit-def: $vgpr118
; %bb.588:                              ;   in Loop: Header=BB35_382 Depth=3
	s_andn2_saveexec_b64 s[60:61], s[26:27]
; %bb.589:                              ;   in Loop: Header=BB35_382 Depth=3
	v_or_b32_e32 v68, 0x10000, v118
	v_cmp_eq_u32_sdwa s[26:27], v118, v3 src0_sel:WORD_0 src1_sel:DWORD
	s_nop 1
	v_cndmask_b32_e64 v68, v68, v118, s[26:27]
; %bb.590:                              ;   in Loop: Header=BB35_382 Depth=3
	s_or_b64 exec, exec, s[60:61]
	v_and_b32_e32 v65, 0xffff0000, v65
	v_and_b32_e32 v69, 0xffff0000, v69
	v_max_f32_e32 v69, v69, v69
	v_max_f32_e32 v65, v65, v65
	v_min_f32_e32 v118, v65, v69
	v_max_f32_e32 v65, v65, v69
	v_cndmask_b32_e32 v69, v65, v118, vcc
	v_and_b32_e32 v65, 0x7f800000, v69
	v_cmp_ne_u32_e64 s[26:27], s51, v65
                                        ; implicit-def: $vgpr65
	s_and_saveexec_b64 s[60:61], s[26:27]
	s_xor_b64 s[26:27], exec, s[60:61]
; %bb.591:                              ;   in Loop: Header=BB35_382 Depth=3
	v_bfe_u32 v65, v69, 16, 1
	v_add3_u32 v65, v69, v65, s72
                                        ; implicit-def: $vgpr69
; %bb.592:                              ;   in Loop: Header=BB35_382 Depth=3
	s_andn2_saveexec_b64 s[60:61], s[26:27]
; %bb.593:                              ;   in Loop: Header=BB35_382 Depth=3
	v_or_b32_e32 v65, 0x10000, v69
	v_cmp_eq_u32_sdwa s[26:27], v69, v3 src0_sel:WORD_0 src1_sel:DWORD
	s_nop 1
	v_cndmask_b32_e64 v65, v65, v69, s[26:27]
; %bb.594:                              ;   in Loop: Header=BB35_382 Depth=3
	s_or_b64 exec, exec, s[60:61]
	v_lshlrev_b32_e32 v69, 16, v66
	v_lshlrev_b32_e32 v118, 16, v70
	v_max_f32_e32 v118, v118, v118
	v_max_f32_e32 v69, v69, v69
	v_min_f32_e32 v119, v69, v118
	v_max_f32_e32 v69, v69, v118
	v_cndmask_b32_e32 v118, v69, v119, vcc
	v_and_b32_e32 v69, 0x7f800000, v118
	v_cmp_ne_u32_e64 s[26:27], s51, v69
                                        ; implicit-def: $vgpr69
	s_and_saveexec_b64 s[60:61], s[26:27]
	s_xor_b64 s[26:27], exec, s[60:61]
; %bb.595:                              ;   in Loop: Header=BB35_382 Depth=3
	v_bfe_u32 v69, v118, 16, 1
	v_add3_u32 v69, v118, v69, s72
                                        ; implicit-def: $vgpr118
; %bb.596:                              ;   in Loop: Header=BB35_382 Depth=3
	s_andn2_saveexec_b64 s[60:61], s[26:27]
; %bb.597:                              ;   in Loop: Header=BB35_382 Depth=3
	v_or_b32_e32 v69, 0x10000, v118
	v_cmp_eq_u32_sdwa s[26:27], v118, v3 src0_sel:WORD_0 src1_sel:DWORD
	s_nop 1
	v_cndmask_b32_e64 v69, v69, v118, s[26:27]
; %bb.598:                              ;   in Loop: Header=BB35_382 Depth=3
	s_or_b64 exec, exec, s[60:61]
	v_and_b32_e32 v66, 0xffff0000, v66
	v_and_b32_e32 v70, 0xffff0000, v70
	v_max_f32_e32 v70, v70, v70
	v_max_f32_e32 v66, v66, v66
	v_min_f32_e32 v118, v66, v70
	v_max_f32_e32 v66, v66, v70
	v_cndmask_b32_e32 v70, v66, v118, vcc
	v_and_b32_e32 v66, 0x7f800000, v70
	v_cmp_ne_u32_e64 s[26:27], s51, v66
                                        ; implicit-def: $vgpr66
	s_and_saveexec_b64 s[60:61], s[26:27]
	s_xor_b64 s[26:27], exec, s[60:61]
; %bb.599:                              ;   in Loop: Header=BB35_382 Depth=3
	v_bfe_u32 v66, v70, 16, 1
	v_add3_u32 v66, v70, v66, s72
                                        ; implicit-def: $vgpr70
; %bb.600:                              ;   in Loop: Header=BB35_382 Depth=3
	s_andn2_saveexec_b64 s[60:61], s[26:27]
; %bb.601:                              ;   in Loop: Header=BB35_382 Depth=3
	v_or_b32_e32 v66, 0x10000, v70
	v_cmp_eq_u32_sdwa s[26:27], v70, v3 src0_sel:WORD_0 src1_sel:DWORD
	s_nop 1
	v_cndmask_b32_e64 v66, v66, v70, s[26:27]
; %bb.602:                              ;   in Loop: Header=BB35_382 Depth=3
	s_or_b64 exec, exec, s[60:61]
	v_lshlrev_b32_e32 v70, 16, v67
	v_lshlrev_b32_e32 v118, 16, v71
	v_max_f32_e32 v118, v118, v118
	v_max_f32_e32 v70, v70, v70
	v_min_f32_e32 v119, v70, v118
	v_max_f32_e32 v70, v70, v118
	v_cndmask_b32_e32 v118, v70, v119, vcc
	v_and_b32_e32 v70, 0x7f800000, v118
	v_cmp_ne_u32_e64 s[26:27], s51, v70
                                        ; implicit-def: $vgpr70
	s_and_saveexec_b64 s[60:61], s[26:27]
	s_xor_b64 s[26:27], exec, s[60:61]
; %bb.603:                              ;   in Loop: Header=BB35_382 Depth=3
	v_bfe_u32 v70, v118, 16, 1
	v_add3_u32 v70, v118, v70, s72
                                        ; implicit-def: $vgpr118
; %bb.604:                              ;   in Loop: Header=BB35_382 Depth=3
	s_andn2_saveexec_b64 s[60:61], s[26:27]
; %bb.605:                              ;   in Loop: Header=BB35_382 Depth=3
	v_or_b32_e32 v70, 0x10000, v118
	v_cmp_eq_u32_sdwa s[26:27], v118, v3 src0_sel:WORD_0 src1_sel:DWORD
	s_nop 1
	v_cndmask_b32_e64 v70, v70, v118, s[26:27]
; %bb.606:                              ;   in Loop: Header=BB35_382 Depth=3
	s_or_b64 exec, exec, s[60:61]
	v_and_b32_e32 v67, 0xffff0000, v67
	v_and_b32_e32 v71, 0xffff0000, v71
	v_max_f32_e32 v71, v71, v71
	v_max_f32_e32 v67, v67, v67
	v_min_f32_e32 v118, v67, v71
	v_max_f32_e32 v67, v67, v71
	v_cndmask_b32_e32 v71, v67, v118, vcc
	v_and_b32_e32 v67, 0x7f800000, v71
	v_cmp_ne_u32_e64 s[26:27], s51, v67
                                        ; implicit-def: $vgpr67
	s_and_saveexec_b64 s[60:61], s[26:27]
	s_xor_b64 s[26:27], exec, s[60:61]
; %bb.607:                              ;   in Loop: Header=BB35_382 Depth=3
	v_bfe_u32 v67, v71, 16, 1
	v_add3_u32 v67, v71, v67, s72
                                        ; implicit-def: $vgpr71
; %bb.608:                              ;   in Loop: Header=BB35_382 Depth=3
	s_andn2_saveexec_b64 s[60:61], s[26:27]
; %bb.609:                              ;   in Loop: Header=BB35_382 Depth=3
	v_or_b32_e32 v67, 0x10000, v71
	v_cmp_eq_u32_sdwa s[26:27], v71, v3 src0_sel:WORD_0 src1_sel:DWORD
	s_nop 1
	v_cndmask_b32_e64 v67, v67, v71, s[26:27]
; %bb.610:                              ;   in Loop: Header=BB35_382 Depth=3
	s_or_b64 exec, exec, s[60:61]
	v_lshlrev_b32_e32 v71, 16, v48
	s_waitcnt vmcnt(0)
	v_lshlrev_b32_e32 v118, 16, v52
	v_max_f32_e32 v118, v118, v118
	v_max_f32_e32 v71, v71, v71
	v_min_f32_e32 v119, v71, v118
	v_max_f32_e32 v71, v71, v118
	v_cndmask_b32_e32 v118, v71, v119, vcc
	v_and_b32_e32 v71, 0x7f800000, v118
	v_cmp_ne_u32_e64 s[26:27], s51, v71
                                        ; implicit-def: $vgpr71
	s_and_saveexec_b64 s[60:61], s[26:27]
	s_xor_b64 s[26:27], exec, s[60:61]
; %bb.611:                              ;   in Loop: Header=BB35_382 Depth=3
	v_bfe_u32 v71, v118, 16, 1
	v_add3_u32 v71, v118, v71, s72
                                        ; implicit-def: $vgpr118
; %bb.612:                              ;   in Loop: Header=BB35_382 Depth=3
	s_andn2_saveexec_b64 s[60:61], s[26:27]
; %bb.613:                              ;   in Loop: Header=BB35_382 Depth=3
	v_or_b32_e32 v71, 0x10000, v118
	v_cmp_eq_u32_sdwa s[26:27], v118, v3 src0_sel:WORD_0 src1_sel:DWORD
	s_nop 1
	v_cndmask_b32_e64 v71, v71, v118, s[26:27]
; %bb.614:                              ;   in Loop: Header=BB35_382 Depth=3
	s_or_b64 exec, exec, s[60:61]
	v_and_b32_e32 v48, 0xffff0000, v48
	v_and_b32_e32 v52, 0xffff0000, v52
	v_max_f32_e32 v52, v52, v52
	v_max_f32_e32 v48, v48, v48
	v_min_f32_e32 v118, v48, v52
	v_max_f32_e32 v48, v48, v52
	v_cndmask_b32_e32 v52, v48, v118, vcc
	v_and_b32_e32 v48, 0x7f800000, v52
	v_cmp_ne_u32_e64 s[26:27], s51, v48
                                        ; implicit-def: $vgpr48
	s_and_saveexec_b64 s[60:61], s[26:27]
	s_xor_b64 s[26:27], exec, s[60:61]
; %bb.615:                              ;   in Loop: Header=BB35_382 Depth=3
	v_bfe_u32 v48, v52, 16, 1
	v_add3_u32 v48, v52, v48, s72
                                        ; implicit-def: $vgpr52
; %bb.616:                              ;   in Loop: Header=BB35_382 Depth=3
	s_andn2_saveexec_b64 s[60:61], s[26:27]
; %bb.617:                              ;   in Loop: Header=BB35_382 Depth=3
	v_or_b32_e32 v48, 0x10000, v52
	v_cmp_eq_u32_sdwa s[26:27], v52, v3 src0_sel:WORD_0 src1_sel:DWORD
	s_nop 1
	v_cndmask_b32_e64 v48, v48, v52, s[26:27]
; %bb.618:                              ;   in Loop: Header=BB35_382 Depth=3
	s_or_b64 exec, exec, s[60:61]
	v_lshlrev_b32_e32 v52, 16, v49
	v_lshlrev_b32_e32 v118, 16, v53
	v_max_f32_e32 v118, v118, v118
	v_max_f32_e32 v52, v52, v52
	v_min_f32_e32 v119, v52, v118
	v_max_f32_e32 v52, v52, v118
	v_cndmask_b32_e32 v118, v52, v119, vcc
	v_and_b32_e32 v52, 0x7f800000, v118
	v_cmp_ne_u32_e64 s[26:27], s51, v52
                                        ; implicit-def: $vgpr52
	s_and_saveexec_b64 s[60:61], s[26:27]
	s_xor_b64 s[26:27], exec, s[60:61]
; %bb.619:                              ;   in Loop: Header=BB35_382 Depth=3
	v_bfe_u32 v52, v118, 16, 1
	v_add3_u32 v52, v118, v52, s72
                                        ; implicit-def: $vgpr118
; %bb.620:                              ;   in Loop: Header=BB35_382 Depth=3
	s_andn2_saveexec_b64 s[60:61], s[26:27]
; %bb.621:                              ;   in Loop: Header=BB35_382 Depth=3
	v_or_b32_e32 v52, 0x10000, v118
	v_cmp_eq_u32_sdwa s[26:27], v118, v3 src0_sel:WORD_0 src1_sel:DWORD
	s_nop 1
	v_cndmask_b32_e64 v52, v52, v118, s[26:27]
; %bb.622:                              ;   in Loop: Header=BB35_382 Depth=3
	s_or_b64 exec, exec, s[60:61]
	v_and_b32_e32 v49, 0xffff0000, v49
	v_and_b32_e32 v53, 0xffff0000, v53
	v_max_f32_e32 v53, v53, v53
	v_max_f32_e32 v49, v49, v49
	v_min_f32_e32 v118, v49, v53
	v_max_f32_e32 v49, v49, v53
	v_cndmask_b32_e32 v53, v49, v118, vcc
	v_and_b32_e32 v49, 0x7f800000, v53
	v_cmp_ne_u32_e64 s[26:27], s51, v49
                                        ; implicit-def: $vgpr49
	s_and_saveexec_b64 s[60:61], s[26:27]
	s_xor_b64 s[26:27], exec, s[60:61]
; %bb.623:                              ;   in Loop: Header=BB35_382 Depth=3
	v_bfe_u32 v49, v53, 16, 1
	v_add3_u32 v49, v53, v49, s72
                                        ; implicit-def: $vgpr53
; %bb.624:                              ;   in Loop: Header=BB35_382 Depth=3
	s_andn2_saveexec_b64 s[60:61], s[26:27]
; %bb.625:                              ;   in Loop: Header=BB35_382 Depth=3
	v_or_b32_e32 v49, 0x10000, v53
	v_cmp_eq_u32_sdwa s[26:27], v53, v3 src0_sel:WORD_0 src1_sel:DWORD
	s_nop 1
	v_cndmask_b32_e64 v49, v49, v53, s[26:27]
; %bb.626:                              ;   in Loop: Header=BB35_382 Depth=3
	s_or_b64 exec, exec, s[60:61]
	v_lshlrev_b32_e32 v53, 16, v50
	v_lshlrev_b32_e32 v118, 16, v54
	v_max_f32_e32 v118, v118, v118
	v_max_f32_e32 v53, v53, v53
	v_min_f32_e32 v119, v53, v118
	v_max_f32_e32 v53, v53, v118
	v_cndmask_b32_e32 v118, v53, v119, vcc
	v_and_b32_e32 v53, 0x7f800000, v118
	v_cmp_ne_u32_e64 s[26:27], s51, v53
                                        ; implicit-def: $vgpr53
	s_and_saveexec_b64 s[60:61], s[26:27]
	s_xor_b64 s[26:27], exec, s[60:61]
; %bb.627:                              ;   in Loop: Header=BB35_382 Depth=3
	v_bfe_u32 v53, v118, 16, 1
	v_add3_u32 v53, v118, v53, s72
                                        ; implicit-def: $vgpr118
; %bb.628:                              ;   in Loop: Header=BB35_382 Depth=3
	s_andn2_saveexec_b64 s[60:61], s[26:27]
; %bb.629:                              ;   in Loop: Header=BB35_382 Depth=3
	v_or_b32_e32 v53, 0x10000, v118
	v_cmp_eq_u32_sdwa s[26:27], v118, v3 src0_sel:WORD_0 src1_sel:DWORD
	s_nop 1
	v_cndmask_b32_e64 v53, v53, v118, s[26:27]
; %bb.630:                              ;   in Loop: Header=BB35_382 Depth=3
	s_or_b64 exec, exec, s[60:61]
	v_and_b32_e32 v50, 0xffff0000, v50
	v_and_b32_e32 v54, 0xffff0000, v54
	v_max_f32_e32 v54, v54, v54
	v_max_f32_e32 v50, v50, v50
	v_min_f32_e32 v118, v50, v54
	v_max_f32_e32 v50, v50, v54
	v_cndmask_b32_e32 v54, v50, v118, vcc
	v_and_b32_e32 v50, 0x7f800000, v54
	v_cmp_ne_u32_e64 s[26:27], s51, v50
                                        ; implicit-def: $vgpr50
	s_and_saveexec_b64 s[60:61], s[26:27]
	s_xor_b64 s[26:27], exec, s[60:61]
; %bb.631:                              ;   in Loop: Header=BB35_382 Depth=3
	v_bfe_u32 v50, v54, 16, 1
	v_add3_u32 v50, v54, v50, s72
                                        ; implicit-def: $vgpr54
; %bb.632:                              ;   in Loop: Header=BB35_382 Depth=3
	s_andn2_saveexec_b64 s[60:61], s[26:27]
; %bb.633:                              ;   in Loop: Header=BB35_382 Depth=3
	v_or_b32_e32 v50, 0x10000, v54
	v_cmp_eq_u32_sdwa s[26:27], v54, v3 src0_sel:WORD_0 src1_sel:DWORD
	s_nop 1
	v_cndmask_b32_e64 v50, v50, v54, s[26:27]
; %bb.634:                              ;   in Loop: Header=BB35_382 Depth=3
	s_or_b64 exec, exec, s[60:61]
	v_lshlrev_b32_e32 v54, 16, v51
	v_lshlrev_b32_e32 v118, 16, v55
	v_max_f32_e32 v118, v118, v118
	v_max_f32_e32 v54, v54, v54
	v_min_f32_e32 v119, v54, v118
	v_max_f32_e32 v54, v54, v118
	v_cndmask_b32_e32 v118, v54, v119, vcc
	v_and_b32_e32 v54, 0x7f800000, v118
	v_cmp_ne_u32_e64 s[26:27], s51, v54
                                        ; implicit-def: $vgpr54
	s_and_saveexec_b64 s[60:61], s[26:27]
	s_xor_b64 s[26:27], exec, s[60:61]
; %bb.635:                              ;   in Loop: Header=BB35_382 Depth=3
	v_bfe_u32 v54, v118, 16, 1
	v_add3_u32 v54, v118, v54, s72
                                        ; implicit-def: $vgpr118
; %bb.636:                              ;   in Loop: Header=BB35_382 Depth=3
	s_andn2_saveexec_b64 s[60:61], s[26:27]
; %bb.637:                              ;   in Loop: Header=BB35_382 Depth=3
	v_or_b32_e32 v54, 0x10000, v118
	v_cmp_eq_u32_sdwa s[26:27], v118, v3 src0_sel:WORD_0 src1_sel:DWORD
	s_nop 1
	v_cndmask_b32_e64 v54, v54, v118, s[26:27]
; %bb.638:                              ;   in Loop: Header=BB35_382 Depth=3
	s_or_b64 exec, exec, s[60:61]
	v_and_b32_e32 v51, 0xffff0000, v51
	v_and_b32_e32 v55, 0xffff0000, v55
	v_max_f32_e32 v55, v55, v55
	v_max_f32_e32 v51, v51, v51
	v_min_f32_e32 v118, v51, v55
	v_max_f32_e32 v51, v51, v55
	v_cndmask_b32_e32 v55, v51, v118, vcc
	v_and_b32_e32 v51, 0x7f800000, v55
	v_cmp_ne_u32_e64 s[26:27], s51, v51
                                        ; implicit-def: $vgpr51
	s_and_saveexec_b64 s[60:61], s[26:27]
	s_xor_b64 s[26:27], exec, s[60:61]
; %bb.639:                              ;   in Loop: Header=BB35_382 Depth=3
	v_bfe_u32 v51, v55, 16, 1
	v_add3_u32 v51, v55, v51, s72
                                        ; implicit-def: $vgpr55
; %bb.640:                              ;   in Loop: Header=BB35_382 Depth=3
	s_andn2_saveexec_b64 s[60:61], s[26:27]
	s_cbranch_execz .LBB35_381
; %bb.641:                              ;   in Loop: Header=BB35_382 Depth=3
	v_or_b32_e32 v51, 0x10000, v55
	v_cmp_eq_u32_sdwa s[26:27], v55, v3 src0_sel:WORD_0 src1_sel:DWORD
	s_nop 1
	v_cndmask_b32_e64 v51, v51, v55, s[26:27]
	s_branch .LBB35_381
.LBB35_642:                             ;   in Loop: Header=BB35_296 Depth=2
	v_mov_b32_e32 v8, v31
	v_and_b32_e32 v14, 63, v31
	s_and_saveexec_b64 s[56:57], s[46:47]
	s_cbranch_execnz .LBB35_890
	s_branch .LBB35_1117
.LBB35_643:                             ;   in Loop: Header=BB35_296 Depth=2
	s_or_b64 exec, exec, s[40:41]
	s_and_b64 s[26:27], s[56:57], exec
.LBB35_644:                             ;   in Loop: Header=BB35_296 Depth=2
	s_or_b64 exec, exec, s[28:29]
	s_and_saveexec_b64 s[28:29], s[26:27]
	s_cbranch_execz .LBB35_774
; %bb.645:                              ;   in Loop: Header=BB35_296 Depth=2
	s_and_b32 s13, 0xffff, s12
	v_lshlrev_b32_e32 v48, 16, v80
	v_lshlrev_b32_e32 v49, 16, v32
	s_cmp_eq_u32 s13, 0
	v_max_f32_e32 v49, v49, v49
	v_max_f32_e32 v48, v48, v48
	v_min_f32_e32 v50, v48, v49
	v_max_f32_e32 v48, v48, v49
	s_cselect_b64 vcc, -1, 0
	v_cndmask_b32_e32 v49, v48, v50, vcc
	v_and_b32_e32 v48, 0x7f800000, v49
	v_cmp_ne_u32_e64 s[26:27], s51, v48
                                        ; implicit-def: $vgpr48
	s_and_saveexec_b64 s[40:41], s[26:27]
	s_xor_b64 s[26:27], exec, s[40:41]
; %bb.646:                              ;   in Loop: Header=BB35_296 Depth=2
	v_bfe_u32 v48, v49, 16, 1
	v_add3_u32 v48, v49, v48, s72
                                        ; implicit-def: $vgpr49
; %bb.647:                              ;   in Loop: Header=BB35_296 Depth=2
	s_andn2_saveexec_b64 s[40:41], s[26:27]
; %bb.648:                              ;   in Loop: Header=BB35_296 Depth=2
	v_or_b32_e32 v48, 0x10000, v49
	v_cmp_eq_u32_sdwa s[26:27], v49, v3 src0_sel:WORD_0 src1_sel:DWORD
	s_nop 1
	v_cndmask_b32_e64 v48, v48, v49, s[26:27]
; %bb.649:                              ;   in Loop: Header=BB35_296 Depth=2
	s_or_b64 exec, exec, s[40:41]
	v_and_b32_e32 v49, 0xffff0000, v80
	v_and_b32_e32 v32, 0xffff0000, v32
	v_max_f32_e32 v32, v32, v32
	v_max_f32_e32 v49, v49, v49
	v_min_f32_e32 v50, v49, v32
	v_max_f32_e32 v32, v49, v32
	v_cndmask_b32_e32 v49, v32, v50, vcc
	v_and_b32_e32 v32, 0x7f800000, v49
	v_cmp_ne_u32_e64 s[26:27], s51, v32
                                        ; implicit-def: $vgpr32
	s_and_saveexec_b64 s[40:41], s[26:27]
	s_xor_b64 s[26:27], exec, s[40:41]
; %bb.650:                              ;   in Loop: Header=BB35_296 Depth=2
	v_bfe_u32 v32, v49, 16, 1
	v_add3_u32 v32, v49, v32, s72
                                        ; implicit-def: $vgpr49
; %bb.651:                              ;   in Loop: Header=BB35_296 Depth=2
	s_andn2_saveexec_b64 s[40:41], s[26:27]
; %bb.652:                              ;   in Loop: Header=BB35_296 Depth=2
	v_or_b32_e32 v32, 0x10000, v49
	v_cmp_eq_u32_sdwa s[26:27], v49, v3 src0_sel:WORD_0 src1_sel:DWORD
	s_nop 1
	v_cndmask_b32_e64 v32, v32, v49, s[26:27]
; %bb.653:                              ;   in Loop: Header=BB35_296 Depth=2
	s_or_b64 exec, exec, s[40:41]
	v_lshlrev_b32_e32 v49, 16, v81
	v_lshlrev_b32_e32 v50, 16, v33
	v_max_f32_e32 v50, v50, v50
	v_max_f32_e32 v49, v49, v49
	v_min_f32_e32 v51, v49, v50
	v_max_f32_e32 v49, v49, v50
	v_cndmask_b32_e32 v50, v49, v51, vcc
	v_and_b32_e32 v49, 0x7f800000, v50
	v_cmp_ne_u32_e64 s[26:27], s51, v49
                                        ; implicit-def: $vgpr49
	s_and_saveexec_b64 s[40:41], s[26:27]
	s_xor_b64 s[26:27], exec, s[40:41]
; %bb.654:                              ;   in Loop: Header=BB35_296 Depth=2
	v_bfe_u32 v49, v50, 16, 1
	v_add3_u32 v49, v50, v49, s72
                                        ; implicit-def: $vgpr50
; %bb.655:                              ;   in Loop: Header=BB35_296 Depth=2
	s_andn2_saveexec_b64 s[40:41], s[26:27]
; %bb.656:                              ;   in Loop: Header=BB35_296 Depth=2
	v_or_b32_e32 v49, 0x10000, v50
	v_cmp_eq_u32_sdwa s[26:27], v50, v3 src0_sel:WORD_0 src1_sel:DWORD
	s_nop 1
	v_cndmask_b32_e64 v49, v49, v50, s[26:27]
; %bb.657:                              ;   in Loop: Header=BB35_296 Depth=2
	s_or_b64 exec, exec, s[40:41]
	v_and_b32_e32 v50, 0xffff0000, v81
	v_and_b32_e32 v33, 0xffff0000, v33
	v_max_f32_e32 v33, v33, v33
	v_max_f32_e32 v50, v50, v50
	v_min_f32_e32 v51, v50, v33
	v_max_f32_e32 v33, v50, v33
	v_cndmask_b32_e32 v50, v33, v51, vcc
	v_and_b32_e32 v33, 0x7f800000, v50
	v_cmp_ne_u32_e64 s[26:27], s51, v33
                                        ; implicit-def: $vgpr33
	s_and_saveexec_b64 s[40:41], s[26:27]
	s_xor_b64 s[26:27], exec, s[40:41]
; %bb.658:                              ;   in Loop: Header=BB35_296 Depth=2
	v_bfe_u32 v33, v50, 16, 1
	v_add3_u32 v33, v50, v33, s72
                                        ; implicit-def: $vgpr50
; %bb.659:                              ;   in Loop: Header=BB35_296 Depth=2
	s_andn2_saveexec_b64 s[40:41], s[26:27]
; %bb.660:                              ;   in Loop: Header=BB35_296 Depth=2
	v_or_b32_e32 v33, 0x10000, v50
	v_cmp_eq_u32_sdwa s[26:27], v50, v3 src0_sel:WORD_0 src1_sel:DWORD
	s_nop 1
	v_cndmask_b32_e64 v33, v33, v50, s[26:27]
; %bb.661:                              ;   in Loop: Header=BB35_296 Depth=2
	s_or_b64 exec, exec, s[40:41]
	v_lshlrev_b32_e32 v50, 16, v82
	v_lshlrev_b32_e32 v51, 16, v34
	v_max_f32_e32 v51, v51, v51
	v_max_f32_e32 v50, v50, v50
	v_min_f32_e32 v52, v50, v51
	v_max_f32_e32 v50, v50, v51
	v_cndmask_b32_e32 v51, v50, v52, vcc
	v_and_b32_e32 v50, 0x7f800000, v51
	v_cmp_ne_u32_e64 s[26:27], s51, v50
                                        ; implicit-def: $vgpr50
	s_and_saveexec_b64 s[40:41], s[26:27]
	s_xor_b64 s[26:27], exec, s[40:41]
; %bb.662:                              ;   in Loop: Header=BB35_296 Depth=2
	v_bfe_u32 v50, v51, 16, 1
	v_add3_u32 v50, v51, v50, s72
                                        ; implicit-def: $vgpr51
; %bb.663:                              ;   in Loop: Header=BB35_296 Depth=2
	s_andn2_saveexec_b64 s[40:41], s[26:27]
; %bb.664:                              ;   in Loop: Header=BB35_296 Depth=2
	v_or_b32_e32 v50, 0x10000, v51
	v_cmp_eq_u32_sdwa s[26:27], v51, v3 src0_sel:WORD_0 src1_sel:DWORD
	s_nop 1
	v_cndmask_b32_e64 v50, v50, v51, s[26:27]
; %bb.665:                              ;   in Loop: Header=BB35_296 Depth=2
	s_or_b64 exec, exec, s[40:41]
	v_and_b32_e32 v51, 0xffff0000, v82
	v_and_b32_e32 v34, 0xffff0000, v34
	v_max_f32_e32 v34, v34, v34
	v_max_f32_e32 v51, v51, v51
	v_min_f32_e32 v52, v51, v34
	v_max_f32_e32 v34, v51, v34
	v_cndmask_b32_e32 v51, v34, v52, vcc
	v_and_b32_e32 v34, 0x7f800000, v51
	v_cmp_ne_u32_e64 s[26:27], s51, v34
                                        ; implicit-def: $vgpr34
	s_and_saveexec_b64 s[40:41], s[26:27]
	s_xor_b64 s[26:27], exec, s[40:41]
; %bb.666:                              ;   in Loop: Header=BB35_296 Depth=2
	v_bfe_u32 v34, v51, 16, 1
	v_add3_u32 v34, v51, v34, s72
                                        ; implicit-def: $vgpr51
; %bb.667:                              ;   in Loop: Header=BB35_296 Depth=2
	s_andn2_saveexec_b64 s[40:41], s[26:27]
; %bb.668:                              ;   in Loop: Header=BB35_296 Depth=2
	v_or_b32_e32 v34, 0x10000, v51
	v_cmp_eq_u32_sdwa s[26:27], v51, v3 src0_sel:WORD_0 src1_sel:DWORD
	s_nop 1
	v_cndmask_b32_e64 v34, v34, v51, s[26:27]
; %bb.669:                              ;   in Loop: Header=BB35_296 Depth=2
	s_or_b64 exec, exec, s[40:41]
	v_lshlrev_b32_e32 v51, 16, v83
	v_lshlrev_b32_e32 v52, 16, v35
	v_max_f32_e32 v52, v52, v52
	v_max_f32_e32 v51, v51, v51
	v_min_f32_e32 v53, v51, v52
	v_max_f32_e32 v51, v51, v52
	v_cndmask_b32_e32 v52, v51, v53, vcc
	v_and_b32_e32 v51, 0x7f800000, v52
	v_cmp_ne_u32_e64 s[26:27], s51, v51
                                        ; implicit-def: $vgpr51
	s_and_saveexec_b64 s[40:41], s[26:27]
	s_xor_b64 s[26:27], exec, s[40:41]
; %bb.670:                              ;   in Loop: Header=BB35_296 Depth=2
	v_bfe_u32 v51, v52, 16, 1
	v_add3_u32 v51, v52, v51, s72
                                        ; implicit-def: $vgpr52
; %bb.671:                              ;   in Loop: Header=BB35_296 Depth=2
	s_andn2_saveexec_b64 s[40:41], s[26:27]
; %bb.672:                              ;   in Loop: Header=BB35_296 Depth=2
	v_or_b32_e32 v51, 0x10000, v52
	v_cmp_eq_u32_sdwa s[26:27], v52, v3 src0_sel:WORD_0 src1_sel:DWORD
	s_nop 1
	v_cndmask_b32_e64 v51, v51, v52, s[26:27]
; %bb.673:                              ;   in Loop: Header=BB35_296 Depth=2
	s_or_b64 exec, exec, s[40:41]
	v_and_b32_e32 v52, 0xffff0000, v83
	v_and_b32_e32 v35, 0xffff0000, v35
	v_max_f32_e32 v35, v35, v35
	v_max_f32_e32 v52, v52, v52
	v_min_f32_e32 v53, v52, v35
	v_max_f32_e32 v35, v52, v35
	v_cndmask_b32_e32 v52, v35, v53, vcc
	v_and_b32_e32 v35, 0x7f800000, v52
	v_cmp_ne_u32_e64 s[26:27], s51, v35
                                        ; implicit-def: $vgpr35
	s_and_saveexec_b64 s[40:41], s[26:27]
	s_xor_b64 s[26:27], exec, s[40:41]
; %bb.674:                              ;   in Loop: Header=BB35_296 Depth=2
	v_bfe_u32 v35, v52, 16, 1
	v_add3_u32 v35, v52, v35, s72
                                        ; implicit-def: $vgpr52
; %bb.675:                              ;   in Loop: Header=BB35_296 Depth=2
	s_andn2_saveexec_b64 s[40:41], s[26:27]
; %bb.676:                              ;   in Loop: Header=BB35_296 Depth=2
	v_or_b32_e32 v35, 0x10000, v52
	v_cmp_eq_u32_sdwa s[26:27], v52, v3 src0_sel:WORD_0 src1_sel:DWORD
	s_nop 1
	v_cndmask_b32_e64 v35, v35, v52, s[26:27]
; %bb.677:                              ;   in Loop: Header=BB35_296 Depth=2
	s_or_b64 exec, exec, s[40:41]
	v_lshlrev_b32_e32 v52, 16, v36
	v_lshlrev_b32_e32 v53, 16, v20
	v_max_f32_e32 v53, v53, v53
	v_max_f32_e32 v52, v52, v52
	v_min_f32_e32 v54, v52, v53
	v_max_f32_e32 v52, v52, v53
	v_cndmask_b32_e32 v53, v52, v54, vcc
	v_and_b32_e32 v52, 0x7f800000, v53
	v_cmp_ne_u32_e64 s[26:27], s51, v52
                                        ; implicit-def: $vgpr52
	s_and_saveexec_b64 s[40:41], s[26:27]
	s_xor_b64 s[26:27], exec, s[40:41]
; %bb.678:                              ;   in Loop: Header=BB35_296 Depth=2
	v_bfe_u32 v52, v53, 16, 1
	v_add3_u32 v52, v53, v52, s72
                                        ; implicit-def: $vgpr53
; %bb.679:                              ;   in Loop: Header=BB35_296 Depth=2
	s_andn2_saveexec_b64 s[40:41], s[26:27]
; %bb.680:                              ;   in Loop: Header=BB35_296 Depth=2
	v_or_b32_e32 v52, 0x10000, v53
	v_cmp_eq_u32_sdwa s[26:27], v53, v3 src0_sel:WORD_0 src1_sel:DWORD
	s_nop 1
	v_cndmask_b32_e64 v52, v52, v53, s[26:27]
; %bb.681:                              ;   in Loop: Header=BB35_296 Depth=2
	s_or_b64 exec, exec, s[40:41]
	v_and_b32_e32 v36, 0xffff0000, v36
	v_and_b32_e32 v20, 0xffff0000, v20
	v_max_f32_e32 v20, v20, v20
	v_max_f32_e32 v36, v36, v36
	v_min_f32_e32 v53, v36, v20
	v_max_f32_e32 v20, v36, v20
	v_cndmask_b32_e32 v36, v20, v53, vcc
	v_and_b32_e32 v20, 0x7f800000, v36
	v_cmp_ne_u32_e64 s[26:27], s51, v20
                                        ; implicit-def: $vgpr20
	s_and_saveexec_b64 s[40:41], s[26:27]
	s_xor_b64 s[26:27], exec, s[40:41]
; %bb.682:                              ;   in Loop: Header=BB35_296 Depth=2
	v_bfe_u32 v20, v36, 16, 1
	v_add3_u32 v20, v36, v20, s72
                                        ; implicit-def: $vgpr36
; %bb.683:                              ;   in Loop: Header=BB35_296 Depth=2
	s_andn2_saveexec_b64 s[40:41], s[26:27]
; %bb.684:                              ;   in Loop: Header=BB35_296 Depth=2
	v_or_b32_e32 v20, 0x10000, v36
	v_cmp_eq_u32_sdwa s[26:27], v36, v3 src0_sel:WORD_0 src1_sel:DWORD
	s_nop 1
	v_cndmask_b32_e64 v20, v20, v36, s[26:27]
; %bb.685:                              ;   in Loop: Header=BB35_296 Depth=2
	s_or_b64 exec, exec, s[40:41]
	v_lshlrev_b32_e32 v36, 16, v37
	v_lshlrev_b32_e32 v53, 16, v21
	v_max_f32_e32 v53, v53, v53
	v_max_f32_e32 v36, v36, v36
	v_min_f32_e32 v54, v36, v53
	v_max_f32_e32 v36, v36, v53
	v_cndmask_b32_e32 v53, v36, v54, vcc
	v_and_b32_e32 v36, 0x7f800000, v53
	v_cmp_ne_u32_e64 s[26:27], s51, v36
                                        ; implicit-def: $vgpr36
	s_and_saveexec_b64 s[40:41], s[26:27]
	s_xor_b64 s[26:27], exec, s[40:41]
; %bb.686:                              ;   in Loop: Header=BB35_296 Depth=2
	v_bfe_u32 v36, v53, 16, 1
	v_add3_u32 v36, v53, v36, s72
                                        ; implicit-def: $vgpr53
; %bb.687:                              ;   in Loop: Header=BB35_296 Depth=2
	s_andn2_saveexec_b64 s[40:41], s[26:27]
; %bb.688:                              ;   in Loop: Header=BB35_296 Depth=2
	v_or_b32_e32 v36, 0x10000, v53
	v_cmp_eq_u32_sdwa s[26:27], v53, v3 src0_sel:WORD_0 src1_sel:DWORD
	s_nop 1
	v_cndmask_b32_e64 v36, v36, v53, s[26:27]
; %bb.689:                              ;   in Loop: Header=BB35_296 Depth=2
	s_or_b64 exec, exec, s[40:41]
	v_and_b32_e32 v37, 0xffff0000, v37
	v_and_b32_e32 v21, 0xffff0000, v21
	v_max_f32_e32 v21, v21, v21
	v_max_f32_e32 v37, v37, v37
	v_min_f32_e32 v53, v37, v21
	v_max_f32_e32 v21, v37, v21
	v_cndmask_b32_e32 v37, v21, v53, vcc
	v_and_b32_e32 v21, 0x7f800000, v37
	v_cmp_ne_u32_e64 s[26:27], s51, v21
                                        ; implicit-def: $vgpr21
	s_and_saveexec_b64 s[40:41], s[26:27]
	s_xor_b64 s[26:27], exec, s[40:41]
; %bb.690:                              ;   in Loop: Header=BB35_296 Depth=2
	v_bfe_u32 v21, v37, 16, 1
	v_add3_u32 v21, v37, v21, s72
                                        ; implicit-def: $vgpr37
; %bb.691:                              ;   in Loop: Header=BB35_296 Depth=2
	s_andn2_saveexec_b64 s[40:41], s[26:27]
; %bb.692:                              ;   in Loop: Header=BB35_296 Depth=2
	v_or_b32_e32 v21, 0x10000, v37
	v_cmp_eq_u32_sdwa s[26:27], v37, v3 src0_sel:WORD_0 src1_sel:DWORD
	s_nop 1
	v_cndmask_b32_e64 v21, v21, v37, s[26:27]
; %bb.693:                              ;   in Loop: Header=BB35_296 Depth=2
	s_or_b64 exec, exec, s[40:41]
	v_lshlrev_b32_e32 v37, 16, v38
	v_lshlrev_b32_e32 v53, 16, v22
	v_max_f32_e32 v53, v53, v53
	v_max_f32_e32 v37, v37, v37
	v_min_f32_e32 v54, v37, v53
	v_max_f32_e32 v37, v37, v53
	v_cndmask_b32_e32 v53, v37, v54, vcc
	v_and_b32_e32 v37, 0x7f800000, v53
	v_cmp_ne_u32_e64 s[26:27], s51, v37
                                        ; implicit-def: $vgpr37
	s_and_saveexec_b64 s[40:41], s[26:27]
	s_xor_b64 s[26:27], exec, s[40:41]
; %bb.694:                              ;   in Loop: Header=BB35_296 Depth=2
	v_bfe_u32 v37, v53, 16, 1
	v_add3_u32 v37, v53, v37, s72
                                        ; implicit-def: $vgpr53
; %bb.695:                              ;   in Loop: Header=BB35_296 Depth=2
	s_andn2_saveexec_b64 s[40:41], s[26:27]
; %bb.696:                              ;   in Loop: Header=BB35_296 Depth=2
	v_or_b32_e32 v37, 0x10000, v53
	v_cmp_eq_u32_sdwa s[26:27], v53, v3 src0_sel:WORD_0 src1_sel:DWORD
	s_nop 1
	v_cndmask_b32_e64 v37, v37, v53, s[26:27]
; %bb.697:                              ;   in Loop: Header=BB35_296 Depth=2
	s_or_b64 exec, exec, s[40:41]
	v_and_b32_e32 v38, 0xffff0000, v38
	v_and_b32_e32 v22, 0xffff0000, v22
	v_max_f32_e32 v22, v22, v22
	v_max_f32_e32 v38, v38, v38
	v_min_f32_e32 v53, v38, v22
	v_max_f32_e32 v22, v38, v22
	v_cndmask_b32_e32 v38, v22, v53, vcc
	v_and_b32_e32 v22, 0x7f800000, v38
	v_cmp_ne_u32_e64 s[26:27], s51, v22
                                        ; implicit-def: $vgpr22
	s_and_saveexec_b64 s[40:41], s[26:27]
	s_xor_b64 s[26:27], exec, s[40:41]
; %bb.698:                              ;   in Loop: Header=BB35_296 Depth=2
	v_bfe_u32 v22, v38, 16, 1
	v_add3_u32 v22, v38, v22, s72
                                        ; implicit-def: $vgpr38
; %bb.699:                              ;   in Loop: Header=BB35_296 Depth=2
	s_andn2_saveexec_b64 s[40:41], s[26:27]
; %bb.700:                              ;   in Loop: Header=BB35_296 Depth=2
	v_or_b32_e32 v22, 0x10000, v38
	v_cmp_eq_u32_sdwa s[26:27], v38, v3 src0_sel:WORD_0 src1_sel:DWORD
	s_nop 1
	v_cndmask_b32_e64 v22, v22, v38, s[26:27]
; %bb.701:                              ;   in Loop: Header=BB35_296 Depth=2
	s_or_b64 exec, exec, s[40:41]
	v_lshlrev_b32_e32 v38, 16, v39
	v_lshlrev_b32_e32 v53, 16, v23
	v_max_f32_e32 v53, v53, v53
	v_max_f32_e32 v38, v38, v38
	v_min_f32_e32 v54, v38, v53
	v_max_f32_e32 v38, v38, v53
	v_cndmask_b32_e32 v53, v38, v54, vcc
	v_and_b32_e32 v38, 0x7f800000, v53
	v_cmp_ne_u32_e64 s[26:27], s51, v38
                                        ; implicit-def: $vgpr38
	s_and_saveexec_b64 s[40:41], s[26:27]
	s_xor_b64 s[26:27], exec, s[40:41]
; %bb.702:                              ;   in Loop: Header=BB35_296 Depth=2
	v_bfe_u32 v38, v53, 16, 1
	v_add3_u32 v38, v53, v38, s72
                                        ; implicit-def: $vgpr53
; %bb.703:                              ;   in Loop: Header=BB35_296 Depth=2
	s_andn2_saveexec_b64 s[40:41], s[26:27]
; %bb.704:                              ;   in Loop: Header=BB35_296 Depth=2
	v_or_b32_e32 v38, 0x10000, v53
	v_cmp_eq_u32_sdwa s[26:27], v53, v3 src0_sel:WORD_0 src1_sel:DWORD
	s_nop 1
	v_cndmask_b32_e64 v38, v38, v53, s[26:27]
; %bb.705:                              ;   in Loop: Header=BB35_296 Depth=2
	s_or_b64 exec, exec, s[40:41]
	v_and_b32_e32 v39, 0xffff0000, v39
	v_and_b32_e32 v23, 0xffff0000, v23
	v_max_f32_e32 v23, v23, v23
	v_max_f32_e32 v39, v39, v39
	v_min_f32_e32 v53, v39, v23
	v_max_f32_e32 v23, v39, v23
	v_cndmask_b32_e32 v39, v23, v53, vcc
	v_and_b32_e32 v23, 0x7f800000, v39
	v_cmp_ne_u32_e64 s[26:27], s51, v23
                                        ; implicit-def: $vgpr23
	s_and_saveexec_b64 s[40:41], s[26:27]
	s_xor_b64 s[26:27], exec, s[40:41]
; %bb.706:                              ;   in Loop: Header=BB35_296 Depth=2
	v_bfe_u32 v23, v39, 16, 1
	v_add3_u32 v23, v39, v23, s72
                                        ; implicit-def: $vgpr39
; %bb.707:                              ;   in Loop: Header=BB35_296 Depth=2
	s_andn2_saveexec_b64 s[40:41], s[26:27]
; %bb.708:                              ;   in Loop: Header=BB35_296 Depth=2
	v_or_b32_e32 v23, 0x10000, v39
	v_cmp_eq_u32_sdwa s[26:27], v39, v3 src0_sel:WORD_0 src1_sel:DWORD
	s_nop 1
	v_cndmask_b32_e64 v23, v23, v39, s[26:27]
; %bb.709:                              ;   in Loop: Header=BB35_296 Depth=2
	s_or_b64 exec, exec, s[40:41]
	v_lshlrev_b32_e32 v39, 16, v24
	v_lshlrev_b32_e32 v53, 16, v16
	v_max_f32_e32 v53, v53, v53
	v_max_f32_e32 v39, v39, v39
	v_min_f32_e32 v54, v39, v53
	v_max_f32_e32 v39, v39, v53
	v_cndmask_b32_e32 v53, v39, v54, vcc
	v_and_b32_e32 v39, 0x7f800000, v53
	v_cmp_ne_u32_e64 s[26:27], s51, v39
                                        ; implicit-def: $vgpr39
	s_and_saveexec_b64 s[40:41], s[26:27]
	s_xor_b64 s[26:27], exec, s[40:41]
; %bb.710:                              ;   in Loop: Header=BB35_296 Depth=2
	v_bfe_u32 v39, v53, 16, 1
	v_add3_u32 v39, v53, v39, s72
                                        ; implicit-def: $vgpr53
; %bb.711:                              ;   in Loop: Header=BB35_296 Depth=2
	s_andn2_saveexec_b64 s[40:41], s[26:27]
; %bb.712:                              ;   in Loop: Header=BB35_296 Depth=2
	v_or_b32_e32 v39, 0x10000, v53
	v_cmp_eq_u32_sdwa s[26:27], v53, v3 src0_sel:WORD_0 src1_sel:DWORD
	s_nop 1
	v_cndmask_b32_e64 v39, v39, v53, s[26:27]
; %bb.713:                              ;   in Loop: Header=BB35_296 Depth=2
	s_or_b64 exec, exec, s[40:41]
	v_and_b32_e32 v24, 0xffff0000, v24
	v_and_b32_e32 v16, 0xffff0000, v16
	v_max_f32_e32 v16, v16, v16
	v_max_f32_e32 v24, v24, v24
	v_min_f32_e32 v53, v24, v16
	v_max_f32_e32 v16, v24, v16
	v_cndmask_b32_e32 v24, v16, v53, vcc
	v_and_b32_e32 v16, 0x7f800000, v24
	v_cmp_ne_u32_e64 s[26:27], s51, v16
                                        ; implicit-def: $vgpr16
	s_and_saveexec_b64 s[40:41], s[26:27]
	s_xor_b64 s[26:27], exec, s[40:41]
; %bb.714:                              ;   in Loop: Header=BB35_296 Depth=2
	v_bfe_u32 v16, v24, 16, 1
	v_add3_u32 v16, v24, v16, s72
                                        ; implicit-def: $vgpr24
; %bb.715:                              ;   in Loop: Header=BB35_296 Depth=2
	s_andn2_saveexec_b64 s[40:41], s[26:27]
; %bb.716:                              ;   in Loop: Header=BB35_296 Depth=2
	v_or_b32_e32 v16, 0x10000, v24
	v_cmp_eq_u32_sdwa s[26:27], v24, v3 src0_sel:WORD_0 src1_sel:DWORD
	s_nop 1
	v_cndmask_b32_e64 v16, v16, v24, s[26:27]
; %bb.717:                              ;   in Loop: Header=BB35_296 Depth=2
	s_or_b64 exec, exec, s[40:41]
	v_lshlrev_b32_e32 v24, 16, v25
	v_lshlrev_b32_e32 v53, 16, v17
	v_max_f32_e32 v53, v53, v53
	v_max_f32_e32 v24, v24, v24
	v_min_f32_e32 v54, v24, v53
	v_max_f32_e32 v24, v24, v53
	v_cndmask_b32_e32 v53, v24, v54, vcc
	v_and_b32_e32 v24, 0x7f800000, v53
	v_cmp_ne_u32_e64 s[26:27], s51, v24
                                        ; implicit-def: $vgpr24
	s_and_saveexec_b64 s[40:41], s[26:27]
	s_xor_b64 s[26:27], exec, s[40:41]
; %bb.718:                              ;   in Loop: Header=BB35_296 Depth=2
	v_bfe_u32 v24, v53, 16, 1
	v_add3_u32 v24, v53, v24, s72
                                        ; implicit-def: $vgpr53
; %bb.719:                              ;   in Loop: Header=BB35_296 Depth=2
	s_andn2_saveexec_b64 s[40:41], s[26:27]
; %bb.720:                              ;   in Loop: Header=BB35_296 Depth=2
	v_or_b32_e32 v24, 0x10000, v53
	v_cmp_eq_u32_sdwa s[26:27], v53, v3 src0_sel:WORD_0 src1_sel:DWORD
	s_nop 1
	v_cndmask_b32_e64 v24, v24, v53, s[26:27]
; %bb.721:                              ;   in Loop: Header=BB35_296 Depth=2
	s_or_b64 exec, exec, s[40:41]
	v_and_b32_e32 v25, 0xffff0000, v25
	v_and_b32_e32 v17, 0xffff0000, v17
	v_max_f32_e32 v17, v17, v17
	v_max_f32_e32 v25, v25, v25
	v_min_f32_e32 v53, v25, v17
	v_max_f32_e32 v17, v25, v17
	v_cndmask_b32_e32 v25, v17, v53, vcc
	v_and_b32_e32 v17, 0x7f800000, v25
	v_cmp_ne_u32_e64 s[26:27], s51, v17
                                        ; implicit-def: $vgpr17
	s_and_saveexec_b64 s[40:41], s[26:27]
	s_xor_b64 s[26:27], exec, s[40:41]
; %bb.722:                              ;   in Loop: Header=BB35_296 Depth=2
	v_bfe_u32 v17, v25, 16, 1
	v_add3_u32 v17, v25, v17, s72
                                        ; implicit-def: $vgpr25
; %bb.723:                              ;   in Loop: Header=BB35_296 Depth=2
	s_andn2_saveexec_b64 s[40:41], s[26:27]
; %bb.724:                              ;   in Loop: Header=BB35_296 Depth=2
	v_or_b32_e32 v17, 0x10000, v25
	v_cmp_eq_u32_sdwa s[26:27], v25, v3 src0_sel:WORD_0 src1_sel:DWORD
	s_nop 1
	v_cndmask_b32_e64 v17, v17, v25, s[26:27]
; %bb.725:                              ;   in Loop: Header=BB35_296 Depth=2
	s_or_b64 exec, exec, s[40:41]
	v_lshlrev_b32_e32 v25, 16, v26
	v_lshlrev_b32_e32 v53, 16, v18
	v_max_f32_e32 v53, v53, v53
	v_max_f32_e32 v25, v25, v25
	v_min_f32_e32 v54, v25, v53
	v_max_f32_e32 v25, v25, v53
	v_cndmask_b32_e32 v53, v25, v54, vcc
	v_and_b32_e32 v25, 0x7f800000, v53
	v_cmp_ne_u32_e64 s[26:27], s51, v25
                                        ; implicit-def: $vgpr25
	s_and_saveexec_b64 s[40:41], s[26:27]
	s_xor_b64 s[26:27], exec, s[40:41]
; %bb.726:                              ;   in Loop: Header=BB35_296 Depth=2
	v_bfe_u32 v25, v53, 16, 1
	v_add3_u32 v25, v53, v25, s72
                                        ; implicit-def: $vgpr53
; %bb.727:                              ;   in Loop: Header=BB35_296 Depth=2
	s_andn2_saveexec_b64 s[40:41], s[26:27]
; %bb.728:                              ;   in Loop: Header=BB35_296 Depth=2
	v_or_b32_e32 v25, 0x10000, v53
	v_cmp_eq_u32_sdwa s[26:27], v53, v3 src0_sel:WORD_0 src1_sel:DWORD
	s_nop 1
	v_cndmask_b32_e64 v25, v25, v53, s[26:27]
; %bb.729:                              ;   in Loop: Header=BB35_296 Depth=2
	s_or_b64 exec, exec, s[40:41]
	v_and_b32_e32 v26, 0xffff0000, v26
	v_and_b32_e32 v18, 0xffff0000, v18
	v_max_f32_e32 v18, v18, v18
	v_max_f32_e32 v26, v26, v26
	v_min_f32_e32 v53, v26, v18
	v_max_f32_e32 v18, v26, v18
	v_cndmask_b32_e32 v26, v18, v53, vcc
	v_and_b32_e32 v18, 0x7f800000, v26
	v_cmp_ne_u32_e64 s[26:27], s51, v18
                                        ; implicit-def: $vgpr18
	s_and_saveexec_b64 s[40:41], s[26:27]
	s_xor_b64 s[26:27], exec, s[40:41]
; %bb.730:                              ;   in Loop: Header=BB35_296 Depth=2
	v_bfe_u32 v18, v26, 16, 1
	v_add3_u32 v18, v26, v18, s72
                                        ; implicit-def: $vgpr26
; %bb.731:                              ;   in Loop: Header=BB35_296 Depth=2
	s_andn2_saveexec_b64 s[40:41], s[26:27]
; %bb.732:                              ;   in Loop: Header=BB35_296 Depth=2
	v_or_b32_e32 v18, 0x10000, v26
	v_cmp_eq_u32_sdwa s[26:27], v26, v3 src0_sel:WORD_0 src1_sel:DWORD
	s_nop 1
	v_cndmask_b32_e64 v18, v18, v26, s[26:27]
; %bb.733:                              ;   in Loop: Header=BB35_296 Depth=2
	s_or_b64 exec, exec, s[40:41]
	v_lshlrev_b32_e32 v26, 16, v27
	v_lshlrev_b32_e32 v53, 16, v19
	v_max_f32_e32 v53, v53, v53
	v_max_f32_e32 v26, v26, v26
	v_min_f32_e32 v54, v26, v53
	v_max_f32_e32 v26, v26, v53
	v_cndmask_b32_e32 v53, v26, v54, vcc
	v_and_b32_e32 v26, 0x7f800000, v53
	v_cmp_ne_u32_e64 s[26:27], s51, v26
                                        ; implicit-def: $vgpr26
	s_and_saveexec_b64 s[40:41], s[26:27]
	s_xor_b64 s[26:27], exec, s[40:41]
; %bb.734:                              ;   in Loop: Header=BB35_296 Depth=2
	v_bfe_u32 v26, v53, 16, 1
	v_add3_u32 v26, v53, v26, s72
                                        ; implicit-def: $vgpr53
; %bb.735:                              ;   in Loop: Header=BB35_296 Depth=2
	s_andn2_saveexec_b64 s[40:41], s[26:27]
; %bb.736:                              ;   in Loop: Header=BB35_296 Depth=2
	v_or_b32_e32 v26, 0x10000, v53
	v_cmp_eq_u32_sdwa s[26:27], v53, v3 src0_sel:WORD_0 src1_sel:DWORD
	s_nop 1
	v_cndmask_b32_e64 v26, v26, v53, s[26:27]
; %bb.737:                              ;   in Loop: Header=BB35_296 Depth=2
	s_or_b64 exec, exec, s[40:41]
	v_and_b32_e32 v27, 0xffff0000, v27
	v_and_b32_e32 v19, 0xffff0000, v19
	v_max_f32_e32 v19, v19, v19
	v_max_f32_e32 v27, v27, v27
	v_min_f32_e32 v53, v27, v19
	v_max_f32_e32 v19, v27, v19
	v_cndmask_b32_e32 v27, v19, v53, vcc
	v_and_b32_e32 v19, 0x7f800000, v27
	v_cmp_ne_u32_e64 s[26:27], s51, v19
                                        ; implicit-def: $vgpr19
	s_and_saveexec_b64 s[40:41], s[26:27]
	s_xor_b64 s[26:27], exec, s[40:41]
; %bb.738:                              ;   in Loop: Header=BB35_296 Depth=2
	v_bfe_u32 v19, v27, 16, 1
	v_add3_u32 v19, v27, v19, s72
                                        ; implicit-def: $vgpr27
; %bb.739:                              ;   in Loop: Header=BB35_296 Depth=2
	s_andn2_saveexec_b64 s[40:41], s[26:27]
; %bb.740:                              ;   in Loop: Header=BB35_296 Depth=2
	v_or_b32_e32 v19, 0x10000, v27
	v_cmp_eq_u32_sdwa s[26:27], v27, v3 src0_sel:WORD_0 src1_sel:DWORD
	s_nop 1
	v_cndmask_b32_e64 v19, v19, v27, s[26:27]
; %bb.741:                              ;   in Loop: Header=BB35_296 Depth=2
	s_or_b64 exec, exec, s[40:41]
	v_lshlrev_b32_e32 v27, 16, v12
	v_lshlrev_b32_e32 v53, 16, v8
	v_max_f32_e32 v53, v53, v53
	v_max_f32_e32 v27, v27, v27
	v_min_f32_e32 v54, v27, v53
	v_max_f32_e32 v27, v27, v53
	v_cndmask_b32_e32 v53, v27, v54, vcc
	v_and_b32_e32 v27, 0x7f800000, v53
	v_cmp_ne_u32_e64 s[26:27], s51, v27
                                        ; implicit-def: $vgpr27
	s_and_saveexec_b64 s[40:41], s[26:27]
	s_xor_b64 s[26:27], exec, s[40:41]
; %bb.742:                              ;   in Loop: Header=BB35_296 Depth=2
	v_bfe_u32 v27, v53, 16, 1
	v_add3_u32 v27, v53, v27, s72
                                        ; implicit-def: $vgpr53
; %bb.743:                              ;   in Loop: Header=BB35_296 Depth=2
	s_andn2_saveexec_b64 s[40:41], s[26:27]
; %bb.744:                              ;   in Loop: Header=BB35_296 Depth=2
	v_or_b32_e32 v27, 0x10000, v53
	v_cmp_eq_u32_sdwa s[26:27], v53, v3 src0_sel:WORD_0 src1_sel:DWORD
	s_nop 1
	v_cndmask_b32_e64 v27, v27, v53, s[26:27]
; %bb.745:                              ;   in Loop: Header=BB35_296 Depth=2
	s_or_b64 exec, exec, s[40:41]
	v_and_b32_e32 v12, 0xffff0000, v12
	v_and_b32_e32 v8, 0xffff0000, v8
	v_max_f32_e32 v8, v8, v8
	v_max_f32_e32 v12, v12, v12
	v_min_f32_e32 v53, v12, v8
	v_max_f32_e32 v8, v12, v8
	v_cndmask_b32_e32 v12, v8, v53, vcc
	v_and_b32_e32 v8, 0x7f800000, v12
	v_cmp_ne_u32_e64 s[26:27], s51, v8
                                        ; implicit-def: $vgpr8
	s_and_saveexec_b64 s[40:41], s[26:27]
	s_xor_b64 s[26:27], exec, s[40:41]
; %bb.746:                              ;   in Loop: Header=BB35_296 Depth=2
	v_bfe_u32 v8, v12, 16, 1
	v_add3_u32 v8, v12, v8, s72
                                        ; implicit-def: $vgpr12
; %bb.747:                              ;   in Loop: Header=BB35_296 Depth=2
	s_andn2_saveexec_b64 s[40:41], s[26:27]
; %bb.748:                              ;   in Loop: Header=BB35_296 Depth=2
	v_or_b32_e32 v8, 0x10000, v12
	v_cmp_eq_u32_sdwa s[26:27], v12, v3 src0_sel:WORD_0 src1_sel:DWORD
	s_nop 1
	v_cndmask_b32_e64 v8, v8, v12, s[26:27]
; %bb.749:                              ;   in Loop: Header=BB35_296 Depth=2
	s_or_b64 exec, exec, s[40:41]
	v_lshlrev_b32_e32 v12, 16, v13
	v_lshlrev_b32_e32 v53, 16, v9
	v_max_f32_e32 v53, v53, v53
	v_max_f32_e32 v12, v12, v12
	v_min_f32_e32 v54, v12, v53
	v_max_f32_e32 v12, v12, v53
	v_cndmask_b32_e32 v53, v12, v54, vcc
	v_and_b32_e32 v12, 0x7f800000, v53
	v_cmp_ne_u32_e64 s[26:27], s51, v12
                                        ; implicit-def: $vgpr12
	s_and_saveexec_b64 s[40:41], s[26:27]
	s_xor_b64 s[26:27], exec, s[40:41]
; %bb.750:                              ;   in Loop: Header=BB35_296 Depth=2
	v_bfe_u32 v12, v53, 16, 1
	v_add3_u32 v12, v53, v12, s72
                                        ; implicit-def: $vgpr53
; %bb.751:                              ;   in Loop: Header=BB35_296 Depth=2
	s_andn2_saveexec_b64 s[40:41], s[26:27]
; %bb.752:                              ;   in Loop: Header=BB35_296 Depth=2
	v_or_b32_e32 v12, 0x10000, v53
	v_cmp_eq_u32_sdwa s[26:27], v53, v3 src0_sel:WORD_0 src1_sel:DWORD
	s_nop 1
	v_cndmask_b32_e64 v12, v12, v53, s[26:27]
; %bb.753:                              ;   in Loop: Header=BB35_296 Depth=2
	s_or_b64 exec, exec, s[40:41]
	v_and_b32_e32 v13, 0xffff0000, v13
	v_and_b32_e32 v9, 0xffff0000, v9
	v_max_f32_e32 v9, v9, v9
	v_max_f32_e32 v13, v13, v13
	v_min_f32_e32 v53, v13, v9
	v_max_f32_e32 v9, v13, v9
	v_cndmask_b32_e32 v13, v9, v53, vcc
	v_and_b32_e32 v9, 0x7f800000, v13
	v_cmp_ne_u32_e64 s[26:27], s51, v9
                                        ; implicit-def: $vgpr9
	s_and_saveexec_b64 s[40:41], s[26:27]
	s_xor_b64 s[26:27], exec, s[40:41]
; %bb.754:                              ;   in Loop: Header=BB35_296 Depth=2
	v_bfe_u32 v9, v13, 16, 1
	v_add3_u32 v9, v13, v9, s72
                                        ; implicit-def: $vgpr13
; %bb.755:                              ;   in Loop: Header=BB35_296 Depth=2
	s_andn2_saveexec_b64 s[40:41], s[26:27]
; %bb.756:                              ;   in Loop: Header=BB35_296 Depth=2
	v_or_b32_e32 v9, 0x10000, v13
	v_cmp_eq_u32_sdwa s[26:27], v13, v3 src0_sel:WORD_0 src1_sel:DWORD
	s_nop 1
	v_cndmask_b32_e64 v9, v9, v13, s[26:27]
; %bb.757:                              ;   in Loop: Header=BB35_296 Depth=2
	s_or_b64 exec, exec, s[40:41]
	v_lshlrev_b32_e32 v13, 16, v14
	v_lshlrev_b32_e32 v53, 16, v10
	v_max_f32_e32 v53, v53, v53
	v_max_f32_e32 v13, v13, v13
	v_min_f32_e32 v54, v13, v53
	v_max_f32_e32 v13, v13, v53
	v_cndmask_b32_e32 v53, v13, v54, vcc
	v_and_b32_e32 v13, 0x7f800000, v53
	v_cmp_ne_u32_e64 s[26:27], s51, v13
                                        ; implicit-def: $vgpr13
	s_and_saveexec_b64 s[40:41], s[26:27]
	s_xor_b64 s[26:27], exec, s[40:41]
; %bb.758:                              ;   in Loop: Header=BB35_296 Depth=2
	v_bfe_u32 v13, v53, 16, 1
	v_add3_u32 v13, v53, v13, s72
                                        ; implicit-def: $vgpr53
; %bb.759:                              ;   in Loop: Header=BB35_296 Depth=2
	s_andn2_saveexec_b64 s[40:41], s[26:27]
; %bb.760:                              ;   in Loop: Header=BB35_296 Depth=2
	v_or_b32_e32 v13, 0x10000, v53
	v_cmp_eq_u32_sdwa s[26:27], v53, v3 src0_sel:WORD_0 src1_sel:DWORD
	s_nop 1
	v_cndmask_b32_e64 v13, v13, v53, s[26:27]
; %bb.761:                              ;   in Loop: Header=BB35_296 Depth=2
	s_or_b64 exec, exec, s[40:41]
	v_and_b32_e32 v14, 0xffff0000, v14
	v_and_b32_e32 v10, 0xffff0000, v10
	v_max_f32_e32 v10, v10, v10
	v_max_f32_e32 v14, v14, v14
	v_min_f32_e32 v53, v14, v10
	v_max_f32_e32 v10, v14, v10
	v_cndmask_b32_e32 v14, v10, v53, vcc
	v_and_b32_e32 v10, 0x7f800000, v14
	v_cmp_ne_u32_e64 s[26:27], s51, v10
                                        ; implicit-def: $vgpr10
	s_and_saveexec_b64 s[40:41], s[26:27]
	s_xor_b64 s[26:27], exec, s[40:41]
; %bb.762:                              ;   in Loop: Header=BB35_296 Depth=2
	v_bfe_u32 v10, v14, 16, 1
	v_add3_u32 v10, v14, v10, s72
                                        ; implicit-def: $vgpr14
; %bb.763:                              ;   in Loop: Header=BB35_296 Depth=2
	s_andn2_saveexec_b64 s[40:41], s[26:27]
; %bb.764:                              ;   in Loop: Header=BB35_296 Depth=2
	v_or_b32_e32 v10, 0x10000, v14
	v_cmp_eq_u32_sdwa s[26:27], v14, v3 src0_sel:WORD_0 src1_sel:DWORD
	s_nop 1
	v_cndmask_b32_e64 v10, v10, v14, s[26:27]
; %bb.765:                              ;   in Loop: Header=BB35_296 Depth=2
	s_or_b64 exec, exec, s[40:41]
	v_lshlrev_b32_e32 v14, 16, v15
	v_lshlrev_b32_e32 v53, 16, v11
	v_max_f32_e32 v53, v53, v53
	v_max_f32_e32 v14, v14, v14
	v_min_f32_e32 v54, v14, v53
	v_max_f32_e32 v14, v14, v53
	v_cndmask_b32_e32 v53, v14, v54, vcc
	v_and_b32_e32 v14, 0x7f800000, v53
	v_cmp_ne_u32_e64 s[26:27], s51, v14
                                        ; implicit-def: $vgpr14
	s_and_saveexec_b64 s[40:41], s[26:27]
	s_xor_b64 s[26:27], exec, s[40:41]
; %bb.766:                              ;   in Loop: Header=BB35_296 Depth=2
	v_bfe_u32 v14, v53, 16, 1
	v_add3_u32 v14, v53, v14, s72
                                        ; implicit-def: $vgpr53
; %bb.767:                              ;   in Loop: Header=BB35_296 Depth=2
	s_andn2_saveexec_b64 s[40:41], s[26:27]
; %bb.768:                              ;   in Loop: Header=BB35_296 Depth=2
	v_or_b32_e32 v14, 0x10000, v53
	v_cmp_eq_u32_sdwa s[26:27], v53, v3 src0_sel:WORD_0 src1_sel:DWORD
	s_nop 1
	v_cndmask_b32_e64 v14, v14, v53, s[26:27]
; %bb.769:                              ;   in Loop: Header=BB35_296 Depth=2
	s_or_b64 exec, exec, s[40:41]
	v_and_b32_e32 v15, 0xffff0000, v15
	v_and_b32_e32 v11, 0xffff0000, v11
	v_max_f32_e32 v11, v11, v11
	v_max_f32_e32 v15, v15, v15
	v_min_f32_e32 v53, v15, v11
	v_max_f32_e32 v11, v15, v11
	v_cndmask_b32_e32 v15, v11, v53, vcc
	v_and_b32_e32 v11, 0x7f800000, v15
	v_cmp_ne_u32_e32 vcc, s51, v11
                                        ; implicit-def: $vgpr11
	s_and_saveexec_b64 s[26:27], vcc
	s_xor_b64 s[26:27], exec, s[26:27]
; %bb.770:                              ;   in Loop: Header=BB35_296 Depth=2
	v_bfe_u32 v11, v15, 16, 1
	v_add3_u32 v11, v15, v11, s72
                                        ; implicit-def: $vgpr15
; %bb.771:                              ;   in Loop: Header=BB35_296 Depth=2
	s_andn2_saveexec_b64 s[26:27], s[26:27]
; %bb.772:                              ;   in Loop: Header=BB35_296 Depth=2
	v_or_b32_e32 v11, 0x10000, v15
	v_cmp_eq_u32_sdwa vcc, v15, v3 src0_sel:WORD_0 src1_sel:DWORD
	s_nop 1
	v_cndmask_b32_e32 v11, v11, v15, vcc
; %bb.773:                              ;   in Loop: Header=BB35_296 Depth=2
	s_or_b64 exec, exec, s[26:27]
	v_lshrrev_b32_e32 v15, 16, v24
	v_and_or_b32 v17, v17, s73, v15
	v_lshrrev_b32_e32 v15, 16, v39
	v_and_or_b32 v16, v16, s73, v15
	;; [unrolled: 2-line block ×9, first 2 shown]
	v_lshrrev_b32_e32 v15, 16, v48
	v_lshrrev_b32_e32 v12, 16, v12
	v_and_or_b32 v32, v32, s73, v15
	v_lshrrev_b32_e32 v15, 16, v50
	v_and_or_b32 v9, v9, s73, v12
	;; [unrolled: 2-line block ×5, first 2 shown]
	v_and_or_b32 v10, v10, s73, v12
	v_lshrrev_b32_e32 v12, 16, v14
	v_and_or_b32 v11, v11, s73, v12
	global_store_dwordx4 v[108:109], v[32:35], off
	global_store_dwordx4 v[108:109], v[20:23], off offset:1024
	global_store_dwordx4 v[108:109], v[16:19], off offset:2048
	;; [unrolled: 1-line block ×3, first 2 shown]
.LBB35_774:                             ;   in Loop: Header=BB35_296 Depth=2
	s_or_b64 exec, exec, s[28:29]
	v_lshlrev_b32_e32 v22, 12, v6
	v_cmp_ne_u32_e32 vcc, v29, v22
                                        ; implicit-def: $vgpr6
                                        ; implicit-def: $vgpr8
                                        ; implicit-def: $vgpr14
	s_and_saveexec_b64 s[56:57], vcc
	s_cbranch_execz .LBB35_889
; %bb.775:                              ;   in Loop: Header=BB35_296 Depth=2
	v_lshlrev_b32_e32 v6, 6, v7
	v_and_b32_e32 v7, 63, v31
	v_sub_u32_e32 v6, v7, v6
	v_ashrrev_i32_e32 v7, 31, v6
	v_sub_u32_e32 v9, v29, v22
	v_lshrrev_b32_e32 v7, 26, v7
	v_add_u32_e32 v7, v6, v7
	v_ashrrev_i32_e32 v11, 31, v9
	v_ashrrev_i32_e32 v10, 6, v7
	v_and_b32_e32 v7, 0xffffffc0, v7
	v_lshrrev_b32_e32 v11, 22, v11
	v_sub_u32_e32 v7, v6, v7
	v_add_u32_e32 v11, v9, v11
	v_lshlrev_b32_e32 v6, 4, v7
	v_and_b32_e32 v23, 0xfffffc00, v11
	v_lshl_add_u32 v6, v10, 10, v6
	v_sub_u32_e32 v24, v9, v23
	v_add_u32_e32 v8, v6, v22
	v_ashrrev_i32_e32 v12, 10, v11
	v_cmp_lt_i32_e64 s[26:27], 15, v24
	v_sub_u32_e32 v6, v9, v6
	v_ashrrev_i32_e32 v9, 31, v8
	v_addc_co_u32_e64 v11, vcc, 0, v12, s[26:27]
	v_sub_u32_e32 v25, v11, v10
	v_lshl_add_u64 v[16:17], v[8:9], 0, v[58:59]
	v_cmp_lt_i32_e32 vcc, 15, v6
	s_mov_b64 s[28:29], 0
	s_and_saveexec_b64 s[58:59], vcc
	s_cbranch_execz .LBB35_852
; %bb.776:                              ;   in Loop: Header=BB35_296 Depth=2
	s_trap 2
	ds_read_b64 v[10:11], v0
	s_and_b32 s13, 0xffff, s12
	s_cmp_eq_u32 s13, 0
	v_lshl_add_u64 v[18:19], v[8:9], 0, v[0:1]
	s_mov_b64 s[52:53], 0
	s_waitcnt lgkmcnt(0)
	v_lshl_add_u64 v[20:21], v[10:11], 0, v[8:9]
	s_mov_b64 s[60:61], 0
	s_cselect_b64 s[28:29], -1, 0
                                        ; implicit-def: $sgpr62_sgpr63
	s_branch .LBB35_778
.LBB35_777:                             ;   in Loop: Header=BB35_778 Depth=3
	s_or_b64 exec, exec, s[40:41]
	v_cmp_gt_i32_e32 vcc, 16, v6
	s_or_b64 s[60:61], vcc, s[60:61]
	s_andn2_b64 s[40:41], s[62:63], exec
	s_and_b64 s[62:63], s[52:53], exec
	s_or_b64 s[62:63], s[40:41], s[62:63]
	s_andn2_b64 exec, exec, s[60:61]
	s_cbranch_execz .LBB35_851
.LBB35_778:                             ;   Parent Loop BB35_47 Depth=1
                                        ;     Parent Loop BB35_296 Depth=2
                                        ; =>    This Loop Header: Depth=3
                                        ;         Child Loop BB35_779 Depth 4
                                        ;         Child Loop BB35_816 Depth 4
	s_add_i32 s40, s33, 0xc0
	s_mov_b32 s13, s40
	s_mov_b64 s[54:55], -1
	s_mov_b64 s[40:41], 0
.LBB35_779:                             ;   Parent Loop BB35_47 Depth=1
                                        ;     Parent Loop BB35_296 Depth=2
                                        ;       Parent Loop BB35_778 Depth=3
                                        ; =>      This Inner Loop Header: Depth=4
	s_cmp_eq_u32 s40, 1
	s_cselect_b64 vcc, -1, 0
	v_cndmask_b32_e32 v13, v19, v21, vcc
	v_cndmask_b32_e32 v12, v18, v20, vcc
	global_load_dwordx4 v[8:11], v[12:13], off nt
	s_cmp_eq_u32 s40, 0
	s_cselect_b64 s[40:41], -1, 0
	s_waitcnt vmcnt(0)
	scratch_store_dwordx4 off, v[8:11], s13
	s_nop 1
	v_lshl_add_u64 v[8:9], v[12:13], 0, s[90:91]
	v_cndmask_b32_e64 v19, v19, v9, s[40:41]
	v_cndmask_b32_e64 v18, v18, v8, s[40:41]
	v_cndmask_b32_e32 v21, v21, v9, vcc
	v_cndmask_b32_e32 v20, v20, v8, vcc
	s_mov_b64 s[40:41], 1
	s_and_b64 vcc, exec, s[54:55]
	s_mov_b64 s[54:55], 0
	s_mov_b32 s13, s87
	s_cbranch_vccnz .LBB35_779
; %bb.780:                              ;   in Loop: Header=BB35_778 Depth=3
	s_and_saveexec_b64 s[40:41], s[52:53]
	s_cbranch_execz .LBB35_814
; %bb.781:                              ;   in Loop: Header=BB35_778 Depth=3
	scratch_load_dwordx4 v[8:11], off, s33 offset:224
	scratch_load_dwordx4 v[12:15], off, s33 offset:240
	s_waitcnt vmcnt(1)
	v_lshlrev_b32_e32 v26, 16, v8
	s_waitcnt vmcnt(0)
	v_lshlrev_b32_e32 v27, 16, v12
	v_max_f32_e32 v27, v27, v27
	v_max_f32_e32 v26, v26, v26
	v_min_f32_e32 v32, v26, v27
	v_max_f32_e32 v26, v26, v27
	v_cndmask_b32_e64 v27, v26, v32, s[28:29]
	v_and_b32_e32 v26, 0x7f800000, v27
	v_cmp_ne_u32_e32 vcc, s51, v26
                                        ; implicit-def: $vgpr26
	s_and_saveexec_b64 s[52:53], vcc
	s_xor_b64 vcc, exec, s[52:53]
; %bb.782:                              ;   in Loop: Header=BB35_778 Depth=3
	v_bfe_u32 v26, v27, 16, 1
	v_add3_u32 v26, v27, v26, s72
                                        ; implicit-def: $vgpr27
; %bb.783:                              ;   in Loop: Header=BB35_778 Depth=3
	s_andn2_saveexec_b64 s[52:53], vcc
; %bb.784:                              ;   in Loop: Header=BB35_778 Depth=3
	v_or_b32_e32 v26, 0x10000, v27
	v_cmp_eq_u32_sdwa vcc, v27, v3 src0_sel:WORD_0 src1_sel:DWORD
	s_nop 1
	v_cndmask_b32_e32 v26, v26, v27, vcc
; %bb.785:                              ;   in Loop: Header=BB35_778 Depth=3
	s_or_b64 exec, exec, s[52:53]
	v_and_b32_e32 v8, 0xffff0000, v8
	v_and_b32_e32 v12, 0xffff0000, v12
	v_max_f32_e32 v12, v12, v12
	v_max_f32_e32 v8, v8, v8
	v_min_f32_e32 v27, v8, v12
	v_max_f32_e32 v8, v8, v12
	v_cndmask_b32_e64 v12, v8, v27, s[28:29]
	v_and_b32_e32 v8, 0x7f800000, v12
	v_cmp_ne_u32_e32 vcc, s51, v8
                                        ; implicit-def: $vgpr8
	s_and_saveexec_b64 s[52:53], vcc
	s_xor_b64 vcc, exec, s[52:53]
; %bb.786:                              ;   in Loop: Header=BB35_778 Depth=3
	v_bfe_u32 v8, v12, 16, 1
	v_add3_u32 v8, v12, v8, s72
                                        ; implicit-def: $vgpr12
; %bb.787:                              ;   in Loop: Header=BB35_778 Depth=3
	s_andn2_saveexec_b64 s[52:53], vcc
; %bb.788:                              ;   in Loop: Header=BB35_778 Depth=3
	v_or_b32_e32 v8, 0x10000, v12
	v_cmp_eq_u32_sdwa vcc, v12, v3 src0_sel:WORD_0 src1_sel:DWORD
	s_nop 1
	v_cndmask_b32_e32 v8, v8, v12, vcc
; %bb.789:                              ;   in Loop: Header=BB35_778 Depth=3
	s_or_b64 exec, exec, s[52:53]
	v_lshlrev_b32_e32 v12, 16, v9
	v_lshlrev_b32_e32 v27, 16, v13
	v_max_f32_e32 v27, v27, v27
	v_max_f32_e32 v12, v12, v12
	v_min_f32_e32 v32, v12, v27
	v_max_f32_e32 v12, v12, v27
	v_cndmask_b32_e64 v27, v12, v32, s[28:29]
	v_and_b32_e32 v12, 0x7f800000, v27
	v_cmp_ne_u32_e32 vcc, s51, v12
                                        ; implicit-def: $vgpr12
	s_and_saveexec_b64 s[52:53], vcc
	s_xor_b64 vcc, exec, s[52:53]
; %bb.790:                              ;   in Loop: Header=BB35_778 Depth=3
	v_bfe_u32 v12, v27, 16, 1
	v_add3_u32 v12, v27, v12, s72
                                        ; implicit-def: $vgpr27
; %bb.791:                              ;   in Loop: Header=BB35_778 Depth=3
	s_andn2_saveexec_b64 s[52:53], vcc
; %bb.792:                              ;   in Loop: Header=BB35_778 Depth=3
	v_or_b32_e32 v12, 0x10000, v27
	v_cmp_eq_u32_sdwa vcc, v27, v3 src0_sel:WORD_0 src1_sel:DWORD
	s_nop 1
	v_cndmask_b32_e32 v12, v12, v27, vcc
; %bb.793:                              ;   in Loop: Header=BB35_778 Depth=3
	s_or_b64 exec, exec, s[52:53]
	v_and_b32_e32 v9, 0xffff0000, v9
	v_and_b32_e32 v13, 0xffff0000, v13
	v_max_f32_e32 v13, v13, v13
	v_max_f32_e32 v9, v9, v9
	v_min_f32_e32 v27, v9, v13
	v_max_f32_e32 v9, v9, v13
	v_cndmask_b32_e64 v13, v9, v27, s[28:29]
	v_and_b32_e32 v9, 0x7f800000, v13
	v_cmp_ne_u32_e32 vcc, s51, v9
                                        ; implicit-def: $vgpr9
	s_and_saveexec_b64 s[52:53], vcc
	s_xor_b64 vcc, exec, s[52:53]
; %bb.794:                              ;   in Loop: Header=BB35_778 Depth=3
	v_bfe_u32 v9, v13, 16, 1
	v_add3_u32 v9, v13, v9, s72
                                        ; implicit-def: $vgpr13
; %bb.795:                              ;   in Loop: Header=BB35_778 Depth=3
	s_andn2_saveexec_b64 s[52:53], vcc
; %bb.796:                              ;   in Loop: Header=BB35_778 Depth=3
	v_or_b32_e32 v9, 0x10000, v13
	v_cmp_eq_u32_sdwa vcc, v13, v3 src0_sel:WORD_0 src1_sel:DWORD
	s_nop 1
	v_cndmask_b32_e32 v9, v9, v13, vcc
; %bb.797:                              ;   in Loop: Header=BB35_778 Depth=3
	s_or_b64 exec, exec, s[52:53]
	v_lshlrev_b32_e32 v13, 16, v10
	v_lshlrev_b32_e32 v27, 16, v14
	v_max_f32_e32 v27, v27, v27
	v_max_f32_e32 v13, v13, v13
	v_min_f32_e32 v32, v13, v27
	v_max_f32_e32 v13, v13, v27
	v_cndmask_b32_e64 v27, v13, v32, s[28:29]
	v_and_b32_e32 v13, 0x7f800000, v27
	v_cmp_ne_u32_e32 vcc, s51, v13
                                        ; implicit-def: $vgpr13
	s_and_saveexec_b64 s[52:53], vcc
	s_xor_b64 vcc, exec, s[52:53]
; %bb.798:                              ;   in Loop: Header=BB35_778 Depth=3
	v_bfe_u32 v13, v27, 16, 1
	v_add3_u32 v13, v27, v13, s72
                                        ; implicit-def: $vgpr27
; %bb.799:                              ;   in Loop: Header=BB35_778 Depth=3
	s_andn2_saveexec_b64 s[52:53], vcc
; %bb.800:                              ;   in Loop: Header=BB35_778 Depth=3
	v_or_b32_e32 v13, 0x10000, v27
	v_cmp_eq_u32_sdwa vcc, v27, v3 src0_sel:WORD_0 src1_sel:DWORD
	s_nop 1
	v_cndmask_b32_e32 v13, v13, v27, vcc
; %bb.801:                              ;   in Loop: Header=BB35_778 Depth=3
	s_or_b64 exec, exec, s[52:53]
	v_and_b32_e32 v10, 0xffff0000, v10
	v_and_b32_e32 v14, 0xffff0000, v14
	v_max_f32_e32 v14, v14, v14
	v_max_f32_e32 v10, v10, v10
	v_min_f32_e32 v27, v10, v14
	v_max_f32_e32 v10, v10, v14
	v_cndmask_b32_e64 v14, v10, v27, s[28:29]
	v_and_b32_e32 v10, 0x7f800000, v14
	v_cmp_ne_u32_e32 vcc, s51, v10
                                        ; implicit-def: $vgpr10
	s_and_saveexec_b64 s[52:53], vcc
	s_xor_b64 vcc, exec, s[52:53]
; %bb.802:                              ;   in Loop: Header=BB35_778 Depth=3
	v_bfe_u32 v10, v14, 16, 1
	v_add3_u32 v10, v14, v10, s72
                                        ; implicit-def: $vgpr14
; %bb.803:                              ;   in Loop: Header=BB35_778 Depth=3
	s_andn2_saveexec_b64 s[52:53], vcc
; %bb.804:                              ;   in Loop: Header=BB35_778 Depth=3
	v_or_b32_e32 v10, 0x10000, v14
	v_cmp_eq_u32_sdwa vcc, v14, v3 src0_sel:WORD_0 src1_sel:DWORD
	s_nop 1
	v_cndmask_b32_e32 v10, v10, v14, vcc
; %bb.805:                              ;   in Loop: Header=BB35_778 Depth=3
	s_or_b64 exec, exec, s[52:53]
	v_lshlrev_b32_e32 v14, 16, v11
	v_lshlrev_b32_e32 v27, 16, v15
	v_max_f32_e32 v27, v27, v27
	v_max_f32_e32 v14, v14, v14
	v_min_f32_e32 v32, v14, v27
	v_max_f32_e32 v14, v14, v27
	v_cndmask_b32_e64 v27, v14, v32, s[28:29]
	v_and_b32_e32 v14, 0x7f800000, v27
	v_cmp_ne_u32_e32 vcc, s51, v14
                                        ; implicit-def: $vgpr14
	s_and_saveexec_b64 s[52:53], vcc
	s_xor_b64 vcc, exec, s[52:53]
; %bb.806:                              ;   in Loop: Header=BB35_778 Depth=3
	v_bfe_u32 v14, v27, 16, 1
	v_add3_u32 v14, v27, v14, s72
                                        ; implicit-def: $vgpr27
; %bb.807:                              ;   in Loop: Header=BB35_778 Depth=3
	s_andn2_saveexec_b64 s[52:53], vcc
; %bb.808:                              ;   in Loop: Header=BB35_778 Depth=3
	v_or_b32_e32 v14, 0x10000, v27
	v_cmp_eq_u32_sdwa vcc, v27, v3 src0_sel:WORD_0 src1_sel:DWORD
	s_nop 1
	v_cndmask_b32_e32 v14, v14, v27, vcc
; %bb.809:                              ;   in Loop: Header=BB35_778 Depth=3
	s_or_b64 exec, exec, s[52:53]
	v_and_b32_e32 v11, 0xffff0000, v11
	v_and_b32_e32 v15, 0xffff0000, v15
	v_max_f32_e32 v15, v15, v15
	v_max_f32_e32 v11, v11, v11
	v_min_f32_e32 v27, v11, v15
	v_max_f32_e32 v11, v11, v15
	v_cndmask_b32_e64 v15, v11, v27, s[28:29]
	v_and_b32_e32 v11, 0x7f800000, v15
	v_cmp_ne_u32_e32 vcc, s51, v11
                                        ; implicit-def: $vgpr11
	s_and_saveexec_b64 s[52:53], vcc
	s_xor_b64 vcc, exec, s[52:53]
; %bb.810:                              ;   in Loop: Header=BB35_778 Depth=3
	v_bfe_u32 v11, v15, 16, 1
	v_add3_u32 v11, v15, v11, s72
                                        ; implicit-def: $vgpr15
; %bb.811:                              ;   in Loop: Header=BB35_778 Depth=3
	s_andn2_saveexec_b64 s[52:53], vcc
; %bb.812:                              ;   in Loop: Header=BB35_778 Depth=3
	v_or_b32_e32 v11, 0x10000, v15
	v_cmp_eq_u32_sdwa vcc, v15, v3 src0_sel:WORD_0 src1_sel:DWORD
	s_nop 1
	v_cndmask_b32_e32 v11, v11, v15, vcc
; %bb.813:                              ;   in Loop: Header=BB35_778 Depth=3
	s_or_b64 exec, exec, s[52:53]
	v_lshrrev_b32_e32 v12, 16, v12
	v_and_or_b32 v9, v9, s73, v12
	v_lshrrev_b32_e32 v12, 16, v26
	v_and_or_b32 v8, v8, s73, v12
	;; [unrolled: 2-line block ×4, first 2 shown]
	scratch_store_dwordx4 off, v[8:11], s33 offset:224
	global_store_dwordx4 v[16:17], v[8:11], off
	scratch_load_dwordx2 v[8:9], off, s33 offset:312 ; 8-byte Folded Reload
	s_waitcnt vmcnt(0)
	v_lshl_add_u64 v[16:17], v[8:9], 0, v[16:17]
.LBB35_814:                             ;   in Loop: Header=BB35_778 Depth=3
	s_or_b64 exec, exec, s[40:41]
	scratch_load_dwordx2 v[8:9], off, s33 offset:256 ; 8-byte Folded Reload
	v_lshl_add_u64 v[18:19], v[18:19], 0, v[92:93]
	v_lshl_add_u64 v[20:21], v[20:21], 0, v[92:93]
	s_waitcnt vmcnt(0)
	v_sub_u32_e32 v6, v6, v8
	v_cmp_lt_i32_e64 s[52:53], 15, v6
	s_and_saveexec_b64 s[54:55], s[52:53]
	s_cbranch_execz .LBB35_817
; %bb.815:                              ;   in Loop: Header=BB35_778 Depth=3
	s_add_i32 s40, s33, 0xe0
	s_mov_b32 s13, s40
	s_mov_b64 s[40:41], 0
	s_mov_b64 s[64:65], -1
.LBB35_816:                             ;   Parent Loop BB35_47 Depth=1
                                        ;     Parent Loop BB35_296 Depth=2
                                        ;       Parent Loop BB35_778 Depth=3
                                        ; =>      This Inner Loop Header: Depth=4
	s_cmp_eq_u32 s40, 1
	s_cselect_b64 vcc, -1, 0
	v_cndmask_b32_e32 v13, v19, v21, vcc
	v_cndmask_b32_e32 v12, v18, v20, vcc
	global_load_dwordx4 v[8:11], v[12:13], off nt
	s_cmp_eq_u32 s40, 0
	s_cselect_b64 s[40:41], -1, 0
	s_waitcnt vmcnt(0)
	scratch_store_dwordx4 off, v[8:11], s13
	s_nop 1
	v_lshl_add_u64 v[8:9], v[12:13], 0, s[90:91]
	v_cndmask_b32_e64 v19, v19, v9, s[40:41]
	v_cndmask_b32_e64 v18, v18, v8, s[40:41]
	v_cndmask_b32_e32 v21, v21, v9, vcc
	v_cndmask_b32_e32 v20, v20, v8, vcc
	s_mov_b64 s[40:41], 1
	s_and_b64 vcc, exec, s[64:65]
	s_mov_b64 s[64:65], 0
	s_mov_b32 s13, s86
	s_cbranch_vccnz .LBB35_816
.LBB35_817:                             ;   in Loop: Header=BB35_778 Depth=3
	s_or_b64 exec, exec, s[54:55]
	scratch_load_dwordx4 v[8:11], off, s33 offset:192
	scratch_load_dwordx4 v[12:15], off, s33 offset:208
	s_waitcnt vmcnt(1)
	v_lshlrev_b32_e32 v26, 16, v8
	s_waitcnt vmcnt(0)
	v_lshlrev_b32_e32 v27, 16, v12
	v_max_f32_e32 v27, v27, v27
	v_max_f32_e32 v26, v26, v26
	v_min_f32_e32 v32, v26, v27
	v_max_f32_e32 v26, v26, v27
	v_cndmask_b32_e64 v27, v26, v32, s[28:29]
	v_and_b32_e32 v26, 0x7f800000, v27
	v_cmp_ne_u32_e32 vcc, s51, v26
                                        ; implicit-def: $vgpr26
	s_and_saveexec_b64 s[40:41], vcc
	s_xor_b64 s[40:41], exec, s[40:41]
; %bb.818:                              ;   in Loop: Header=BB35_778 Depth=3
	v_bfe_u32 v26, v27, 16, 1
	v_add3_u32 v26, v27, v26, s72
                                        ; implicit-def: $vgpr27
; %bb.819:                              ;   in Loop: Header=BB35_778 Depth=3
	s_andn2_saveexec_b64 s[40:41], s[40:41]
; %bb.820:                              ;   in Loop: Header=BB35_778 Depth=3
	v_or_b32_e32 v26, 0x10000, v27
	v_cmp_eq_u32_sdwa vcc, v27, v3 src0_sel:WORD_0 src1_sel:DWORD
	s_nop 1
	v_cndmask_b32_e32 v26, v26, v27, vcc
; %bb.821:                              ;   in Loop: Header=BB35_778 Depth=3
	s_or_b64 exec, exec, s[40:41]
	v_and_b32_e32 v8, 0xffff0000, v8
	v_and_b32_e32 v12, 0xffff0000, v12
	v_max_f32_e32 v12, v12, v12
	v_max_f32_e32 v8, v8, v8
	v_min_f32_e32 v27, v8, v12
	v_max_f32_e32 v8, v8, v12
	v_cndmask_b32_e64 v12, v8, v27, s[28:29]
	v_and_b32_e32 v8, 0x7f800000, v12
	v_cmp_ne_u32_e32 vcc, s51, v8
                                        ; implicit-def: $vgpr8
	s_and_saveexec_b64 s[40:41], vcc
	s_xor_b64 s[40:41], exec, s[40:41]
; %bb.822:                              ;   in Loop: Header=BB35_778 Depth=3
	v_bfe_u32 v8, v12, 16, 1
	v_add3_u32 v8, v12, v8, s72
                                        ; implicit-def: $vgpr12
; %bb.823:                              ;   in Loop: Header=BB35_778 Depth=3
	s_andn2_saveexec_b64 s[40:41], s[40:41]
; %bb.824:                              ;   in Loop: Header=BB35_778 Depth=3
	v_or_b32_e32 v8, 0x10000, v12
	v_cmp_eq_u32_sdwa vcc, v12, v3 src0_sel:WORD_0 src1_sel:DWORD
	s_nop 1
	v_cndmask_b32_e32 v8, v8, v12, vcc
; %bb.825:                              ;   in Loop: Header=BB35_778 Depth=3
	s_or_b64 exec, exec, s[40:41]
	v_lshlrev_b32_e32 v12, 16, v9
	v_lshlrev_b32_e32 v27, 16, v13
	v_max_f32_e32 v27, v27, v27
	v_max_f32_e32 v12, v12, v12
	v_min_f32_e32 v32, v12, v27
	v_max_f32_e32 v12, v12, v27
	v_cndmask_b32_e64 v27, v12, v32, s[28:29]
	v_and_b32_e32 v12, 0x7f800000, v27
	v_cmp_ne_u32_e32 vcc, s51, v12
                                        ; implicit-def: $vgpr12
	s_and_saveexec_b64 s[40:41], vcc
	s_xor_b64 s[40:41], exec, s[40:41]
; %bb.826:                              ;   in Loop: Header=BB35_778 Depth=3
	v_bfe_u32 v12, v27, 16, 1
	v_add3_u32 v12, v27, v12, s72
                                        ; implicit-def: $vgpr27
; %bb.827:                              ;   in Loop: Header=BB35_778 Depth=3
	s_andn2_saveexec_b64 s[40:41], s[40:41]
; %bb.828:                              ;   in Loop: Header=BB35_778 Depth=3
	v_or_b32_e32 v12, 0x10000, v27
	v_cmp_eq_u32_sdwa vcc, v27, v3 src0_sel:WORD_0 src1_sel:DWORD
	s_nop 1
	v_cndmask_b32_e32 v12, v12, v27, vcc
; %bb.829:                              ;   in Loop: Header=BB35_778 Depth=3
	s_or_b64 exec, exec, s[40:41]
	v_and_b32_e32 v9, 0xffff0000, v9
	v_and_b32_e32 v13, 0xffff0000, v13
	v_max_f32_e32 v13, v13, v13
	v_max_f32_e32 v9, v9, v9
	v_min_f32_e32 v27, v9, v13
	v_max_f32_e32 v9, v9, v13
	v_cndmask_b32_e64 v13, v9, v27, s[28:29]
	v_and_b32_e32 v9, 0x7f800000, v13
	v_cmp_ne_u32_e32 vcc, s51, v9
                                        ; implicit-def: $vgpr9
	s_and_saveexec_b64 s[40:41], vcc
	s_xor_b64 s[40:41], exec, s[40:41]
; %bb.830:                              ;   in Loop: Header=BB35_778 Depth=3
	v_bfe_u32 v9, v13, 16, 1
	v_add3_u32 v9, v13, v9, s72
                                        ; implicit-def: $vgpr13
; %bb.831:                              ;   in Loop: Header=BB35_778 Depth=3
	s_andn2_saveexec_b64 s[40:41], s[40:41]
; %bb.832:                              ;   in Loop: Header=BB35_778 Depth=3
	v_or_b32_e32 v9, 0x10000, v13
	v_cmp_eq_u32_sdwa vcc, v13, v3 src0_sel:WORD_0 src1_sel:DWORD
	s_nop 1
	v_cndmask_b32_e32 v9, v9, v13, vcc
; %bb.833:                              ;   in Loop: Header=BB35_778 Depth=3
	s_or_b64 exec, exec, s[40:41]
	v_lshlrev_b32_e32 v13, 16, v10
	v_lshlrev_b32_e32 v27, 16, v14
	v_max_f32_e32 v27, v27, v27
	v_max_f32_e32 v13, v13, v13
	v_min_f32_e32 v32, v13, v27
	v_max_f32_e32 v13, v13, v27
	v_cndmask_b32_e64 v27, v13, v32, s[28:29]
	v_and_b32_e32 v13, 0x7f800000, v27
	v_cmp_ne_u32_e32 vcc, s51, v13
                                        ; implicit-def: $vgpr13
	s_and_saveexec_b64 s[40:41], vcc
	s_xor_b64 s[40:41], exec, s[40:41]
; %bb.834:                              ;   in Loop: Header=BB35_778 Depth=3
	v_bfe_u32 v13, v27, 16, 1
	v_add3_u32 v13, v27, v13, s72
                                        ; implicit-def: $vgpr27
; %bb.835:                              ;   in Loop: Header=BB35_778 Depth=3
	s_andn2_saveexec_b64 s[40:41], s[40:41]
; %bb.836:                              ;   in Loop: Header=BB35_778 Depth=3
	v_or_b32_e32 v13, 0x10000, v27
	v_cmp_eq_u32_sdwa vcc, v27, v3 src0_sel:WORD_0 src1_sel:DWORD
	s_nop 1
	v_cndmask_b32_e32 v13, v13, v27, vcc
; %bb.837:                              ;   in Loop: Header=BB35_778 Depth=3
	s_or_b64 exec, exec, s[40:41]
	v_and_b32_e32 v10, 0xffff0000, v10
	v_and_b32_e32 v14, 0xffff0000, v14
	v_max_f32_e32 v14, v14, v14
	v_max_f32_e32 v10, v10, v10
	v_min_f32_e32 v27, v10, v14
	v_max_f32_e32 v10, v10, v14
	v_cndmask_b32_e64 v14, v10, v27, s[28:29]
	v_and_b32_e32 v10, 0x7f800000, v14
	v_cmp_ne_u32_e32 vcc, s51, v10
                                        ; implicit-def: $vgpr10
	s_and_saveexec_b64 s[40:41], vcc
	s_xor_b64 s[40:41], exec, s[40:41]
; %bb.838:                              ;   in Loop: Header=BB35_778 Depth=3
	v_bfe_u32 v10, v14, 16, 1
	v_add3_u32 v10, v14, v10, s72
                                        ; implicit-def: $vgpr14
; %bb.839:                              ;   in Loop: Header=BB35_778 Depth=3
	s_andn2_saveexec_b64 s[40:41], s[40:41]
; %bb.840:                              ;   in Loop: Header=BB35_778 Depth=3
	v_or_b32_e32 v10, 0x10000, v14
	v_cmp_eq_u32_sdwa vcc, v14, v3 src0_sel:WORD_0 src1_sel:DWORD
	s_nop 1
	v_cndmask_b32_e32 v10, v10, v14, vcc
; %bb.841:                              ;   in Loop: Header=BB35_778 Depth=3
	s_or_b64 exec, exec, s[40:41]
	v_lshlrev_b32_e32 v14, 16, v11
	v_lshlrev_b32_e32 v27, 16, v15
	v_max_f32_e32 v27, v27, v27
	v_max_f32_e32 v14, v14, v14
	v_min_f32_e32 v32, v14, v27
	v_max_f32_e32 v14, v14, v27
	v_cndmask_b32_e64 v27, v14, v32, s[28:29]
	v_and_b32_e32 v14, 0x7f800000, v27
	v_cmp_ne_u32_e32 vcc, s51, v14
                                        ; implicit-def: $vgpr14
	s_and_saveexec_b64 s[40:41], vcc
	s_xor_b64 s[40:41], exec, s[40:41]
; %bb.842:                              ;   in Loop: Header=BB35_778 Depth=3
	v_bfe_u32 v14, v27, 16, 1
	v_add3_u32 v14, v27, v14, s72
                                        ; implicit-def: $vgpr27
; %bb.843:                              ;   in Loop: Header=BB35_778 Depth=3
	s_andn2_saveexec_b64 s[40:41], s[40:41]
; %bb.844:                              ;   in Loop: Header=BB35_778 Depth=3
	v_or_b32_e32 v14, 0x10000, v27
	v_cmp_eq_u32_sdwa vcc, v27, v3 src0_sel:WORD_0 src1_sel:DWORD
	s_nop 1
	v_cndmask_b32_e32 v14, v14, v27, vcc
; %bb.845:                              ;   in Loop: Header=BB35_778 Depth=3
	s_or_b64 exec, exec, s[40:41]
	v_and_b32_e32 v11, 0xffff0000, v11
	v_and_b32_e32 v15, 0xffff0000, v15
	v_max_f32_e32 v15, v15, v15
	v_max_f32_e32 v11, v11, v11
	v_min_f32_e32 v27, v11, v15
	v_max_f32_e32 v11, v11, v15
	v_cndmask_b32_e64 v15, v11, v27, s[28:29]
	v_and_b32_e32 v11, 0x7f800000, v15
	v_cmp_ne_u32_e32 vcc, s51, v11
                                        ; implicit-def: $vgpr11
	s_and_saveexec_b64 s[40:41], vcc
	s_xor_b64 s[40:41], exec, s[40:41]
; %bb.846:                              ;   in Loop: Header=BB35_778 Depth=3
	v_bfe_u32 v11, v15, 16, 1
	v_add3_u32 v11, v15, v11, s72
                                        ; implicit-def: $vgpr15
; %bb.847:                              ;   in Loop: Header=BB35_778 Depth=3
	s_andn2_saveexec_b64 s[40:41], s[40:41]
; %bb.848:                              ;   in Loop: Header=BB35_778 Depth=3
	v_or_b32_e32 v11, 0x10000, v15
	v_cmp_eq_u32_sdwa vcc, v15, v3 src0_sel:WORD_0 src1_sel:DWORD
	s_nop 1
	v_cndmask_b32_e32 v11, v11, v15, vcc
; %bb.849:                              ;   in Loop: Header=BB35_778 Depth=3
	s_or_b64 exec, exec, s[40:41]
	v_lshrrev_b32_e32 v12, 16, v12
	v_and_or_b32 v9, v9, s73, v12
	v_lshrrev_b32_e32 v12, 16, v26
	v_and_or_b32 v8, v8, s73, v12
	;; [unrolled: 2-line block ×4, first 2 shown]
	v_sub_u32_e32 v25, v25, v60
	scratch_store_dwordx4 off, v[8:11], s33 offset:192
	global_store_dwordx4 v[16:17], v[8:11], off
	v_lshl_add_u64 v[16:17], v[16:17], 0, s[90:91]
	s_and_saveexec_b64 s[40:41], s[52:53]
	s_cbranch_execz .LBB35_777
; %bb.850:                              ;   in Loop: Header=BB35_778 Depth=3
	scratch_load_dwordx2 v[8:9], off, s33 offset:256 ; 8-byte Folded Reload
	v_lshl_add_u64 v[18:19], v[18:19], 0, v[92:93]
	v_lshl_add_u64 v[20:21], v[20:21], 0, v[92:93]
	;; [unrolled: 1-line block ×3, first 2 shown]
	v_sub_u32_e32 v25, v25, v60
	s_waitcnt vmcnt(0)
	v_sub_u32_e32 v6, v6, v8
	s_branch .LBB35_777
.LBB35_851:                             ;   in Loop: Header=BB35_296 Depth=2
	s_or_b64 exec, exec, s[60:61]
	s_and_b64 s[28:29], s[62:63], exec
.LBB35_852:                             ;   in Loop: Header=BB35_296 Depth=2
	s_or_b64 exec, exec, s[58:59]
	s_and_saveexec_b64 s[40:41], s[28:29]
	s_cbranch_execz .LBB35_886
; %bb.853:                              ;   in Loop: Header=BB35_296 Depth=2
	scratch_load_dwordx4 v[8:11], off, s33 offset:224
	scratch_load_dwordx4 v[12:15], off, s33 offset:240
	s_and_b32 s13, 0xffff, s12
	s_cmp_eq_u32 s13, 0
	s_cselect_b64 vcc, -1, 0
	s_waitcnt vmcnt(1)
	v_lshlrev_b32_e32 v6, 16, v8
	s_waitcnt vmcnt(0)
	v_lshlrev_b32_e32 v18, 16, v12
	v_max_f32_e32 v18, v18, v18
	v_max_f32_e32 v6, v6, v6
	v_min_f32_e32 v19, v6, v18
	v_max_f32_e32 v6, v6, v18
	v_cndmask_b32_e32 v18, v6, v19, vcc
	v_and_b32_e32 v6, 0x7f800000, v18
	v_cmp_ne_u32_e64 s[28:29], s51, v6
                                        ; implicit-def: $vgpr6
	s_and_saveexec_b64 s[58:59], s[28:29]
	s_xor_b64 s[28:29], exec, s[58:59]
; %bb.854:                              ;   in Loop: Header=BB35_296 Depth=2
	v_bfe_u32 v6, v18, 16, 1
	v_add3_u32 v6, v18, v6, s72
                                        ; implicit-def: $vgpr18
; %bb.855:                              ;   in Loop: Header=BB35_296 Depth=2
	s_andn2_saveexec_b64 s[58:59], s[28:29]
; %bb.856:                              ;   in Loop: Header=BB35_296 Depth=2
	v_or_b32_e32 v6, 0x10000, v18
	v_cmp_eq_u32_sdwa s[28:29], v18, v3 src0_sel:WORD_0 src1_sel:DWORD
	s_nop 1
	v_cndmask_b32_e64 v6, v6, v18, s[28:29]
; %bb.857:                              ;   in Loop: Header=BB35_296 Depth=2
	s_or_b64 exec, exec, s[58:59]
	v_and_b32_e32 v8, 0xffff0000, v8
	v_and_b32_e32 v12, 0xffff0000, v12
	v_max_f32_e32 v12, v12, v12
	v_max_f32_e32 v8, v8, v8
	v_min_f32_e32 v18, v8, v12
	v_max_f32_e32 v8, v8, v12
	v_cndmask_b32_e32 v12, v8, v18, vcc
	v_and_b32_e32 v8, 0x7f800000, v12
	v_cmp_ne_u32_e64 s[28:29], s51, v8
                                        ; implicit-def: $vgpr8
	s_and_saveexec_b64 s[58:59], s[28:29]
	s_xor_b64 s[28:29], exec, s[58:59]
; %bb.858:                              ;   in Loop: Header=BB35_296 Depth=2
	v_bfe_u32 v8, v12, 16, 1
	v_add3_u32 v8, v12, v8, s72
                                        ; implicit-def: $vgpr12
; %bb.859:                              ;   in Loop: Header=BB35_296 Depth=2
	s_andn2_saveexec_b64 s[58:59], s[28:29]
; %bb.860:                              ;   in Loop: Header=BB35_296 Depth=2
	v_or_b32_e32 v8, 0x10000, v12
	v_cmp_eq_u32_sdwa s[28:29], v12, v3 src0_sel:WORD_0 src1_sel:DWORD
	s_nop 1
	v_cndmask_b32_e64 v8, v8, v12, s[28:29]
; %bb.861:                              ;   in Loop: Header=BB35_296 Depth=2
	s_or_b64 exec, exec, s[58:59]
	v_lshlrev_b32_e32 v12, 16, v9
	v_lshlrev_b32_e32 v18, 16, v13
	v_max_f32_e32 v18, v18, v18
	v_max_f32_e32 v12, v12, v12
	v_min_f32_e32 v19, v12, v18
	v_max_f32_e32 v12, v12, v18
	v_cndmask_b32_e32 v18, v12, v19, vcc
	v_and_b32_e32 v12, 0x7f800000, v18
	v_cmp_ne_u32_e64 s[28:29], s51, v12
                                        ; implicit-def: $vgpr12
	s_and_saveexec_b64 s[58:59], s[28:29]
	s_xor_b64 s[28:29], exec, s[58:59]
; %bb.862:                              ;   in Loop: Header=BB35_296 Depth=2
	v_bfe_u32 v12, v18, 16, 1
	v_add3_u32 v12, v18, v12, s72
                                        ; implicit-def: $vgpr18
; %bb.863:                              ;   in Loop: Header=BB35_296 Depth=2
	s_andn2_saveexec_b64 s[58:59], s[28:29]
; %bb.864:                              ;   in Loop: Header=BB35_296 Depth=2
	v_or_b32_e32 v12, 0x10000, v18
	v_cmp_eq_u32_sdwa s[28:29], v18, v3 src0_sel:WORD_0 src1_sel:DWORD
	s_nop 1
	v_cndmask_b32_e64 v12, v12, v18, s[28:29]
; %bb.865:                              ;   in Loop: Header=BB35_296 Depth=2
	s_or_b64 exec, exec, s[58:59]
	v_and_b32_e32 v9, 0xffff0000, v9
	v_and_b32_e32 v13, 0xffff0000, v13
	v_max_f32_e32 v13, v13, v13
	v_max_f32_e32 v9, v9, v9
	v_min_f32_e32 v18, v9, v13
	v_max_f32_e32 v9, v9, v13
	v_cndmask_b32_e32 v13, v9, v18, vcc
	v_and_b32_e32 v9, 0x7f800000, v13
	v_cmp_ne_u32_e64 s[28:29], s51, v9
                                        ; implicit-def: $vgpr9
	s_and_saveexec_b64 s[58:59], s[28:29]
	s_xor_b64 s[28:29], exec, s[58:59]
; %bb.866:                              ;   in Loop: Header=BB35_296 Depth=2
	v_bfe_u32 v9, v13, 16, 1
	v_add3_u32 v9, v13, v9, s72
                                        ; implicit-def: $vgpr13
; %bb.867:                              ;   in Loop: Header=BB35_296 Depth=2
	s_andn2_saveexec_b64 s[58:59], s[28:29]
; %bb.868:                              ;   in Loop: Header=BB35_296 Depth=2
	v_or_b32_e32 v9, 0x10000, v13
	v_cmp_eq_u32_sdwa s[28:29], v13, v3 src0_sel:WORD_0 src1_sel:DWORD
	s_nop 1
	v_cndmask_b32_e64 v9, v9, v13, s[28:29]
; %bb.869:                              ;   in Loop: Header=BB35_296 Depth=2
	s_or_b64 exec, exec, s[58:59]
	v_lshlrev_b32_e32 v13, 16, v10
	v_lshlrev_b32_e32 v18, 16, v14
	v_max_f32_e32 v18, v18, v18
	v_max_f32_e32 v13, v13, v13
	v_min_f32_e32 v19, v13, v18
	v_max_f32_e32 v13, v13, v18
	v_cndmask_b32_e32 v18, v13, v19, vcc
	v_and_b32_e32 v13, 0x7f800000, v18
	v_cmp_ne_u32_e64 s[28:29], s51, v13
                                        ; implicit-def: $vgpr13
	s_and_saveexec_b64 s[58:59], s[28:29]
	s_xor_b64 s[28:29], exec, s[58:59]
; %bb.870:                              ;   in Loop: Header=BB35_296 Depth=2
	v_bfe_u32 v13, v18, 16, 1
	v_add3_u32 v13, v18, v13, s72
                                        ; implicit-def: $vgpr18
; %bb.871:                              ;   in Loop: Header=BB35_296 Depth=2
	s_andn2_saveexec_b64 s[58:59], s[28:29]
; %bb.872:                              ;   in Loop: Header=BB35_296 Depth=2
	v_or_b32_e32 v13, 0x10000, v18
	v_cmp_eq_u32_sdwa s[28:29], v18, v3 src0_sel:WORD_0 src1_sel:DWORD
	s_nop 1
	v_cndmask_b32_e64 v13, v13, v18, s[28:29]
; %bb.873:                              ;   in Loop: Header=BB35_296 Depth=2
	s_or_b64 exec, exec, s[58:59]
	v_and_b32_e32 v10, 0xffff0000, v10
	v_and_b32_e32 v14, 0xffff0000, v14
	v_max_f32_e32 v14, v14, v14
	v_max_f32_e32 v10, v10, v10
	v_min_f32_e32 v18, v10, v14
	v_max_f32_e32 v10, v10, v14
	v_cndmask_b32_e32 v14, v10, v18, vcc
	v_and_b32_e32 v10, 0x7f800000, v14
	v_cmp_ne_u32_e64 s[28:29], s51, v10
                                        ; implicit-def: $vgpr10
	s_and_saveexec_b64 s[58:59], s[28:29]
	s_xor_b64 s[28:29], exec, s[58:59]
; %bb.874:                              ;   in Loop: Header=BB35_296 Depth=2
	v_bfe_u32 v10, v14, 16, 1
	v_add3_u32 v10, v14, v10, s72
                                        ; implicit-def: $vgpr14
; %bb.875:                              ;   in Loop: Header=BB35_296 Depth=2
	s_andn2_saveexec_b64 s[58:59], s[28:29]
; %bb.876:                              ;   in Loop: Header=BB35_296 Depth=2
	v_or_b32_e32 v10, 0x10000, v14
	v_cmp_eq_u32_sdwa s[28:29], v14, v3 src0_sel:WORD_0 src1_sel:DWORD
	s_nop 1
	v_cndmask_b32_e64 v10, v10, v14, s[28:29]
; %bb.877:                              ;   in Loop: Header=BB35_296 Depth=2
	s_or_b64 exec, exec, s[58:59]
	v_lshlrev_b32_e32 v14, 16, v11
	v_lshlrev_b32_e32 v18, 16, v15
	v_max_f32_e32 v18, v18, v18
	v_max_f32_e32 v14, v14, v14
	v_min_f32_e32 v19, v14, v18
	v_max_f32_e32 v14, v14, v18
	v_cndmask_b32_e32 v18, v14, v19, vcc
	v_and_b32_e32 v14, 0x7f800000, v18
	v_cmp_ne_u32_e64 s[28:29], s51, v14
                                        ; implicit-def: $vgpr14
	s_and_saveexec_b64 s[58:59], s[28:29]
	s_xor_b64 s[28:29], exec, s[58:59]
; %bb.878:                              ;   in Loop: Header=BB35_296 Depth=2
	v_bfe_u32 v14, v18, 16, 1
	v_add3_u32 v14, v18, v14, s72
                                        ; implicit-def: $vgpr18
; %bb.879:                              ;   in Loop: Header=BB35_296 Depth=2
	s_andn2_saveexec_b64 s[58:59], s[28:29]
; %bb.880:                              ;   in Loop: Header=BB35_296 Depth=2
	v_or_b32_e32 v14, 0x10000, v18
	v_cmp_eq_u32_sdwa s[28:29], v18, v3 src0_sel:WORD_0 src1_sel:DWORD
	s_nop 1
	v_cndmask_b32_e64 v14, v14, v18, s[28:29]
; %bb.881:                              ;   in Loop: Header=BB35_296 Depth=2
	s_or_b64 exec, exec, s[58:59]
	v_and_b32_e32 v11, 0xffff0000, v11
	v_and_b32_e32 v15, 0xffff0000, v15
	v_max_f32_e32 v15, v15, v15
	v_max_f32_e32 v11, v11, v11
	v_min_f32_e32 v18, v11, v15
	v_max_f32_e32 v11, v11, v15
	v_cndmask_b32_e32 v15, v11, v18, vcc
	v_and_b32_e32 v11, 0x7f800000, v15
	v_cmp_ne_u32_e32 vcc, s51, v11
                                        ; implicit-def: $vgpr11
	s_and_saveexec_b64 s[28:29], vcc
	s_xor_b64 s[28:29], exec, s[28:29]
; %bb.882:                              ;   in Loop: Header=BB35_296 Depth=2
	v_bfe_u32 v11, v15, 16, 1
	v_add3_u32 v11, v15, v11, s72
                                        ; implicit-def: $vgpr15
; %bb.883:                              ;   in Loop: Header=BB35_296 Depth=2
	s_andn2_saveexec_b64 s[28:29], s[28:29]
; %bb.884:                              ;   in Loop: Header=BB35_296 Depth=2
	v_or_b32_e32 v11, 0x10000, v15
	v_cmp_eq_u32_sdwa vcc, v15, v3 src0_sel:WORD_0 src1_sel:DWORD
	s_nop 1
	v_cndmask_b32_e32 v11, v11, v15, vcc
; %bb.885:                              ;   in Loop: Header=BB35_296 Depth=2
	s_or_b64 exec, exec, s[28:29]
	v_lshrrev_b32_e32 v6, 16, v6
	v_and_or_b32 v8, v8, s73, v6
	v_lshrrev_b32_e32 v6, 16, v13
	v_lshrrev_b32_e32 v12, 16, v12
	v_and_or_b32 v10, v10, s73, v6
	v_lshrrev_b32_e32 v6, 16, v14
	v_and_or_b32 v9, v9, s73, v12
	v_and_or_b32 v11, v11, s73, v6
	global_store_dwordx4 v[16:17], v[8:11], off
.LBB35_886:                             ;   in Loop: Header=BB35_296 Depth=2
	s_or_b64 exec, exec, s[40:41]
	s_nop 0
	v_and_b32_e32 v9, 14, v29
	v_cndmask_b32_e64 v29, v24, v9, s[26:27]
	v_cmp_ne_u32_e32 vcc, 0, v29
	s_mov_b64 s[40:41], s[46:47]
                                        ; implicit-def: $vgpr6
                                        ; implicit-def: $vgpr8
                                        ; implicit-def: $vgpr14
	s_and_saveexec_b64 s[28:29], vcc
	s_cbranch_execz .LBB35_888
; %bb.887:                              ;   in Loop: Header=BB35_296 Depth=2
	v_cmp_lt_i32_e32 vcc, 0, v25
	v_sub_u32_e32 v6, v24, v9
	v_cndmask_b32_e64 v6, 0, v6, s[26:27]
	v_cndmask_b32_e32 v8, 0, v60, vcc
	v_sub_u32_e32 v8, v8, v25
	v_lshl_add_u32 v8, v8, 6, v7
	v_ashrrev_i32_e32 v7, 31, v8
	v_lshrrev_b32_e32 v7, 26, v7
	v_add_u32_e32 v7, v8, v7
	v_and_b32_e32 v7, 0xffffffc0, v7
	v_add3_u32 v6, v23, v22, v6
	v_sub_u32_e32 v14, v8, v7
	s_or_b64 s[40:41], s[46:47], exec
.LBB35_888:                             ;   in Loop: Header=BB35_296 Depth=2
	s_or_b64 exec, exec, s[28:29]
	s_andn2_b64 s[26:27], s[46:47], exec
	s_and_b64 s[28:29], s[40:41], exec
	s_or_b64 s[46:47], s[26:27], s[28:29]
.LBB35_889:                             ;   in Loop: Header=BB35_296 Depth=2
	s_or_b64 exec, exec, s[56:57]
	s_and_saveexec_b64 s[56:57], s[46:47]
	s_cbranch_execz .LBB35_1117
.LBB35_890:                             ;   in Loop: Header=BB35_296 Depth=2
	v_ashrrev_i32_e32 v7, 31, v8
	v_lshrrev_b32_e32 v7, 26, v7
	v_add_u32_e32 v7, v8, v7
	v_ashrrev_i32_e32 v8, 6, v7
	v_lshlrev_b32_e32 v7, 11, v8
	v_lshlrev_b32_e32 v9, 1, v14
	v_add3_u32 v12, v6, v9, v7
	v_ashrrev_i32_e32 v7, 31, v29
	v_lshrrev_b32_e32 v7, 21, v7
	v_add_u32_e32 v7, v29, v7
	v_ashrrev_i32_e32 v7, 11, v7
	v_ashrrev_i32_e32 v13, 31, v12
	v_sub_u32_e32 v15, v7, v8
	v_lshl_add_u64 v[8:9], v[58:59], 0, v[12:13]
	v_cmp_lt_i32_e32 vcc, 0, v15
	v_mov_b32_e32 v99, 0
	s_mov_b64 s[26:27], 0
	v_mov_b32_e32 v96, 0
	v_mov_b32_e32 v85, 0
	;; [unrolled: 1-line block ×31, first 2 shown]
	s_and_saveexec_b64 s[28:29], vcc
	s_cbranch_execz .LBB35_1026
; %bb.891:                              ;   in Loop: Header=BB35_296 Depth=2
	s_trap 2
	ds_read_b64 v[16:17], v0
	s_and_b32 s13, s12, 0xff
	s_cmp_eq_u32 s13, 0
	v_lshl_add_u64 v[10:11], v[12:13], 0, v[0:1]
	s_mov_b64 s[58:59], 0
	s_waitcnt lgkmcnt(0)
	v_lshl_add_u64 v[12:13], v[16:17], 0, v[12:13]
	s_mov_b64 s[46:47], 0
	s_cselect_b64 vcc, -1, 0
                                        ; implicit-def: $sgpr40_sgpr41
                                        ; implicit-def: $vgpr115
                                        ; implicit-def: $vgpr112
                                        ; implicit-def: $vgpr101
                                        ; implicit-def: $vgpr98
                                        ; implicit-def: $vgpr86
                                        ; implicit-def: $vgpr83
                                        ; implicit-def: $vgpr80
                                        ; implicit-def: $vgpr69
                                        ; implicit-def: $vgpr66
                                        ; implicit-def: $vgpr55
                                        ; implicit-def: $vgpr51
                                        ; implicit-def: $vgpr48
                                        ; implicit-def: $vgpr39
                                        ; implicit-def: $vgpr38
                                        ; implicit-def: $vgpr37
                                        ; implicit-def: $vgpr36
                                        ; implicit-def: $vgpr16
                                        ; implicit-def: $vgpr17
                                        ; implicit-def: $vgpr18
                                        ; implicit-def: $vgpr19
                                        ; implicit-def: $vgpr20
                                        ; implicit-def: $vgpr21
                                        ; implicit-def: $vgpr22
                                        ; implicit-def: $vgpr23
                                        ; implicit-def: $vgpr24
                                        ; implicit-def: $vgpr25
                                        ; implicit-def: $vgpr26
                                        ; implicit-def: $vgpr27
                                        ; implicit-def: $vgpr32
                                        ; implicit-def: $vgpr33
                                        ; implicit-def: $vgpr34
                                        ; implicit-def: $vgpr35
	s_branch .LBB35_893
.LBB35_892:                             ;   in Loop: Header=BB35_893 Depth=3
	s_or_b64 exec, exec, s[60:61]
	flat_store_short_d16_hi v[8:9], v88 nt
	flat_store_short_d16_hi v[8:9], v74 offset:128 nt
	flat_store_short_d16_hi v[8:9], v44 offset:256 nt
	;; [unrolled: 1-line block ×15, first 2 shown]
	v_mov_b32_e32 v49, 0x800
	v_cndmask_b32_e64 v70, v49, v120, s[58:59]
	v_cndmask_b32_e64 v49, 0, v60, s[58:59]
	v_sub_u32_e32 v15, v15, v49
	v_cmp_gt_i32_e64 s[26:27], 1, v15
	s_or_b64 s[46:47], s[26:27], s[46:47]
	v_lshl_add_u64 v[52:53], v[10:11], 0, v[94:95]
	v_lshl_add_u64 v[64:65], v[12:13], 0, v[94:95]
	v_cndmask_b32_e64 v71, 0, v121, s[58:59]
	s_andn2_b64 s[26:27], s[40:41], exec
	s_and_b64 s[40:41], s[58:59], exec
	v_lshl_add_u64 v[8:9], v[8:9], 0, v[70:71]
	v_cndmask_b32_e64 v11, v11, v53, s[58:59]
	v_cndmask_b32_e64 v10, v10, v52, s[58:59]
	;; [unrolled: 1-line block ×4, first 2 shown]
	s_or_b64 s[40:41], s[26:27], s[40:41]
	s_andn2_b64 exec, exec, s[46:47]
	s_cbranch_execz .LBB35_1025
.LBB35_893:                             ;   Parent Loop BB35_47 Depth=1
                                        ;     Parent Loop BB35_296 Depth=2
                                        ; =>    This Inner Loop Header: Depth=3
	flat_load_ushort v108, v[10:11] nt
	flat_load_ushort v74, v[10:11] offset:128 nt
	flat_load_ushort v44, v[10:11] offset:256 nt
	;; [unrolled: 1-line block ×15, first 2 shown]
	flat_load_ushort v109, v[12:13] nt
	flat_load_ushort v75, v[12:13] offset:128 nt
	flat_load_ushort v45, v[12:13] offset:256 nt
	;; [unrolled: 1-line block ×15, first 2 shown]
	s_and_saveexec_b64 s[60:61], s[58:59]
	s_cbranch_execz .LBB35_959
; %bb.894:                              ;   in Loop: Header=BB35_893 Depth=3
	v_lshlrev_b32_e32 v115, 16, v115
	v_lshlrev_b32_e32 v118, 16, v16
	v_max_f32_e32 v118, v118, v118
	v_max_f32_e32 v115, v115, v115
	v_min_f32_e32 v119, v115, v118
	v_max_f32_e32 v115, v115, v118
	v_cndmask_b32_e32 v118, v115, v119, vcc
	v_and_b32_e32 v115, 0x7f800000, v118
	v_cmp_ne_u32_e64 s[26:27], s51, v115
                                        ; implicit-def: $vgpr115
	s_and_saveexec_b64 s[58:59], s[26:27]
	s_xor_b64 s[26:27], exec, s[58:59]
; %bb.895:                              ;   in Loop: Header=BB35_893 Depth=3
	v_bfe_u32 v115, v118, 16, 1
	v_add3_u32 v115, v118, v115, s72
                                        ; implicit-def: $vgpr118
; %bb.896:                              ;   in Loop: Header=BB35_893 Depth=3
	s_andn2_saveexec_b64 s[58:59], s[26:27]
; %bb.897:                              ;   in Loop: Header=BB35_893 Depth=3
	v_or_b32_e32 v115, 0x10000, v118
	v_cmp_eq_u32_sdwa s[26:27], v118, v3 src0_sel:WORD_0 src1_sel:DWORD
	s_nop 1
	v_cndmask_b32_e64 v115, v115, v118, s[26:27]
; %bb.898:                              ;   in Loop: Header=BB35_893 Depth=3
	s_or_b64 exec, exec, s[58:59]
	v_lshlrev_b32_e32 v112, 16, v112
	v_lshlrev_b32_e32 v118, 16, v17
	v_max_f32_e32 v118, v118, v118
	v_max_f32_e32 v112, v112, v112
	v_min_f32_e32 v119, v112, v118
	v_max_f32_e32 v112, v112, v118
	v_cndmask_b32_e32 v118, v112, v119, vcc
	v_and_b32_e32 v112, 0x7f800000, v118
	v_cmp_ne_u32_e64 s[26:27], s51, v112
                                        ; implicit-def: $vgpr112
	s_and_saveexec_b64 s[58:59], s[26:27]
	s_xor_b64 s[26:27], exec, s[58:59]
; %bb.899:                              ;   in Loop: Header=BB35_893 Depth=3
	v_bfe_u32 v112, v118, 16, 1
	v_add3_u32 v112, v118, v112, s72
                                        ; implicit-def: $vgpr118
; %bb.900:                              ;   in Loop: Header=BB35_893 Depth=3
	s_andn2_saveexec_b64 s[58:59], s[26:27]
; %bb.901:                              ;   in Loop: Header=BB35_893 Depth=3
	v_or_b32_e32 v112, 0x10000, v118
	v_cmp_eq_u32_sdwa s[26:27], v118, v3 src0_sel:WORD_0 src1_sel:DWORD
	s_nop 1
	v_cndmask_b32_e64 v112, v112, v118, s[26:27]
; %bb.902:                              ;   in Loop: Header=BB35_893 Depth=3
	s_or_b64 exec, exec, s[58:59]
	v_lshlrev_b32_e32 v101, 16, v101
	v_lshlrev_b32_e32 v118, 16, v18
	v_max_f32_e32 v118, v118, v118
	v_max_f32_e32 v101, v101, v101
	v_min_f32_e32 v119, v101, v118
	v_max_f32_e32 v101, v101, v118
	v_cndmask_b32_e32 v118, v101, v119, vcc
	v_and_b32_e32 v101, 0x7f800000, v118
	v_cmp_ne_u32_e64 s[26:27], s51, v101
                                        ; implicit-def: $vgpr101
	s_and_saveexec_b64 s[58:59], s[26:27]
	s_xor_b64 s[26:27], exec, s[58:59]
; %bb.903:                              ;   in Loop: Header=BB35_893 Depth=3
	v_bfe_u32 v101, v118, 16, 1
	v_add3_u32 v101, v118, v101, s72
                                        ; implicit-def: $vgpr118
; %bb.904:                              ;   in Loop: Header=BB35_893 Depth=3
	s_andn2_saveexec_b64 s[58:59], s[26:27]
; %bb.905:                              ;   in Loop: Header=BB35_893 Depth=3
	v_or_b32_e32 v101, 0x10000, v118
	v_cmp_eq_u32_sdwa s[26:27], v118, v3 src0_sel:WORD_0 src1_sel:DWORD
	s_nop 1
	v_cndmask_b32_e64 v101, v101, v118, s[26:27]
; %bb.906:                              ;   in Loop: Header=BB35_893 Depth=3
	s_or_b64 exec, exec, s[58:59]
	v_lshlrev_b32_e32 v98, 16, v98
	v_lshlrev_b32_e32 v118, 16, v19
	v_max_f32_e32 v118, v118, v118
	v_max_f32_e32 v98, v98, v98
	v_min_f32_e32 v119, v98, v118
	v_max_f32_e32 v98, v98, v118
	v_cndmask_b32_e32 v118, v98, v119, vcc
	v_and_b32_e32 v98, 0x7f800000, v118
	v_cmp_ne_u32_e64 s[26:27], s51, v98
                                        ; implicit-def: $vgpr98
	s_and_saveexec_b64 s[58:59], s[26:27]
	s_xor_b64 s[26:27], exec, s[58:59]
; %bb.907:                              ;   in Loop: Header=BB35_893 Depth=3
	v_bfe_u32 v98, v118, 16, 1
	v_add3_u32 v98, v118, v98, s72
                                        ; implicit-def: $vgpr118
; %bb.908:                              ;   in Loop: Header=BB35_893 Depth=3
	s_andn2_saveexec_b64 s[58:59], s[26:27]
; %bb.909:                              ;   in Loop: Header=BB35_893 Depth=3
	v_or_b32_e32 v98, 0x10000, v118
	v_cmp_eq_u32_sdwa s[26:27], v118, v3 src0_sel:WORD_0 src1_sel:DWORD
	s_nop 1
	v_cndmask_b32_e64 v98, v98, v118, s[26:27]
; %bb.910:                              ;   in Loop: Header=BB35_893 Depth=3
	s_or_b64 exec, exec, s[58:59]
	v_lshlrev_b32_e32 v86, 16, v86
	v_lshlrev_b32_e32 v118, 16, v20
	v_max_f32_e32 v118, v118, v118
	v_max_f32_e32 v86, v86, v86
	v_min_f32_e32 v119, v86, v118
	v_max_f32_e32 v86, v86, v118
	v_cndmask_b32_e32 v118, v86, v119, vcc
	v_and_b32_e32 v86, 0x7f800000, v118
	v_cmp_ne_u32_e64 s[26:27], s51, v86
                                        ; implicit-def: $vgpr86
	s_and_saveexec_b64 s[58:59], s[26:27]
	s_xor_b64 s[26:27], exec, s[58:59]
; %bb.911:                              ;   in Loop: Header=BB35_893 Depth=3
	v_bfe_u32 v86, v118, 16, 1
	v_add3_u32 v86, v118, v86, s72
                                        ; implicit-def: $vgpr118
; %bb.912:                              ;   in Loop: Header=BB35_893 Depth=3
	s_andn2_saveexec_b64 s[58:59], s[26:27]
; %bb.913:                              ;   in Loop: Header=BB35_893 Depth=3
	v_or_b32_e32 v86, 0x10000, v118
	v_cmp_eq_u32_sdwa s[26:27], v118, v3 src0_sel:WORD_0 src1_sel:DWORD
	s_nop 1
	v_cndmask_b32_e64 v86, v86, v118, s[26:27]
; %bb.914:                              ;   in Loop: Header=BB35_893 Depth=3
	s_or_b64 exec, exec, s[58:59]
	v_lshlrev_b32_e32 v83, 16, v83
	v_lshlrev_b32_e32 v118, 16, v21
	v_max_f32_e32 v118, v118, v118
	v_max_f32_e32 v83, v83, v83
	v_min_f32_e32 v119, v83, v118
	v_max_f32_e32 v83, v83, v118
	v_cndmask_b32_e32 v118, v83, v119, vcc
	v_and_b32_e32 v83, 0x7f800000, v118
	v_cmp_ne_u32_e64 s[26:27], s51, v83
                                        ; implicit-def: $vgpr83
	s_and_saveexec_b64 s[58:59], s[26:27]
	s_xor_b64 s[26:27], exec, s[58:59]
; %bb.915:                              ;   in Loop: Header=BB35_893 Depth=3
	v_bfe_u32 v83, v118, 16, 1
	v_add3_u32 v83, v118, v83, s72
                                        ; implicit-def: $vgpr118
; %bb.916:                              ;   in Loop: Header=BB35_893 Depth=3
	s_andn2_saveexec_b64 s[58:59], s[26:27]
; %bb.917:                              ;   in Loop: Header=BB35_893 Depth=3
	v_or_b32_e32 v83, 0x10000, v118
	v_cmp_eq_u32_sdwa s[26:27], v118, v3 src0_sel:WORD_0 src1_sel:DWORD
	s_nop 1
	v_cndmask_b32_e64 v83, v83, v118, s[26:27]
; %bb.918:                              ;   in Loop: Header=BB35_893 Depth=3
	s_or_b64 exec, exec, s[58:59]
	v_lshlrev_b32_e32 v80, 16, v80
	v_lshlrev_b32_e32 v118, 16, v22
	v_max_f32_e32 v118, v118, v118
	v_max_f32_e32 v80, v80, v80
	v_min_f32_e32 v119, v80, v118
	v_max_f32_e32 v80, v80, v118
	v_cndmask_b32_e32 v118, v80, v119, vcc
	v_and_b32_e32 v80, 0x7f800000, v118
	v_cmp_ne_u32_e64 s[26:27], s51, v80
                                        ; implicit-def: $vgpr80
	s_and_saveexec_b64 s[58:59], s[26:27]
	s_xor_b64 s[26:27], exec, s[58:59]
; %bb.919:                              ;   in Loop: Header=BB35_893 Depth=3
	v_bfe_u32 v80, v118, 16, 1
	v_add3_u32 v80, v118, v80, s72
                                        ; implicit-def: $vgpr118
; %bb.920:                              ;   in Loop: Header=BB35_893 Depth=3
	s_andn2_saveexec_b64 s[58:59], s[26:27]
; %bb.921:                              ;   in Loop: Header=BB35_893 Depth=3
	v_or_b32_e32 v80, 0x10000, v118
	v_cmp_eq_u32_sdwa s[26:27], v118, v3 src0_sel:WORD_0 src1_sel:DWORD
	s_nop 1
	v_cndmask_b32_e64 v80, v80, v118, s[26:27]
; %bb.922:                              ;   in Loop: Header=BB35_893 Depth=3
	s_or_b64 exec, exec, s[58:59]
	v_lshlrev_b32_e32 v69, 16, v69
	v_lshlrev_b32_e32 v118, 16, v23
	v_max_f32_e32 v118, v118, v118
	v_max_f32_e32 v69, v69, v69
	v_min_f32_e32 v119, v69, v118
	v_max_f32_e32 v69, v69, v118
	v_cndmask_b32_e32 v118, v69, v119, vcc
	v_and_b32_e32 v69, 0x7f800000, v118
	v_cmp_ne_u32_e64 s[26:27], s51, v69
                                        ; implicit-def: $vgpr69
	s_and_saveexec_b64 s[58:59], s[26:27]
	s_xor_b64 s[26:27], exec, s[58:59]
; %bb.923:                              ;   in Loop: Header=BB35_893 Depth=3
	v_bfe_u32 v69, v118, 16, 1
	v_add3_u32 v69, v118, v69, s72
                                        ; implicit-def: $vgpr118
; %bb.924:                              ;   in Loop: Header=BB35_893 Depth=3
	s_andn2_saveexec_b64 s[58:59], s[26:27]
; %bb.925:                              ;   in Loop: Header=BB35_893 Depth=3
	v_or_b32_e32 v69, 0x10000, v118
	v_cmp_eq_u32_sdwa s[26:27], v118, v3 src0_sel:WORD_0 src1_sel:DWORD
	s_nop 1
	v_cndmask_b32_e64 v69, v69, v118, s[26:27]
; %bb.926:                              ;   in Loop: Header=BB35_893 Depth=3
	s_or_b64 exec, exec, s[58:59]
	v_lshlrev_b32_e32 v66, 16, v66
	v_lshlrev_b32_e32 v118, 16, v24
	v_max_f32_e32 v118, v118, v118
	v_max_f32_e32 v66, v66, v66
	v_min_f32_e32 v119, v66, v118
	v_max_f32_e32 v66, v66, v118
	v_cndmask_b32_e32 v118, v66, v119, vcc
	v_and_b32_e32 v66, 0x7f800000, v118
	v_cmp_ne_u32_e64 s[26:27], s51, v66
                                        ; implicit-def: $vgpr66
	s_and_saveexec_b64 s[58:59], s[26:27]
	s_xor_b64 s[26:27], exec, s[58:59]
; %bb.927:                              ;   in Loop: Header=BB35_893 Depth=3
	v_bfe_u32 v66, v118, 16, 1
	v_add3_u32 v66, v118, v66, s72
                                        ; implicit-def: $vgpr118
; %bb.928:                              ;   in Loop: Header=BB35_893 Depth=3
	s_andn2_saveexec_b64 s[58:59], s[26:27]
; %bb.929:                              ;   in Loop: Header=BB35_893 Depth=3
	v_or_b32_e32 v66, 0x10000, v118
	v_cmp_eq_u32_sdwa s[26:27], v118, v3 src0_sel:WORD_0 src1_sel:DWORD
	s_nop 1
	v_cndmask_b32_e64 v66, v66, v118, s[26:27]
; %bb.930:                              ;   in Loop: Header=BB35_893 Depth=3
	s_or_b64 exec, exec, s[58:59]
	v_lshlrev_b32_e32 v55, 16, v55
	v_lshlrev_b32_e32 v118, 16, v25
	v_max_f32_e32 v118, v118, v118
	v_max_f32_e32 v55, v55, v55
	v_min_f32_e32 v119, v55, v118
	v_max_f32_e32 v55, v55, v118
	v_cndmask_b32_e32 v118, v55, v119, vcc
	v_and_b32_e32 v55, 0x7f800000, v118
	v_cmp_ne_u32_e64 s[26:27], s51, v55
                                        ; implicit-def: $vgpr55
	s_and_saveexec_b64 s[58:59], s[26:27]
	s_xor_b64 s[26:27], exec, s[58:59]
; %bb.931:                              ;   in Loop: Header=BB35_893 Depth=3
	v_bfe_u32 v55, v118, 16, 1
	v_add3_u32 v55, v118, v55, s72
                                        ; implicit-def: $vgpr118
; %bb.932:                              ;   in Loop: Header=BB35_893 Depth=3
	s_andn2_saveexec_b64 s[58:59], s[26:27]
; %bb.933:                              ;   in Loop: Header=BB35_893 Depth=3
	v_or_b32_e32 v55, 0x10000, v118
	v_cmp_eq_u32_sdwa s[26:27], v118, v3 src0_sel:WORD_0 src1_sel:DWORD
	s_nop 1
	v_cndmask_b32_e64 v55, v55, v118, s[26:27]
; %bb.934:                              ;   in Loop: Header=BB35_893 Depth=3
	s_or_b64 exec, exec, s[58:59]
	v_lshlrev_b32_e32 v51, 16, v51
	v_lshlrev_b32_e32 v118, 16, v26
	v_max_f32_e32 v118, v118, v118
	v_max_f32_e32 v51, v51, v51
	v_min_f32_e32 v119, v51, v118
	v_max_f32_e32 v51, v51, v118
	v_cndmask_b32_e32 v118, v51, v119, vcc
	v_and_b32_e32 v51, 0x7f800000, v118
	v_cmp_ne_u32_e64 s[26:27], s51, v51
                                        ; implicit-def: $vgpr51
	s_and_saveexec_b64 s[58:59], s[26:27]
	s_xor_b64 s[26:27], exec, s[58:59]
; %bb.935:                              ;   in Loop: Header=BB35_893 Depth=3
	v_bfe_u32 v51, v118, 16, 1
	v_add3_u32 v51, v118, v51, s72
                                        ; implicit-def: $vgpr118
; %bb.936:                              ;   in Loop: Header=BB35_893 Depth=3
	s_andn2_saveexec_b64 s[58:59], s[26:27]
; %bb.937:                              ;   in Loop: Header=BB35_893 Depth=3
	v_or_b32_e32 v51, 0x10000, v118
	v_cmp_eq_u32_sdwa s[26:27], v118, v3 src0_sel:WORD_0 src1_sel:DWORD
	s_nop 1
	v_cndmask_b32_e64 v51, v51, v118, s[26:27]
; %bb.938:                              ;   in Loop: Header=BB35_893 Depth=3
	s_or_b64 exec, exec, s[58:59]
	v_lshlrev_b32_e32 v48, 16, v48
	v_lshlrev_b32_e32 v118, 16, v27
	v_max_f32_e32 v118, v118, v118
	v_max_f32_e32 v48, v48, v48
	v_min_f32_e32 v119, v48, v118
	v_max_f32_e32 v48, v48, v118
	v_cndmask_b32_e32 v118, v48, v119, vcc
	v_and_b32_e32 v48, 0x7f800000, v118
	v_cmp_ne_u32_e64 s[26:27], s51, v48
                                        ; implicit-def: $vgpr48
	s_and_saveexec_b64 s[58:59], s[26:27]
	s_xor_b64 s[26:27], exec, s[58:59]
; %bb.939:                              ;   in Loop: Header=BB35_893 Depth=3
	v_bfe_u32 v48, v118, 16, 1
	v_add3_u32 v48, v118, v48, s72
                                        ; implicit-def: $vgpr118
; %bb.940:                              ;   in Loop: Header=BB35_893 Depth=3
	s_andn2_saveexec_b64 s[58:59], s[26:27]
; %bb.941:                              ;   in Loop: Header=BB35_893 Depth=3
	v_or_b32_e32 v48, 0x10000, v118
	v_cmp_eq_u32_sdwa s[26:27], v118, v3 src0_sel:WORD_0 src1_sel:DWORD
	s_nop 1
	v_cndmask_b32_e64 v48, v48, v118, s[26:27]
; %bb.942:                              ;   in Loop: Header=BB35_893 Depth=3
	s_or_b64 exec, exec, s[58:59]
	v_lshlrev_b32_e32 v39, 16, v39
	v_lshlrev_b32_e32 v118, 16, v32
	v_max_f32_e32 v118, v118, v118
	v_max_f32_e32 v39, v39, v39
	v_min_f32_e32 v119, v39, v118
	v_max_f32_e32 v39, v39, v118
	v_cndmask_b32_e32 v118, v39, v119, vcc
	v_and_b32_e32 v39, 0x7f800000, v118
	v_cmp_ne_u32_e64 s[26:27], s51, v39
                                        ; implicit-def: $vgpr39
	s_and_saveexec_b64 s[58:59], s[26:27]
	s_xor_b64 s[26:27], exec, s[58:59]
; %bb.943:                              ;   in Loop: Header=BB35_893 Depth=3
	v_bfe_u32 v39, v118, 16, 1
	v_add3_u32 v39, v118, v39, s72
                                        ; implicit-def: $vgpr118
; %bb.944:                              ;   in Loop: Header=BB35_893 Depth=3
	s_andn2_saveexec_b64 s[58:59], s[26:27]
; %bb.945:                              ;   in Loop: Header=BB35_893 Depth=3
	v_or_b32_e32 v39, 0x10000, v118
	v_cmp_eq_u32_sdwa s[26:27], v118, v3 src0_sel:WORD_0 src1_sel:DWORD
	s_nop 1
	v_cndmask_b32_e64 v39, v39, v118, s[26:27]
; %bb.946:                              ;   in Loop: Header=BB35_893 Depth=3
	s_or_b64 exec, exec, s[58:59]
	v_lshlrev_b32_e32 v38, 16, v38
	v_lshlrev_b32_e32 v118, 16, v33
	v_max_f32_e32 v118, v118, v118
	v_max_f32_e32 v38, v38, v38
	v_min_f32_e32 v119, v38, v118
	v_max_f32_e32 v38, v38, v118
	v_cndmask_b32_e32 v118, v38, v119, vcc
	v_and_b32_e32 v38, 0x7f800000, v118
	v_cmp_ne_u32_e64 s[26:27], s51, v38
                                        ; implicit-def: $vgpr38
	s_and_saveexec_b64 s[58:59], s[26:27]
	s_xor_b64 s[26:27], exec, s[58:59]
; %bb.947:                              ;   in Loop: Header=BB35_893 Depth=3
	v_bfe_u32 v38, v118, 16, 1
	v_add3_u32 v38, v118, v38, s72
                                        ; implicit-def: $vgpr118
; %bb.948:                              ;   in Loop: Header=BB35_893 Depth=3
	s_andn2_saveexec_b64 s[58:59], s[26:27]
; %bb.949:                              ;   in Loop: Header=BB35_893 Depth=3
	v_or_b32_e32 v38, 0x10000, v118
	v_cmp_eq_u32_sdwa s[26:27], v118, v3 src0_sel:WORD_0 src1_sel:DWORD
	s_nop 1
	v_cndmask_b32_e64 v38, v38, v118, s[26:27]
; %bb.950:                              ;   in Loop: Header=BB35_893 Depth=3
	s_or_b64 exec, exec, s[58:59]
	v_lshlrev_b32_e32 v37, 16, v37
	v_lshlrev_b32_e32 v118, 16, v34
	v_max_f32_e32 v118, v118, v118
	v_max_f32_e32 v37, v37, v37
	v_min_f32_e32 v119, v37, v118
	v_max_f32_e32 v37, v37, v118
	v_cndmask_b32_e32 v118, v37, v119, vcc
	v_and_b32_e32 v37, 0x7f800000, v118
	v_cmp_ne_u32_e64 s[26:27], s51, v37
                                        ; implicit-def: $vgpr37
	s_and_saveexec_b64 s[58:59], s[26:27]
	s_xor_b64 s[26:27], exec, s[58:59]
; %bb.951:                              ;   in Loop: Header=BB35_893 Depth=3
	v_bfe_u32 v37, v118, 16, 1
	v_add3_u32 v37, v118, v37, s72
                                        ; implicit-def: $vgpr118
; %bb.952:                              ;   in Loop: Header=BB35_893 Depth=3
	s_andn2_saveexec_b64 s[58:59], s[26:27]
; %bb.953:                              ;   in Loop: Header=BB35_893 Depth=3
	v_or_b32_e32 v37, 0x10000, v118
	v_cmp_eq_u32_sdwa s[26:27], v118, v3 src0_sel:WORD_0 src1_sel:DWORD
	s_nop 1
	v_cndmask_b32_e64 v37, v37, v118, s[26:27]
; %bb.954:                              ;   in Loop: Header=BB35_893 Depth=3
	s_or_b64 exec, exec, s[58:59]
	v_lshlrev_b32_e32 v36, 16, v36
	v_lshlrev_b32_e32 v118, 16, v35
	v_max_f32_e32 v118, v118, v118
	v_max_f32_e32 v36, v36, v36
	v_min_f32_e32 v119, v36, v118
	v_max_f32_e32 v36, v36, v118
	v_cndmask_b32_e32 v118, v36, v119, vcc
	v_and_b32_e32 v36, 0x7f800000, v118
	v_cmp_ne_u32_e64 s[26:27], s51, v36
                                        ; implicit-def: $vgpr36
	s_and_saveexec_b64 s[58:59], s[26:27]
	s_xor_b64 s[26:27], exec, s[58:59]
; %bb.955:                              ;   in Loop: Header=BB35_893 Depth=3
	v_bfe_u32 v36, v118, 16, 1
	v_add3_u32 v36, v118, v36, s72
                                        ; implicit-def: $vgpr118
; %bb.956:                              ;   in Loop: Header=BB35_893 Depth=3
	s_andn2_saveexec_b64 s[58:59], s[26:27]
; %bb.957:                              ;   in Loop: Header=BB35_893 Depth=3
	v_or_b32_e32 v36, 0x10000, v118
	v_cmp_eq_u32_sdwa s[26:27], v118, v3 src0_sel:WORD_0 src1_sel:DWORD
	s_nop 1
	v_cndmask_b32_e64 v36, v36, v118, s[26:27]
; %bb.958:                              ;   in Loop: Header=BB35_893 Depth=3
	s_or_b64 exec, exec, s[58:59]
	v_lshrrev_b32_e32 v115, 16, v115
	v_lshrrev_b32_e32 v37, 16, v37
	;; [unrolled: 1-line block ×16, first 2 shown]
	flat_store_short v[8:9], v115 nt
	flat_store_short v[8:9], v112 offset:128 nt
	flat_store_short v[8:9], v101 offset:256 nt
	;; [unrolled: 1-line block ×15, first 2 shown]
	v_lshl_add_u64 v[8:9], v[8:9], 0, v[120:121]
.LBB35_959:                             ;   in Loop: Header=BB35_893 Depth=3
	s_or_b64 exec, exec, s[60:61]
	v_sub_u32_e32 v15, v15, v60
	v_lshl_add_u64 v[10:11], v[10:11], 0, v[120:121]
	v_lshl_add_u64 v[12:13], v[12:13], 0, v[120:121]
	v_cmp_lt_i32_e64 s[58:59], 0, v15
	s_and_saveexec_b64 s[26:27], s[58:59]
	s_cbranch_execz .LBB35_961
; %bb.960:                              ;   in Loop: Header=BB35_893 Depth=3
	flat_load_ushort v115, v[10:11] nt
	flat_load_ushort v112, v[10:11] offset:128 nt
	flat_load_ushort v101, v[10:11] offset:256 nt
	;; [unrolled: 1-line block ×15, first 2 shown]
	flat_load_ushort v16, v[12:13] nt
	flat_load_ushort v17, v[12:13] offset:128 nt
	flat_load_ushort v18, v[12:13] offset:256 nt
	;; [unrolled: 1-line block ×15, first 2 shown]
	v_lshl_add_u64 v[10:11], v[10:11], 0, s[92:93]
	v_lshl_add_u64 v[12:13], v[12:13], 0, s[92:93]
.LBB35_961:                             ;   in Loop: Header=BB35_893 Depth=3
	s_or_b64 exec, exec, s[26:27]
	s_waitcnt vmcnt(0) lgkmcnt(0)
	v_lshlrev_b32_e32 v118, 16, v108
	v_lshlrev_b32_e32 v119, 16, v109
	v_max_f32_e32 v119, v119, v119
	v_max_f32_e32 v118, v118, v118
	v_min_f32_e32 v76, v118, v119
	v_max_f32_e32 v118, v118, v119
	v_cndmask_b32_e32 v118, v118, v76, vcc
	v_and_b32_e32 v119, 0x7f800000, v118
	v_cmp_ne_u32_e64 s[26:27], s51, v119
                                        ; implicit-def: $vgpr88
	s_and_saveexec_b64 s[60:61], s[26:27]
	s_xor_b64 s[26:27], exec, s[60:61]
; %bb.962:                              ;   in Loop: Header=BB35_893 Depth=3
	v_bfe_u32 v119, v118, 16, 1
	v_add3_u32 v88, v118, v119, s72
                                        ; implicit-def: $vgpr118
; %bb.963:                              ;   in Loop: Header=BB35_893 Depth=3
	s_andn2_saveexec_b64 s[60:61], s[26:27]
; %bb.964:                              ;   in Loop: Header=BB35_893 Depth=3
	v_or_b32_e32 v119, 0x10000, v118
	v_cmp_eq_u32_sdwa s[26:27], v118, v3 src0_sel:WORD_0 src1_sel:DWORD
	s_nop 1
	v_cndmask_b32_e64 v88, v119, v118, s[26:27]
; %bb.965:                              ;   in Loop: Header=BB35_893 Depth=3
	s_or_b64 exec, exec, s[60:61]
	v_lshlrev_b32_e32 v118, 16, v74
	v_lshlrev_b32_e32 v119, 16, v75
	v_max_f32_e32 v119, v119, v119
	v_max_f32_e32 v118, v118, v118
	v_min_f32_e32 v74, v118, v119
	v_max_f32_e32 v118, v118, v119
	v_cndmask_b32_e32 v118, v118, v74, vcc
	v_and_b32_e32 v119, 0x7f800000, v118
	v_cmp_ne_u32_e64 s[26:27], s51, v119
                                        ; implicit-def: $vgpr74
	s_and_saveexec_b64 s[60:61], s[26:27]
	s_xor_b64 s[26:27], exec, s[60:61]
; %bb.966:                              ;   in Loop: Header=BB35_893 Depth=3
	v_bfe_u32 v119, v118, 16, 1
	v_add3_u32 v74, v118, v119, s72
                                        ; implicit-def: $vgpr118
; %bb.967:                              ;   in Loop: Header=BB35_893 Depth=3
	s_andn2_saveexec_b64 s[60:61], s[26:27]
; %bb.968:                              ;   in Loop: Header=BB35_893 Depth=3
	v_or_b32_e32 v119, 0x10000, v118
	v_cmp_eq_u32_sdwa s[26:27], v118, v3 src0_sel:WORD_0 src1_sel:DWORD
	s_nop 1
	v_cndmask_b32_e64 v74, v119, v118, s[26:27]
; %bb.969:                              ;   in Loop: Header=BB35_893 Depth=3
	s_or_b64 exec, exec, s[60:61]
	v_lshlrev_b32_e32 v118, 16, v44
	v_lshlrev_b32_e32 v119, 16, v45
	v_max_f32_e32 v119, v119, v119
	v_max_f32_e32 v118, v118, v118
	v_min_f32_e32 v44, v118, v119
	v_max_f32_e32 v118, v118, v119
	v_cndmask_b32_e32 v118, v118, v44, vcc
	v_and_b32_e32 v119, 0x7f800000, v118
	v_cmp_ne_u32_e64 s[26:27], s51, v119
                                        ; implicit-def: $vgpr44
	s_and_saveexec_b64 s[60:61], s[26:27]
	s_xor_b64 s[26:27], exec, s[60:61]
; %bb.970:                              ;   in Loop: Header=BB35_893 Depth=3
	v_bfe_u32 v119, v118, 16, 1
	v_add3_u32 v44, v118, v119, s72
                                        ; implicit-def: $vgpr118
; %bb.971:                              ;   in Loop: Header=BB35_893 Depth=3
	s_andn2_saveexec_b64 s[60:61], s[26:27]
; %bb.972:                              ;   in Loop: Header=BB35_893 Depth=3
	v_or_b32_e32 v119, 0x10000, v118
	v_cmp_eq_u32_sdwa s[26:27], v118, v3 src0_sel:WORD_0 src1_sel:DWORD
	s_nop 1
	v_cndmask_b32_e64 v44, v119, v118, s[26:27]
; %bb.973:                              ;   in Loop: Header=BB35_893 Depth=3
	s_or_b64 exec, exec, s[60:61]
	v_lshlrev_b32_e32 v118, 16, v42
	v_lshlrev_b32_e32 v119, 16, v43
	v_max_f32_e32 v119, v119, v119
	v_max_f32_e32 v118, v118, v118
	v_min_f32_e32 v42, v118, v119
	v_max_f32_e32 v118, v118, v119
	v_cndmask_b32_e32 v118, v118, v42, vcc
	v_and_b32_e32 v119, 0x7f800000, v118
	v_cmp_ne_u32_e64 s[26:27], s51, v119
                                        ; implicit-def: $vgpr42
	s_and_saveexec_b64 s[60:61], s[26:27]
	s_xor_b64 s[26:27], exec, s[60:61]
; %bb.974:                              ;   in Loop: Header=BB35_893 Depth=3
	v_bfe_u32 v119, v118, 16, 1
	v_add3_u32 v42, v118, v119, s72
                                        ; implicit-def: $vgpr118
; %bb.975:                              ;   in Loop: Header=BB35_893 Depth=3
	s_andn2_saveexec_b64 s[60:61], s[26:27]
; %bb.976:                              ;   in Loop: Header=BB35_893 Depth=3
	v_or_b32_e32 v119, 0x10000, v118
	v_cmp_eq_u32_sdwa s[26:27], v118, v3 src0_sel:WORD_0 src1_sel:DWORD
	s_nop 1
	v_cndmask_b32_e64 v42, v119, v118, s[26:27]
; %bb.977:                              ;   in Loop: Header=BB35_893 Depth=3
	s_or_b64 exec, exec, s[60:61]
	v_lshlrev_b32_e32 v113, 16, v113
	v_lshlrev_b32_e32 v114, 16, v114
	v_max_f32_e32 v114, v114, v114
	v_max_f32_e32 v113, v113, v113
	v_min_f32_e32 v118, v113, v114
	v_max_f32_e32 v113, v113, v114
	v_cndmask_b32_e32 v114, v113, v118, vcc
	v_and_b32_e32 v113, 0x7f800000, v114
	v_cmp_ne_u32_e64 s[26:27], s51, v113
                                        ; implicit-def: $vgpr113
	s_and_saveexec_b64 s[60:61], s[26:27]
	s_xor_b64 s[26:27], exec, s[60:61]
; %bb.978:                              ;   in Loop: Header=BB35_893 Depth=3
	v_bfe_u32 v113, v114, 16, 1
	v_add3_u32 v113, v114, v113, s72
                                        ; implicit-def: $vgpr114
; %bb.979:                              ;   in Loop: Header=BB35_893 Depth=3
	s_andn2_saveexec_b64 s[60:61], s[26:27]
; %bb.980:                              ;   in Loop: Header=BB35_893 Depth=3
	v_or_b32_e32 v113, 0x10000, v114
	v_cmp_eq_u32_sdwa s[26:27], v114, v3 src0_sel:WORD_0 src1_sel:DWORD
	s_nop 1
	v_cndmask_b32_e64 v113, v113, v114, s[26:27]
; %bb.981:                              ;   in Loop: Header=BB35_893 Depth=3
	s_or_b64 exec, exec, s[60:61]
	v_lshlrev_b32_e32 v102, 16, v102
	v_lshlrev_b32_e32 v103, 16, v103
	v_max_f32_e32 v103, v103, v103
	v_max_f32_e32 v102, v102, v102
	v_min_f32_e32 v114, v102, v103
	v_max_f32_e32 v102, v102, v103
	v_cndmask_b32_e32 v103, v102, v114, vcc
	v_and_b32_e32 v102, 0x7f800000, v103
	v_cmp_ne_u32_e64 s[26:27], s51, v102
                                        ; implicit-def: $vgpr102
	s_and_saveexec_b64 s[60:61], s[26:27]
	s_xor_b64 s[26:27], exec, s[60:61]
; %bb.982:                              ;   in Loop: Header=BB35_893 Depth=3
	v_bfe_u32 v102, v103, 16, 1
	v_add3_u32 v102, v103, v102, s72
                                        ; implicit-def: $vgpr103
; %bb.983:                              ;   in Loop: Header=BB35_893 Depth=3
	s_andn2_saveexec_b64 s[60:61], s[26:27]
; %bb.984:                              ;   in Loop: Header=BB35_893 Depth=3
	v_or_b32_e32 v102, 0x10000, v103
	v_cmp_eq_u32_sdwa s[26:27], v103, v3 src0_sel:WORD_0 src1_sel:DWORD
	s_nop 1
	v_cndmask_b32_e64 v102, v102, v103, s[26:27]
; %bb.985:                              ;   in Loop: Header=BB35_893 Depth=3
	s_or_b64 exec, exec, s[60:61]
	v_lshlrev_b32_e32 v99, 16, v99
	v_lshlrev_b32_e32 v100, 16, v100
	v_max_f32_e32 v100, v100, v100
	v_max_f32_e32 v99, v99, v99
	v_min_f32_e32 v103, v99, v100
	v_max_f32_e32 v99, v99, v100
	v_cndmask_b32_e32 v100, v99, v103, vcc
	v_and_b32_e32 v99, 0x7f800000, v100
	v_cmp_ne_u32_e64 s[26:27], s51, v99
                                        ; implicit-def: $vgpr99
	s_and_saveexec_b64 s[60:61], s[26:27]
	s_xor_b64 s[26:27], exec, s[60:61]
; %bb.986:                              ;   in Loop: Header=BB35_893 Depth=3
	v_bfe_u32 v99, v100, 16, 1
	v_add3_u32 v99, v100, v99, s72
                                        ; implicit-def: $vgpr100
; %bb.987:                              ;   in Loop: Header=BB35_893 Depth=3
	s_andn2_saveexec_b64 s[60:61], s[26:27]
; %bb.988:                              ;   in Loop: Header=BB35_893 Depth=3
	v_or_b32_e32 v99, 0x10000, v100
	v_cmp_eq_u32_sdwa s[26:27], v100, v3 src0_sel:WORD_0 src1_sel:DWORD
	s_nop 1
	v_cndmask_b32_e64 v99, v99, v100, s[26:27]
; %bb.989:                              ;   in Loop: Header=BB35_893 Depth=3
	s_or_b64 exec, exec, s[60:61]
	v_lshlrev_b32_e32 v96, 16, v96
	v_lshlrev_b32_e32 v97, 16, v97
	v_max_f32_e32 v97, v97, v97
	v_max_f32_e32 v96, v96, v96
	v_min_f32_e32 v100, v96, v97
	v_max_f32_e32 v96, v96, v97
	v_cndmask_b32_e32 v97, v96, v100, vcc
	v_and_b32_e32 v96, 0x7f800000, v97
	v_cmp_ne_u32_e64 s[26:27], s51, v96
                                        ; implicit-def: $vgpr96
	s_and_saveexec_b64 s[60:61], s[26:27]
	s_xor_b64 s[26:27], exec, s[60:61]
; %bb.990:                              ;   in Loop: Header=BB35_893 Depth=3
	v_bfe_u32 v96, v97, 16, 1
	v_add3_u32 v96, v97, v96, s72
                                        ; implicit-def: $vgpr97
; %bb.991:                              ;   in Loop: Header=BB35_893 Depth=3
	s_andn2_saveexec_b64 s[60:61], s[26:27]
; %bb.992:                              ;   in Loop: Header=BB35_893 Depth=3
	v_or_b32_e32 v96, 0x10000, v97
	v_cmp_eq_u32_sdwa s[26:27], v97, v3 src0_sel:WORD_0 src1_sel:DWORD
	s_nop 1
	v_cndmask_b32_e64 v96, v96, v97, s[26:27]
; %bb.993:                              ;   in Loop: Header=BB35_893 Depth=3
	s_or_b64 exec, exec, s[60:61]
	v_lshlrev_b32_e32 v85, 16, v85
	v_lshlrev_b32_e32 v87, 16, v87
	v_max_f32_e32 v87, v87, v87
	v_max_f32_e32 v85, v85, v85
	v_min_f32_e32 v97, v85, v87
	v_max_f32_e32 v85, v85, v87
	v_cndmask_b32_e32 v87, v85, v97, vcc
	v_and_b32_e32 v85, 0x7f800000, v87
	v_cmp_ne_u32_e64 s[26:27], s51, v85
                                        ; implicit-def: $vgpr85
	s_and_saveexec_b64 s[60:61], s[26:27]
	s_xor_b64 s[26:27], exec, s[60:61]
; %bb.994:                              ;   in Loop: Header=BB35_893 Depth=3
	v_bfe_u32 v85, v87, 16, 1
	v_add3_u32 v85, v87, v85, s72
                                        ; implicit-def: $vgpr87
; %bb.995:                              ;   in Loop: Header=BB35_893 Depth=3
	s_andn2_saveexec_b64 s[60:61], s[26:27]
; %bb.996:                              ;   in Loop: Header=BB35_893 Depth=3
	v_or_b32_e32 v85, 0x10000, v87
	v_cmp_eq_u32_sdwa s[26:27], v87, v3 src0_sel:WORD_0 src1_sel:DWORD
	s_nop 1
	v_cndmask_b32_e64 v85, v85, v87, s[26:27]
; %bb.997:                              ;   in Loop: Header=BB35_893 Depth=3
	s_or_b64 exec, exec, s[60:61]
	v_lshlrev_b32_e32 v82, 16, v82
	v_lshlrev_b32_e32 v84, 16, v84
	v_max_f32_e32 v84, v84, v84
	v_max_f32_e32 v82, v82, v82
	v_min_f32_e32 v87, v82, v84
	v_max_f32_e32 v82, v82, v84
	v_cndmask_b32_e32 v84, v82, v87, vcc
	v_and_b32_e32 v82, 0x7f800000, v84
	v_cmp_ne_u32_e64 s[26:27], s51, v82
                                        ; implicit-def: $vgpr82
	s_and_saveexec_b64 s[60:61], s[26:27]
	s_xor_b64 s[26:27], exec, s[60:61]
; %bb.998:                              ;   in Loop: Header=BB35_893 Depth=3
	v_bfe_u32 v82, v84, 16, 1
	v_add3_u32 v82, v84, v82, s72
                                        ; implicit-def: $vgpr84
; %bb.999:                              ;   in Loop: Header=BB35_893 Depth=3
	s_andn2_saveexec_b64 s[60:61], s[26:27]
; %bb.1000:                             ;   in Loop: Header=BB35_893 Depth=3
	v_or_b32_e32 v82, 0x10000, v84
	v_cmp_eq_u32_sdwa s[26:27], v84, v3 src0_sel:WORD_0 src1_sel:DWORD
	s_nop 1
	v_cndmask_b32_e64 v82, v82, v84, s[26:27]
; %bb.1001:                             ;   in Loop: Header=BB35_893 Depth=3
	s_or_b64 exec, exec, s[60:61]
	v_lshlrev_b32_e32 v71, 16, v71
	v_lshlrev_b32_e32 v81, 16, v81
	v_max_f32_e32 v81, v81, v81
	v_max_f32_e32 v71, v71, v71
	v_min_f32_e32 v84, v71, v81
	v_max_f32_e32 v71, v71, v81
	v_cndmask_b32_e32 v81, v71, v84, vcc
	v_and_b32_e32 v71, 0x7f800000, v81
	v_cmp_ne_u32_e64 s[26:27], s51, v71
                                        ; implicit-def: $vgpr71
	s_and_saveexec_b64 s[60:61], s[26:27]
	s_xor_b64 s[26:27], exec, s[60:61]
; %bb.1002:                             ;   in Loop: Header=BB35_893 Depth=3
	v_bfe_u32 v71, v81, 16, 1
	v_add3_u32 v71, v81, v71, s72
                                        ; implicit-def: $vgpr81
; %bb.1003:                             ;   in Loop: Header=BB35_893 Depth=3
	s_andn2_saveexec_b64 s[60:61], s[26:27]
; %bb.1004:                             ;   in Loop: Header=BB35_893 Depth=3
	v_or_b32_e32 v71, 0x10000, v81
	v_cmp_eq_u32_sdwa s[26:27], v81, v3 src0_sel:WORD_0 src1_sel:DWORD
	s_nop 1
	v_cndmask_b32_e64 v71, v71, v81, s[26:27]
; %bb.1005:                             ;   in Loop: Header=BB35_893 Depth=3
	s_or_b64 exec, exec, s[60:61]
	v_lshlrev_b32_e32 v68, 16, v68
	v_lshlrev_b32_e32 v70, 16, v70
	v_max_f32_e32 v70, v70, v70
	v_max_f32_e32 v68, v68, v68
	v_min_f32_e32 v81, v68, v70
	v_max_f32_e32 v68, v68, v70
	v_cndmask_b32_e32 v70, v68, v81, vcc
	v_and_b32_e32 v68, 0x7f800000, v70
	v_cmp_ne_u32_e64 s[26:27], s51, v68
                                        ; implicit-def: $vgpr68
	s_and_saveexec_b64 s[60:61], s[26:27]
	s_xor_b64 s[26:27], exec, s[60:61]
; %bb.1006:                             ;   in Loop: Header=BB35_893 Depth=3
	v_bfe_u32 v68, v70, 16, 1
	v_add3_u32 v68, v70, v68, s72
                                        ; implicit-def: $vgpr70
; %bb.1007:                             ;   in Loop: Header=BB35_893 Depth=3
	s_andn2_saveexec_b64 s[60:61], s[26:27]
; %bb.1008:                             ;   in Loop: Header=BB35_893 Depth=3
	v_or_b32_e32 v68, 0x10000, v70
	v_cmp_eq_u32_sdwa s[26:27], v70, v3 src0_sel:WORD_0 src1_sel:DWORD
	s_nop 1
	v_cndmask_b32_e64 v68, v68, v70, s[26:27]
; %bb.1009:                             ;   in Loop: Header=BB35_893 Depth=3
	s_or_b64 exec, exec, s[60:61]
	v_lshlrev_b32_e32 v65, 16, v65
	v_lshlrev_b32_e32 v67, 16, v67
	v_max_f32_e32 v67, v67, v67
	v_max_f32_e32 v65, v65, v65
	v_min_f32_e32 v70, v65, v67
	v_max_f32_e32 v65, v65, v67
	v_cndmask_b32_e32 v67, v65, v70, vcc
	v_and_b32_e32 v65, 0x7f800000, v67
	v_cmp_ne_u32_e64 s[26:27], s51, v65
                                        ; implicit-def: $vgpr65
	s_and_saveexec_b64 s[60:61], s[26:27]
	s_xor_b64 s[26:27], exec, s[60:61]
; %bb.1010:                             ;   in Loop: Header=BB35_893 Depth=3
	v_bfe_u32 v65, v67, 16, 1
	v_add3_u32 v65, v67, v65, s72
                                        ; implicit-def: $vgpr67
; %bb.1011:                             ;   in Loop: Header=BB35_893 Depth=3
	s_andn2_saveexec_b64 s[60:61], s[26:27]
; %bb.1012:                             ;   in Loop: Header=BB35_893 Depth=3
	v_or_b32_e32 v65, 0x10000, v67
	v_cmp_eq_u32_sdwa s[26:27], v67, v3 src0_sel:WORD_0 src1_sel:DWORD
	s_nop 1
	v_cndmask_b32_e64 v65, v65, v67, s[26:27]
; %bb.1013:                             ;   in Loop: Header=BB35_893 Depth=3
	s_or_b64 exec, exec, s[60:61]
	v_lshlrev_b32_e32 v54, 16, v54
	v_lshlrev_b32_e32 v64, 16, v64
	v_max_f32_e32 v64, v64, v64
	v_max_f32_e32 v54, v54, v54
	v_min_f32_e32 v67, v54, v64
	v_max_f32_e32 v54, v54, v64
	v_cndmask_b32_e32 v64, v54, v67, vcc
	v_and_b32_e32 v54, 0x7f800000, v64
	v_cmp_ne_u32_e64 s[26:27], s51, v54
                                        ; implicit-def: $vgpr54
	s_and_saveexec_b64 s[60:61], s[26:27]
	s_xor_b64 s[26:27], exec, s[60:61]
; %bb.1014:                             ;   in Loop: Header=BB35_893 Depth=3
	v_bfe_u32 v54, v64, 16, 1
	v_add3_u32 v54, v64, v54, s72
                                        ; implicit-def: $vgpr64
; %bb.1015:                             ;   in Loop: Header=BB35_893 Depth=3
	s_andn2_saveexec_b64 s[60:61], s[26:27]
; %bb.1016:                             ;   in Loop: Header=BB35_893 Depth=3
	v_or_b32_e32 v54, 0x10000, v64
	v_cmp_eq_u32_sdwa s[26:27], v64, v3 src0_sel:WORD_0 src1_sel:DWORD
	s_nop 1
	v_cndmask_b32_e64 v54, v54, v64, s[26:27]
; %bb.1017:                             ;   in Loop: Header=BB35_893 Depth=3
	s_or_b64 exec, exec, s[60:61]
	v_lshlrev_b32_e32 v52, 16, v52
	v_lshlrev_b32_e32 v53, 16, v53
	v_max_f32_e32 v53, v53, v53
	v_max_f32_e32 v52, v52, v52
	v_min_f32_e32 v64, v52, v53
	v_max_f32_e32 v52, v52, v53
	v_cndmask_b32_e32 v53, v52, v64, vcc
	v_and_b32_e32 v52, 0x7f800000, v53
	v_cmp_ne_u32_e64 s[26:27], s51, v52
                                        ; implicit-def: $vgpr52
	s_and_saveexec_b64 s[60:61], s[26:27]
	s_xor_b64 s[26:27], exec, s[60:61]
; %bb.1018:                             ;   in Loop: Header=BB35_893 Depth=3
	v_bfe_u32 v52, v53, 16, 1
	v_add3_u32 v52, v53, v52, s72
                                        ; implicit-def: $vgpr53
; %bb.1019:                             ;   in Loop: Header=BB35_893 Depth=3
	s_andn2_saveexec_b64 s[60:61], s[26:27]
; %bb.1020:                             ;   in Loop: Header=BB35_893 Depth=3
	v_or_b32_e32 v52, 0x10000, v53
	v_cmp_eq_u32_sdwa s[26:27], v53, v3 src0_sel:WORD_0 src1_sel:DWORD
	s_nop 1
	v_cndmask_b32_e64 v52, v52, v53, s[26:27]
; %bb.1021:                             ;   in Loop: Header=BB35_893 Depth=3
	s_or_b64 exec, exec, s[60:61]
	v_lshlrev_b32_e32 v49, 16, v49
	v_lshlrev_b32_e32 v50, 16, v50
	v_max_f32_e32 v50, v50, v50
	v_max_f32_e32 v49, v49, v49
	v_min_f32_e32 v53, v49, v50
	v_max_f32_e32 v49, v49, v50
	v_cndmask_b32_e32 v50, v49, v53, vcc
	v_and_b32_e32 v49, 0x7f800000, v50
	v_cmp_ne_u32_e64 s[26:27], s51, v49
                                        ; implicit-def: $vgpr49
	s_and_saveexec_b64 s[60:61], s[26:27]
	s_xor_b64 s[26:27], exec, s[60:61]
; %bb.1022:                             ;   in Loop: Header=BB35_893 Depth=3
	v_bfe_u32 v49, v50, 16, 1
	v_add3_u32 v49, v50, v49, s72
                                        ; implicit-def: $vgpr50
; %bb.1023:                             ;   in Loop: Header=BB35_893 Depth=3
	s_andn2_saveexec_b64 s[60:61], s[26:27]
	s_cbranch_execz .LBB35_892
; %bb.1024:                             ;   in Loop: Header=BB35_893 Depth=3
	v_or_b32_e32 v49, 0x10000, v50
	v_cmp_eq_u32_sdwa s[26:27], v50, v3 src0_sel:WORD_0 src1_sel:DWORD
	s_nop 1
	v_cndmask_b32_e64 v49, v49, v50, s[26:27]
	s_branch .LBB35_892
.LBB35_1025:                            ;   in Loop: Header=BB35_296 Depth=2
	s_or_b64 exec, exec, s[46:47]
	v_lshlrev_b32_e32 v99, 16, v115
	v_lshlrev_b32_e32 v100, 16, v16
	;; [unrolled: 1-line block ×32, first 2 shown]
	s_and_b64 s[26:27], s[40:41], exec
.LBB35_1026:                            ;   in Loop: Header=BB35_296 Depth=2
	s_or_b64 exec, exec, s[28:29]
	s_and_saveexec_b64 s[28:29], s[26:27]
	s_cbranch_execz .LBB35_1092
; %bb.1027:                             ;   in Loop: Header=BB35_296 Depth=2
	s_and_b32 s13, s12, 0xff
	s_cmp_eq_u32 s13, 0
	v_max_f32_e32 v12, v100, v100
	v_max_f32_e32 v13, v99, v99
	v_min_f32_e32 v24, v13, v12
	v_max_f32_e32 v12, v13, v12
	s_cselect_b64 vcc, -1, 0
	v_cndmask_b32_e32 v13, v12, v24, vcc
	v_and_b32_e32 v12, 0x7f800000, v13
	v_cmp_ne_u32_e64 s[26:27], s51, v12
                                        ; implicit-def: $vgpr12
	s_and_saveexec_b64 s[40:41], s[26:27]
	s_xor_b64 s[26:27], exec, s[40:41]
; %bb.1028:                             ;   in Loop: Header=BB35_296 Depth=2
	v_bfe_u32 v12, v13, 16, 1
	v_add3_u32 v12, v13, v12, s72
                                        ; implicit-def: $vgpr13
; %bb.1029:                             ;   in Loop: Header=BB35_296 Depth=2
	s_andn2_saveexec_b64 s[40:41], s[26:27]
; %bb.1030:                             ;   in Loop: Header=BB35_296 Depth=2
	v_or_b32_e32 v12, 0x10000, v13
	v_cmp_eq_u32_sdwa s[26:27], v13, v3 src0_sel:WORD_0 src1_sel:DWORD
	s_nop 1
	v_cndmask_b32_e64 v12, v12, v13, s[26:27]
; %bb.1031:                             ;   in Loop: Header=BB35_296 Depth=2
	s_or_b64 exec, exec, s[40:41]
	v_max_f32_e32 v13, v97, v97
	v_max_f32_e32 v24, v96, v96
	v_min_f32_e32 v27, v24, v13
	v_max_f32_e32 v13, v24, v13
	v_cndmask_b32_e32 v24, v13, v27, vcc
	v_and_b32_e32 v13, 0x7f800000, v24
	v_cmp_ne_u32_e64 s[26:27], s51, v13
                                        ; implicit-def: $vgpr13
	s_and_saveexec_b64 s[40:41], s[26:27]
	s_xor_b64 s[26:27], exec, s[40:41]
; %bb.1032:                             ;   in Loop: Header=BB35_296 Depth=2
	v_bfe_u32 v13, v24, 16, 1
	v_add3_u32 v13, v24, v13, s72
                                        ; implicit-def: $vgpr24
; %bb.1033:                             ;   in Loop: Header=BB35_296 Depth=2
	s_andn2_saveexec_b64 s[40:41], s[26:27]
; %bb.1034:                             ;   in Loop: Header=BB35_296 Depth=2
	v_or_b32_e32 v13, 0x10000, v24
	v_cmp_eq_u32_sdwa s[26:27], v24, v3 src0_sel:WORD_0 src1_sel:DWORD
	s_nop 1
	v_cndmask_b32_e64 v13, v13, v24, s[26:27]
; %bb.1035:                             ;   in Loop: Header=BB35_296 Depth=2
	s_or_b64 exec, exec, s[40:41]
	v_max_f32_e32 v24, v87, v87
	v_max_f32_e32 v27, v85, v85
	v_min_f32_e32 v32, v27, v24
	v_max_f32_e32 v24, v27, v24
	v_cndmask_b32_e32 v27, v24, v32, vcc
	v_and_b32_e32 v24, 0x7f800000, v27
	v_cmp_ne_u32_e64 s[26:27], s51, v24
                                        ; implicit-def: $vgpr24
	s_and_saveexec_b64 s[40:41], s[26:27]
	s_xor_b64 s[26:27], exec, s[40:41]
; %bb.1036:                             ;   in Loop: Header=BB35_296 Depth=2
	v_bfe_u32 v24, v27, 16, 1
	v_add3_u32 v24, v27, v24, s72
                                        ; implicit-def: $vgpr27
; %bb.1037:                             ;   in Loop: Header=BB35_296 Depth=2
	s_andn2_saveexec_b64 s[40:41], s[26:27]
; %bb.1038:                             ;   in Loop: Header=BB35_296 Depth=2
	v_or_b32_e32 v24, 0x10000, v27
	v_cmp_eq_u32_sdwa s[26:27], v27, v3 src0_sel:WORD_0 src1_sel:DWORD
	s_nop 1
	v_cndmask_b32_e64 v24, v24, v27, s[26:27]
; %bb.1039:                             ;   in Loop: Header=BB35_296 Depth=2
	s_or_b64 exec, exec, s[40:41]
	v_max_f32_e32 v27, v84, v84
	v_max_f32_e32 v32, v82, v82
	v_min_f32_e32 v33, v32, v27
	v_max_f32_e32 v27, v32, v27
	v_cndmask_b32_e32 v32, v27, v33, vcc
	v_and_b32_e32 v27, 0x7f800000, v32
	v_cmp_ne_u32_e64 s[26:27], s51, v27
                                        ; implicit-def: $vgpr27
	s_and_saveexec_b64 s[40:41], s[26:27]
	s_xor_b64 s[26:27], exec, s[40:41]
; %bb.1040:                             ;   in Loop: Header=BB35_296 Depth=2
	v_bfe_u32 v27, v32, 16, 1
	v_add3_u32 v27, v32, v27, s72
                                        ; implicit-def: $vgpr32
; %bb.1041:                             ;   in Loop: Header=BB35_296 Depth=2
	s_andn2_saveexec_b64 s[40:41], s[26:27]
; %bb.1042:                             ;   in Loop: Header=BB35_296 Depth=2
	v_or_b32_e32 v27, 0x10000, v32
	v_cmp_eq_u32_sdwa s[26:27], v32, v3 src0_sel:WORD_0 src1_sel:DWORD
	s_nop 1
	v_cndmask_b32_e64 v27, v27, v32, s[26:27]
; %bb.1043:                             ;   in Loop: Header=BB35_296 Depth=2
	s_or_b64 exec, exec, s[40:41]
	v_max_f32_e32 v32, v81, v81
	v_max_f32_e32 v33, v71, v71
	v_min_f32_e32 v34, v33, v32
	v_max_f32_e32 v32, v33, v32
	v_cndmask_b32_e32 v33, v32, v34, vcc
	v_and_b32_e32 v32, 0x7f800000, v33
	v_cmp_ne_u32_e64 s[26:27], s51, v32
                                        ; implicit-def: $vgpr32
	s_and_saveexec_b64 s[40:41], s[26:27]
	s_xor_b64 s[26:27], exec, s[40:41]
; %bb.1044:                             ;   in Loop: Header=BB35_296 Depth=2
	v_bfe_u32 v32, v33, 16, 1
	v_add3_u32 v32, v33, v32, s72
                                        ; implicit-def: $vgpr33
; %bb.1045:                             ;   in Loop: Header=BB35_296 Depth=2
	s_andn2_saveexec_b64 s[40:41], s[26:27]
; %bb.1046:                             ;   in Loop: Header=BB35_296 Depth=2
	v_or_b32_e32 v32, 0x10000, v33
	v_cmp_eq_u32_sdwa s[26:27], v33, v3 src0_sel:WORD_0 src1_sel:DWORD
	s_nop 1
	v_cndmask_b32_e64 v32, v32, v33, s[26:27]
; %bb.1047:                             ;   in Loop: Header=BB35_296 Depth=2
	s_or_b64 exec, exec, s[40:41]
	v_max_f32_e32 v33, v70, v70
	v_max_f32_e32 v34, v68, v68
	v_min_f32_e32 v35, v34, v33
	v_max_f32_e32 v33, v34, v33
	v_cndmask_b32_e32 v34, v33, v35, vcc
	v_and_b32_e32 v33, 0x7f800000, v34
	v_cmp_ne_u32_e64 s[26:27], s51, v33
                                        ; implicit-def: $vgpr33
	s_and_saveexec_b64 s[40:41], s[26:27]
	s_xor_b64 s[26:27], exec, s[40:41]
; %bb.1048:                             ;   in Loop: Header=BB35_296 Depth=2
	v_bfe_u32 v33, v34, 16, 1
	v_add3_u32 v33, v34, v33, s72
                                        ; implicit-def: $vgpr34
; %bb.1049:                             ;   in Loop: Header=BB35_296 Depth=2
	s_andn2_saveexec_b64 s[40:41], s[26:27]
; %bb.1050:                             ;   in Loop: Header=BB35_296 Depth=2
	v_or_b32_e32 v33, 0x10000, v34
	v_cmp_eq_u32_sdwa s[26:27], v34, v3 src0_sel:WORD_0 src1_sel:DWORD
	s_nop 1
	v_cndmask_b32_e64 v33, v33, v34, s[26:27]
; %bb.1051:                             ;   in Loop: Header=BB35_296 Depth=2
	s_or_b64 exec, exec, s[40:41]
	v_max_f32_e32 v34, v67, v67
	v_max_f32_e32 v35, v65, v65
	v_min_f32_e32 v36, v35, v34
	v_max_f32_e32 v34, v35, v34
	v_cndmask_b32_e32 v35, v34, v36, vcc
	v_and_b32_e32 v34, 0x7f800000, v35
	v_cmp_ne_u32_e64 s[26:27], s51, v34
                                        ; implicit-def: $vgpr34
	s_and_saveexec_b64 s[40:41], s[26:27]
	s_xor_b64 s[26:27], exec, s[40:41]
; %bb.1052:                             ;   in Loop: Header=BB35_296 Depth=2
	v_bfe_u32 v34, v35, 16, 1
	v_add3_u32 v34, v35, v34, s72
                                        ; implicit-def: $vgpr35
; %bb.1053:                             ;   in Loop: Header=BB35_296 Depth=2
	s_andn2_saveexec_b64 s[40:41], s[26:27]
; %bb.1054:                             ;   in Loop: Header=BB35_296 Depth=2
	v_or_b32_e32 v34, 0x10000, v35
	v_cmp_eq_u32_sdwa s[26:27], v35, v3 src0_sel:WORD_0 src1_sel:DWORD
	s_nop 1
	v_cndmask_b32_e64 v34, v34, v35, s[26:27]
; %bb.1055:                             ;   in Loop: Header=BB35_296 Depth=2
	s_or_b64 exec, exec, s[40:41]
	v_max_f32_e32 v35, v64, v64
	v_max_f32_e32 v36, v54, v54
	v_min_f32_e32 v37, v36, v35
	v_max_f32_e32 v35, v36, v35
	v_cndmask_b32_e32 v36, v35, v37, vcc
	v_and_b32_e32 v35, 0x7f800000, v36
	v_cmp_ne_u32_e64 s[26:27], s51, v35
                                        ; implicit-def: $vgpr35
	s_and_saveexec_b64 s[40:41], s[26:27]
	s_xor_b64 s[26:27], exec, s[40:41]
; %bb.1056:                             ;   in Loop: Header=BB35_296 Depth=2
	v_bfe_u32 v35, v36, 16, 1
	v_add3_u32 v35, v36, v35, s72
                                        ; implicit-def: $vgpr36
; %bb.1057:                             ;   in Loop: Header=BB35_296 Depth=2
	s_andn2_saveexec_b64 s[40:41], s[26:27]
; %bb.1058:                             ;   in Loop: Header=BB35_296 Depth=2
	v_or_b32_e32 v35, 0x10000, v36
	v_cmp_eq_u32_sdwa s[26:27], v36, v3 src0_sel:WORD_0 src1_sel:DWORD
	s_nop 1
	v_cndmask_b32_e64 v35, v35, v36, s[26:27]
; %bb.1059:                             ;   in Loop: Header=BB35_296 Depth=2
	s_or_b64 exec, exec, s[40:41]
	v_max_f32_e32 v36, v53, v53
	v_max_f32_e32 v37, v52, v52
	v_min_f32_e32 v38, v37, v36
	v_max_f32_e32 v36, v37, v36
	v_cndmask_b32_e32 v37, v36, v38, vcc
	v_and_b32_e32 v36, 0x7f800000, v37
	v_cmp_ne_u32_e64 s[26:27], s51, v36
                                        ; implicit-def: $vgpr36
	s_and_saveexec_b64 s[40:41], s[26:27]
	s_xor_b64 s[26:27], exec, s[40:41]
; %bb.1060:                             ;   in Loop: Header=BB35_296 Depth=2
	v_bfe_u32 v36, v37, 16, 1
	v_add3_u32 v36, v37, v36, s72
                                        ; implicit-def: $vgpr37
; %bb.1061:                             ;   in Loop: Header=BB35_296 Depth=2
	s_andn2_saveexec_b64 s[40:41], s[26:27]
; %bb.1062:                             ;   in Loop: Header=BB35_296 Depth=2
	v_or_b32_e32 v36, 0x10000, v37
	v_cmp_eq_u32_sdwa s[26:27], v37, v3 src0_sel:WORD_0 src1_sel:DWORD
	s_nop 1
	v_cndmask_b32_e64 v36, v36, v37, s[26:27]
; %bb.1063:                             ;   in Loop: Header=BB35_296 Depth=2
	s_or_b64 exec, exec, s[40:41]
	v_max_f32_e32 v37, v50, v50
	v_max_f32_e32 v38, v49, v49
	v_min_f32_e32 v39, v38, v37
	v_max_f32_e32 v37, v38, v37
	v_cndmask_b32_e32 v38, v37, v39, vcc
	v_and_b32_e32 v37, 0x7f800000, v38
	v_cmp_ne_u32_e64 s[26:27], s51, v37
                                        ; implicit-def: $vgpr37
	s_and_saveexec_b64 s[40:41], s[26:27]
	s_xor_b64 s[26:27], exec, s[40:41]
; %bb.1064:                             ;   in Loop: Header=BB35_296 Depth=2
	v_bfe_u32 v37, v38, 16, 1
	v_add3_u32 v37, v38, v37, s72
                                        ; implicit-def: $vgpr38
; %bb.1065:                             ;   in Loop: Header=BB35_296 Depth=2
	s_andn2_saveexec_b64 s[40:41], s[26:27]
; %bb.1066:                             ;   in Loop: Header=BB35_296 Depth=2
	v_or_b32_e32 v37, 0x10000, v38
	v_cmp_eq_u32_sdwa s[26:27], v38, v3 src0_sel:WORD_0 src1_sel:DWORD
	s_nop 1
	v_cndmask_b32_e64 v37, v37, v38, s[26:27]
; %bb.1067:                             ;   in Loop: Header=BB35_296 Depth=2
	s_or_b64 exec, exec, s[40:41]
	v_max_f32_e32 v26, v26, v26
	v_max_f32_e32 v25, v25, v25
	v_min_f32_e32 v38, v25, v26
	v_max_f32_e32 v25, v25, v26
	v_cndmask_b32_e32 v26, v25, v38, vcc
	v_and_b32_e32 v25, 0x7f800000, v26
	v_cmp_ne_u32_e64 s[26:27], s51, v25
                                        ; implicit-def: $vgpr25
	s_and_saveexec_b64 s[40:41], s[26:27]
	s_xor_b64 s[26:27], exec, s[40:41]
; %bb.1068:                             ;   in Loop: Header=BB35_296 Depth=2
	v_bfe_u32 v25, v26, 16, 1
	v_add3_u32 v25, v26, v25, s72
                                        ; implicit-def: $vgpr26
; %bb.1069:                             ;   in Loop: Header=BB35_296 Depth=2
	s_andn2_saveexec_b64 s[40:41], s[26:27]
; %bb.1070:                             ;   in Loop: Header=BB35_296 Depth=2
	v_or_b32_e32 v25, 0x10000, v26
	v_cmp_eq_u32_sdwa s[26:27], v26, v3 src0_sel:WORD_0 src1_sel:DWORD
	s_nop 1
	v_cndmask_b32_e64 v25, v25, v26, s[26:27]
; %bb.1071:                             ;   in Loop: Header=BB35_296 Depth=2
	s_or_b64 exec, exec, s[40:41]
	v_max_f32_e32 v23, v23, v23
	v_max_f32_e32 v22, v22, v22
	v_min_f32_e32 v26, v22, v23
	v_max_f32_e32 v22, v22, v23
	v_cndmask_b32_e32 v23, v22, v26, vcc
	v_and_b32_e32 v22, 0x7f800000, v23
	v_cmp_ne_u32_e64 s[26:27], s51, v22
                                        ; implicit-def: $vgpr22
	s_and_saveexec_b64 s[40:41], s[26:27]
	s_xor_b64 s[26:27], exec, s[40:41]
; %bb.1072:                             ;   in Loop: Header=BB35_296 Depth=2
	v_bfe_u32 v22, v23, 16, 1
	v_add3_u32 v22, v23, v22, s72
                                        ; implicit-def: $vgpr23
; %bb.1073:                             ;   in Loop: Header=BB35_296 Depth=2
	s_andn2_saveexec_b64 s[40:41], s[26:27]
; %bb.1074:                             ;   in Loop: Header=BB35_296 Depth=2
	v_or_b32_e32 v22, 0x10000, v23
	v_cmp_eq_u32_sdwa s[26:27], v23, v3 src0_sel:WORD_0 src1_sel:DWORD
	s_nop 1
	v_cndmask_b32_e64 v22, v22, v23, s[26:27]
; %bb.1075:                             ;   in Loop: Header=BB35_296 Depth=2
	s_or_b64 exec, exec, s[40:41]
	v_max_f32_e32 v21, v21, v21
	v_max_f32_e32 v20, v20, v20
	v_min_f32_e32 v23, v20, v21
	v_max_f32_e32 v20, v20, v21
	v_cndmask_b32_e32 v21, v20, v23, vcc
	v_and_b32_e32 v20, 0x7f800000, v21
	v_cmp_ne_u32_e64 s[26:27], s51, v20
                                        ; implicit-def: $vgpr20
	s_and_saveexec_b64 s[40:41], s[26:27]
	s_xor_b64 s[26:27], exec, s[40:41]
; %bb.1076:                             ;   in Loop: Header=BB35_296 Depth=2
	v_bfe_u32 v20, v21, 16, 1
	v_add3_u32 v20, v21, v20, s72
                                        ; implicit-def: $vgpr21
; %bb.1077:                             ;   in Loop: Header=BB35_296 Depth=2
	s_andn2_saveexec_b64 s[40:41], s[26:27]
; %bb.1078:                             ;   in Loop: Header=BB35_296 Depth=2
	v_or_b32_e32 v20, 0x10000, v21
	v_cmp_eq_u32_sdwa s[26:27], v21, v3 src0_sel:WORD_0 src1_sel:DWORD
	s_nop 1
	v_cndmask_b32_e64 v20, v20, v21, s[26:27]
; %bb.1079:                             ;   in Loop: Header=BB35_296 Depth=2
	s_or_b64 exec, exec, s[40:41]
	v_max_f32_e32 v19, v19, v19
	v_max_f32_e32 v18, v18, v18
	v_min_f32_e32 v21, v18, v19
	v_max_f32_e32 v18, v18, v19
	v_cndmask_b32_e32 v19, v18, v21, vcc
	v_and_b32_e32 v18, 0x7f800000, v19
	v_cmp_ne_u32_e64 s[26:27], s51, v18
                                        ; implicit-def: $vgpr18
	s_and_saveexec_b64 s[40:41], s[26:27]
	s_xor_b64 s[26:27], exec, s[40:41]
; %bb.1080:                             ;   in Loop: Header=BB35_296 Depth=2
	v_bfe_u32 v18, v19, 16, 1
	v_add3_u32 v18, v19, v18, s72
                                        ; implicit-def: $vgpr19
; %bb.1081:                             ;   in Loop: Header=BB35_296 Depth=2
	s_andn2_saveexec_b64 s[40:41], s[26:27]
; %bb.1082:                             ;   in Loop: Header=BB35_296 Depth=2
	v_or_b32_e32 v18, 0x10000, v19
	v_cmp_eq_u32_sdwa s[26:27], v19, v3 src0_sel:WORD_0 src1_sel:DWORD
	s_nop 1
	v_cndmask_b32_e64 v18, v18, v19, s[26:27]
; %bb.1083:                             ;   in Loop: Header=BB35_296 Depth=2
	s_or_b64 exec, exec, s[40:41]
	v_max_f32_e32 v17, v17, v17
	v_max_f32_e32 v16, v16, v16
	v_min_f32_e32 v19, v16, v17
	v_max_f32_e32 v16, v16, v17
	v_cndmask_b32_e32 v17, v16, v19, vcc
	v_and_b32_e32 v16, 0x7f800000, v17
	v_cmp_ne_u32_e64 s[26:27], s51, v16
                                        ; implicit-def: $vgpr16
	s_and_saveexec_b64 s[40:41], s[26:27]
	s_xor_b64 s[26:27], exec, s[40:41]
; %bb.1084:                             ;   in Loop: Header=BB35_296 Depth=2
	v_bfe_u32 v16, v17, 16, 1
	v_add3_u32 v16, v17, v16, s72
                                        ; implicit-def: $vgpr17
; %bb.1085:                             ;   in Loop: Header=BB35_296 Depth=2
	s_andn2_saveexec_b64 s[40:41], s[26:27]
; %bb.1086:                             ;   in Loop: Header=BB35_296 Depth=2
	v_or_b32_e32 v16, 0x10000, v17
	v_cmp_eq_u32_sdwa s[26:27], v17, v3 src0_sel:WORD_0 src1_sel:DWORD
	s_nop 1
	v_cndmask_b32_e64 v16, v16, v17, s[26:27]
; %bb.1087:                             ;   in Loop: Header=BB35_296 Depth=2
	s_or_b64 exec, exec, s[40:41]
	v_max_f32_e32 v11, v11, v11
	v_max_f32_e32 v10, v10, v10
	v_min_f32_e32 v17, v10, v11
	v_max_f32_e32 v10, v10, v11
	v_cndmask_b32_e32 v11, v10, v17, vcc
	v_and_b32_e32 v10, 0x7f800000, v11
	v_cmp_ne_u32_e32 vcc, s51, v10
                                        ; implicit-def: $vgpr10
	s_and_saveexec_b64 s[26:27], vcc
	s_xor_b64 s[26:27], exec, s[26:27]
; %bb.1088:                             ;   in Loop: Header=BB35_296 Depth=2
	v_bfe_u32 v10, v11, 16, 1
	v_add3_u32 v10, v11, v10, s72
                                        ; implicit-def: $vgpr11
; %bb.1089:                             ;   in Loop: Header=BB35_296 Depth=2
	s_andn2_saveexec_b64 s[26:27], s[26:27]
; %bb.1090:                             ;   in Loop: Header=BB35_296 Depth=2
	v_or_b32_e32 v10, 0x10000, v11
	v_cmp_eq_u32_sdwa vcc, v11, v3 src0_sel:WORD_0 src1_sel:DWORD
	s_nop 1
	v_cndmask_b32_e32 v10, v10, v11, vcc
; %bb.1091:                             ;   in Loop: Header=BB35_296 Depth=2
	s_or_b64 exec, exec, s[26:27]
	flat_store_short_d16_hi v[8:9], v12 nt
	flat_store_short_d16_hi v[8:9], v13 offset:128 nt
	flat_store_short_d16_hi v[8:9], v24 offset:256 nt
	;; [unrolled: 1-line block ×15, first 2 shown]
.LBB35_1092:                            ;   in Loop: Header=BB35_296 Depth=2
	s_or_b64 exec, exec, s[28:29]
	v_lshlrev_b32_e32 v7, 11, v7
	v_cmp_ne_u32_e32 vcc, v29, v7
	s_and_b64 exec, exec, vcc
	s_cbranch_execz .LBB35_1117
; %bb.1093:                             ;   in Loop: Header=BB35_296 Depth=2
	v_lshlrev_b32_e32 v8, 6, v15
	v_sub_u32_e32 v8, v14, v8
	v_ashrrev_i32_e32 v9, 31, v8
	v_lshrrev_b32_e32 v9, 26, v9
	v_add_u32_e32 v9, v8, v9
	v_and_b32_e32 v10, 0x7fffffc0, v9
	v_sub_u32_e32 v8, v8, v10
	v_lshlrev_b32_e32 v9, 1, v9
	v_and_b32_e32 v9, 0xffffff80, v9
	v_lshlrev_b32_e32 v8, 1, v8
	v_add3_u32 v8, v9, v8, v7
	v_sub_u32_e32 v7, v29, v8
	v_cmp_lt_i32_e32 vcc, 1, v7
	s_and_b64 exec, exec, vcc
	s_cbranch_execz .LBB35_1117
; %bb.1094:                             ;   in Loop: Header=BB35_296 Depth=2
	s_trap 2
	scratch_load_dwordx2 v[20:21], off, s33 offset:416 ; 8-byte Folded Reload
	ds_read_b64 v[12:13], v0
	v_add_u32_e32 v14, v8, v6
	s_and_b32 s12, s12, 0xff
	v_ashrrev_i32_e32 v15, 31, v14
	s_cmp_eq_u32 s12, 0
	v_lshl_add_u64 v[8:9], v[58:59], 0, v[14:15]
	v_lshl_add_u64 v[10:11], v[14:15], 0, v[0:1]
	s_waitcnt lgkmcnt(0)
	v_lshl_add_u64 v[0:1], v[12:13], 0, v[14:15]
	s_mov_b64 s[60:61], 0
	s_mov_b64 s[46:47], 0
	s_cselect_b64 s[26:27], -1, 0
	v_mov_b32_e32 v18, v107
                                        ; implicit-def: $sgpr58_sgpr59
	s_branch .LBB35_1096
.LBB35_1095:                            ;   in Loop: Header=BB35_1096 Depth=3
	s_or_b64 exec, exec, s[28:29]
	v_lshrrev_b32_e32 v7, 16, v12
	scratch_store_short off, v7, s33 offset:192
	flat_store_short v[8:9], v7 nt
	v_mov_b32_e32 v7, 0x80
	v_cndmask_b32_e64 v16, v7, v20, s[60:61]
	v_cndmask_b32_e64 v7, 0, v18, s[60:61]
	v_sub_u32_e32 v7, v6, v7
	v_cmp_gt_i32_e32 vcc, 2, v7
	s_or_b64 s[46:47], vcc, s[46:47]
	v_lshl_add_u64 v[12:13], v[10:11], 0, v[104:105]
	v_lshl_add_u64 v[14:15], v[0:1], 0, v[104:105]
	v_cndmask_b32_e64 v17, 0, v21, s[60:61]
	s_andn2_b64 s[12:13], s[58:59], exec
	s_and_b64 s[28:29], s[60:61], exec
	v_lshl_add_u64 v[8:9], v[8:9], 0, v[16:17]
	v_cndmask_b32_e64 v1, v1, v15, s[60:61]
	v_cndmask_b32_e64 v0, v0, v14, s[60:61]
	;; [unrolled: 1-line block ×4, first 2 shown]
	s_or_b64 s[58:59], s[12:13], s[28:29]
	s_andn2_b64 exec, exec, s[46:47]
	s_cbranch_execz .LBB35_1111
.LBB35_1096:                            ;   Parent Loop BB35_47 Depth=1
                                        ;     Parent Loop BB35_296 Depth=2
                                        ; =>    This Loop Header: Depth=3
                                        ;         Child Loop BB35_1097 Depth 4
                                        ;         Child Loop BB35_1106 Depth 4
	s_add_i32 s13, s33, 0xc0
	s_mov_b32 s12, s13
	s_mov_b64 s[62:63], -1
	s_mov_b64 s[52:53], 0
.LBB35_1097:                            ;   Parent Loop BB35_47 Depth=1
                                        ;     Parent Loop BB35_296 Depth=2
                                        ;       Parent Loop BB35_1096 Depth=3
                                        ; =>      This Inner Loop Header: Depth=4
	s_cmp_eq_u32 s52, 1
	s_cselect_b64 vcc, -1, 0
	v_cndmask_b32_e32 v13, v11, v1, vcc
	v_cndmask_b32_e32 v12, v10, v0, vcc
	flat_load_ushort v6, v[12:13] nt
	s_cmp_eq_u32 s52, 0
	s_cselect_b64 s[28:29], -1, 0
	s_and_b64 s[40:41], exec, s[62:63]
	v_lshl_add_u64 v[12:13], v[12:13], 0, s[94:95]
	s_add_i32 s13, s33, 0xe0
	s_mov_b64 s[52:53], 1
	s_mov_b64 s[62:63], 0
	v_cndmask_b32_e32 v1, v1, v13, vcc
	v_cndmask_b32_e32 v0, v0, v12, vcc
	v_cndmask_b32_e64 v11, v11, v13, s[28:29]
	v_cndmask_b32_e64 v10, v10, v12, s[28:29]
	s_mov_b64 vcc, s[40:41]
	s_waitcnt vmcnt(0) lgkmcnt(0)
	scratch_store_short off, v6, s12
	s_mov_b32 s12, s13
	s_cbranch_vccnz .LBB35_1097
; %bb.1098:                             ;   in Loop: Header=BB35_1096 Depth=3
	s_and_saveexec_b64 s[28:29], s[60:61]
	s_cbranch_execz .LBB35_1104
; %bb.1099:                             ;   in Loop: Header=BB35_1096 Depth=3
	scratch_load_ushort v6, off, s33 offset:184
	scratch_load_ushort v12, off, s33 offset:186
	s_waitcnt vmcnt(1)
	v_lshlrev_b32_e32 v6, 16, v6
	s_waitcnt vmcnt(0)
	v_lshlrev_b32_e32 v12, 16, v12
	v_max_f32_e32 v12, v12, v12
	v_max_f32_e32 v6, v6, v6
	v_min_f32_e32 v13, v6, v12
	v_max_f32_e32 v6, v6, v12
	v_cndmask_b32_e64 v6, v6, v13, s[26:27]
	v_and_b32_e32 v12, 0x7f800000, v6
	v_cmp_ne_u32_e32 vcc, s51, v12
                                        ; implicit-def: $vgpr12
	s_and_saveexec_b64 s[12:13], vcc
	s_xor_b64 s[40:41], exec, s[12:13]
; %bb.1100:                             ;   in Loop: Header=BB35_1096 Depth=3
	v_bfe_u32 v12, v6, 16, 1
	v_add3_u32 v12, v6, v12, s72
                                        ; implicit-def: $vgpr6
; %bb.1101:                             ;   in Loop: Header=BB35_1096 Depth=3
	s_andn2_saveexec_b64 s[40:41], s[40:41]
; %bb.1102:                             ;   in Loop: Header=BB35_1096 Depth=3
	v_or_b32_e32 v12, 0x10000, v6
	v_cmp_eq_u32_sdwa vcc, v6, v3 src0_sel:WORD_0 src1_sel:DWORD
	s_nop 1
	v_cndmask_b32_e32 v12, v12, v6, vcc
; %bb.1103:                             ;   in Loop: Header=BB35_1096 Depth=3
	s_or_b64 exec, exec, s[40:41]
	v_lshrrev_b32_e32 v6, 16, v12
	scratch_store_short off, v6, s33 offset:184
	flat_store_short v[8:9], v6 nt
	v_lshl_add_u64 v[8:9], v[8:9], 0, v[20:21]
.LBB35_1104:                            ;   in Loop: Header=BB35_1096 Depth=3
	s_or_b64 exec, exec, s[28:29]
	v_sub_u32_e32 v6, v7, v18
	v_lshl_add_u64 v[10:11], v[10:11], 0, v[104:105]
	v_lshl_add_u64 v[0:1], v[0:1], 0, v[104:105]
	v_cmp_lt_i32_e64 s[60:61], 1, v6
	s_and_saveexec_b64 s[62:63], s[60:61]
	s_cbranch_execz .LBB35_1107
; %bb.1105:                             ;   in Loop: Header=BB35_1096 Depth=3
	s_add_i32 s13, s33, 0xb8
	s_mov_b32 s12, s13
	s_mov_b64 s[54:55], 0
	s_mov_b64 s[52:53], -1
.LBB35_1106:                            ;   Parent Loop BB35_47 Depth=1
                                        ;     Parent Loop BB35_296 Depth=2
                                        ;       Parent Loop BB35_1096 Depth=3
                                        ; =>      This Inner Loop Header: Depth=4
	s_cmp_eq_u32 s54, 1
	s_cselect_b64 vcc, -1, 0
	v_cndmask_b32_e32 v13, v11, v1, vcc
	v_cndmask_b32_e32 v12, v10, v0, vcc
	flat_load_ushort v7, v[12:13] nt
	s_cmp_eq_u32 s54, 0
	s_cselect_b64 s[28:29], -1, 0
	s_and_b64 s[40:41], exec, s[52:53]
	v_lshl_add_u64 v[12:13], v[12:13], 0, s[94:95]
	s_add_i32 s13, s33, 0xba
	s_mov_b64 s[54:55], 1
	s_mov_b64 s[52:53], 0
	v_cndmask_b32_e64 v11, v11, v13, s[28:29]
	v_cndmask_b32_e64 v10, v10, v12, s[28:29]
	v_cndmask_b32_e32 v1, v1, v13, vcc
	v_cndmask_b32_e32 v0, v0, v12, vcc
	s_mov_b64 vcc, s[40:41]
	s_waitcnt vmcnt(0) lgkmcnt(0)
	scratch_store_short off, v7, s12
	s_mov_b32 s12, s13
	s_cbranch_vccnz .LBB35_1106
.LBB35_1107:                            ;   in Loop: Header=BB35_1096 Depth=3
	s_or_b64 exec, exec, s[62:63]
	scratch_load_ushort v7, off, s33 offset:192
	scratch_load_ushort v12, off, s33 offset:224
	s_waitcnt vmcnt(0)
	v_lshlrev_b32_e32 v7, 16, v7
	v_lshlrev_b32_e32 v12, 16, v12
	v_max_f32_e32 v12, v12, v12
	v_max_f32_e32 v7, v7, v7
	v_min_f32_e32 v13, v7, v12
	v_max_f32_e32 v7, v7, v12
	v_cndmask_b32_e64 v7, v7, v13, s[26:27]
	v_and_b32_e32 v12, 0x7f800000, v7
	v_cmp_ne_u32_e32 vcc, s51, v12
                                        ; implicit-def: $vgpr12
	s_and_saveexec_b64 s[12:13], vcc
	s_xor_b64 s[28:29], exec, s[12:13]
; %bb.1108:                             ;   in Loop: Header=BB35_1096 Depth=3
	v_bfe_u32 v12, v7, 16, 1
	v_add3_u32 v12, v7, v12, s72
                                        ; implicit-def: $vgpr7
; %bb.1109:                             ;   in Loop: Header=BB35_1096 Depth=3
	s_andn2_saveexec_b64 s[28:29], s[28:29]
	s_cbranch_execz .LBB35_1095
; %bb.1110:                             ;   in Loop: Header=BB35_1096 Depth=3
	v_or_b32_e32 v12, 0x10000, v7
	v_cmp_eq_u32_sdwa vcc, v7, v3 src0_sel:WORD_0 src1_sel:DWORD
	s_nop 1
	v_cndmask_b32_e32 v12, v12, v7, vcc
	s_branch .LBB35_1095
.LBB35_1111:                            ;   in Loop: Header=BB35_296 Depth=2
	s_or_b64 exec, exec, s[46:47]
	s_and_b64 exec, exec, s[58:59]
	s_cbranch_execz .LBB35_1117
; %bb.1112:                             ;   in Loop: Header=BB35_296 Depth=2
	scratch_load_ushort v0, off, s33 offset:184
	scratch_load_ushort v1, off, s33 offset:186
	s_waitcnt vmcnt(0)
	v_lshlrev_b32_e32 v0, 16, v0
	v_lshlrev_b32_e32 v1, 16, v1
	v_max_f32_e32 v1, v1, v1
	v_max_f32_e32 v0, v0, v0
	v_min_f32_e32 v6, v0, v1
	v_max_f32_e32 v0, v0, v1
	v_cndmask_b32_e64 v0, v0, v6, s[26:27]
	v_and_b32_e32 v1, 0x7f800000, v0
	v_cmp_ne_u32_e32 vcc, s51, v1
                                        ; implicit-def: $vgpr1
	s_and_saveexec_b64 s[12:13], vcc
	s_xor_b64 s[26:27], exec, s[12:13]
; %bb.1113:                             ;   in Loop: Header=BB35_296 Depth=2
	v_bfe_u32 v1, v0, 16, 1
	v_add3_u32 v1, v0, v1, s72
                                        ; implicit-def: $vgpr0
; %bb.1114:                             ;   in Loop: Header=BB35_296 Depth=2
	s_andn2_saveexec_b64 s[26:27], s[26:27]
; %bb.1115:                             ;   in Loop: Header=BB35_296 Depth=2
	v_or_b32_e32 v1, 0x10000, v0
	v_cmp_eq_u32_sdwa vcc, v0, v3 src0_sel:WORD_0 src1_sel:DWORD
	s_nop 1
	v_cndmask_b32_e32 v1, v1, v0, vcc
; %bb.1116:                             ;   in Loop: Header=BB35_296 Depth=2
	s_or_b64 exec, exec, s[26:27]
	flat_store_short_d16_hi v[8:9], v1 nt
.LBB35_1117:                            ;   in Loop: Header=BB35_296 Depth=2
	s_or_b64 exec, exec, s[56:57]
	v_cmp_lt_i32_e64 s[26:27], 0, v2
	v_mov_b32_e32 v58, v107
	s_and_saveexec_b64 s[28:29], s[6:7]
	s_cbranch_execz .LBB35_372
.LBB35_1118:                            ;   in Loop: Header=BB35_296 Depth=2
	s_and_saveexec_b64 s[12:13], s[78:79]
	s_xor_b64 s[40:41], exec, s[12:13]
	s_cbranch_execz .LBB35_1133
; %bb.1119:                             ;   in Loop: Header=BB35_296 Depth=2
	s_and_saveexec_b64 s[46:47], s[14:15]
	s_cbranch_execz .LBB35_1132
; %bb.1120:                             ;   in Loop: Header=BB35_296 Depth=2
	s_mov_b64 s[58:59], exec
	v_mbcnt_lo_u32_b32 v0, s58, 0
	v_mbcnt_hi_u32_b32 v0, s59, v0
	v_cmp_eq_u32_e32 vcc, 0, v0
	s_waitcnt lgkmcnt(0)
	s_and_saveexec_b64 s[56:57], vcc
	s_cbranch_execz .LBB35_1122
; %bb.1121:                             ;   in Loop: Header=BB35_296 Depth=2
	s_bcnt1_i32_b64 s12, s[58:59]
	v_mov_b32_e32 v2, s12
	ds_add_u64 v0, v[2:3]
	s_trap 2
.LBB35_1122:                            ;   in Loop: Header=BB35_296 Depth=2
	s_or_b64 exec, exec, s[56:57]
	s_trap 2
	ds_read_b64 v[0:1], v0
	s_waitcnt lgkmcnt(0)
	v_lshl_add_u64 v[56:57], v[56:57], 0, v[60:61]
	v_cmp_lt_u64_e32 vcc, v[0:1], v[56:57]
	s_and_saveexec_b64 s[56:57], vcc
	s_cbranch_execz .LBB35_1131
; %bb.1123:                             ;   in Loop: Header=BB35_296 Depth=2
	s_mov_b32 s12, 0
	s_mov_b64 s[58:59], 0
                                        ; implicit-def: $sgpr60_sgpr61
                                        ; implicit-def: $sgpr62_sgpr63
	s_branch .LBB35_1125
.LBB35_1124:                            ;   in Loop: Header=BB35_1125 Depth=3
	s_or_b64 exec, exec, s[54:55]
	s_and_b64 vcc, exec, vcc
	s_or_b64 s[58:59], vcc, s[58:59]
	s_andn2_b64 s[60:61], s[60:61], exec
	s_and_b64 vcc, s[62:63], exec
	s_or_b64 s[60:61], s[60:61], vcc
	s_andn2_b64 exec, exec, s[58:59]
	s_cbranch_execz .LBB35_1129
.LBB35_1125:                            ;   Parent Loop BB35_47 Depth=1
                                        ;     Parent Loop BB35_296 Depth=2
                                        ; =>    This Inner Loop Header: Depth=3
	s_add_i32 s12, s12, 1
	s_cmpk_lg_i32 s12, 0x2710
	s_cselect_b64 s[52:53], -1, 0
	s_and_b64 vcc, exec, s[52:53]
	s_cbranch_vccz .LBB35_1127
; %bb.1126:                             ;   in Loop: Header=BB35_1125 Depth=3
	s_mov_b64 vcc, -1
	s_or_b64 s[62:63], s[62:63], exec
	s_and_saveexec_b64 s[54:55], s[52:53]
	s_cbranch_execz .LBB35_1124
	s_branch .LBB35_1128
.LBB35_1127:                            ;   in Loop: Header=BB35_1125 Depth=3
	s_trap 2
	ds_read_b64 v[0:1], v0
	s_andn2_b64 s[52:53], s[52:53], exec
	s_mov_b32 s12, 0
	s_waitcnt vmcnt(0) lgkmcnt(0)
	flat_load_dword v0, v[0:1] sc0 sc1
	s_waitcnt vmcnt(0) lgkmcnt(0)
	buffer_inv sc0 sc1
	v_cmp_eq_u32_e32 vcc, 0, v0
	s_and_b64 vcc, vcc, exec
	s_or_b64 s[52:53], s[52:53], vcc
	s_mov_b64 vcc, -1
	s_or_b64 s[62:63], s[62:63], exec
	s_and_saveexec_b64 s[54:55], s[52:53]
	s_cbranch_execz .LBB35_1124
.LBB35_1128:                            ;   in Loop: Header=BB35_1125 Depth=3
	s_sleep 1
	s_trap 2
	ds_read_b64 v[0:1], v0
	s_waitcnt lgkmcnt(0)
	s_andn2_b64 s[62:63], s[62:63], exec
	v_cmp_ge_u64_e32 vcc, v[0:1], v[56:57]
	s_orn2_b64 vcc, vcc, exec
	s_branch .LBB35_1124
.LBB35_1129:                            ;   in Loop: Header=BB35_296 Depth=2
	s_or_b64 exec, exec, s[58:59]
	s_and_saveexec_b64 s[12:13], s[60:61]
	s_xor_b64 s[12:13], exec, s[12:13]
	s_cbranch_execz .LBB35_1131
; %bb.1130:                             ;   in Loop: Header=BB35_296 Depth=2
	v_mov_b32_e32 v0, 1
	ds_write_b32 v0, v0
	s_trap 2
.LBB35_1131:                            ;   in Loop: Header=BB35_296 Depth=2
	s_or_b64 exec, exec, s[56:57]
	;;#ASMSTART
	s_wakeup
	;;#ASMEND
.LBB35_1132:                            ;   in Loop: Header=BB35_296 Depth=2
	s_or_b64 exec, exec, s[46:47]
.LBB35_1133:                            ;   in Loop: Header=BB35_296 Depth=2
	s_andn2_saveexec_b64 s[40:41], s[40:41]
	s_cbranch_execz .LBB35_1135
; %bb.1134:                             ;   in Loop: Header=BB35_296 Depth=2
	s_waitcnt lgkmcnt(0)
	s_barrier
.LBB35_1135:                            ;   in Loop: Header=BB35_296 Depth=2
	s_or_b64 exec, exec, s[40:41]
	s_or_b64 exec, exec, s[28:29]
                                        ; implicit-def: $vgpr0
	s_and_saveexec_b64 s[12:13], s[22:23]
	s_xor_b64 s[28:29], exec, s[12:13]
	s_cbranch_execnz .LBB35_373
.LBB35_1136:                            ;   in Loop: Header=BB35_296 Depth=2
	s_andn2_saveexec_b64 s[26:27], s[28:29]
	s_cbranch_execz .LBB35_1155
.LBB35_1137:                            ;   in Loop: Header=BB35_296 Depth=2
	s_and_saveexec_b64 s[12:13], s[78:79]
	s_xor_b64 s[28:29], exec, s[12:13]
	s_cbranch_execz .LBB35_1152
; %bb.1138:                             ;   in Loop: Header=BB35_296 Depth=2
	s_and_saveexec_b64 s[40:41], s[14:15]
	s_cbranch_execz .LBB35_1151
; %bb.1139:                             ;   in Loop: Header=BB35_296 Depth=2
	s_mov_b64 s[56:57], exec
	v_mbcnt_lo_u32_b32 v0, s56, 0
	v_mbcnt_hi_u32_b32 v0, s57, v0
	v_cmp_eq_u32_e32 vcc, 0, v0
	;;#ASMSTART
	s_waitcnt lgkmcnt(0) vmcnt(0)
	;;#ASMEND
	s_and_saveexec_b64 s[46:47], vcc
	s_cbranch_execz .LBB35_1141
; %bb.1140:                             ;   in Loop: Header=BB35_296 Depth=2
	s_bcnt1_i32_b64 s12, s[56:57]
	v_mov_b32_e32 v2, s12
	s_waitcnt lgkmcnt(0)
	ds_add_u64 v0, v[2:3]
	s_trap 2
.LBB35_1141:                            ;   in Loop: Header=BB35_296 Depth=2
	s_or_b64 exec, exec, s[46:47]
	s_trap 2
	ds_read_b64 v[0:1], v0
	s_waitcnt lgkmcnt(0)
	v_lshl_add_u64 v[56:57], v[56:57], 0, v[60:61]
	v_cmp_lt_u64_e32 vcc, v[0:1], v[56:57]
	s_and_saveexec_b64 s[46:47], vcc
	s_cbranch_execz .LBB35_1150
; %bb.1142:                             ;   in Loop: Header=BB35_296 Depth=2
	s_mov_b32 s12, 0
	s_mov_b64 s[56:57], 0
                                        ; implicit-def: $sgpr58_sgpr59
                                        ; implicit-def: $sgpr60_sgpr61
	s_branch .LBB35_1144
.LBB35_1143:                            ;   in Loop: Header=BB35_1144 Depth=3
	s_or_b64 exec, exec, s[52:53]
	s_and_b64 s[62:63], exec, vcc
	s_or_b64 s[56:57], s[62:63], s[56:57]
	s_andn2_b64 s[58:59], s[58:59], exec
	s_and_b64 s[62:63], s[60:61], exec
	s_or_b64 s[58:59], s[58:59], s[62:63]
	s_andn2_b64 exec, exec, s[56:57]
	s_cbranch_execz .LBB35_1148
.LBB35_1144:                            ;   Parent Loop BB35_47 Depth=1
                                        ;     Parent Loop BB35_296 Depth=2
                                        ; =>    This Inner Loop Header: Depth=3
	s_add_i32 s12, s12, 1
	s_cmpk_lg_i32 s12, 0x2710
	s_cselect_b64 s[62:63], -1, 0
	s_and_b64 vcc, exec, s[62:63]
	s_cbranch_vccz .LBB35_1146
; %bb.1145:                             ;   in Loop: Header=BB35_1144 Depth=3
	s_mov_b64 vcc, -1
	s_or_b64 s[60:61], s[60:61], exec
	s_and_saveexec_b64 s[52:53], s[62:63]
	s_cbranch_execz .LBB35_1143
	s_branch .LBB35_1147
.LBB35_1146:                            ;   in Loop: Header=BB35_1144 Depth=3
	s_trap 2
	ds_read_b64 v[0:1], v0
	s_andn2_b64 s[62:63], s[62:63], exec
	s_mov_b32 s12, 0
	s_waitcnt vmcnt(0) lgkmcnt(0)
	flat_load_dword v0, v[0:1] sc0 sc1
	s_waitcnt vmcnt(0) lgkmcnt(0)
	buffer_inv sc0 sc1
	v_cmp_eq_u32_e32 vcc, 0, v0
	s_and_b64 vcc, vcc, exec
	s_or_b64 s[62:63], s[62:63], vcc
	s_mov_b64 vcc, -1
	s_or_b64 s[60:61], s[60:61], exec
	s_and_saveexec_b64 s[52:53], s[62:63]
	s_cbranch_execz .LBB35_1143
.LBB35_1147:                            ;   in Loop: Header=BB35_1144 Depth=3
	s_sleep 1
	s_trap 2
	ds_read_b64 v[0:1], v0
	s_waitcnt lgkmcnt(0)
	s_andn2_b64 s[60:61], s[60:61], exec
	v_cmp_ge_u64_e32 vcc, v[0:1], v[56:57]
	s_orn2_b64 vcc, vcc, exec
	s_branch .LBB35_1143
.LBB35_1148:                            ;   in Loop: Header=BB35_296 Depth=2
	s_or_b64 exec, exec, s[56:57]
	s_and_saveexec_b64 s[12:13], s[58:59]
	s_xor_b64 s[12:13], exec, s[12:13]
	s_cbranch_execz .LBB35_1150
; %bb.1149:                             ;   in Loop: Header=BB35_296 Depth=2
	v_mov_b32_e32 v0, 1
	ds_write_b32 v0, v0
	s_trap 2
.LBB35_1150:                            ;   in Loop: Header=BB35_296 Depth=2
	s_or_b64 exec, exec, s[46:47]
	;;#ASMSTART
	s_wakeup
	;;#ASMEND
.LBB35_1151:                            ;   in Loop: Header=BB35_296 Depth=2
	s_or_b64 exec, exec, s[40:41]
.LBB35_1152:                            ;   in Loop: Header=BB35_296 Depth=2
	s_andn2_saveexec_b64 s[28:29], s[28:29]
	s_cbranch_execz .LBB35_1154
; %bb.1153:                             ;   in Loop: Header=BB35_296 Depth=2
	;;#ASMSTART
	s_waitcnt lgkmcnt(0) vmcnt(0)
	;;#ASMEND
	s_barrier
.LBB35_1154:                            ;   in Loop: Header=BB35_296 Depth=2
	s_or_b64 exec, exec, s[28:29]
	v_and_b32_e32 v0, 16, v106
.LBB35_1155:                            ;   in Loop: Header=BB35_296 Depth=2
	s_or_b64 exec, exec, s[26:27]
	v_cmp_ne_u32_e32 vcc, 0, v0
	s_xor_b64 s[12:13], s[10:11], -1
	s_and_b64 s[12:13], vcc, s[12:13]
	s_and_saveexec_b64 s[26:27], s[12:13]
	s_cbranch_execz .LBB35_1157
; %bb.1156:                             ;   in Loop: Header=BB35_296 Depth=2
	scratch_load_dwordx2 v[0:1], off, s33 offset:304 ; 8-byte Folded Reload
	v_mov_b32_e32 v2, 1
	s_waitcnt vmcnt(0)
	flat_store_dword v[0:1], v2 sc0 sc1
.LBB35_1157:                            ;   in Loop: Header=BB35_296 Depth=2
	s_or_b64 exec, exec, s[26:27]
	v_and_b32_e32 v0, 48, v106
	v_cmp_ne_u32_e32 vcc, 0, v0
	s_and_saveexec_b64 s[26:27], vcc
	s_cbranch_execz .LBB35_1159
; %bb.1158:                             ;   in Loop: Header=BB35_296 Depth=2
	v_lshl_add_u64 v[4:5], v[4:5], 0, 4
	flat_store_dwordx2 v[40:41], v[4:5] sc0 sc1
.LBB35_1159:                            ;   in Loop: Header=BB35_296 Depth=2
	s_or_b64 exec, exec, s[26:27]
	v_mov_b32_e32 v2, v28
.LBB35_1160:                            ;   in Loop: Header=BB35_296 Depth=2
	s_or_b64 exec, exec, s[44:45]
	s_and_saveexec_b64 s[28:29], s[42:43]
	s_cbranch_execz .LBB35_295
; %bb.1161:                             ;   in Loop: Header=BB35_296 Depth=2
	v_sub_u32_e32 v0, v30, v2
	v_and_b32_e32 v1, 12, v106
	v_min_i32_e32 v0, v28, v0
	v_cmp_ne_u32_e32 vcc, 0, v1
	s_and_saveexec_b64 s[40:41], vcc
	s_cbranch_execz .LBB35_1171
; %bb.1162:                             ;   in Loop: Header=BB35_296 Depth=2
	v_and_b32_e32 v2, 8, v106
	s_waitcnt lgkmcnt(0)
	v_lshl_add_u64 v[6:7], v[46:47], 0, v[2:3]
	v_lshl_add_u64 v[8:9], v[4:5], 0, 4
	v_cmp_lt_u64_e32 vcc, v[6:7], v[8:9]
	s_and_saveexec_b64 s[42:43], vcc
	s_cbranch_execz .LBB35_1187
; %bb.1163:                             ;   in Loop: Header=BB35_296 Depth=2
	v_and_b32_e32 v1, 64, v106
	s_mov_b32 s12, 0
	v_cmp_eq_u32_e32 vcc, 0, v1
	s_mov_b64 s[44:45], 0
                                        ; implicit-def: $sgpr46_sgpr47
                                        ; implicit-def: $sgpr56_sgpr57
                                        ; implicit-def: $sgpr58_sgpr59
	s_branch .LBB35_1167
.LBB35_1164:                            ;   in Loop: Header=BB35_1167 Depth=3
	s_waitcnt vmcnt(0) lgkmcnt(0)
	v_lshl_add_u64 v[6:7], v[46:47], 0, v[2:3]
	v_cmp_ge_u64_e64 s[26:27], v[6:7], v[8:9]
	s_or_b64 s[52:53], s[52:53], exec
	s_orn2_b64 s[62:63], s[26:27], exec
.LBB35_1165:                            ;   in Loop: Header=BB35_1167 Depth=3
	s_or_b64 exec, exec, s[64:65]
	s_andn2_b64 s[26:27], s[58:59], exec
	s_and_b64 s[58:59], s[52:53], exec
	s_or_b64 s[58:59], s[26:27], s[58:59]
	s_andn2_b64 s[26:27], s[56:57], exec
	s_and_b64 s[56:57], s[62:63], exec
	s_or_b64 s[56:57], s[26:27], s[56:57]
.LBB35_1166:                            ;   in Loop: Header=BB35_1167 Depth=3
	s_or_b64 exec, exec, s[60:61]
	s_and_b64 s[26:27], exec, s[56:57]
	s_or_b64 s[44:45], s[26:27], s[44:45]
	s_andn2_b64 s[26:27], s[46:47], exec
	s_and_b64 s[46:47], s[58:59], exec
	s_or_b64 s[46:47], s[26:27], s[46:47]
	s_andn2_b64 exec, exec, s[44:45]
	s_cbranch_execz .LBB35_1184
.LBB35_1167:                            ;   Parent Loop BB35_47 Depth=1
                                        ;     Parent Loop BB35_296 Depth=2
                                        ; =>    This Inner Loop Header: Depth=3
	s_sleep 1
	s_waitcnt vmcnt(0) lgkmcnt(0)
	flat_load_dwordx2 v[46:47], v[40:41] sc0 sc1
	s_or_b64 s[58:59], s[58:59], exec
	s_or_b64 s[56:57], s[56:57], exec
                                        ; implicit-def: $vgpr1
	s_and_saveexec_b64 s[60:61], vcc
	s_cbranch_execz .LBB35_1166
; %bb.1168:                             ;   in Loop: Header=BB35_1167 Depth=3
	s_cmpk_lt_i32 s12, 0x270f
	s_cselect_b64 s[54:55], -1, 0
	s_cmpk_gt_i32 s12, 0x270e
	s_mov_b64 s[62:63], -1
	s_cbranch_scc0 .LBB35_1170
; %bb.1169:                             ;   in Loop: Header=BB35_1167 Depth=3
	s_trap 2
	ds_read_b64 v[6:7], v0
	s_andn2_b64 s[54:55], s[54:55], exec
	s_mov_b32 s12, 0
	s_mov_b64 s[52:53], 0
	s_waitcnt vmcnt(0) lgkmcnt(0)
	flat_load_dword v1, v[6:7] sc0 sc1
	s_waitcnt vmcnt(0) lgkmcnt(0)
	buffer_inv sc0 sc1
	v_cmp_eq_u32_e64 s[26:27], 0, v1
	s_and_b64 s[26:27], s[26:27], exec
	s_or_b64 s[54:55], s[54:55], s[26:27]
	s_and_saveexec_b64 s[64:65], s[54:55]
	s_cbranch_execz .LBB35_1165
	s_branch .LBB35_1164
.LBB35_1170:                            ;   in Loop: Header=BB35_1167 Depth=3
	s_add_i32 s12, s12, 1
	s_mov_b64 s[52:53], -1
                                        ; implicit-def: $vgpr1
	s_and_saveexec_b64 s[64:65], s[54:55]
	s_cbranch_execz .LBB35_1165
	s_branch .LBB35_1164
.LBB35_1171:                            ;   in Loop: Header=BB35_296 Depth=2
	s_or_b64 exec, exec, s[40:41]
	s_and_saveexec_b64 s[26:27], s[6:7]
	s_cbranch_execnz .LBB35_1200
.LBB35_1172:                            ;   in Loop: Header=BB35_296 Depth=2
	s_or_b64 exec, exec, s[26:27]
                                        ; implicit-def: $vgpr1
	s_and_saveexec_b64 s[12:13], s[48:49]
	s_xor_b64 s[26:27], exec, s[12:13]
	s_cbranch_execz .LBB35_1225
.LBB35_1173:                            ;   in Loop: Header=BB35_296 Depth=2
	s_and_saveexec_b64 s[12:13], s[78:79]
	s_xor_b64 s[40:41], exec, s[12:13]
	s_cbranch_execz .LBB35_1215
; %bb.1174:                             ;   in Loop: Header=BB35_296 Depth=2
	s_and_saveexec_b64 s[42:43], s[14:15]
	s_cbranch_execz .LBB35_1214
; %bb.1175:                             ;   in Loop: Header=BB35_296 Depth=2
	s_mov_b64 s[46:47], exec
	v_mbcnt_lo_u32_b32 v0, s46, 0
	v_mbcnt_hi_u32_b32 v0, s47, v0
	v_cmp_eq_u32_e32 vcc, 0, v0
	;;#ASMSTART
	s_waitcnt lgkmcnt(0) vmcnt(0)
	;;#ASMEND
	s_and_saveexec_b64 s[44:45], vcc
	s_cbranch_execz .LBB35_1177
; %bb.1176:                             ;   in Loop: Header=BB35_296 Depth=2
	s_bcnt1_i32_b64 s12, s[46:47]
	v_mov_b32_e32 v2, s12
	s_waitcnt lgkmcnt(0)
	ds_add_u64 v0, v[2:3]
	s_trap 2
.LBB35_1177:                            ;   in Loop: Header=BB35_296 Depth=2
	s_or_b64 exec, exec, s[44:45]
	s_trap 2
	ds_read_b64 v[0:1], v0
	s_waitcnt lgkmcnt(0)
	v_lshl_add_u64 v[56:57], v[56:57], 0, v[60:61]
	v_cmp_lt_u64_e32 vcc, v[0:1], v[56:57]
	s_and_saveexec_b64 s[44:45], vcc
	s_cbranch_execz .LBB35_1213
; %bb.1178:                             ;   in Loop: Header=BB35_296 Depth=2
	s_mov_b32 s12, 0
	s_mov_b64 s[46:47], 0
                                        ; implicit-def: $sgpr56_sgpr57
                                        ; implicit-def: $sgpr58_sgpr59
	s_branch .LBB35_1180
.LBB35_1179:                            ;   in Loop: Header=BB35_1180 Depth=3
	s_or_b64 exec, exec, s[62:63]
	s_and_b64 s[60:61], exec, vcc
	s_or_b64 s[46:47], s[60:61], s[46:47]
	s_andn2_b64 s[56:57], s[56:57], exec
	s_and_b64 s[60:61], s[58:59], exec
	s_or_b64 s[56:57], s[56:57], s[60:61]
	s_andn2_b64 exec, exec, s[46:47]
	s_cbranch_execz .LBB35_1211
.LBB35_1180:                            ;   Parent Loop BB35_47 Depth=1
                                        ;     Parent Loop BB35_296 Depth=2
                                        ; =>    This Inner Loop Header: Depth=3
	s_add_i32 s12, s12, 1
	s_cmpk_lg_i32 s12, 0x2710
	s_cselect_b64 s[60:61], -1, 0
	s_and_b64 vcc, exec, s[60:61]
	s_cbranch_vccz .LBB35_1182
; %bb.1181:                             ;   in Loop: Header=BB35_1180 Depth=3
	s_mov_b64 vcc, -1
	s_or_b64 s[58:59], s[58:59], exec
	s_and_saveexec_b64 s[62:63], s[60:61]
	s_cbranch_execz .LBB35_1179
	s_branch .LBB35_1183
.LBB35_1182:                            ;   in Loop: Header=BB35_1180 Depth=3
	s_trap 2
	ds_read_b64 v[0:1], v0
	s_andn2_b64 s[60:61], s[60:61], exec
	s_mov_b32 s12, 0
	s_waitcnt vmcnt(0) lgkmcnt(0)
	flat_load_dword v0, v[0:1] sc0 sc1
	s_waitcnt vmcnt(0) lgkmcnt(0)
	buffer_inv sc0 sc1
	v_cmp_eq_u32_e32 vcc, 0, v0
	s_and_b64 s[62:63], vcc, exec
	s_or_b64 s[60:61], s[60:61], s[62:63]
	s_mov_b64 vcc, -1
	s_or_b64 s[58:59], s[58:59], exec
	s_and_saveexec_b64 s[62:63], s[60:61]
	s_cbranch_execz .LBB35_1179
.LBB35_1183:                            ;   in Loop: Header=BB35_1180 Depth=3
	s_sleep 1
	s_trap 2
	ds_read_b64 v[0:1], v0
	s_waitcnt lgkmcnt(0)
	s_andn2_b64 s[58:59], s[58:59], exec
	v_cmp_ge_u64_e32 vcc, v[0:1], v[56:57]
	s_orn2_b64 vcc, vcc, exec
	s_branch .LBB35_1179
.LBB35_1184:                            ;   in Loop: Header=BB35_296 Depth=2
	s_or_b64 exec, exec, s[44:45]
	s_xor_b64 s[12:13], s[46:47], -1
	s_and_saveexec_b64 s[26:27], s[12:13]
	s_xor_b64 s[26:27], exec, s[26:27]
	s_cbranch_execz .LBB35_1186
; %bb.1185:                             ;   in Loop: Header=BB35_296 Depth=2
	v_or_b32_e32 v106, 64, v106
	s_waitcnt lgkmcnt(0)
	ds_write_b32 v0, v1
	s_trap 2
.LBB35_1186:                            ;   in Loop: Header=BB35_296 Depth=2
	s_or_b64 exec, exec, s[26:27]
.LBB35_1187:                            ;   in Loop: Header=BB35_296 Depth=2
	s_or_b64 exec, exec, s[42:43]
	v_and_b32_e32 v1, 0x108, v106
	v_cmp_ne_u32_e32 vcc, s50, v1
	;;#ASMSTART
	s_wakeup
	;;#ASMEND
                                        ; implicit-def: $vgpr10_vgpr11
	s_and_saveexec_b64 s[12:13], vcc
	s_xor_b64 s[26:27], exec, s[12:13]
; %bb.1188:                             ;   in Loop: Header=BB35_296 Depth=2
	v_and_b32_e32 v10, 7, v4
	v_mov_b32_e32 v11, v3
                                        ; implicit-def: $vgpr4_vgpr5
; %bb.1189:                             ;   in Loop: Header=BB35_296 Depth=2
	s_andn2_saveexec_b64 s[26:27], s[26:27]
	s_cbranch_execz .LBB35_1191
; %bb.1190:                             ;   in Loop: Header=BB35_296 Depth=2
	v_and_b32_e32 v10, 7, v4
	scratch_load_dwordx4 v[4:7], off, s33 offset:288 ; 16-byte Folded Reload
	v_ashrrev_i32_e32 v1, 31, v0
	v_mov_b32_e32 v11, v3
	s_waitcnt vmcnt(0)
	v_lshlrev_b64 v[6:7], 1, v[0:1]
	v_mad_u64_u32 v[4:5], s[12:13], v10, 24, v[4:5]
	flat_store_dwordx2 v[4:5], v[6:7] offset:8
.LBB35_1191:                            ;   in Loop: Header=BB35_296 Depth=2
	s_or_b64 exec, exec, s[26:27]
	v_and_b32_e32 v1, 0x100, v106
	v_cmp_ne_u32_e32 vcc, 0, v1
	s_mov_b64 s[26:27], -1
                                        ; implicit-def: $vgpr4_vgpr5
	s_and_saveexec_b64 s[42:43], vcc
	s_cbranch_execz .LBB35_1195
; %bb.1192:                             ;   in Loop: Header=BB35_296 Depth=2
	scratch_load_dwordx4 v[4:7], off, s33 offset:288 ; 16-byte Folded Reload
	s_waitcnt vmcnt(0)
	v_mad_u64_u32 v[12:13], s[12:13], v10, 24, v[4:5]
	v_mov_b32_e32 v4, v13
	v_mad_u64_u32 v[4:5], s[12:13], v11, 24, v[4:5]
	v_mov_b32_e32 v13, v4
	flat_load_dword v1, v[12:13]
                                        ; implicit-def: $vgpr4_vgpr5
	s_waitcnt vmcnt(0) lgkmcnt(0)
	v_cmp_ne_u32_e32 vcc, 1, v1
	v_cmp_eq_u32_e64 s[26:27], 1, v1
	s_and_saveexec_b64 s[44:45], s[26:27]
	s_cbranch_execz .LBB35_1194
; %bb.1193:                             ;   in Loop: Header=BB35_296 Depth=2
	flat_load_dword v4, v[12:13] offset:4 sc0 sc1
	s_waitcnt vmcnt(0) lgkmcnt(0)
	v_ashrrev_i32_e32 v5, 31, v4
	v_lshrrev_b64 v[4:5], 1, v[4:5]
.LBB35_1194:                            ;   in Loop: Header=BB35_296 Depth=2
	s_or_b64 exec, exec, s[44:45]
	s_orn2_b64 s[26:27], vcc, exec
.LBB35_1195:                            ;   in Loop: Header=BB35_296 Depth=2
	s_or_b64 exec, exec, s[42:43]
	s_and_saveexec_b64 s[42:43], s[26:27]
	s_cbranch_execz .LBB35_1197
; %bb.1196:                             ;   in Loop: Header=BB35_296 Depth=2
	scratch_load_dwordx2 v[4:5], off, s33 offset:360 ; 8-byte Folded Reload
	scratch_load_dwordx2 v[6:7], off, s33 offset:384 ; 8-byte Folded Reload
	s_waitcnt vmcnt(0)
	v_mul_lo_u32 v1, v11, v4
	v_mul_lo_u32 v6, v10, v7
	v_mad_u64_u32 v[4:5], s[12:13], v10, v4, 0
	v_add3_u32 v5, v5, v6, v1
.LBB35_1197:                            ;   in Loop: Header=BB35_296 Depth=2
	s_or_b64 exec, exec, s[42:43]
	scratch_load_dwordx2 v[6:7], off, s33 offset:272 ; 8-byte Folded Reload
	v_cmp_eq_u32_e32 vcc, 0, v2
	v_mov_b32_e32 v1, 0xc8
	v_mov_b32_e32 v2, 0x90
	v_cndmask_b32_e32 v1, v1, v2, vcc
	v_add_u32_e32 v1, v0, v1
	s_waitcnt vmcnt(0)
	v_lshl_add_u64 v[4:5], v[4:5], 1, v[6:7]
	ds_write_b64 v1, v[4:5] offset:584
	v_and_b32_e32 v1, 0x2000, v106
	v_cmp_ne_u32_e32 vcc, 0, v1
	s_and_saveexec_b64 s[26:27], vcc
	s_cbranch_execz .LBB35_1199
; %bb.1198:                             ;   in Loop: Header=BB35_296 Depth=2
	ds_read_b64 v[4:5], v0 offset:872
	s_waitcnt lgkmcnt(0)
	v_lshl_add_u64 v[4:5], v[4:5], 0, 1
	ds_write_b64 v0, v[4:5] offset:872
.LBB35_1199:                            ;   in Loop: Header=BB35_296 Depth=2
	s_or_b64 exec, exec, s[26:27]
	v_mov_b64_e32 v[4:5], v[8:9]
	s_or_b64 exec, exec, s[40:41]
	s_and_saveexec_b64 s[26:27], s[6:7]
	s_cbranch_execz .LBB35_1172
.LBB35_1200:                            ;   in Loop: Header=BB35_296 Depth=2
	s_and_saveexec_b64 s[12:13], s[78:79]
	s_xor_b64 s[40:41], exec, s[12:13]
	s_cbranch_execz .LBB35_1222
; %bb.1201:                             ;   in Loop: Header=BB35_296 Depth=2
	s_and_saveexec_b64 s[42:43], s[14:15]
	s_cbranch_execz .LBB35_1221
; %bb.1202:                             ;   in Loop: Header=BB35_296 Depth=2
	s_mov_b64 s[46:47], exec
	v_mbcnt_lo_u32_b32 v1, s46, 0
	v_mbcnt_hi_u32_b32 v1, s47, v1
	v_cmp_eq_u32_e32 vcc, 0, v1
	s_waitcnt lgkmcnt(0)
	s_and_saveexec_b64 s[44:45], vcc
	s_cbranch_execz .LBB35_1204
; %bb.1203:                             ;   in Loop: Header=BB35_296 Depth=2
	s_bcnt1_i32_b64 s12, s[46:47]
	v_mov_b32_e32 v2, s12
	ds_add_u64 v0, v[2:3]
	s_trap 2
.LBB35_1204:                            ;   in Loop: Header=BB35_296 Depth=2
	s_or_b64 exec, exec, s[44:45]
	s_trap 2
	ds_read_b64 v[6:7], v0
	s_waitcnt lgkmcnt(0)
	v_lshl_add_u64 v[56:57], v[56:57], 0, v[60:61]
	v_cmp_lt_u64_e32 vcc, v[6:7], v[56:57]
	s_and_saveexec_b64 s[44:45], vcc
	s_cbranch_execz .LBB35_1220
; %bb.1205:                             ;   in Loop: Header=BB35_296 Depth=2
	s_mov_b32 s12, 0
	s_mov_b64 s[46:47], 0
                                        ; implicit-def: $sgpr56_sgpr57
                                        ; implicit-def: $sgpr58_sgpr59
	s_branch .LBB35_1207
.LBB35_1206:                            ;   in Loop: Header=BB35_1207 Depth=3
	s_or_b64 exec, exec, s[62:63]
	s_and_b64 s[60:61], exec, vcc
	s_or_b64 s[46:47], s[60:61], s[46:47]
	s_andn2_b64 s[56:57], s[56:57], exec
	s_and_b64 s[60:61], s[58:59], exec
	s_or_b64 s[56:57], s[56:57], s[60:61]
	s_andn2_b64 exec, exec, s[46:47]
	s_cbranch_execz .LBB35_1218
.LBB35_1207:                            ;   Parent Loop BB35_47 Depth=1
                                        ;     Parent Loop BB35_296 Depth=2
                                        ; =>    This Inner Loop Header: Depth=3
	s_add_i32 s12, s12, 1
	s_cmpk_lg_i32 s12, 0x2710
	s_cselect_b64 s[60:61], -1, 0
	s_and_b64 vcc, exec, s[60:61]
	s_cbranch_vccz .LBB35_1209
; %bb.1208:                             ;   in Loop: Header=BB35_1207 Depth=3
	s_mov_b64 vcc, -1
	s_or_b64 s[58:59], s[58:59], exec
	s_and_saveexec_b64 s[62:63], s[60:61]
	s_cbranch_execz .LBB35_1206
	s_branch .LBB35_1210
.LBB35_1209:                            ;   in Loop: Header=BB35_1207 Depth=3
	s_trap 2
	ds_read_b64 v[6:7], v0
	s_andn2_b64 s[60:61], s[60:61], exec
	s_mov_b32 s12, 0
	s_waitcnt vmcnt(0) lgkmcnt(0)
	flat_load_dword v1, v[6:7] sc0 sc1
	s_waitcnt vmcnt(0) lgkmcnt(0)
	buffer_inv sc0 sc1
	v_cmp_eq_u32_e32 vcc, 0, v1
	s_and_b64 s[62:63], vcc, exec
	s_or_b64 s[60:61], s[60:61], s[62:63]
	s_mov_b64 vcc, -1
	s_or_b64 s[58:59], s[58:59], exec
	s_and_saveexec_b64 s[62:63], s[60:61]
	s_cbranch_execz .LBB35_1206
.LBB35_1210:                            ;   in Loop: Header=BB35_1207 Depth=3
	s_sleep 1
	s_trap 2
	ds_read_b64 v[6:7], v0
	s_waitcnt lgkmcnt(0)
	s_andn2_b64 s[58:59], s[58:59], exec
	v_cmp_ge_u64_e32 vcc, v[6:7], v[56:57]
	s_orn2_b64 vcc, vcc, exec
	s_branch .LBB35_1206
.LBB35_1211:                            ;   in Loop: Header=BB35_296 Depth=2
	s_or_b64 exec, exec, s[46:47]
	s_and_saveexec_b64 s[12:13], s[56:57]
	s_xor_b64 s[12:13], exec, s[12:13]
	s_cbranch_execz .LBB35_1213
; %bb.1212:                             ;   in Loop: Header=BB35_296 Depth=2
	v_mov_b32_e32 v0, 1
	ds_write_b32 v0, v0
	s_trap 2
.LBB35_1213:                            ;   in Loop: Header=BB35_296 Depth=2
	s_or_b64 exec, exec, s[44:45]
	;;#ASMSTART
	s_wakeup
	;;#ASMEND
.LBB35_1214:                            ;   in Loop: Header=BB35_296 Depth=2
	s_or_b64 exec, exec, s[42:43]
.LBB35_1215:                            ;   in Loop: Header=BB35_296 Depth=2
	s_andn2_saveexec_b64 s[40:41], s[40:41]
	s_cbranch_execz .LBB35_1217
; %bb.1216:                             ;   in Loop: Header=BB35_296 Depth=2
	;;#ASMSTART
	s_waitcnt lgkmcnt(0) vmcnt(0)
	;;#ASMEND
	s_barrier
.LBB35_1217:                            ;   in Loop: Header=BB35_296 Depth=2
	s_or_b64 exec, exec, s[40:41]
	v_and_b32_e32 v1, 16, v106
                                        ; implicit-def: $vgpr0
	s_andn2_saveexec_b64 s[26:27], s[26:27]
	s_cbranch_execz .LBB35_1229
	s_branch .LBB35_1226
.LBB35_1218:                            ;   in Loop: Header=BB35_296 Depth=2
	s_or_b64 exec, exec, s[46:47]
	s_and_saveexec_b64 s[12:13], s[56:57]
	s_xor_b64 s[12:13], exec, s[12:13]
	s_cbranch_execz .LBB35_1220
; %bb.1219:                             ;   in Loop: Header=BB35_296 Depth=2
	v_mov_b32_e32 v1, 1
	ds_write_b32 v0, v1
	s_trap 2
.LBB35_1220:                            ;   in Loop: Header=BB35_296 Depth=2
	s_or_b64 exec, exec, s[44:45]
	;;#ASMSTART
	s_wakeup
	;;#ASMEND
.LBB35_1221:                            ;   in Loop: Header=BB35_296 Depth=2
	s_or_b64 exec, exec, s[42:43]
.LBB35_1222:                            ;   in Loop: Header=BB35_296 Depth=2
	s_andn2_saveexec_b64 s[40:41], s[40:41]
	s_cbranch_execz .LBB35_1224
; %bb.1223:                             ;   in Loop: Header=BB35_296 Depth=2
	s_waitcnt lgkmcnt(0)
	s_barrier
.LBB35_1224:                            ;   in Loop: Header=BB35_296 Depth=2
	s_or_b64 exec, exec, s[40:41]
	s_or_b64 exec, exec, s[26:27]
                                        ; implicit-def: $vgpr1
	s_and_saveexec_b64 s[12:13], s[48:49]
	s_xor_b64 s[26:27], exec, s[12:13]
	s_cbranch_execnz .LBB35_1173
.LBB35_1225:                            ;   in Loop: Header=BB35_296 Depth=2
	s_andn2_saveexec_b64 s[26:27], s[26:27]
	s_cbranch_execz .LBB35_1229
.LBB35_1226:                            ;   in Loop: Header=BB35_296 Depth=2
	s_trap 2
	ds_read_b32 v2, v0
	v_cmp_lt_i32_e32 vcc, 0, v0
	v_and_b32_e32 v0, 16, v106
	v_and_b32_e32 v1, 16, v106
	s_waitcnt lgkmcnt(0)
	v_readfirstlane_b32 s12, v2
	s_cmp_eq_u32 s12, 0
	s_cselect_b64 s[12:13], -1, 0
	s_and_b64 s[12:13], vcc, s[12:13]
	v_cmp_ne_u32_e32 vcc, 0, v0
	s_and_b64 s[12:13], vcc, s[12:13]
	s_and_saveexec_b64 s[40:41], s[12:13]
	s_cbranch_execz .LBB35_1228
; %bb.1227:                             ;   in Loop: Header=BB35_296 Depth=2
	v_mov_b32_e32 v1, 1
	buffer_wbl2 sc1
	s_waitcnt vmcnt(0)
	buffer_inv sc1
.LBB35_1228:                            ;   in Loop: Header=BB35_296 Depth=2
	s_or_b64 exec, exec, s[40:41]
.LBB35_1229:                            ;   in Loop: Header=BB35_296 Depth=2
	s_or_b64 exec, exec, s[26:27]
	v_cmp_ne_u32_e32 vcc, 0, v1
	s_xor_b64 s[12:13], s[10:11], -1
	s_and_b64 s[12:13], vcc, s[12:13]
	s_and_saveexec_b64 s[26:27], s[12:13]
	s_cbranch_execz .LBB35_1231
; %bb.1230:                             ;   in Loop: Header=BB35_296 Depth=2
	scratch_load_dwordx2 v[0:1], off, s33 offset:304 ; 8-byte Folded Reload
	v_mov_b32_e32 v2, 1
	s_waitcnt vmcnt(0)
	flat_store_dword v[0:1], v2 sc0 sc1
.LBB35_1231:                            ;   in Loop: Header=BB35_296 Depth=2
	s_or_b64 exec, exec, s[26:27]
	v_and_b32_e32 v0, 48, v106
	v_cmp_ne_u32_e32 vcc, 0, v0
	s_and_saveexec_b64 s[26:27], vcc
	s_cbranch_execz .LBB35_294
; %bb.1232:                             ;   in Loop: Header=BB35_296 Depth=2
	v_lshl_add_u64 v[4:5], v[4:5], 0, 4
	flat_store_dwordx2 v[40:41], v[4:5] sc0 sc1
	s_branch .LBB35_294
.LBB35_1233:                            ;   in Loop: Header=BB35_47 Depth=1
	s_waitcnt vmcnt(0)
	v_mul_lo_u32 v2, v63, s70
	v_mul_lo_u32 v6, v62, s71
	v_mad_u64_u32 v[0:1], s[12:13], v62, s70, 0
	v_add3_u32 v1, v1, v6, v2
	v_sub_co_u32_e32 v6, vcc, v72, v0
	v_mov_b32_e32 v2, 0
	s_nop 0
	v_subb_co_u32_e32 v7, vcc, v73, v1, vcc
	v_cmp_lt_i64_e32 vcc, v[62:63], v[6:7]
	s_nop 1
	v_cndmask_b32_e32 v6, v6, v62, vcc
	v_max_i32_e32 v44, 0, v6
	v_add_u32_e32 v7, 15, v44
	v_ashrrev_i32_e32 v8, 31, v7
	v_lshrrev_b32_e32 v8, 28, v8
	v_add_u32_e32 v7, v7, v8
	v_cmp_gt_i32_e32 vcc, 1, v6
	v_and_b32_e32 v7, -16, v7
	s_or_b64 s[52:53], s[2:3], vcc
	v_max_i32_e32 v84, s85, v7
	s_xor_b64 s[12:13], s[52:53], -1
	s_and_saveexec_b64 s[54:55], s[12:13]
	s_cbranch_execz .LBB35_1239
; %bb.1234:                             ;   in Loop: Header=BB35_47 Depth=1
	s_and_saveexec_b64 s[26:27], s[0:1]
	s_cbranch_execz .LBB35_1236
; %bb.1235:                             ;   in Loop: Header=BB35_47 Depth=1
	s_trap 2
	scratch_load_dwordx2 v[10:11], off, s33 offset:352 ; 8-byte Folded Reload
	ds_read2_b64 v[6:9], v0 offset1:1
	s_waitcnt vmcnt(0)
	v_lshl_add_u64 v[0:1], v[0:1], 0, v[10:11]
	ds_read_b64 v[10:11], v0
	v_lshlrev_b64 v[0:1], 1, v[0:1]
	s_waitcnt lgkmcnt(0)
	v_lshl_add_u64 v[6:7], v[6:7], 0, v[0:1]
	ds_write_b64 v0, v[6:7]
	v_lshl_add_u64 v[6:7], v[8:9], 0, v[0:1]
	ds_write_b64 v0, v[6:7]
	v_lshl_add_u64 v[0:1], v[10:11], 0, v[0:1]
	v_cmp_ne_u64_e32 vcc, 0, v[10:11]
	s_nop 1
	v_cndmask_b32_e32 v1, 0, v1, vcc
	v_cndmask_b32_e32 v0, 0, v0, vcc
	ds_write_b64 v0, v[0:1]
.LBB35_1236:                            ;   in Loop: Header=BB35_47 Depth=1
	s_or_b64 exec, exec, s[26:27]
	v_and_b32_e32 v0, 12, v106
	v_min_i32_e32 v84, v84, v44
	v_cmp_ne_u32_e32 vcc, 0, v0
	s_and_saveexec_b64 s[28:29], vcc
	s_cbranch_execz .LBB35_1273
; %bb.1237:                             ;   in Loop: Header=BB35_47 Depth=1
	v_and_b32_e32 v2, 8, v106
	s_waitcnt lgkmcnt(0)
	v_lshl_add_u64 v[6:7], v[46:47], 0, v[2:3]
	v_lshl_add_u64 v[0:1], v[4:5], 0, 4
	v_cmp_lt_u64_e32 vcc, v[6:7], v[0:1]
	s_and_saveexec_b64 s[40:41], vcc
	s_cbranch_execz .LBB35_1260
; %bb.1238:                             ;   in Loop: Header=BB35_47 Depth=1
	v_and_b32_e32 v5, 64, v106
	s_mov_b32 s12, 0
	v_cmp_eq_u32_e32 vcc, 0, v5
	s_mov_b64 s[42:43], 0
                                        ; implicit-def: $sgpr44_sgpr45
                                        ; implicit-def: $sgpr46_sgpr47
                                        ; implicit-def: $sgpr56_sgpr57
	s_branch .LBB35_1246
.LBB35_1239:                            ;   in Loop: Header=BB35_47 Depth=1
	s_or_b64 exec, exec, s[54:55]
	s_and_saveexec_b64 s[28:29], s[52:53]
	s_cbranch_execz .LBB35_2322
.LBB35_1240:                            ;   in Loop: Header=BB35_47 Depth=1
	v_sub_u32_e32 v0, v44, v2
	v_and_b32_e32 v1, 12, v106
	v_min_i32_e32 v0, v84, v0
	v_cmp_ne_u32_e32 vcc, 0, v1
	s_and_saveexec_b64 s[40:41], vcc
	s_cbranch_execz .LBB35_1301
; %bb.1241:                             ;   in Loop: Header=BB35_47 Depth=1
	v_and_b32_e32 v2, 8, v106
	s_waitcnt lgkmcnt(0)
	v_lshl_add_u64 v[6:7], v[46:47], 0, v[2:3]
	v_lshl_add_u64 v[8:9], v[4:5], 0, 4
	v_cmp_lt_u64_e32 vcc, v[6:7], v[8:9]
	s_and_saveexec_b64 s[42:43], vcc
	s_cbranch_execz .LBB35_1288
; %bb.1242:                             ;   in Loop: Header=BB35_47 Depth=1
	v_and_b32_e32 v1, 64, v106
	s_mov_b32 s12, 0
	v_cmp_eq_u32_e32 vcc, 0, v1
	s_mov_b64 s[44:45], 0
                                        ; implicit-def: $sgpr46_sgpr47
                                        ; implicit-def: $sgpr56_sgpr57
                                        ; implicit-def: $sgpr58_sgpr59
	s_branch .LBB35_1253
.LBB35_1243:                            ;   in Loop: Header=BB35_1246 Depth=2
	s_waitcnt vmcnt(0) lgkmcnt(0)
	v_lshl_add_u64 v[6:7], v[46:47], 0, v[2:3]
	v_cmp_ge_u64_e64 s[26:27], v[6:7], v[0:1]
	s_or_b64 s[62:63], s[62:63], exec
	s_orn2_b64 s[60:61], s[26:27], exec
.LBB35_1244:                            ;   in Loop: Header=BB35_1246 Depth=2
	s_or_b64 exec, exec, s[66:67]
	s_andn2_b64 s[26:27], s[56:57], exec
	s_and_b64 s[56:57], s[62:63], exec
	s_or_b64 s[56:57], s[26:27], s[56:57]
	s_andn2_b64 s[26:27], s[46:47], exec
	s_and_b64 s[46:47], s[60:61], exec
	s_or_b64 s[46:47], s[26:27], s[46:47]
.LBB35_1245:                            ;   in Loop: Header=BB35_1246 Depth=2
	s_or_b64 exec, exec, s[58:59]
	s_and_b64 s[26:27], exec, s[46:47]
	s_or_b64 s[42:43], s[26:27], s[42:43]
	s_andn2_b64 s[26:27], s[44:45], exec
	s_and_b64 s[44:45], s[56:57], exec
	s_or_b64 s[44:45], s[26:27], s[44:45]
	s_andn2_b64 exec, exec, s[42:43]
	s_cbranch_execz .LBB35_1257
.LBB35_1246:                            ;   Parent Loop BB35_47 Depth=1
                                        ; =>  This Inner Loop Header: Depth=2
	s_sleep 1
	s_waitcnt vmcnt(0) lgkmcnt(0)
	flat_load_dwordx2 v[46:47], v[40:41] sc0 sc1
	s_or_b64 s[56:57], s[56:57], exec
	s_or_b64 s[46:47], s[46:47], exec
                                        ; implicit-def: $vgpr5
	s_and_saveexec_b64 s[58:59], vcc
	s_cbranch_execz .LBB35_1245
; %bb.1247:                             ;   in Loop: Header=BB35_1246 Depth=2
	s_cmpk_lt_i32 s12, 0x270f
	s_cselect_b64 s[64:65], -1, 0
	s_cmpk_gt_i32 s12, 0x270e
	s_mov_b64 s[60:61], -1
	s_cbranch_scc0 .LBB35_1249
; %bb.1248:                             ;   in Loop: Header=BB35_1246 Depth=2
	s_trap 2
	ds_read_b64 v[6:7], v0
	s_andn2_b64 s[64:65], s[64:65], exec
	s_mov_b32 s12, 0
	s_mov_b64 s[62:63], 0
	s_waitcnt vmcnt(0) lgkmcnt(0)
	flat_load_dword v5, v[6:7] sc0 sc1
	s_waitcnt vmcnt(0) lgkmcnt(0)
	buffer_inv sc0 sc1
	v_cmp_eq_u32_e64 s[26:27], 0, v5
	s_and_b64 s[26:27], s[26:27], exec
	s_or_b64 s[64:65], s[64:65], s[26:27]
	s_and_saveexec_b64 s[66:67], s[64:65]
	s_cbranch_execz .LBB35_1244
	s_branch .LBB35_1243
.LBB35_1249:                            ;   in Loop: Header=BB35_1246 Depth=2
	s_add_i32 s12, s12, 1
	s_mov_b64 s[62:63], -1
                                        ; implicit-def: $vgpr5
	s_and_saveexec_b64 s[66:67], s[64:65]
	s_cbranch_execz .LBB35_1244
	s_branch .LBB35_1243
.LBB35_1250:                            ;   in Loop: Header=BB35_1253 Depth=2
	s_waitcnt vmcnt(0) lgkmcnt(0)
	v_lshl_add_u64 v[6:7], v[46:47], 0, v[2:3]
	v_cmp_ge_u64_e64 s[26:27], v[6:7], v[8:9]
	s_or_b64 s[52:53], s[52:53], exec
	s_orn2_b64 s[62:63], s[26:27], exec
.LBB35_1251:                            ;   in Loop: Header=BB35_1253 Depth=2
	s_or_b64 exec, exec, s[64:65]
	s_andn2_b64 s[26:27], s[58:59], exec
	s_and_b64 s[58:59], s[52:53], exec
	s_or_b64 s[58:59], s[26:27], s[58:59]
	s_andn2_b64 s[26:27], s[56:57], exec
	s_and_b64 s[56:57], s[62:63], exec
	s_or_b64 s[56:57], s[26:27], s[56:57]
.LBB35_1252:                            ;   in Loop: Header=BB35_1253 Depth=2
	s_or_b64 exec, exec, s[60:61]
	s_and_b64 s[26:27], exec, s[56:57]
	s_or_b64 s[44:45], s[26:27], s[44:45]
	s_andn2_b64 s[26:27], s[46:47], exec
	s_and_b64 s[46:47], s[58:59], exec
	s_or_b64 s[46:47], s[26:27], s[46:47]
	s_andn2_b64 exec, exec, s[44:45]
	s_cbranch_execz .LBB35_1285
.LBB35_1253:                            ;   Parent Loop BB35_47 Depth=1
                                        ; =>  This Inner Loop Header: Depth=2
	s_sleep 1
	s_waitcnt vmcnt(0) lgkmcnt(0)
	flat_load_dwordx2 v[46:47], v[40:41] sc0 sc1
	s_or_b64 s[58:59], s[58:59], exec
	s_or_b64 s[56:57], s[56:57], exec
                                        ; implicit-def: $vgpr1
	s_and_saveexec_b64 s[60:61], vcc
	s_cbranch_execz .LBB35_1252
; %bb.1254:                             ;   in Loop: Header=BB35_1253 Depth=2
	s_cmpk_lt_i32 s12, 0x270f
	s_cselect_b64 s[54:55], -1, 0
	s_cmpk_gt_i32 s12, 0x270e
	s_mov_b64 s[62:63], -1
	s_cbranch_scc0 .LBB35_1256
; %bb.1255:                             ;   in Loop: Header=BB35_1253 Depth=2
	s_trap 2
	ds_read_b64 v[6:7], v0
	s_andn2_b64 s[54:55], s[54:55], exec
	s_mov_b32 s12, 0
	s_mov_b64 s[52:53], 0
	s_waitcnt vmcnt(0) lgkmcnt(0)
	flat_load_dword v1, v[6:7] sc0 sc1
	s_waitcnt vmcnt(0) lgkmcnt(0)
	buffer_inv sc0 sc1
	v_cmp_eq_u32_e64 s[26:27], 0, v1
	s_and_b64 s[26:27], s[26:27], exec
	s_or_b64 s[54:55], s[54:55], s[26:27]
	s_and_saveexec_b64 s[64:65], s[54:55]
	s_cbranch_execz .LBB35_1251
	s_branch .LBB35_1250
.LBB35_1256:                            ;   in Loop: Header=BB35_1253 Depth=2
	s_add_i32 s12, s12, 1
	s_mov_b64 s[52:53], -1
                                        ; implicit-def: $vgpr1
	s_and_saveexec_b64 s[64:65], s[54:55]
	s_cbranch_execz .LBB35_1251
	s_branch .LBB35_1250
.LBB35_1257:                            ;   in Loop: Header=BB35_47 Depth=1
	s_or_b64 exec, exec, s[42:43]
	s_xor_b64 s[12:13], s[44:45], -1
	s_and_saveexec_b64 s[26:27], s[12:13]
	s_xor_b64 s[26:27], exec, s[26:27]
	s_cbranch_execz .LBB35_1259
; %bb.1258:                             ;   in Loop: Header=BB35_47 Depth=1
	v_or_b32_e32 v106, 64, v106
	s_waitcnt lgkmcnt(0)
	ds_write_b32 v0, v5
	s_trap 2
.LBB35_1259:                            ;   in Loop: Header=BB35_47 Depth=1
	s_or_b64 exec, exec, s[26:27]
.LBB35_1260:                            ;   in Loop: Header=BB35_47 Depth=1
	s_or_b64 exec, exec, s[40:41]
	v_and_b32_e32 v5, 0x108, v106
	v_cmp_ne_u32_e32 vcc, s50, v5
	v_and_b32_e32 v4, 7, v4
	;;#ASMSTART
	s_wakeup
	;;#ASMEND
	s_and_saveexec_b64 s[12:13], vcc
	s_xor_b64 s[26:27], exec, s[12:13]
                                        ; implicit-def: $vgpr5
; %bb.1261:                             ;   in Loop: Header=BB35_47 Depth=1
	v_mov_b32_e32 v5, v3
; %bb.1262:                             ;   in Loop: Header=BB35_47 Depth=1
	s_andn2_saveexec_b64 s[26:27], s[26:27]
	s_cbranch_execz .LBB35_1264
; %bb.1263:                             ;   in Loop: Header=BB35_47 Depth=1
	scratch_load_dwordx4 v[6:9], off, s33 offset:288 ; 16-byte Folded Reload
	v_ashrrev_i32_e32 v85, 31, v84
	v_mov_b32_e32 v5, v3
	s_waitcnt vmcnt(0)
	v_lshlrev_b64 v[8:9], 1, v[84:85]
	v_mad_u64_u32 v[6:7], s[12:13], v4, 24, v[6:7]
	flat_store_dwordx2 v[6:7], v[8:9] offset:8
.LBB35_1264:                            ;   in Loop: Header=BB35_47 Depth=1
	s_or_b64 exec, exec, s[26:27]
	v_and_b32_e32 v6, 0x100, v106
	v_cmp_ne_u32_e32 vcc, 0, v6
	s_mov_b64 s[26:27], -1
                                        ; implicit-def: $vgpr8_vgpr9
	s_and_saveexec_b64 s[40:41], vcc
	s_cbranch_execz .LBB35_1268
; %bb.1265:                             ;   in Loop: Header=BB35_47 Depth=1
	scratch_load_dwordx4 v[6:9], off, s33 offset:288 ; 16-byte Folded Reload
                                        ; implicit-def: $vgpr8_vgpr9
	s_waitcnt vmcnt(0)
	v_mad_u64_u32 v[10:11], s[12:13], v4, 24, v[6:7]
	v_mov_b32_e32 v6, v11
	v_mad_u64_u32 v[6:7], s[12:13], v5, 24, v[6:7]
	v_mov_b32_e32 v11, v6
	flat_load_dword v6, v[10:11]
	s_waitcnt vmcnt(0) lgkmcnt(0)
	v_cmp_ne_u32_e32 vcc, 1, v6
	v_cmp_eq_u32_e64 s[26:27], 1, v6
	s_and_saveexec_b64 s[42:43], s[26:27]
	s_cbranch_execz .LBB35_1267
; %bb.1266:                             ;   in Loop: Header=BB35_47 Depth=1
	flat_load_dword v6, v[10:11] offset:4 sc0 sc1
	s_waitcnt vmcnt(0) lgkmcnt(0)
	v_ashrrev_i32_e32 v7, 31, v6
	v_lshrrev_b64 v[8:9], 1, v[6:7]
.LBB35_1267:                            ;   in Loop: Header=BB35_47 Depth=1
	s_or_b64 exec, exec, s[42:43]
	s_orn2_b64 s[26:27], vcc, exec
.LBB35_1268:                            ;   in Loop: Header=BB35_47 Depth=1
	s_or_b64 exec, exec, s[40:41]
	s_and_saveexec_b64 s[40:41], s[26:27]
	s_cbranch_execz .LBB35_1270
; %bb.1269:                             ;   in Loop: Header=BB35_47 Depth=1
	scratch_load_dwordx2 v[6:7], off, s33 offset:360 ; 8-byte Folded Reload
	s_waitcnt vmcnt(0)
	v_mov_b32_e32 v8, v6
	scratch_load_dwordx2 v[6:7], off, s33 offset:384 ; 8-byte Folded Reload
	v_mul_lo_u32 v5, v5, v8
	v_mad_u64_u32 v[8:9], s[12:13], v4, v8, 0
	s_waitcnt vmcnt(0)
	v_mul_lo_u32 v6, v4, v7
	v_add3_u32 v9, v9, v6, v5
.LBB35_1270:                            ;   in Loop: Header=BB35_47 Depth=1
	s_or_b64 exec, exec, s[40:41]
	v_cmp_eq_u32_e32 vcc, 0, v2
	v_mov_b32_e32 v2, 0x90
	v_mov_b32_e32 v4, 0xd0
	v_cndmask_b32_e32 v2, v4, v2, vcc
	scratch_load_dwordx2 v[4:5], off, s33 offset:272 ; 8-byte Folded Reload
	v_add_u32_e32 v2, v0, v2
	s_waitcnt vmcnt(0)
	v_lshl_add_u64 v[4:5], v[8:9], 1, v[4:5]
	ds_write_b64 v2, v[4:5] offset:584
	v_and_b32_e32 v2, 0x2000, v106
	v_cmp_ne_u32_e32 vcc, 0, v2
	s_and_saveexec_b64 s[26:27], vcc
	s_cbranch_execz .LBB35_1272
; %bb.1271:                             ;   in Loop: Header=BB35_47 Depth=1
	ds_read_b64 v[4:5], v0 offset:872
	s_waitcnt lgkmcnt(0)
	v_lshl_add_u64 v[4:5], v[4:5], 0, 1
	ds_write_b64 v0, v[4:5] offset:872
.LBB35_1272:                            ;   in Loop: Header=BB35_47 Depth=1
	s_or_b64 exec, exec, s[26:27]
	v_mov_b64_e32 v[4:5], v[0:1]
.LBB35_1273:                            ;   in Loop: Header=BB35_47 Depth=1
	s_or_b64 exec, exec, s[28:29]
	s_and_saveexec_b64 s[26:27], s[6:7]
	s_cbranch_execz .LBB35_1320
; %bb.1274:                             ;   in Loop: Header=BB35_47 Depth=1
	s_and_saveexec_b64 s[12:13], s[78:79]
	s_xor_b64 s[28:29], exec, s[12:13]
	s_cbranch_execz .LBB35_1317
; %bb.1275:                             ;   in Loop: Header=BB35_47 Depth=1
	s_and_saveexec_b64 s[40:41], s[14:15]
	s_cbranch_execz .LBB35_1316
; %bb.1276:                             ;   in Loop: Header=BB35_47 Depth=1
	s_mov_b64 s[44:45], exec
	v_mbcnt_lo_u32_b32 v0, s44, 0
	v_mbcnt_hi_u32_b32 v0, s45, v0
	v_cmp_eq_u32_e32 vcc, 0, v0
	s_waitcnt lgkmcnt(0)
	s_and_saveexec_b64 s[42:43], vcc
	s_cbranch_execz .LBB35_1278
; %bb.1277:                             ;   in Loop: Header=BB35_47 Depth=1
	s_bcnt1_i32_b64 s12, s[44:45]
	v_mov_b32_e32 v2, s12
	ds_add_u64 v0, v[2:3]
	s_trap 2
.LBB35_1278:                            ;   in Loop: Header=BB35_47 Depth=1
	s_or_b64 exec, exec, s[42:43]
	s_trap 2
	ds_read_b64 v[0:1], v0
	s_waitcnt lgkmcnt(0)
	v_lshl_add_u64 v[56:57], v[56:57], 0, v[60:61]
	v_cmp_lt_u64_e32 vcc, v[0:1], v[56:57]
	s_and_saveexec_b64 s[42:43], vcc
	s_cbranch_execz .LBB35_1315
; %bb.1279:                             ;   in Loop: Header=BB35_47 Depth=1
	s_mov_b32 s12, 0
	s_mov_b64 s[44:45], 0
                                        ; implicit-def: $sgpr46_sgpr47
                                        ; implicit-def: $sgpr56_sgpr57
	s_branch .LBB35_1281
.LBB35_1280:                            ;   in Loop: Header=BB35_1281 Depth=2
	s_or_b64 exec, exec, s[60:61]
	s_and_b64 s[58:59], exec, s[62:63]
	s_or_b64 s[44:45], s[58:59], s[44:45]
	s_andn2_b64 s[46:47], s[46:47], exec
	s_and_b64 s[58:59], s[56:57], exec
	s_or_b64 s[46:47], s[46:47], s[58:59]
	s_andn2_b64 exec, exec, s[44:45]
	s_cbranch_execz .LBB35_1313
.LBB35_1281:                            ;   Parent Loop BB35_47 Depth=1
                                        ; =>  This Inner Loop Header: Depth=2
	s_add_i32 s12, s12, 1
	s_cmpk_lg_i32 s12, 0x2710
	s_cselect_b64 s[58:59], -1, 0
	s_and_b64 vcc, exec, s[58:59]
	s_cbranch_vccz .LBB35_1283
; %bb.1282:                             ;   in Loop: Header=BB35_1281 Depth=2
	s_mov_b64 s[62:63], -1
	s_or_b64 s[56:57], s[56:57], exec
	s_and_saveexec_b64 s[60:61], s[58:59]
	s_cbranch_execz .LBB35_1280
	s_branch .LBB35_1284
.LBB35_1283:                            ;   in Loop: Header=BB35_1281 Depth=2
	s_trap 2
	ds_read_b64 v[0:1], v0
	s_andn2_b64 s[58:59], s[58:59], exec
	s_mov_b32 s12, 0
	s_waitcnt lgkmcnt(0)
	flat_load_dword v0, v[0:1] sc0 sc1
	s_waitcnt vmcnt(0) lgkmcnt(0)
	buffer_inv sc0 sc1
	v_cmp_eq_u32_e32 vcc, 0, v0
	s_and_b64 s[60:61], vcc, exec
	s_or_b64 s[58:59], s[58:59], s[60:61]
	s_mov_b64 s[62:63], -1
	s_or_b64 s[56:57], s[56:57], exec
	s_and_saveexec_b64 s[60:61], s[58:59]
	s_cbranch_execz .LBB35_1280
.LBB35_1284:                            ;   in Loop: Header=BB35_1281 Depth=2
	s_sleep 1
	s_trap 2
	ds_read_b64 v[0:1], v0
	s_waitcnt lgkmcnt(0)
	s_andn2_b64 s[56:57], s[56:57], exec
	v_cmp_ge_u64_e32 vcc, v[0:1], v[56:57]
	s_orn2_b64 s[62:63], vcc, exec
	s_branch .LBB35_1280
.LBB35_1285:                            ;   in Loop: Header=BB35_47 Depth=1
	s_or_b64 exec, exec, s[44:45]
	s_xor_b64 s[12:13], s[46:47], -1
	s_and_saveexec_b64 s[26:27], s[12:13]
	s_xor_b64 s[26:27], exec, s[26:27]
	s_cbranch_execz .LBB35_1287
; %bb.1286:                             ;   in Loop: Header=BB35_47 Depth=1
	v_or_b32_e32 v106, 64, v106
	s_waitcnt lgkmcnt(0)
	ds_write_b32 v0, v1
	s_trap 2
.LBB35_1287:                            ;   in Loop: Header=BB35_47 Depth=1
	s_or_b64 exec, exec, s[26:27]
.LBB35_1288:                            ;   in Loop: Header=BB35_47 Depth=1
	s_or_b64 exec, exec, s[42:43]
	v_and_b32_e32 v1, 0x108, v106
	v_cmp_ne_u32_e32 vcc, s50, v1
	v_and_b32_e32 v4, 7, v4
	;;#ASMSTART
	s_wakeup
	;;#ASMEND
	s_and_saveexec_b64 s[12:13], vcc
	s_xor_b64 s[26:27], exec, s[12:13]
                                        ; implicit-def: $vgpr5
; %bb.1289:                             ;   in Loop: Header=BB35_47 Depth=1
	v_mov_b32_e32 v5, v3
; %bb.1290:                             ;   in Loop: Header=BB35_47 Depth=1
	s_andn2_saveexec_b64 s[26:27], s[26:27]
	s_cbranch_execz .LBB35_1292
; %bb.1291:                             ;   in Loop: Header=BB35_47 Depth=1
	scratch_load_dwordx4 v[10:13], off, s33 offset:288 ; 16-byte Folded Reload
	v_ashrrev_i32_e32 v1, 31, v0
	v_mov_b32_e32 v5, v3
	s_waitcnt vmcnt(0)
	v_mad_u64_u32 v[6:7], s[12:13], v4, 24, v[10:11]
	v_lshlrev_b64 v[10:11], 1, v[0:1]
	flat_store_dwordx2 v[6:7], v[10:11] offset:8
.LBB35_1292:                            ;   in Loop: Header=BB35_47 Depth=1
	s_or_b64 exec, exec, s[26:27]
	v_and_b32_e32 v1, 0x100, v106
	v_cmp_ne_u32_e32 vcc, 0, v1
	s_mov_b64 s[26:27], -1
                                        ; implicit-def: $vgpr10_vgpr11
	s_and_saveexec_b64 s[42:43], vcc
	s_cbranch_execz .LBB35_1296
; %bb.1293:                             ;   in Loop: Header=BB35_47 Depth=1
	scratch_load_dwordx4 v[10:13], off, s33 offset:288 ; 16-byte Folded Reload
	s_waitcnt vmcnt(0)
	v_mad_u64_u32 v[12:13], s[12:13], v4, 24, v[10:11]
	v_mov_b32_e32 v6, v13
	v_mad_u64_u32 v[6:7], s[12:13], v5, 24, v[6:7]
	v_mov_b32_e32 v13, v6
	flat_load_dword v1, v[12:13]
                                        ; implicit-def: $vgpr10_vgpr11
	s_waitcnt vmcnt(0) lgkmcnt(0)
	v_cmp_ne_u32_e32 vcc, 1, v1
	v_cmp_eq_u32_e64 s[26:27], 1, v1
	s_and_saveexec_b64 s[44:45], s[26:27]
	s_cbranch_execz .LBB35_1295
; %bb.1294:                             ;   in Loop: Header=BB35_47 Depth=1
	flat_load_dword v6, v[12:13] offset:4 sc0 sc1
	s_waitcnt vmcnt(0) lgkmcnt(0)
	v_ashrrev_i32_e32 v7, 31, v6
	v_lshrrev_b64 v[10:11], 1, v[6:7]
.LBB35_1295:                            ;   in Loop: Header=BB35_47 Depth=1
	s_or_b64 exec, exec, s[44:45]
	s_orn2_b64 s[26:27], vcc, exec
.LBB35_1296:                            ;   in Loop: Header=BB35_47 Depth=1
	s_or_b64 exec, exec, s[42:43]
	s_and_saveexec_b64 s[42:43], s[26:27]
	s_cbranch_execz .LBB35_1298
; %bb.1297:                             ;   in Loop: Header=BB35_47 Depth=1
	scratch_load_dwordx2 v[6:7], off, s33 offset:360 ; 8-byte Folded Reload
	scratch_load_dwordx2 v[10:11], off, s33 offset:384 ; 8-byte Folded Reload
	s_waitcnt vmcnt(0)
	v_mul_lo_u32 v1, v5, v6
	v_mul_lo_u32 v5, v4, v11
	v_mad_u64_u32 v[10:11], s[12:13], v4, v6, 0
	v_add3_u32 v11, v11, v5, v1
.LBB35_1298:                            ;   in Loop: Header=BB35_47 Depth=1
	s_or_b64 exec, exec, s[42:43]
	scratch_load_dwordx2 v[4:5], off, s33 offset:272 ; 8-byte Folded Reload
	v_cmp_eq_u32_e32 vcc, 0, v2
	v_mov_b32_e32 v1, 0x90
	v_mov_b32_e32 v2, 0xd0
	v_cndmask_b32_e32 v1, v2, v1, vcc
	v_add_u32_e32 v1, v0, v1
	s_waitcnt vmcnt(0)
	v_lshl_add_u64 v[4:5], v[10:11], 1, v[4:5]
	ds_write_b64 v1, v[4:5] offset:584
	v_and_b32_e32 v1, 0x2000, v106
	v_cmp_ne_u32_e32 vcc, 0, v1
	s_and_saveexec_b64 s[26:27], vcc
	s_cbranch_execz .LBB35_1300
; %bb.1299:                             ;   in Loop: Header=BB35_47 Depth=1
	ds_read_b64 v[4:5], v0 offset:872
	s_waitcnt lgkmcnt(0)
	v_lshl_add_u64 v[4:5], v[4:5], 0, 1
	ds_write_b64 v0, v[4:5] offset:872
.LBB35_1300:                            ;   in Loop: Header=BB35_47 Depth=1
	s_or_b64 exec, exec, s[26:27]
	v_mov_b64_e32 v[4:5], v[8:9]
.LBB35_1301:                            ;   in Loop: Header=BB35_47 Depth=1
	s_or_b64 exec, exec, s[40:41]
	s_and_saveexec_b64 s[26:27], s[6:7]
	s_cbranch_execz .LBB35_1339
; %bb.1302:                             ;   in Loop: Header=BB35_47 Depth=1
	s_and_saveexec_b64 s[12:13], s[78:79]
	s_xor_b64 s[40:41], exec, s[12:13]
	s_cbranch_execz .LBB35_1336
; %bb.1303:                             ;   in Loop: Header=BB35_47 Depth=1
	s_and_saveexec_b64 s[42:43], s[14:15]
	s_cbranch_execz .LBB35_1335
; %bb.1304:                             ;   in Loop: Header=BB35_47 Depth=1
	s_mov_b64 s[46:47], exec
	v_mbcnt_lo_u32_b32 v1, s46, 0
	v_mbcnt_hi_u32_b32 v1, s47, v1
	v_cmp_eq_u32_e32 vcc, 0, v1
	s_waitcnt lgkmcnt(0)
	s_and_saveexec_b64 s[44:45], vcc
	s_cbranch_execz .LBB35_1306
; %bb.1305:                             ;   in Loop: Header=BB35_47 Depth=1
	s_bcnt1_i32_b64 s12, s[46:47]
	v_mov_b32_e32 v2, s12
	ds_add_u64 v0, v[2:3]
	s_trap 2
.LBB35_1306:                            ;   in Loop: Header=BB35_47 Depth=1
	s_or_b64 exec, exec, s[44:45]
	s_trap 2
	ds_read_b64 v[6:7], v0
	s_waitcnt lgkmcnt(0)
	v_lshl_add_u64 v[56:57], v[56:57], 0, v[60:61]
	v_cmp_lt_u64_e32 vcc, v[6:7], v[56:57]
	s_and_saveexec_b64 s[44:45], vcc
	s_cbranch_execz .LBB35_1334
; %bb.1307:                             ;   in Loop: Header=BB35_47 Depth=1
	s_mov_b32 s12, 0
	s_mov_b64 s[46:47], 0
                                        ; implicit-def: $sgpr56_sgpr57
                                        ; implicit-def: $sgpr58_sgpr59
	s_branch .LBB35_1309
.LBB35_1308:                            ;   in Loop: Header=BB35_1309 Depth=2
	s_or_b64 exec, exec, s[62:63]
	s_and_b64 s[60:61], exec, vcc
	s_or_b64 s[46:47], s[60:61], s[46:47]
	s_andn2_b64 s[56:57], s[56:57], exec
	s_and_b64 s[60:61], s[58:59], exec
	s_or_b64 s[56:57], s[56:57], s[60:61]
	s_andn2_b64 exec, exec, s[46:47]
	s_cbranch_execz .LBB35_1332
.LBB35_1309:                            ;   Parent Loop BB35_47 Depth=1
                                        ; =>  This Inner Loop Header: Depth=2
	s_add_i32 s12, s12, 1
	s_cmpk_lg_i32 s12, 0x2710
	s_cselect_b64 s[60:61], -1, 0
	s_and_b64 vcc, exec, s[60:61]
	s_cbranch_vccz .LBB35_1311
; %bb.1310:                             ;   in Loop: Header=BB35_1309 Depth=2
	s_mov_b64 vcc, -1
	s_or_b64 s[58:59], s[58:59], exec
	s_and_saveexec_b64 s[62:63], s[60:61]
	s_cbranch_execz .LBB35_1308
	s_branch .LBB35_1312
.LBB35_1311:                            ;   in Loop: Header=BB35_1309 Depth=2
	s_trap 2
	ds_read_b64 v[6:7], v0
	s_andn2_b64 s[60:61], s[60:61], exec
	s_mov_b32 s12, 0
	s_waitcnt vmcnt(0) lgkmcnt(0)
	flat_load_dword v1, v[6:7] sc0 sc1
	s_waitcnt vmcnt(0) lgkmcnt(0)
	buffer_inv sc0 sc1
	v_cmp_eq_u32_e32 vcc, 0, v1
	s_and_b64 s[62:63], vcc, exec
	s_or_b64 s[60:61], s[60:61], s[62:63]
	s_mov_b64 vcc, -1
	s_or_b64 s[58:59], s[58:59], exec
	s_and_saveexec_b64 s[62:63], s[60:61]
	s_cbranch_execz .LBB35_1308
.LBB35_1312:                            ;   in Loop: Header=BB35_1309 Depth=2
	s_sleep 1
	s_trap 2
	ds_read_b64 v[6:7], v0
	s_waitcnt lgkmcnt(0)
	s_andn2_b64 s[58:59], s[58:59], exec
	v_cmp_ge_u64_e32 vcc, v[6:7], v[56:57]
	s_orn2_b64 vcc, vcc, exec
	s_branch .LBB35_1308
.LBB35_1313:                            ;   in Loop: Header=BB35_47 Depth=1
	s_or_b64 exec, exec, s[44:45]
	s_and_saveexec_b64 s[12:13], s[46:47]
	s_xor_b64 s[12:13], exec, s[12:13]
	s_cbranch_execz .LBB35_1315
; %bb.1314:                             ;   in Loop: Header=BB35_47 Depth=1
	v_mov_b32_e32 v0, 1
	ds_write_b32 v0, v0
	s_trap 2
.LBB35_1315:                            ;   in Loop: Header=BB35_47 Depth=1
	s_or_b64 exec, exec, s[42:43]
	;;#ASMSTART
	s_wakeup
	;;#ASMEND
.LBB35_1316:                            ;   in Loop: Header=BB35_47 Depth=1
	s_or_b64 exec, exec, s[40:41]
.LBB35_1317:                            ;   in Loop: Header=BB35_47 Depth=1
	s_andn2_saveexec_b64 s[28:29], s[28:29]
	s_cbranch_execz .LBB35_1319
; %bb.1318:                             ;   in Loop: Header=BB35_47 Depth=1
	s_waitcnt lgkmcnt(0)
	s_barrier
.LBB35_1319:                            ;   in Loop: Header=BB35_47 Depth=1
	s_or_b64 exec, exec, s[28:29]
.LBB35_1320:                            ;   in Loop: Header=BB35_47 Depth=1
	s_or_b64 exec, exec, s[26:27]
	s_trap 2
	ds_read_b32 v6, v0
	v_and_b32_e32 v0, 0x4000, v106
	v_cmp_ne_u32_e32 vcc, 0, v0
	s_xor_b64 s[12:13], s[4:5], -1
	s_and_b64 s[12:13], s[12:13], vcc
	s_and_saveexec_b64 s[26:27], s[12:13]
	s_cbranch_execz .LBB35_1362
; %bb.1321:                             ;   in Loop: Header=BB35_47 Depth=1
	s_and_saveexec_b64 s[12:13], s[78:79]
	s_xor_b64 s[28:29], exec, s[12:13]
	s_cbranch_execz .LBB35_1359
; %bb.1322:                             ;   in Loop: Header=BB35_47 Depth=1
	s_and_saveexec_b64 s[40:41], s[14:15]
	s_cbranch_execz .LBB35_1358
; %bb.1323:                             ;   in Loop: Header=BB35_47 Depth=1
	s_mov_b64 s[44:45], exec
	v_mbcnt_lo_u32_b32 v0, s44, 0
	v_mbcnt_hi_u32_b32 v0, s45, v0
	v_cmp_eq_u32_e32 vcc, 0, v0
	s_waitcnt lgkmcnt(0)
	s_and_saveexec_b64 s[42:43], vcc
	s_cbranch_execz .LBB35_1325
; %bb.1324:                             ;   in Loop: Header=BB35_47 Depth=1
	s_bcnt1_i32_b64 s12, s[44:45]
	v_mov_b32_e32 v2, s12
	ds_add_u64 v0, v[2:3]
	s_trap 2
.LBB35_1325:                            ;   in Loop: Header=BB35_47 Depth=1
	s_or_b64 exec, exec, s[42:43]
	s_trap 2
	ds_read_b64 v[0:1], v0
	s_waitcnt lgkmcnt(0)
	v_lshl_add_u64 v[56:57], v[56:57], 0, v[60:61]
	v_cmp_lt_u64_e32 vcc, v[0:1], v[56:57]
	s_and_saveexec_b64 s[42:43], vcc
	s_cbranch_execz .LBB35_1357
; %bb.1326:                             ;   in Loop: Header=BB35_47 Depth=1
	s_mov_b32 s12, 0
	s_mov_b64 s[44:45], 0
                                        ; implicit-def: $sgpr46_sgpr47
                                        ; implicit-def: $sgpr56_sgpr57
	s_branch .LBB35_1328
.LBB35_1327:                            ;   in Loop: Header=BB35_1328 Depth=2
	s_or_b64 exec, exec, s[60:61]
	s_and_b64 s[58:59], exec, s[62:63]
	s_or_b64 s[44:45], s[58:59], s[44:45]
	s_andn2_b64 s[46:47], s[46:47], exec
	s_and_b64 s[58:59], s[56:57], exec
	s_or_b64 s[46:47], s[46:47], s[58:59]
	s_andn2_b64 exec, exec, s[44:45]
	s_cbranch_execz .LBB35_1355
.LBB35_1328:                            ;   Parent Loop BB35_47 Depth=1
                                        ; =>  This Inner Loop Header: Depth=2
	s_add_i32 s12, s12, 1
	s_cmpk_lg_i32 s12, 0x2710
	s_cselect_b64 s[58:59], -1, 0
	s_and_b64 vcc, exec, s[58:59]
	s_cbranch_vccz .LBB35_1330
; %bb.1329:                             ;   in Loop: Header=BB35_1328 Depth=2
	s_mov_b64 s[62:63], -1
	s_or_b64 s[56:57], s[56:57], exec
	s_and_saveexec_b64 s[60:61], s[58:59]
	s_cbranch_execz .LBB35_1327
	s_branch .LBB35_1331
.LBB35_1330:                            ;   in Loop: Header=BB35_1328 Depth=2
	s_trap 2
	ds_read_b64 v[0:1], v0
	s_andn2_b64 s[58:59], s[58:59], exec
	s_mov_b32 s12, 0
	s_waitcnt lgkmcnt(0)
	flat_load_dword v0, v[0:1] sc0 sc1
	s_waitcnt vmcnt(0) lgkmcnt(0)
	buffer_inv sc0 sc1
	v_cmp_eq_u32_e32 vcc, 0, v0
	s_and_b64 s[60:61], vcc, exec
	s_or_b64 s[58:59], s[58:59], s[60:61]
	s_mov_b64 s[62:63], -1
	s_or_b64 s[56:57], s[56:57], exec
	s_and_saveexec_b64 s[60:61], s[58:59]
	s_cbranch_execz .LBB35_1327
.LBB35_1331:                            ;   in Loop: Header=BB35_1328 Depth=2
	s_sleep 1
	s_trap 2
	ds_read_b64 v[0:1], v0
	s_waitcnt lgkmcnt(0)
	s_andn2_b64 s[56:57], s[56:57], exec
	v_cmp_ge_u64_e32 vcc, v[0:1], v[56:57]
	s_orn2_b64 s[62:63], vcc, exec
	s_branch .LBB35_1327
.LBB35_1332:                            ;   in Loop: Header=BB35_47 Depth=1
	s_or_b64 exec, exec, s[46:47]
	s_and_saveexec_b64 s[12:13], s[56:57]
	s_xor_b64 s[12:13], exec, s[12:13]
	s_cbranch_execz .LBB35_1334
; %bb.1333:                             ;   in Loop: Header=BB35_47 Depth=1
	v_mov_b32_e32 v1, 1
	ds_write_b32 v0, v1
	s_trap 2
.LBB35_1334:                            ;   in Loop: Header=BB35_47 Depth=1
	s_or_b64 exec, exec, s[44:45]
	;;#ASMSTART
	s_wakeup
	;;#ASMEND
.LBB35_1335:                            ;   in Loop: Header=BB35_47 Depth=1
	s_or_b64 exec, exec, s[42:43]
.LBB35_1336:                            ;   in Loop: Header=BB35_47 Depth=1
	s_andn2_saveexec_b64 s[40:41], s[40:41]
	s_cbranch_execz .LBB35_1338
; %bb.1337:                             ;   in Loop: Header=BB35_47 Depth=1
	s_waitcnt lgkmcnt(0)
	s_barrier
.LBB35_1338:                            ;   in Loop: Header=BB35_47 Depth=1
	s_or_b64 exec, exec, s[40:41]
.LBB35_1339:                            ;   in Loop: Header=BB35_47 Depth=1
	s_or_b64 exec, exec, s[26:27]
	v_and_b32_e32 v1, 16, v106
	s_and_saveexec_b64 s[12:13], s[22:23]
	s_xor_b64 s[26:27], exec, s[12:13]
	s_cbranch_execz .LBB35_1343
; %bb.1340:                             ;   in Loop: Header=BB35_47 Depth=1
	s_trap 2
	ds_read_b32 v2, v0
	v_cmp_lt_i32_e32 vcc, 0, v0
	v_and_b32_e32 v0, 16, v106
	v_and_b32_e32 v1, 16, v106
	s_waitcnt lgkmcnt(0)
	v_readfirstlane_b32 s12, v2
	s_cmp_eq_u32 s12, 0
	s_cselect_b64 s[12:13], -1, 0
	s_and_b64 s[12:13], vcc, s[12:13]
	v_cmp_ne_u32_e32 vcc, 0, v0
	s_and_b64 s[12:13], vcc, s[12:13]
	s_and_saveexec_b64 s[40:41], s[12:13]
	s_cbranch_execz .LBB35_1342
; %bb.1341:                             ;   in Loop: Header=BB35_47 Depth=1
	v_mov_b32_e32 v1, 1
	buffer_wbl2 sc1
	s_waitcnt vmcnt(0)
	buffer_inv sc1
.LBB35_1342:                            ;   in Loop: Header=BB35_47 Depth=1
	s_or_b64 exec, exec, s[40:41]
.LBB35_1343:                            ;   in Loop: Header=BB35_47 Depth=1
	s_andn2_saveexec_b64 s[26:27], s[26:27]
	s_cbranch_execz .LBB35_1640
; %bb.1344:                             ;   in Loop: Header=BB35_47 Depth=1
	s_and_saveexec_b64 s[12:13], s[78:79]
	s_xor_b64 s[40:41], exec, s[12:13]
	s_cbranch_execz .LBB35_1637
; %bb.1345:                             ;   in Loop: Header=BB35_47 Depth=1
	s_and_saveexec_b64 s[42:43], s[14:15]
	s_cbranch_execz .LBB35_1636
; %bb.1346:                             ;   in Loop: Header=BB35_47 Depth=1
	s_mov_b64 s[46:47], exec
	v_mbcnt_lo_u32_b32 v0, s46, 0
	v_mbcnt_hi_u32_b32 v0, s47, v0
	v_cmp_eq_u32_e32 vcc, 0, v0
	;;#ASMSTART
	s_waitcnt lgkmcnt(0) vmcnt(0)
	;;#ASMEND
	s_and_saveexec_b64 s[44:45], vcc
	s_cbranch_execz .LBB35_1348
; %bb.1347:                             ;   in Loop: Header=BB35_47 Depth=1
	s_bcnt1_i32_b64 s12, s[46:47]
	v_mov_b32_e32 v2, s12
	s_waitcnt lgkmcnt(0)
	ds_add_u64 v0, v[2:3]
	s_trap 2
.LBB35_1348:                            ;   in Loop: Header=BB35_47 Depth=1
	s_or_b64 exec, exec, s[44:45]
	s_trap 2
	ds_read_b64 v[6:7], v0
	s_waitcnt lgkmcnt(0)
	v_lshl_add_u64 v[56:57], v[56:57], 0, v[60:61]
	v_cmp_lt_u64_e32 vcc, v[6:7], v[56:57]
	s_and_saveexec_b64 s[44:45], vcc
	s_cbranch_execz .LBB35_1635
; %bb.1349:                             ;   in Loop: Header=BB35_47 Depth=1
	s_mov_b32 s12, 0
	s_mov_b64 s[46:47], 0
                                        ; implicit-def: $sgpr56_sgpr57
                                        ; implicit-def: $sgpr58_sgpr59
	s_branch .LBB35_1351
.LBB35_1350:                            ;   in Loop: Header=BB35_1351 Depth=2
	s_or_b64 exec, exec, s[62:63]
	s_and_b64 s[60:61], exec, vcc
	s_or_b64 s[46:47], s[60:61], s[46:47]
	s_andn2_b64 s[56:57], s[56:57], exec
	s_and_b64 s[60:61], s[58:59], exec
	s_or_b64 s[56:57], s[56:57], s[60:61]
	s_andn2_b64 exec, exec, s[46:47]
	s_cbranch_execz .LBB35_1633
.LBB35_1351:                            ;   Parent Loop BB35_47 Depth=1
                                        ; =>  This Inner Loop Header: Depth=2
	s_add_i32 s12, s12, 1
	s_cmpk_lg_i32 s12, 0x2710
	s_cselect_b64 s[60:61], -1, 0
	s_and_b64 vcc, exec, s[60:61]
	s_cbranch_vccz .LBB35_1353
; %bb.1352:                             ;   in Loop: Header=BB35_1351 Depth=2
	s_mov_b64 vcc, -1
	s_or_b64 s[58:59], s[58:59], exec
	s_and_saveexec_b64 s[62:63], s[60:61]
	s_cbranch_execz .LBB35_1350
	s_branch .LBB35_1354
.LBB35_1353:                            ;   in Loop: Header=BB35_1351 Depth=2
	s_trap 2
	ds_read_b64 v[6:7], v0
	s_andn2_b64 s[60:61], s[60:61], exec
	s_mov_b32 s12, 0
	s_waitcnt vmcnt(0) lgkmcnt(0)
	flat_load_dword v0, v[6:7] sc0 sc1
	s_waitcnt vmcnt(0) lgkmcnt(0)
	buffer_inv sc0 sc1
	v_cmp_eq_u32_e32 vcc, 0, v0
	s_and_b64 s[62:63], vcc, exec
	s_or_b64 s[60:61], s[60:61], s[62:63]
	s_mov_b64 vcc, -1
	s_or_b64 s[58:59], s[58:59], exec
	s_and_saveexec_b64 s[62:63], s[60:61]
	s_cbranch_execz .LBB35_1350
.LBB35_1354:                            ;   in Loop: Header=BB35_1351 Depth=2
	s_sleep 1
	s_trap 2
	ds_read_b64 v[6:7], v0
	s_waitcnt lgkmcnt(0)
	s_andn2_b64 s[58:59], s[58:59], exec
	v_cmp_ge_u64_e32 vcc, v[6:7], v[56:57]
	s_orn2_b64 vcc, vcc, exec
	s_branch .LBB35_1350
.LBB35_1355:                            ;   in Loop: Header=BB35_47 Depth=1
	s_or_b64 exec, exec, s[44:45]
	s_and_saveexec_b64 s[12:13], s[46:47]
	s_xor_b64 s[12:13], exec, s[12:13]
	s_cbranch_execz .LBB35_1357
; %bb.1356:                             ;   in Loop: Header=BB35_47 Depth=1
	v_mov_b32_e32 v0, 1
	ds_write_b32 v0, v0
	s_trap 2
.LBB35_1357:                            ;   in Loop: Header=BB35_47 Depth=1
	s_or_b64 exec, exec, s[42:43]
	;;#ASMSTART
	s_wakeup
	;;#ASMEND
.LBB35_1358:                            ;   in Loop: Header=BB35_47 Depth=1
	s_or_b64 exec, exec, s[40:41]
.LBB35_1359:                            ;   in Loop: Header=BB35_47 Depth=1
	s_andn2_saveexec_b64 s[28:29], s[28:29]
	s_cbranch_execz .LBB35_1361
; %bb.1360:                             ;   in Loop: Header=BB35_47 Depth=1
	s_waitcnt lgkmcnt(0)
	s_barrier
.LBB35_1361:                            ;   in Loop: Header=BB35_47 Depth=1
	s_or_b64 exec, exec, s[28:29]
.LBB35_1362:                            ;   in Loop: Header=BB35_47 Depth=1
	s_or_b64 exec, exec, s[26:27]
	s_trap 2
	ds_read_b64 v[96:97], v0
	s_waitcnt lgkmcnt(0)
	v_cmp_eq_u64_e32 vcc, 0, v[96:97]
	s_cbranch_vccnz .LBB35_1371
; %bb.1363:                             ;   in Loop: Header=BB35_47 Depth=1
	s_trap 2
	ds_read_b64 v[86:87], v0
	s_waitcnt lgkmcnt(0)
	v_cmp_eq_u64_e32 vcc, 0, v[86:87]
	s_cbranch_vccnz .LBB35_1371
; %bb.1364:                             ;   in Loop: Header=BB35_47 Depth=1
	s_trap 2
	ds_read_b64 v[0:1], v0
	v_cmp_eq_u32_e32 vcc, 0, v6
	s_waitcnt lgkmcnt(0)
	v_readfirstlane_b32 s12, v0
	v_cndmask_b32_e32 v85, 0, v84, vcc
	v_cmp_ne_u64_e32 vcc, 0, v[0:1]
	s_cbranch_vccz .LBB35_1372
; %bb.1365:                             ;   in Loop: Header=BB35_47 Depth=1
	s_trap 2
	ds_read_b64 v[28:29], v0
	s_mov_b64 s[28:29], -1
	s_and_saveexec_b64 s[26:27], s[20:21]
	s_cbranch_execz .LBB35_1367
; %bb.1366:                             ;   in Loop: Header=BB35_47 Depth=1
	ds_read_b32 v2, v0 offset:720
	s_waitcnt lgkmcnt(0)
	v_and_b32_e32 v2, 15, v2
	v_cmp_eq_u32_e32 vcc, 0, v2
	s_orn2_b64 s[28:29], vcc, exec
.LBB35_1367:                            ;   in Loop: Header=BB35_47 Depth=1
	s_or_b64 exec, exec, s[26:27]
	s_and_saveexec_b64 s[26:27], s[20:21]
	s_cbranch_execz .LBB35_1369
; %bb.1368:                             ;   in Loop: Header=BB35_47 Depth=1
	ds_read_b32 v2, v0 offset:784
	s_waitcnt lgkmcnt(0)
	v_and_b32_e32 v2, 15, v2
	v_cmp_eq_u32_e32 vcc, 0, v2
	s_and_b64 s[40:41], s[28:29], vcc
	s_andn2_b64 s[28:29], s[28:29], exec
	s_and_b64 s[40:41], s[40:41], exec
	s_or_b64 s[28:29], s[28:29], s[40:41]
.LBB35_1369:                            ;   in Loop: Header=BB35_47 Depth=1
	s_or_b64 exec, exec, s[26:27]
	s_xor_b64 s[28:29], s[28:29], -1
	v_cndmask_b32_e64 v2, 0, 1, s[28:29]
	v_lshlrev_b32_e32 v30, 1, v85
	s_mov_b64 s[26:27], -1
	v_mov_b32_e32 v6, 0
	v_cmp_ne_u32_e32 vcc, 0, v2
	s_cbranch_vccz .LBB35_1374
; %bb.1370:                             ;   in Loop: Header=BB35_47 Depth=1
	v_mov_b32_e32 v7, v31
	s_and_saveexec_b64 s[42:43], s[26:27]
	s_cbranch_execnz .LBB35_1687
	s_branch .LBB35_1829
.LBB35_1371:                            ;   in Loop: Header=BB35_47 Depth=1
	s_mov_b64 s[26:27], 0
	s_and_saveexec_b64 s[28:29], s[6:7]
	s_cbranch_execz .LBB35_2294
	s_branch .LBB35_2276
.LBB35_1372:                            ;   in Loop: Header=BB35_47 Depth=1
	s_cbranch_execnz .LBB35_1830
.LBB35_1373:                            ;   in Loop: Header=BB35_47 Depth=1
	v_cmp_lt_i32_e64 s[26:27], 0, v85
	s_and_saveexec_b64 s[28:29], s[6:7]
	s_cbranch_execnz .LBB35_2276
	s_branch .LBB35_2294
.LBB35_1374:                            ;   in Loop: Header=BB35_47 Depth=1
	v_ashrrev_i32_e32 v2, 31, v30
	v_lshrrev_b32_e32 v2, 20, v2
	v_add_u32_e32 v2, v30, v2
	v_ashrrev_i32_e32 v6, 12, v2
	v_lshrrev_b32_e32 v2, 6, v31
	v_sub_u32_e32 v2, v6, v2
	v_cmp_lt_i32_e32 vcc, 0, v2
	s_and_saveexec_b64 s[28:29], vcc
	s_cbranch_execz .LBB35_1646
; %bb.1375:                             ;   in Loop: Header=BB35_47 Depth=1
	s_trap 2
	scratch_load_dwordx2 v[10:11], off, s33 offset:320 ; 8-byte Folded Reload
	ds_read_b64 v[8:9], v0
	s_and_b32 s76, s12, 1
	s_cmp_eq_u64 s[76:77], 0
	s_mov_b64 s[40:41], 0
	s_cselect_b64 vcc, -1, 0
	s_waitcnt vmcnt(0) lgkmcnt(1)
	v_lshl_add_u64 v[98:99], v[28:29], 0, v[10:11]
	v_lshl_add_u64 v[100:101], v[86:87], 0, v[10:11]
	;; [unrolled: 1-line block ×4, first 2 shown]
	s_waitcnt lgkmcnt(0)
	v_lshl_add_u64 v[114:115], v[8:9], 0, v[10:11]
	s_branch .LBB35_1377
.LBB35_1376:                            ;   in Loop: Header=BB35_1377 Depth=2
	s_or_b64 exec, exec, s[42:43]
	v_or_b32_sdwa v20, v20, v7 dst_sel:DWORD dst_unused:UNUSED_PAD src0_sel:DWORD src1_sel:WORD_1
	v_lshrrev_b32_e32 v7, 16, v48
	v_and_or_b32 v9, v9, s73, v7
	v_lshrrev_b32_e32 v7, 16, v35
	v_and_or_b32 v8, v8, s73, v7
	v_lshrrev_b32_e32 v7, 16, v49
	v_and_or_b32 v10, v10, s73, v7
	v_lshrrev_b32_e32 v7, 16, v50
	v_and_or_b32 v11, v11, s73, v7
	v_or_b32_sdwa v65, v33, v24 dst_sel:DWORD dst_unused:UNUSED_PAD src0_sel:DWORD src1_sel:WORD_1
	v_or_b32_sdwa v64, v32, v39 dst_sel:DWORD dst_unused:UNUSED_PAD src0_sel:DWORD src1_sel:WORD_1
	;; [unrolled: 1-line block ×15, first 2 shown]
	global_store_dwordx4 v[100:101], v[8:11], off offset:3072
	global_store_dwordx4 v[102:103], v[20:23], off
	global_store_dwordx4 v[102:103], v[16:19], off offset:1024
	global_store_dwordx4 v[102:103], v[12:15], off offset:2048
	;; [unrolled: 1-line block ×3, first 2 shown]
	scratch_load_dwordx2 v[8:9], off, s33 offset:328 ; 8-byte Folded Reload
	v_sub_u32_e32 v2, v2, v60
	v_cmp_gt_i32_e64 s[26:27], 1, v2
	s_or_b64 s[40:41], s[26:27], s[40:41]
	s_waitcnt vmcnt(0)
	v_lshl_add_u64 v[112:113], v[112:113], 0, v[8:9]
	v_lshl_add_u64 v[114:115], v[114:115], 0, v[8:9]
	;; [unrolled: 1-line block ×5, first 2 shown]
	s_andn2_b64 exec, exec, s[40:41]
	s_cbranch_execz .LBB35_1645
.LBB35_1377:                            ;   Parent Loop BB35_47 Depth=1
                                        ; =>  This Inner Loop Header: Depth=2
	global_load_dwordx4 v[68:71], v[112:113], off nt
	global_load_dwordx4 v[52:55], v[112:113], off offset:1024 nt
	global_load_dwordx4 v[80:83], v[114:115], off nt
	global_load_dwordx4 v[20:23], v[98:99], off nt
	global_load_dwordx4 v[16:19], v[98:99], off offset:1024 nt
	global_load_dwordx4 v[36:39], v[112:113], off offset:2048 nt
	;; [unrolled: 1-line block ×8, first 2 shown]
	s_waitcnt vmcnt(11)
	v_lshlrev_b32_e32 v7, 16, v68
	v_max_f32_e32 v7, v7, v7
	s_waitcnt vmcnt(9)
	v_lshlrev_b32_e32 v118, 16, v80
	v_max_f32_e32 v118, v118, v118
	v_min_f32_e32 v119, v7, v118
	v_max_f32_e32 v7, v7, v118
	v_cndmask_b32_e32 v118, v7, v119, vcc
	v_and_b32_e32 v7, 0x7f800000, v118
	v_cmp_ne_u32_e64 s[26:27], s51, v7
                                        ; implicit-def: $vgpr7
	s_and_saveexec_b64 s[42:43], s[26:27]
	s_xor_b64 s[26:27], exec, s[42:43]
; %bb.1378:                             ;   in Loop: Header=BB35_1377 Depth=2
	v_bfe_u32 v7, v118, 16, 1
	v_add3_u32 v7, v118, v7, s72
                                        ; implicit-def: $vgpr118
; %bb.1379:                             ;   in Loop: Header=BB35_1377 Depth=2
	s_andn2_saveexec_b64 s[42:43], s[26:27]
; %bb.1380:                             ;   in Loop: Header=BB35_1377 Depth=2
	v_or_b32_e32 v7, 0x10000, v118
	v_cmp_eq_u32_sdwa s[26:27], v118, v3 src0_sel:WORD_0 src1_sel:DWORD
	s_nop 1
	v_cndmask_b32_e64 v7, v7, v118, s[26:27]
; %bb.1381:                             ;   in Loop: Header=BB35_1377 Depth=2
	s_or_b64 exec, exec, s[42:43]
	v_and_b32_e32 v68, 0xffff0000, v68
	v_and_b32_e32 v80, 0xffff0000, v80
	v_max_f32_e32 v80, v80, v80
	v_max_f32_e32 v68, v68, v68
	v_min_f32_e32 v118, v68, v80
	v_max_f32_e32 v68, v68, v80
	v_cndmask_b32_e32 v68, v68, v118, vcc
	v_and_b32_e32 v80, 0x7f800000, v68
	v_cmp_ne_u32_e64 s[26:27], s51, v80
                                        ; implicit-def: $vgpr80
	s_and_saveexec_b64 s[42:43], s[26:27]
	s_xor_b64 s[26:27], exec, s[42:43]
; %bb.1382:                             ;   in Loop: Header=BB35_1377 Depth=2
	v_bfe_u32 v80, v68, 16, 1
	v_add3_u32 v80, v68, v80, s72
                                        ; implicit-def: $vgpr68
; %bb.1383:                             ;   in Loop: Header=BB35_1377 Depth=2
	s_andn2_saveexec_b64 s[42:43], s[26:27]
; %bb.1384:                             ;   in Loop: Header=BB35_1377 Depth=2
	v_or_b32_e32 v80, 0x10000, v68
	v_cmp_eq_u32_sdwa s[26:27], v68, v3 src0_sel:WORD_0 src1_sel:DWORD
	s_nop 1
	v_cndmask_b32_e64 v80, v80, v68, s[26:27]
; %bb.1385:                             ;   in Loop: Header=BB35_1377 Depth=2
	s_or_b64 exec, exec, s[42:43]
	v_lshlrev_b32_e32 v68, 16, v69
	v_lshlrev_b32_e32 v118, 16, v81
	v_max_f32_e32 v118, v118, v118
	v_max_f32_e32 v68, v68, v68
	v_min_f32_e32 v119, v68, v118
	v_max_f32_e32 v68, v68, v118
	v_cndmask_b32_e32 v118, v68, v119, vcc
	v_and_b32_e32 v68, 0x7f800000, v118
	v_cmp_ne_u32_e64 s[26:27], s51, v68
                                        ; implicit-def: $vgpr68
	s_and_saveexec_b64 s[42:43], s[26:27]
	s_xor_b64 s[26:27], exec, s[42:43]
; %bb.1386:                             ;   in Loop: Header=BB35_1377 Depth=2
	v_bfe_u32 v68, v118, 16, 1
	v_add3_u32 v68, v118, v68, s72
                                        ; implicit-def: $vgpr118
; %bb.1387:                             ;   in Loop: Header=BB35_1377 Depth=2
	s_andn2_saveexec_b64 s[42:43], s[26:27]
; %bb.1388:                             ;   in Loop: Header=BB35_1377 Depth=2
	v_or_b32_e32 v68, 0x10000, v118
	v_cmp_eq_u32_sdwa s[26:27], v118, v3 src0_sel:WORD_0 src1_sel:DWORD
	s_nop 1
	v_cndmask_b32_e64 v68, v68, v118, s[26:27]
; %bb.1389:                             ;   in Loop: Header=BB35_1377 Depth=2
	s_or_b64 exec, exec, s[42:43]
	v_and_b32_e32 v69, 0xffff0000, v69
	v_and_b32_e32 v81, 0xffff0000, v81
	v_max_f32_e32 v81, v81, v81
	v_max_f32_e32 v69, v69, v69
	v_min_f32_e32 v118, v69, v81
	v_max_f32_e32 v69, v69, v81
	v_cndmask_b32_e32 v69, v69, v118, vcc
	v_and_b32_e32 v81, 0x7f800000, v69
	v_cmp_ne_u32_e64 s[26:27], s51, v81
                                        ; implicit-def: $vgpr81
	s_and_saveexec_b64 s[42:43], s[26:27]
	s_xor_b64 s[26:27], exec, s[42:43]
; %bb.1390:                             ;   in Loop: Header=BB35_1377 Depth=2
	v_bfe_u32 v81, v69, 16, 1
	v_add3_u32 v81, v69, v81, s72
                                        ; implicit-def: $vgpr69
; %bb.1391:                             ;   in Loop: Header=BB35_1377 Depth=2
	s_andn2_saveexec_b64 s[42:43], s[26:27]
; %bb.1392:                             ;   in Loop: Header=BB35_1377 Depth=2
	v_or_b32_e32 v81, 0x10000, v69
	v_cmp_eq_u32_sdwa s[26:27], v69, v3 src0_sel:WORD_0 src1_sel:DWORD
	s_nop 1
	v_cndmask_b32_e64 v81, v81, v69, s[26:27]
; %bb.1393:                             ;   in Loop: Header=BB35_1377 Depth=2
	s_or_b64 exec, exec, s[42:43]
	v_lshlrev_b32_e32 v69, 16, v70
	v_lshlrev_b32_e32 v118, 16, v82
	v_max_f32_e32 v118, v118, v118
	v_max_f32_e32 v69, v69, v69
	v_min_f32_e32 v119, v69, v118
	v_max_f32_e32 v69, v69, v118
	v_cndmask_b32_e32 v118, v69, v119, vcc
	v_and_b32_e32 v69, 0x7f800000, v118
	v_cmp_ne_u32_e64 s[26:27], s51, v69
                                        ; implicit-def: $vgpr69
	s_and_saveexec_b64 s[42:43], s[26:27]
	s_xor_b64 s[26:27], exec, s[42:43]
; %bb.1394:                             ;   in Loop: Header=BB35_1377 Depth=2
	v_bfe_u32 v69, v118, 16, 1
	v_add3_u32 v69, v118, v69, s72
                                        ; implicit-def: $vgpr118
; %bb.1395:                             ;   in Loop: Header=BB35_1377 Depth=2
	s_andn2_saveexec_b64 s[42:43], s[26:27]
; %bb.1396:                             ;   in Loop: Header=BB35_1377 Depth=2
	v_or_b32_e32 v69, 0x10000, v118
	v_cmp_eq_u32_sdwa s[26:27], v118, v3 src0_sel:WORD_0 src1_sel:DWORD
	s_nop 1
	v_cndmask_b32_e64 v69, v69, v118, s[26:27]
; %bb.1397:                             ;   in Loop: Header=BB35_1377 Depth=2
	s_or_b64 exec, exec, s[42:43]
	v_and_b32_e32 v70, 0xffff0000, v70
	v_and_b32_e32 v82, 0xffff0000, v82
	v_max_f32_e32 v82, v82, v82
	v_max_f32_e32 v70, v70, v70
	v_min_f32_e32 v118, v70, v82
	v_max_f32_e32 v70, v70, v82
	v_cndmask_b32_e32 v70, v70, v118, vcc
	v_and_b32_e32 v82, 0x7f800000, v70
	v_cmp_ne_u32_e64 s[26:27], s51, v82
                                        ; implicit-def: $vgpr82
	s_and_saveexec_b64 s[42:43], s[26:27]
	s_xor_b64 s[26:27], exec, s[42:43]
; %bb.1398:                             ;   in Loop: Header=BB35_1377 Depth=2
	v_bfe_u32 v82, v70, 16, 1
	v_add3_u32 v82, v70, v82, s72
                                        ; implicit-def: $vgpr70
; %bb.1399:                             ;   in Loop: Header=BB35_1377 Depth=2
	s_andn2_saveexec_b64 s[42:43], s[26:27]
; %bb.1400:                             ;   in Loop: Header=BB35_1377 Depth=2
	v_or_b32_e32 v82, 0x10000, v70
	v_cmp_eq_u32_sdwa s[26:27], v70, v3 src0_sel:WORD_0 src1_sel:DWORD
	s_nop 1
	v_cndmask_b32_e64 v82, v82, v70, s[26:27]
; %bb.1401:                             ;   in Loop: Header=BB35_1377 Depth=2
	s_or_b64 exec, exec, s[42:43]
	v_lshlrev_b32_e32 v70, 16, v71
	v_lshlrev_b32_e32 v118, 16, v83
	v_max_f32_e32 v118, v118, v118
	v_max_f32_e32 v70, v70, v70
	v_min_f32_e32 v119, v70, v118
	v_max_f32_e32 v70, v70, v118
	v_cndmask_b32_e32 v118, v70, v119, vcc
	v_and_b32_e32 v70, 0x7f800000, v118
	v_cmp_ne_u32_e64 s[26:27], s51, v70
                                        ; implicit-def: $vgpr70
	s_and_saveexec_b64 s[42:43], s[26:27]
	s_xor_b64 s[26:27], exec, s[42:43]
; %bb.1402:                             ;   in Loop: Header=BB35_1377 Depth=2
	v_bfe_u32 v70, v118, 16, 1
	v_add3_u32 v70, v118, v70, s72
                                        ; implicit-def: $vgpr118
; %bb.1403:                             ;   in Loop: Header=BB35_1377 Depth=2
	s_andn2_saveexec_b64 s[42:43], s[26:27]
; %bb.1404:                             ;   in Loop: Header=BB35_1377 Depth=2
	v_or_b32_e32 v70, 0x10000, v118
	v_cmp_eq_u32_sdwa s[26:27], v118, v3 src0_sel:WORD_0 src1_sel:DWORD
	s_nop 1
	v_cndmask_b32_e64 v70, v70, v118, s[26:27]
; %bb.1405:                             ;   in Loop: Header=BB35_1377 Depth=2
	s_or_b64 exec, exec, s[42:43]
	v_and_b32_e32 v71, 0xffff0000, v71
	v_and_b32_e32 v83, 0xffff0000, v83
	v_max_f32_e32 v83, v83, v83
	v_max_f32_e32 v71, v71, v71
	v_min_f32_e32 v118, v71, v83
	v_max_f32_e32 v71, v71, v83
	v_cndmask_b32_e32 v71, v71, v118, vcc
	v_and_b32_e32 v83, 0x7f800000, v71
	v_cmp_ne_u32_e64 s[26:27], s51, v83
                                        ; implicit-def: $vgpr83
	s_and_saveexec_b64 s[42:43], s[26:27]
	s_xor_b64 s[26:27], exec, s[42:43]
; %bb.1406:                             ;   in Loop: Header=BB35_1377 Depth=2
	v_bfe_u32 v83, v71, 16, 1
	v_add3_u32 v83, v71, v83, s72
                                        ; implicit-def: $vgpr71
; %bb.1407:                             ;   in Loop: Header=BB35_1377 Depth=2
	s_andn2_saveexec_b64 s[42:43], s[26:27]
; %bb.1408:                             ;   in Loop: Header=BB35_1377 Depth=2
	v_or_b32_e32 v83, 0x10000, v71
	v_cmp_eq_u32_sdwa s[26:27], v71, v3 src0_sel:WORD_0 src1_sel:DWORD
	s_nop 1
	v_cndmask_b32_e64 v83, v83, v71, s[26:27]
; %bb.1409:                             ;   in Loop: Header=BB35_1377 Depth=2
	s_or_b64 exec, exec, s[42:43]
	v_lshlrev_b32_e32 v71, 16, v52
	s_waitcnt vmcnt(2)
	v_lshlrev_b32_e32 v118, 16, v64
	v_max_f32_e32 v118, v118, v118
	v_max_f32_e32 v71, v71, v71
	v_min_f32_e32 v119, v71, v118
	v_max_f32_e32 v71, v71, v118
	v_cndmask_b32_e32 v118, v71, v119, vcc
	v_and_b32_e32 v71, 0x7f800000, v118
	v_cmp_ne_u32_e64 s[26:27], s51, v71
                                        ; implicit-def: $vgpr71
	s_and_saveexec_b64 s[42:43], s[26:27]
	s_xor_b64 s[26:27], exec, s[42:43]
; %bb.1410:                             ;   in Loop: Header=BB35_1377 Depth=2
	v_bfe_u32 v71, v118, 16, 1
	v_add3_u32 v71, v118, v71, s72
                                        ; implicit-def: $vgpr118
; %bb.1411:                             ;   in Loop: Header=BB35_1377 Depth=2
	s_andn2_saveexec_b64 s[42:43], s[26:27]
; %bb.1412:                             ;   in Loop: Header=BB35_1377 Depth=2
	v_or_b32_e32 v71, 0x10000, v118
	v_cmp_eq_u32_sdwa s[26:27], v118, v3 src0_sel:WORD_0 src1_sel:DWORD
	s_nop 1
	v_cndmask_b32_e64 v71, v71, v118, s[26:27]
; %bb.1413:                             ;   in Loop: Header=BB35_1377 Depth=2
	s_or_b64 exec, exec, s[42:43]
	v_and_b32_e32 v52, 0xffff0000, v52
	v_and_b32_e32 v64, 0xffff0000, v64
	v_max_f32_e32 v64, v64, v64
	v_max_f32_e32 v52, v52, v52
	v_min_f32_e32 v118, v52, v64
	v_max_f32_e32 v52, v52, v64
	v_cndmask_b32_e32 v52, v52, v118, vcc
	v_and_b32_e32 v64, 0x7f800000, v52
	v_cmp_ne_u32_e64 s[26:27], s51, v64
                                        ; implicit-def: $vgpr64
	s_and_saveexec_b64 s[42:43], s[26:27]
	s_xor_b64 s[26:27], exec, s[42:43]
; %bb.1414:                             ;   in Loop: Header=BB35_1377 Depth=2
	v_bfe_u32 v64, v52, 16, 1
	v_add3_u32 v64, v52, v64, s72
                                        ; implicit-def: $vgpr52
; %bb.1415:                             ;   in Loop: Header=BB35_1377 Depth=2
	s_andn2_saveexec_b64 s[42:43], s[26:27]
; %bb.1416:                             ;   in Loop: Header=BB35_1377 Depth=2
	v_or_b32_e32 v64, 0x10000, v52
	v_cmp_eq_u32_sdwa s[26:27], v52, v3 src0_sel:WORD_0 src1_sel:DWORD
	s_nop 1
	v_cndmask_b32_e64 v64, v64, v52, s[26:27]
; %bb.1417:                             ;   in Loop: Header=BB35_1377 Depth=2
	s_or_b64 exec, exec, s[42:43]
	v_lshlrev_b32_e32 v52, 16, v53
	v_lshlrev_b32_e32 v118, 16, v65
	v_max_f32_e32 v118, v118, v118
	v_max_f32_e32 v52, v52, v52
	v_min_f32_e32 v119, v52, v118
	v_max_f32_e32 v52, v52, v118
	v_cndmask_b32_e32 v118, v52, v119, vcc
	v_and_b32_e32 v52, 0x7f800000, v118
	v_cmp_ne_u32_e64 s[26:27], s51, v52
                                        ; implicit-def: $vgpr52
	s_and_saveexec_b64 s[42:43], s[26:27]
	s_xor_b64 s[26:27], exec, s[42:43]
; %bb.1418:                             ;   in Loop: Header=BB35_1377 Depth=2
	v_bfe_u32 v52, v118, 16, 1
	v_add3_u32 v52, v118, v52, s72
                                        ; implicit-def: $vgpr118
; %bb.1419:                             ;   in Loop: Header=BB35_1377 Depth=2
	s_andn2_saveexec_b64 s[42:43], s[26:27]
; %bb.1420:                             ;   in Loop: Header=BB35_1377 Depth=2
	v_or_b32_e32 v52, 0x10000, v118
	v_cmp_eq_u32_sdwa s[26:27], v118, v3 src0_sel:WORD_0 src1_sel:DWORD
	s_nop 1
	v_cndmask_b32_e64 v52, v52, v118, s[26:27]
; %bb.1421:                             ;   in Loop: Header=BB35_1377 Depth=2
	s_or_b64 exec, exec, s[42:43]
	v_and_b32_e32 v53, 0xffff0000, v53
	v_and_b32_e32 v65, 0xffff0000, v65
	v_max_f32_e32 v65, v65, v65
	v_max_f32_e32 v53, v53, v53
	v_min_f32_e32 v118, v53, v65
	v_max_f32_e32 v53, v53, v65
	v_cndmask_b32_e32 v53, v53, v118, vcc
	v_and_b32_e32 v65, 0x7f800000, v53
	v_cmp_ne_u32_e64 s[26:27], s51, v65
                                        ; implicit-def: $vgpr65
	s_and_saveexec_b64 s[42:43], s[26:27]
	s_xor_b64 s[26:27], exec, s[42:43]
; %bb.1422:                             ;   in Loop: Header=BB35_1377 Depth=2
	v_bfe_u32 v65, v53, 16, 1
	v_add3_u32 v65, v53, v65, s72
                                        ; implicit-def: $vgpr53
; %bb.1423:                             ;   in Loop: Header=BB35_1377 Depth=2
	s_andn2_saveexec_b64 s[42:43], s[26:27]
; %bb.1424:                             ;   in Loop: Header=BB35_1377 Depth=2
	v_or_b32_e32 v65, 0x10000, v53
	v_cmp_eq_u32_sdwa s[26:27], v53, v3 src0_sel:WORD_0 src1_sel:DWORD
	s_nop 1
	v_cndmask_b32_e64 v65, v65, v53, s[26:27]
; %bb.1425:                             ;   in Loop: Header=BB35_1377 Depth=2
	s_or_b64 exec, exec, s[42:43]
	v_lshlrev_b32_e32 v53, 16, v54
	v_lshlrev_b32_e32 v118, 16, v66
	v_max_f32_e32 v118, v118, v118
	v_max_f32_e32 v53, v53, v53
	v_min_f32_e32 v119, v53, v118
	v_max_f32_e32 v53, v53, v118
	v_cndmask_b32_e32 v118, v53, v119, vcc
	v_and_b32_e32 v53, 0x7f800000, v118
	v_cmp_ne_u32_e64 s[26:27], s51, v53
                                        ; implicit-def: $vgpr53
	s_and_saveexec_b64 s[42:43], s[26:27]
	s_xor_b64 s[26:27], exec, s[42:43]
; %bb.1426:                             ;   in Loop: Header=BB35_1377 Depth=2
	v_bfe_u32 v53, v118, 16, 1
	v_add3_u32 v53, v118, v53, s72
                                        ; implicit-def: $vgpr118
; %bb.1427:                             ;   in Loop: Header=BB35_1377 Depth=2
	s_andn2_saveexec_b64 s[42:43], s[26:27]
; %bb.1428:                             ;   in Loop: Header=BB35_1377 Depth=2
	v_or_b32_e32 v53, 0x10000, v118
	v_cmp_eq_u32_sdwa s[26:27], v118, v3 src0_sel:WORD_0 src1_sel:DWORD
	s_nop 1
	v_cndmask_b32_e64 v53, v53, v118, s[26:27]
; %bb.1429:                             ;   in Loop: Header=BB35_1377 Depth=2
	s_or_b64 exec, exec, s[42:43]
	v_and_b32_e32 v54, 0xffff0000, v54
	v_and_b32_e32 v66, 0xffff0000, v66
	v_max_f32_e32 v66, v66, v66
	v_max_f32_e32 v54, v54, v54
	v_min_f32_e32 v118, v54, v66
	v_max_f32_e32 v54, v54, v66
	v_cndmask_b32_e32 v54, v54, v118, vcc
	v_and_b32_e32 v66, 0x7f800000, v54
	v_cmp_ne_u32_e64 s[26:27], s51, v66
                                        ; implicit-def: $vgpr66
	s_and_saveexec_b64 s[42:43], s[26:27]
	s_xor_b64 s[26:27], exec, s[42:43]
; %bb.1430:                             ;   in Loop: Header=BB35_1377 Depth=2
	v_bfe_u32 v66, v54, 16, 1
	v_add3_u32 v66, v54, v66, s72
                                        ; implicit-def: $vgpr54
; %bb.1431:                             ;   in Loop: Header=BB35_1377 Depth=2
	s_andn2_saveexec_b64 s[42:43], s[26:27]
; %bb.1432:                             ;   in Loop: Header=BB35_1377 Depth=2
	v_or_b32_e32 v66, 0x10000, v54
	v_cmp_eq_u32_sdwa s[26:27], v54, v3 src0_sel:WORD_0 src1_sel:DWORD
	s_nop 1
	v_cndmask_b32_e64 v66, v66, v54, s[26:27]
; %bb.1433:                             ;   in Loop: Header=BB35_1377 Depth=2
	s_or_b64 exec, exec, s[42:43]
	v_lshlrev_b32_e32 v54, 16, v55
	v_lshlrev_b32_e32 v118, 16, v67
	v_max_f32_e32 v118, v118, v118
	v_max_f32_e32 v54, v54, v54
	v_min_f32_e32 v119, v54, v118
	v_max_f32_e32 v54, v54, v118
	v_cndmask_b32_e32 v118, v54, v119, vcc
	v_and_b32_e32 v54, 0x7f800000, v118
	v_cmp_ne_u32_e64 s[26:27], s51, v54
                                        ; implicit-def: $vgpr54
	s_and_saveexec_b64 s[42:43], s[26:27]
	s_xor_b64 s[26:27], exec, s[42:43]
; %bb.1434:                             ;   in Loop: Header=BB35_1377 Depth=2
	v_bfe_u32 v54, v118, 16, 1
	v_add3_u32 v54, v118, v54, s72
                                        ; implicit-def: $vgpr118
; %bb.1435:                             ;   in Loop: Header=BB35_1377 Depth=2
	s_andn2_saveexec_b64 s[42:43], s[26:27]
; %bb.1436:                             ;   in Loop: Header=BB35_1377 Depth=2
	v_or_b32_e32 v54, 0x10000, v118
	v_cmp_eq_u32_sdwa s[26:27], v118, v3 src0_sel:WORD_0 src1_sel:DWORD
	s_nop 1
	v_cndmask_b32_e64 v54, v54, v118, s[26:27]
; %bb.1437:                             ;   in Loop: Header=BB35_1377 Depth=2
	s_or_b64 exec, exec, s[42:43]
	v_and_b32_e32 v55, 0xffff0000, v55
	v_and_b32_e32 v67, 0xffff0000, v67
	v_max_f32_e32 v67, v67, v67
	v_max_f32_e32 v55, v55, v55
	v_min_f32_e32 v118, v55, v67
	v_max_f32_e32 v55, v55, v67
	v_cndmask_b32_e32 v55, v55, v118, vcc
	v_and_b32_e32 v67, 0x7f800000, v55
	v_cmp_ne_u32_e64 s[26:27], s51, v67
                                        ; implicit-def: $vgpr67
	s_and_saveexec_b64 s[42:43], s[26:27]
	s_xor_b64 s[26:27], exec, s[42:43]
; %bb.1438:                             ;   in Loop: Header=BB35_1377 Depth=2
	v_bfe_u32 v67, v55, 16, 1
	v_add3_u32 v67, v55, v67, s72
                                        ; implicit-def: $vgpr55
; %bb.1439:                             ;   in Loop: Header=BB35_1377 Depth=2
	s_andn2_saveexec_b64 s[42:43], s[26:27]
; %bb.1440:                             ;   in Loop: Header=BB35_1377 Depth=2
	v_or_b32_e32 v67, 0x10000, v55
	v_cmp_eq_u32_sdwa s[26:27], v55, v3 src0_sel:WORD_0 src1_sel:DWORD
	s_nop 1
	v_cndmask_b32_e64 v67, v67, v55, s[26:27]
; %bb.1441:                             ;   in Loop: Header=BB35_1377 Depth=2
	s_or_b64 exec, exec, s[42:43]
	v_lshlrev_b32_e32 v55, 16, v36
	s_waitcnt vmcnt(1)
	v_lshlrev_b32_e32 v118, 16, v48
	v_max_f32_e32 v118, v118, v118
	v_max_f32_e32 v55, v55, v55
	v_min_f32_e32 v119, v55, v118
	v_max_f32_e32 v55, v55, v118
	v_cndmask_b32_e32 v118, v55, v119, vcc
	v_and_b32_e32 v55, 0x7f800000, v118
	v_cmp_ne_u32_e64 s[26:27], s51, v55
                                        ; implicit-def: $vgpr55
	s_and_saveexec_b64 s[42:43], s[26:27]
	s_xor_b64 s[26:27], exec, s[42:43]
; %bb.1442:                             ;   in Loop: Header=BB35_1377 Depth=2
	v_bfe_u32 v55, v118, 16, 1
	v_add3_u32 v55, v118, v55, s72
                                        ; implicit-def: $vgpr118
; %bb.1443:                             ;   in Loop: Header=BB35_1377 Depth=2
	s_andn2_saveexec_b64 s[42:43], s[26:27]
; %bb.1444:                             ;   in Loop: Header=BB35_1377 Depth=2
	v_or_b32_e32 v55, 0x10000, v118
	v_cmp_eq_u32_sdwa s[26:27], v118, v3 src0_sel:WORD_0 src1_sel:DWORD
	s_nop 1
	v_cndmask_b32_e64 v55, v55, v118, s[26:27]
; %bb.1445:                             ;   in Loop: Header=BB35_1377 Depth=2
	s_or_b64 exec, exec, s[42:43]
	v_and_b32_e32 v36, 0xffff0000, v36
	v_and_b32_e32 v48, 0xffff0000, v48
	v_max_f32_e32 v48, v48, v48
	v_max_f32_e32 v36, v36, v36
	v_min_f32_e32 v118, v36, v48
	v_max_f32_e32 v36, v36, v48
	v_cndmask_b32_e32 v36, v36, v118, vcc
	v_and_b32_e32 v48, 0x7f800000, v36
	v_cmp_ne_u32_e64 s[26:27], s51, v48
                                        ; implicit-def: $vgpr48
	s_and_saveexec_b64 s[42:43], s[26:27]
	s_xor_b64 s[26:27], exec, s[42:43]
; %bb.1446:                             ;   in Loop: Header=BB35_1377 Depth=2
	v_bfe_u32 v48, v36, 16, 1
	v_add3_u32 v48, v36, v48, s72
                                        ; implicit-def: $vgpr36
; %bb.1447:                             ;   in Loop: Header=BB35_1377 Depth=2
	s_andn2_saveexec_b64 s[42:43], s[26:27]
; %bb.1448:                             ;   in Loop: Header=BB35_1377 Depth=2
	v_or_b32_e32 v48, 0x10000, v36
	v_cmp_eq_u32_sdwa s[26:27], v36, v3 src0_sel:WORD_0 src1_sel:DWORD
	s_nop 1
	v_cndmask_b32_e64 v48, v48, v36, s[26:27]
; %bb.1449:                             ;   in Loop: Header=BB35_1377 Depth=2
	s_or_b64 exec, exec, s[42:43]
	v_lshlrev_b32_e32 v36, 16, v37
	v_lshlrev_b32_e32 v118, 16, v49
	v_max_f32_e32 v118, v118, v118
	v_max_f32_e32 v36, v36, v36
	v_min_f32_e32 v119, v36, v118
	v_max_f32_e32 v36, v36, v118
	v_cndmask_b32_e32 v118, v36, v119, vcc
	v_and_b32_e32 v36, 0x7f800000, v118
	v_cmp_ne_u32_e64 s[26:27], s51, v36
                                        ; implicit-def: $vgpr36
	s_and_saveexec_b64 s[42:43], s[26:27]
	s_xor_b64 s[26:27], exec, s[42:43]
; %bb.1450:                             ;   in Loop: Header=BB35_1377 Depth=2
	v_bfe_u32 v36, v118, 16, 1
	v_add3_u32 v36, v118, v36, s72
                                        ; implicit-def: $vgpr118
; %bb.1451:                             ;   in Loop: Header=BB35_1377 Depth=2
	s_andn2_saveexec_b64 s[42:43], s[26:27]
; %bb.1452:                             ;   in Loop: Header=BB35_1377 Depth=2
	v_or_b32_e32 v36, 0x10000, v118
	v_cmp_eq_u32_sdwa s[26:27], v118, v3 src0_sel:WORD_0 src1_sel:DWORD
	s_nop 1
	v_cndmask_b32_e64 v36, v36, v118, s[26:27]
; %bb.1453:                             ;   in Loop: Header=BB35_1377 Depth=2
	s_or_b64 exec, exec, s[42:43]
	v_and_b32_e32 v37, 0xffff0000, v37
	v_and_b32_e32 v49, 0xffff0000, v49
	v_max_f32_e32 v49, v49, v49
	v_max_f32_e32 v37, v37, v37
	v_min_f32_e32 v118, v37, v49
	v_max_f32_e32 v37, v37, v49
	v_cndmask_b32_e32 v37, v37, v118, vcc
	v_and_b32_e32 v49, 0x7f800000, v37
	v_cmp_ne_u32_e64 s[26:27], s51, v49
                                        ; implicit-def: $vgpr49
	s_and_saveexec_b64 s[42:43], s[26:27]
	s_xor_b64 s[26:27], exec, s[42:43]
; %bb.1454:                             ;   in Loop: Header=BB35_1377 Depth=2
	v_bfe_u32 v49, v37, 16, 1
	v_add3_u32 v49, v37, v49, s72
                                        ; implicit-def: $vgpr37
; %bb.1455:                             ;   in Loop: Header=BB35_1377 Depth=2
	s_andn2_saveexec_b64 s[42:43], s[26:27]
; %bb.1456:                             ;   in Loop: Header=BB35_1377 Depth=2
	v_or_b32_e32 v49, 0x10000, v37
	v_cmp_eq_u32_sdwa s[26:27], v37, v3 src0_sel:WORD_0 src1_sel:DWORD
	s_nop 1
	v_cndmask_b32_e64 v49, v49, v37, s[26:27]
; %bb.1457:                             ;   in Loop: Header=BB35_1377 Depth=2
	s_or_b64 exec, exec, s[42:43]
	v_lshlrev_b32_e32 v37, 16, v38
	v_lshlrev_b32_e32 v118, 16, v50
	v_max_f32_e32 v118, v118, v118
	v_max_f32_e32 v37, v37, v37
	v_min_f32_e32 v119, v37, v118
	v_max_f32_e32 v37, v37, v118
	v_cndmask_b32_e32 v118, v37, v119, vcc
	v_and_b32_e32 v37, 0x7f800000, v118
	v_cmp_ne_u32_e64 s[26:27], s51, v37
                                        ; implicit-def: $vgpr37
	s_and_saveexec_b64 s[42:43], s[26:27]
	s_xor_b64 s[26:27], exec, s[42:43]
; %bb.1458:                             ;   in Loop: Header=BB35_1377 Depth=2
	v_bfe_u32 v37, v118, 16, 1
	v_add3_u32 v37, v118, v37, s72
                                        ; implicit-def: $vgpr118
; %bb.1459:                             ;   in Loop: Header=BB35_1377 Depth=2
	s_andn2_saveexec_b64 s[42:43], s[26:27]
; %bb.1460:                             ;   in Loop: Header=BB35_1377 Depth=2
	v_or_b32_e32 v37, 0x10000, v118
	v_cmp_eq_u32_sdwa s[26:27], v118, v3 src0_sel:WORD_0 src1_sel:DWORD
	s_nop 1
	v_cndmask_b32_e64 v37, v37, v118, s[26:27]
; %bb.1461:                             ;   in Loop: Header=BB35_1377 Depth=2
	s_or_b64 exec, exec, s[42:43]
	v_and_b32_e32 v38, 0xffff0000, v38
	v_and_b32_e32 v50, 0xffff0000, v50
	v_max_f32_e32 v50, v50, v50
	v_max_f32_e32 v38, v38, v38
	v_min_f32_e32 v118, v38, v50
	v_max_f32_e32 v38, v38, v50
	v_cndmask_b32_e32 v38, v38, v118, vcc
	v_and_b32_e32 v50, 0x7f800000, v38
	v_cmp_ne_u32_e64 s[26:27], s51, v50
                                        ; implicit-def: $vgpr50
	s_and_saveexec_b64 s[42:43], s[26:27]
	s_xor_b64 s[26:27], exec, s[42:43]
; %bb.1462:                             ;   in Loop: Header=BB35_1377 Depth=2
	v_bfe_u32 v50, v38, 16, 1
	v_add3_u32 v50, v38, v50, s72
                                        ; implicit-def: $vgpr38
; %bb.1463:                             ;   in Loop: Header=BB35_1377 Depth=2
	s_andn2_saveexec_b64 s[42:43], s[26:27]
; %bb.1464:                             ;   in Loop: Header=BB35_1377 Depth=2
	v_or_b32_e32 v50, 0x10000, v38
	v_cmp_eq_u32_sdwa s[26:27], v38, v3 src0_sel:WORD_0 src1_sel:DWORD
	s_nop 1
	v_cndmask_b32_e64 v50, v50, v38, s[26:27]
; %bb.1465:                             ;   in Loop: Header=BB35_1377 Depth=2
	s_or_b64 exec, exec, s[42:43]
	v_lshlrev_b32_e32 v38, 16, v39
	v_lshlrev_b32_e32 v118, 16, v51
	v_max_f32_e32 v118, v118, v118
	v_max_f32_e32 v38, v38, v38
	v_min_f32_e32 v119, v38, v118
	v_max_f32_e32 v38, v38, v118
	v_cndmask_b32_e32 v118, v38, v119, vcc
	v_and_b32_e32 v38, 0x7f800000, v118
	v_cmp_ne_u32_e64 s[26:27], s51, v38
                                        ; implicit-def: $vgpr38
	s_and_saveexec_b64 s[42:43], s[26:27]
	s_xor_b64 s[26:27], exec, s[42:43]
; %bb.1466:                             ;   in Loop: Header=BB35_1377 Depth=2
	v_bfe_u32 v38, v118, 16, 1
	v_add3_u32 v38, v118, v38, s72
                                        ; implicit-def: $vgpr118
; %bb.1467:                             ;   in Loop: Header=BB35_1377 Depth=2
	s_andn2_saveexec_b64 s[42:43], s[26:27]
; %bb.1468:                             ;   in Loop: Header=BB35_1377 Depth=2
	v_or_b32_e32 v38, 0x10000, v118
	v_cmp_eq_u32_sdwa s[26:27], v118, v3 src0_sel:WORD_0 src1_sel:DWORD
	s_nop 1
	v_cndmask_b32_e64 v38, v38, v118, s[26:27]
; %bb.1469:                             ;   in Loop: Header=BB35_1377 Depth=2
	s_or_b64 exec, exec, s[42:43]
	v_and_b32_e32 v39, 0xffff0000, v39
	v_and_b32_e32 v51, 0xffff0000, v51
	v_max_f32_e32 v51, v51, v51
	v_max_f32_e32 v39, v39, v39
	v_min_f32_e32 v118, v39, v51
	v_max_f32_e32 v39, v39, v51
	v_cndmask_b32_e32 v39, v39, v118, vcc
	v_and_b32_e32 v51, 0x7f800000, v39
	v_cmp_ne_u32_e64 s[26:27], s51, v51
                                        ; implicit-def: $vgpr51
	s_and_saveexec_b64 s[42:43], s[26:27]
	s_xor_b64 s[26:27], exec, s[42:43]
; %bb.1470:                             ;   in Loop: Header=BB35_1377 Depth=2
	v_bfe_u32 v51, v39, 16, 1
	v_add3_u32 v51, v39, v51, s72
                                        ; implicit-def: $vgpr39
; %bb.1471:                             ;   in Loop: Header=BB35_1377 Depth=2
	s_andn2_saveexec_b64 s[42:43], s[26:27]
; %bb.1472:                             ;   in Loop: Header=BB35_1377 Depth=2
	v_or_b32_e32 v51, 0x10000, v39
	v_cmp_eq_u32_sdwa s[26:27], v39, v3 src0_sel:WORD_0 src1_sel:DWORD
	s_nop 1
	v_cndmask_b32_e64 v51, v51, v39, s[26:27]
; %bb.1473:                             ;   in Loop: Header=BB35_1377 Depth=2
	s_or_b64 exec, exec, s[42:43]
	v_lshlrev_b32_e32 v39, 16, v24
	s_waitcnt vmcnt(0)
	v_lshlrev_b32_e32 v118, 16, v32
	v_max_f32_e32 v118, v118, v118
	v_max_f32_e32 v39, v39, v39
	v_min_f32_e32 v119, v39, v118
	v_max_f32_e32 v39, v39, v118
	v_cndmask_b32_e32 v118, v39, v119, vcc
	v_and_b32_e32 v39, 0x7f800000, v118
	v_cmp_ne_u32_e64 s[26:27], s51, v39
                                        ; implicit-def: $vgpr39
	s_and_saveexec_b64 s[42:43], s[26:27]
	s_xor_b64 s[26:27], exec, s[42:43]
; %bb.1474:                             ;   in Loop: Header=BB35_1377 Depth=2
	v_bfe_u32 v39, v118, 16, 1
	v_add3_u32 v39, v118, v39, s72
                                        ; implicit-def: $vgpr118
; %bb.1475:                             ;   in Loop: Header=BB35_1377 Depth=2
	s_andn2_saveexec_b64 s[42:43], s[26:27]
; %bb.1476:                             ;   in Loop: Header=BB35_1377 Depth=2
	v_or_b32_e32 v39, 0x10000, v118
	v_cmp_eq_u32_sdwa s[26:27], v118, v3 src0_sel:WORD_0 src1_sel:DWORD
	s_nop 1
	v_cndmask_b32_e64 v39, v39, v118, s[26:27]
; %bb.1477:                             ;   in Loop: Header=BB35_1377 Depth=2
	s_or_b64 exec, exec, s[42:43]
	v_and_b32_e32 v24, 0xffff0000, v24
	v_and_b32_e32 v32, 0xffff0000, v32
	v_max_f32_e32 v32, v32, v32
	v_max_f32_e32 v24, v24, v24
	v_min_f32_e32 v118, v24, v32
	v_max_f32_e32 v24, v24, v32
	v_cndmask_b32_e32 v24, v24, v118, vcc
	v_and_b32_e32 v32, 0x7f800000, v24
	v_cmp_ne_u32_e64 s[26:27], s51, v32
                                        ; implicit-def: $vgpr32
	s_and_saveexec_b64 s[42:43], s[26:27]
	s_xor_b64 s[26:27], exec, s[42:43]
; %bb.1478:                             ;   in Loop: Header=BB35_1377 Depth=2
	v_bfe_u32 v32, v24, 16, 1
	v_add3_u32 v32, v24, v32, s72
                                        ; implicit-def: $vgpr24
; %bb.1479:                             ;   in Loop: Header=BB35_1377 Depth=2
	s_andn2_saveexec_b64 s[42:43], s[26:27]
; %bb.1480:                             ;   in Loop: Header=BB35_1377 Depth=2
	v_or_b32_e32 v32, 0x10000, v24
	v_cmp_eq_u32_sdwa s[26:27], v24, v3 src0_sel:WORD_0 src1_sel:DWORD
	s_nop 1
	v_cndmask_b32_e64 v32, v32, v24, s[26:27]
; %bb.1481:                             ;   in Loop: Header=BB35_1377 Depth=2
	s_or_b64 exec, exec, s[42:43]
	v_lshlrev_b32_e32 v24, 16, v25
	v_lshlrev_b32_e32 v118, 16, v33
	v_max_f32_e32 v118, v118, v118
	v_max_f32_e32 v24, v24, v24
	v_min_f32_e32 v119, v24, v118
	v_max_f32_e32 v24, v24, v118
	v_cndmask_b32_e32 v118, v24, v119, vcc
	v_and_b32_e32 v24, 0x7f800000, v118
	v_cmp_ne_u32_e64 s[26:27], s51, v24
                                        ; implicit-def: $vgpr24
	s_and_saveexec_b64 s[42:43], s[26:27]
	s_xor_b64 s[26:27], exec, s[42:43]
; %bb.1482:                             ;   in Loop: Header=BB35_1377 Depth=2
	v_bfe_u32 v24, v118, 16, 1
	v_add3_u32 v24, v118, v24, s72
                                        ; implicit-def: $vgpr118
; %bb.1483:                             ;   in Loop: Header=BB35_1377 Depth=2
	s_andn2_saveexec_b64 s[42:43], s[26:27]
; %bb.1484:                             ;   in Loop: Header=BB35_1377 Depth=2
	v_or_b32_e32 v24, 0x10000, v118
	v_cmp_eq_u32_sdwa s[26:27], v118, v3 src0_sel:WORD_0 src1_sel:DWORD
	s_nop 1
	v_cndmask_b32_e64 v24, v24, v118, s[26:27]
; %bb.1485:                             ;   in Loop: Header=BB35_1377 Depth=2
	s_or_b64 exec, exec, s[42:43]
	v_and_b32_e32 v25, 0xffff0000, v25
	v_and_b32_e32 v33, 0xffff0000, v33
	v_max_f32_e32 v33, v33, v33
	v_max_f32_e32 v25, v25, v25
	v_min_f32_e32 v118, v25, v33
	v_max_f32_e32 v25, v25, v33
	v_cndmask_b32_e32 v25, v25, v118, vcc
	v_and_b32_e32 v33, 0x7f800000, v25
	v_cmp_ne_u32_e64 s[26:27], s51, v33
                                        ; implicit-def: $vgpr33
	s_and_saveexec_b64 s[42:43], s[26:27]
	s_xor_b64 s[26:27], exec, s[42:43]
; %bb.1486:                             ;   in Loop: Header=BB35_1377 Depth=2
	v_bfe_u32 v33, v25, 16, 1
	v_add3_u32 v33, v25, v33, s72
                                        ; implicit-def: $vgpr25
; %bb.1487:                             ;   in Loop: Header=BB35_1377 Depth=2
	s_andn2_saveexec_b64 s[42:43], s[26:27]
; %bb.1488:                             ;   in Loop: Header=BB35_1377 Depth=2
	v_or_b32_e32 v33, 0x10000, v25
	v_cmp_eq_u32_sdwa s[26:27], v25, v3 src0_sel:WORD_0 src1_sel:DWORD
	s_nop 1
	v_cndmask_b32_e64 v33, v33, v25, s[26:27]
; %bb.1489:                             ;   in Loop: Header=BB35_1377 Depth=2
	s_or_b64 exec, exec, s[42:43]
	v_lshlrev_b32_e32 v25, 16, v26
	v_lshlrev_b32_e32 v118, 16, v34
	v_max_f32_e32 v118, v118, v118
	v_max_f32_e32 v25, v25, v25
	v_min_f32_e32 v119, v25, v118
	v_max_f32_e32 v25, v25, v118
	v_cndmask_b32_e32 v118, v25, v119, vcc
	v_and_b32_e32 v25, 0x7f800000, v118
	v_cmp_ne_u32_e64 s[26:27], s51, v25
                                        ; implicit-def: $vgpr25
	s_and_saveexec_b64 s[42:43], s[26:27]
	s_xor_b64 s[26:27], exec, s[42:43]
; %bb.1490:                             ;   in Loop: Header=BB35_1377 Depth=2
	v_bfe_u32 v25, v118, 16, 1
	v_add3_u32 v25, v118, v25, s72
                                        ; implicit-def: $vgpr118
; %bb.1491:                             ;   in Loop: Header=BB35_1377 Depth=2
	s_andn2_saveexec_b64 s[42:43], s[26:27]
; %bb.1492:                             ;   in Loop: Header=BB35_1377 Depth=2
	v_or_b32_e32 v25, 0x10000, v118
	v_cmp_eq_u32_sdwa s[26:27], v118, v3 src0_sel:WORD_0 src1_sel:DWORD
	s_nop 1
	v_cndmask_b32_e64 v25, v25, v118, s[26:27]
; %bb.1493:                             ;   in Loop: Header=BB35_1377 Depth=2
	s_or_b64 exec, exec, s[42:43]
	v_and_b32_e32 v26, 0xffff0000, v26
	v_and_b32_e32 v34, 0xffff0000, v34
	v_max_f32_e32 v34, v34, v34
	v_max_f32_e32 v26, v26, v26
	v_min_f32_e32 v118, v26, v34
	v_max_f32_e32 v26, v26, v34
	v_cndmask_b32_e32 v26, v26, v118, vcc
	v_and_b32_e32 v34, 0x7f800000, v26
	v_cmp_ne_u32_e64 s[26:27], s51, v34
                                        ; implicit-def: $vgpr34
	s_and_saveexec_b64 s[42:43], s[26:27]
	s_xor_b64 s[26:27], exec, s[42:43]
; %bb.1494:                             ;   in Loop: Header=BB35_1377 Depth=2
	v_bfe_u32 v34, v26, 16, 1
	v_add3_u32 v34, v26, v34, s72
                                        ; implicit-def: $vgpr26
; %bb.1495:                             ;   in Loop: Header=BB35_1377 Depth=2
	s_andn2_saveexec_b64 s[42:43], s[26:27]
; %bb.1496:                             ;   in Loop: Header=BB35_1377 Depth=2
	v_or_b32_e32 v34, 0x10000, v26
	v_cmp_eq_u32_sdwa s[26:27], v26, v3 src0_sel:WORD_0 src1_sel:DWORD
	s_nop 1
	v_cndmask_b32_e64 v34, v34, v26, s[26:27]
; %bb.1497:                             ;   in Loop: Header=BB35_1377 Depth=2
	s_or_b64 exec, exec, s[42:43]
	v_lshlrev_b32_e32 v26, 16, v27
	v_lshlrev_b32_e32 v118, 16, v35
	v_max_f32_e32 v118, v118, v118
	v_max_f32_e32 v26, v26, v26
	v_min_f32_e32 v119, v26, v118
	v_max_f32_e32 v26, v26, v118
	v_cndmask_b32_e32 v118, v26, v119, vcc
	v_and_b32_e32 v26, 0x7f800000, v118
	v_cmp_ne_u32_e64 s[26:27], s51, v26
                                        ; implicit-def: $vgpr26
	s_and_saveexec_b64 s[42:43], s[26:27]
	s_xor_b64 s[26:27], exec, s[42:43]
; %bb.1498:                             ;   in Loop: Header=BB35_1377 Depth=2
	v_bfe_u32 v26, v118, 16, 1
	v_add3_u32 v26, v118, v26, s72
                                        ; implicit-def: $vgpr118
; %bb.1499:                             ;   in Loop: Header=BB35_1377 Depth=2
	s_andn2_saveexec_b64 s[42:43], s[26:27]
; %bb.1500:                             ;   in Loop: Header=BB35_1377 Depth=2
	v_or_b32_e32 v26, 0x10000, v118
	v_cmp_eq_u32_sdwa s[26:27], v118, v3 src0_sel:WORD_0 src1_sel:DWORD
	s_nop 1
	v_cndmask_b32_e64 v26, v26, v118, s[26:27]
; %bb.1501:                             ;   in Loop: Header=BB35_1377 Depth=2
	s_or_b64 exec, exec, s[42:43]
	v_and_b32_e32 v27, 0xffff0000, v27
	v_and_b32_e32 v35, 0xffff0000, v35
	v_max_f32_e32 v35, v35, v35
	v_max_f32_e32 v27, v27, v27
	v_min_f32_e32 v118, v27, v35
	v_max_f32_e32 v27, v27, v35
	v_cndmask_b32_e32 v35, v27, v118, vcc
	v_and_b32_e32 v27, 0x7f800000, v35
	v_cmp_ne_u32_e64 s[26:27], s51, v27
                                        ; implicit-def: $vgpr27
	s_and_saveexec_b64 s[42:43], s[26:27]
	s_xor_b64 s[26:27], exec, s[42:43]
; %bb.1502:                             ;   in Loop: Header=BB35_1377 Depth=2
	v_bfe_u32 v27, v35, 16, 1
	v_add3_u32 v27, v35, v27, s72
                                        ; implicit-def: $vgpr35
; %bb.1503:                             ;   in Loop: Header=BB35_1377 Depth=2
	s_andn2_saveexec_b64 s[42:43], s[26:27]
; %bb.1504:                             ;   in Loop: Header=BB35_1377 Depth=2
	v_or_b32_e32 v27, 0x10000, v35
	v_cmp_eq_u32_sdwa s[26:27], v35, v3 src0_sel:WORD_0 src1_sel:DWORD
	s_nop 1
	v_cndmask_b32_e64 v27, v27, v35, s[26:27]
; %bb.1505:                             ;   in Loop: Header=BB35_1377 Depth=2
	s_or_b64 exec, exec, s[42:43]
	v_and_b32_e32 v35, 0xffff0000, v7
	v_lshlrev_b32_e32 v118, 16, v20
	v_max_f32_e32 v35, v35, v35
	v_max_f32_e32 v118, v118, v118
	v_min_f32_e32 v119, v35, v118
	v_max_f32_e32 v35, v35, v118
	v_cndmask_b32_e32 v118, v35, v119, vcc
	v_and_b32_e32 v35, 0x7f800000, v118
	v_cmp_ne_u32_e64 s[26:27], s51, v35
                                        ; implicit-def: $vgpr35
	s_and_saveexec_b64 s[42:43], s[26:27]
	s_xor_b64 s[26:27], exec, s[42:43]
; %bb.1506:                             ;   in Loop: Header=BB35_1377 Depth=2
	v_bfe_u32 v35, v118, 16, 1
	v_add3_u32 v35, v118, v35, s72
                                        ; implicit-def: $vgpr118
; %bb.1507:                             ;   in Loop: Header=BB35_1377 Depth=2
	s_andn2_saveexec_b64 s[42:43], s[26:27]
; %bb.1508:                             ;   in Loop: Header=BB35_1377 Depth=2
	v_or_b32_e32 v35, 0x10000, v118
	v_cmp_eq_u32_sdwa s[26:27], v118, v3 src0_sel:WORD_0 src1_sel:DWORD
	s_nop 1
	v_cndmask_b32_e64 v35, v35, v118, s[26:27]
; %bb.1509:                             ;   in Loop: Header=BB35_1377 Depth=2
	s_or_b64 exec, exec, s[42:43]
	v_and_b32_e32 v118, 0xffff0000, v20
	v_and_b32_e32 v20, 0xffff0000, v80
	v_max_f32_e32 v80, v118, v118
	v_max_f32_e32 v118, v20, v20
	v_min_f32_e32 v119, v118, v80
	v_max_f32_e32 v80, v118, v80
	v_cndmask_b32_e32 v118, v80, v119, vcc
	v_and_b32_e32 v80, 0x7f800000, v118
	v_cmp_ne_u32_e64 s[26:27], s51, v80
                                        ; implicit-def: $vgpr80
	s_and_saveexec_b64 s[42:43], s[26:27]
	s_xor_b64 s[26:27], exec, s[42:43]
; %bb.1510:                             ;   in Loop: Header=BB35_1377 Depth=2
	v_bfe_u32 v80, v118, 16, 1
	v_add3_u32 v80, v118, v80, s72
                                        ; implicit-def: $vgpr118
; %bb.1511:                             ;   in Loop: Header=BB35_1377 Depth=2
	s_andn2_saveexec_b64 s[42:43], s[26:27]
; %bb.1512:                             ;   in Loop: Header=BB35_1377 Depth=2
	v_or_b32_e32 v80, 0x10000, v118
	v_cmp_eq_u32_sdwa s[26:27], v118, v3 src0_sel:WORD_0 src1_sel:DWORD
	s_nop 1
	v_cndmask_b32_e64 v80, v80, v118, s[26:27]
; %bb.1513:                             ;   in Loop: Header=BB35_1377 Depth=2
	s_or_b64 exec, exec, s[42:43]
	v_and_b32_e32 v118, 0xffff0000, v68
	v_lshlrev_b32_e32 v119, 16, v21
	v_max_f32_e32 v118, v118, v118
	v_max_f32_e32 v119, v119, v119
	v_min_f32_e32 v42, v118, v119
	v_max_f32_e32 v118, v118, v119
	v_cndmask_b32_e32 v119, v118, v42, vcc
	v_and_b32_e32 v118, 0x7f800000, v119
	v_cmp_ne_u32_e64 s[26:27], s51, v118
                                        ; implicit-def: $vgpr118
	s_and_saveexec_b64 s[42:43], s[26:27]
	s_xor_b64 s[26:27], exec, s[42:43]
; %bb.1514:                             ;   in Loop: Header=BB35_1377 Depth=2
	v_bfe_u32 v118, v119, 16, 1
	v_add3_u32 v118, v119, v118, s72
                                        ; implicit-def: $vgpr119
; %bb.1515:                             ;   in Loop: Header=BB35_1377 Depth=2
	s_andn2_saveexec_b64 s[42:43], s[26:27]
; %bb.1516:                             ;   in Loop: Header=BB35_1377 Depth=2
	v_or_b32_e32 v118, 0x10000, v119
	v_cmp_eq_u32_sdwa s[26:27], v119, v3 src0_sel:WORD_0 src1_sel:DWORD
	s_nop 1
	v_cndmask_b32_e64 v118, v118, v119, s[26:27]
; %bb.1517:                             ;   in Loop: Header=BB35_1377 Depth=2
	s_or_b64 exec, exec, s[42:43]
	v_and_b32_e32 v119, 0xffff0000, v21
	v_and_b32_e32 v21, 0xffff0000, v81
	v_max_f32_e32 v81, v119, v119
	v_max_f32_e32 v119, v21, v21
	v_min_f32_e32 v42, v119, v81
	v_max_f32_e32 v81, v119, v81
	v_cndmask_b32_e32 v119, v81, v42, vcc
	v_and_b32_e32 v81, 0x7f800000, v119
	v_cmp_ne_u32_e64 s[26:27], s51, v81
                                        ; implicit-def: $vgpr81
	s_and_saveexec_b64 s[42:43], s[26:27]
	s_xor_b64 s[26:27], exec, s[42:43]
; %bb.1518:                             ;   in Loop: Header=BB35_1377 Depth=2
	v_bfe_u32 v81, v119, 16, 1
	v_add3_u32 v81, v119, v81, s72
                                        ; implicit-def: $vgpr119
; %bb.1519:                             ;   in Loop: Header=BB35_1377 Depth=2
	s_andn2_saveexec_b64 s[42:43], s[26:27]
; %bb.1520:                             ;   in Loop: Header=BB35_1377 Depth=2
	v_or_b32_e32 v81, 0x10000, v119
	v_cmp_eq_u32_sdwa s[26:27], v119, v3 src0_sel:WORD_0 src1_sel:DWORD
	s_nop 1
	v_cndmask_b32_e64 v81, v81, v119, s[26:27]
; %bb.1521:                             ;   in Loop: Header=BB35_1377 Depth=2
	s_or_b64 exec, exec, s[42:43]
	v_and_b32_e32 v119, 0xffff0000, v69
	v_lshlrev_b32_e32 v42, 16, v22
	v_max_f32_e32 v119, v119, v119
	v_max_f32_e32 v42, v42, v42
	v_min_f32_e32 v43, v119, v42
	v_max_f32_e32 v119, v119, v42
	v_cndmask_b32_e32 v42, v119, v43, vcc
	v_and_b32_e32 v119, 0x7f800000, v42
	v_cmp_ne_u32_e64 s[26:27], s51, v119
                                        ; implicit-def: $vgpr119
	s_and_saveexec_b64 s[42:43], s[26:27]
	s_xor_b64 s[26:27], exec, s[42:43]
; %bb.1522:                             ;   in Loop: Header=BB35_1377 Depth=2
	v_bfe_u32 v119, v42, 16, 1
	v_add3_u32 v119, v42, v119, s72
                                        ; implicit-def: $vgpr42
; %bb.1523:                             ;   in Loop: Header=BB35_1377 Depth=2
	s_andn2_saveexec_b64 s[42:43], s[26:27]
; %bb.1524:                             ;   in Loop: Header=BB35_1377 Depth=2
	v_or_b32_e32 v119, 0x10000, v42
	v_cmp_eq_u32_sdwa s[26:27], v42, v3 src0_sel:WORD_0 src1_sel:DWORD
	s_nop 1
	v_cndmask_b32_e64 v119, v119, v42, s[26:27]
; %bb.1525:                             ;   in Loop: Header=BB35_1377 Depth=2
	s_or_b64 exec, exec, s[42:43]
	v_and_b32_e32 v42, 0xffff0000, v22
	v_and_b32_e32 v22, 0xffff0000, v82
	v_max_f32_e32 v82, v42, v42
	v_max_f32_e32 v42, v22, v22
	v_min_f32_e32 v43, v42, v82
	v_max_f32_e32 v82, v42, v82
	v_cndmask_b32_e32 v42, v82, v43, vcc
	v_and_b32_e32 v82, 0x7f800000, v42
	v_cmp_ne_u32_e64 s[26:27], s51, v82
                                        ; implicit-def: $vgpr82
	s_and_saveexec_b64 s[42:43], s[26:27]
	s_xor_b64 s[26:27], exec, s[42:43]
; %bb.1526:                             ;   in Loop: Header=BB35_1377 Depth=2
	v_bfe_u32 v82, v42, 16, 1
	v_add3_u32 v82, v42, v82, s72
                                        ; implicit-def: $vgpr42
; %bb.1527:                             ;   in Loop: Header=BB35_1377 Depth=2
	s_andn2_saveexec_b64 s[42:43], s[26:27]
; %bb.1528:                             ;   in Loop: Header=BB35_1377 Depth=2
	v_or_b32_e32 v82, 0x10000, v42
	v_cmp_eq_u32_sdwa s[26:27], v42, v3 src0_sel:WORD_0 src1_sel:DWORD
	s_nop 1
	v_cndmask_b32_e64 v82, v82, v42, s[26:27]
; %bb.1529:                             ;   in Loop: Header=BB35_1377 Depth=2
	s_or_b64 exec, exec, s[42:43]
	v_and_b32_e32 v42, 0xffff0000, v70
	v_lshlrev_b32_e32 v43, 16, v23
	v_max_f32_e32 v42, v42, v42
	v_max_f32_e32 v43, v43, v43
	v_min_f32_e32 v45, v42, v43
	v_max_f32_e32 v42, v42, v43
	v_cndmask_b32_e32 v43, v42, v45, vcc
	v_and_b32_e32 v42, 0x7f800000, v43
	v_cmp_ne_u32_e64 s[26:27], s51, v42
                                        ; implicit-def: $vgpr42
	s_and_saveexec_b64 s[42:43], s[26:27]
	s_xor_b64 s[26:27], exec, s[42:43]
; %bb.1530:                             ;   in Loop: Header=BB35_1377 Depth=2
	v_bfe_u32 v42, v43, 16, 1
	v_add3_u32 v42, v43, v42, s72
                                        ; implicit-def: $vgpr43
; %bb.1531:                             ;   in Loop: Header=BB35_1377 Depth=2
	s_andn2_saveexec_b64 s[42:43], s[26:27]
; %bb.1532:                             ;   in Loop: Header=BB35_1377 Depth=2
	v_or_b32_e32 v42, 0x10000, v43
	v_cmp_eq_u32_sdwa s[26:27], v43, v3 src0_sel:WORD_0 src1_sel:DWORD
	s_nop 1
	v_cndmask_b32_e64 v42, v42, v43, s[26:27]
; %bb.1533:                             ;   in Loop: Header=BB35_1377 Depth=2
	s_or_b64 exec, exec, s[42:43]
	v_and_b32_e32 v43, 0xffff0000, v23
	v_and_b32_e32 v23, 0xffff0000, v83
	v_max_f32_e32 v83, v43, v43
	v_max_f32_e32 v43, v23, v23
	v_min_f32_e32 v45, v43, v83
	v_max_f32_e32 v83, v43, v83
	v_cndmask_b32_e32 v43, v83, v45, vcc
	v_and_b32_e32 v83, 0x7f800000, v43
	v_cmp_ne_u32_e64 s[26:27], s51, v83
                                        ; implicit-def: $vgpr83
	s_and_saveexec_b64 s[42:43], s[26:27]
	s_xor_b64 s[26:27], exec, s[42:43]
; %bb.1534:                             ;   in Loop: Header=BB35_1377 Depth=2
	v_bfe_u32 v83, v43, 16, 1
	v_add3_u32 v83, v43, v83, s72
                                        ; implicit-def: $vgpr43
; %bb.1535:                             ;   in Loop: Header=BB35_1377 Depth=2
	s_andn2_saveexec_b64 s[42:43], s[26:27]
; %bb.1536:                             ;   in Loop: Header=BB35_1377 Depth=2
	v_or_b32_e32 v83, 0x10000, v43
	v_cmp_eq_u32_sdwa s[26:27], v43, v3 src0_sel:WORD_0 src1_sel:DWORD
	s_nop 1
	v_cndmask_b32_e64 v83, v83, v43, s[26:27]
; %bb.1537:                             ;   in Loop: Header=BB35_1377 Depth=2
	s_or_b64 exec, exec, s[42:43]
	v_lshrrev_b32_e32 v35, 16, v35
	v_and_or_b32 v80, v80, s73, v35
	v_lshrrev_b32_e32 v35, 16, v119
	v_lshrrev_b32_e32 v118, 16, v118
	v_and_or_b32 v82, v82, s73, v35
	v_lshrrev_b32_e32 v35, 16, v42
	v_and_or_b32 v81, v81, s73, v118
	v_and_or_b32 v83, v83, s73, v35
	global_store_dwordx4 v[100:101], v[80:83], off
	v_and_b32_e32 v35, 0xffff0000, v71
	v_max_f32_e32 v35, v35, v35
	v_lshlrev_b32_e32 v80, 16, v16
	v_max_f32_e32 v80, v80, v80
	v_min_f32_e32 v81, v35, v80
	v_max_f32_e32 v35, v35, v80
	v_cndmask_b32_e32 v80, v35, v81, vcc
	v_and_b32_e32 v35, 0x7f800000, v80
	v_cmp_ne_u32_e64 s[26:27], s51, v35
                                        ; implicit-def: $vgpr35
	s_and_saveexec_b64 s[42:43], s[26:27]
	s_xor_b64 s[26:27], exec, s[42:43]
; %bb.1538:                             ;   in Loop: Header=BB35_1377 Depth=2
	v_bfe_u32 v35, v80, 16, 1
	v_add3_u32 v35, v80, v35, s72
                                        ; implicit-def: $vgpr80
; %bb.1539:                             ;   in Loop: Header=BB35_1377 Depth=2
	s_andn2_saveexec_b64 s[42:43], s[26:27]
; %bb.1540:                             ;   in Loop: Header=BB35_1377 Depth=2
	v_or_b32_e32 v35, 0x10000, v80
	v_cmp_eq_u32_sdwa s[26:27], v80, v3 src0_sel:WORD_0 src1_sel:DWORD
	s_nop 1
	v_cndmask_b32_e64 v35, v35, v80, s[26:27]
; %bb.1541:                             ;   in Loop: Header=BB35_1377 Depth=2
	s_or_b64 exec, exec, s[42:43]
	v_and_b32_e32 v80, 0xffff0000, v16
	v_and_b32_e32 v16, 0xffff0000, v64
	v_max_f32_e32 v64, v80, v80
	v_max_f32_e32 v80, v16, v16
	v_min_f32_e32 v81, v80, v64
	v_max_f32_e32 v64, v80, v64
	v_cndmask_b32_e32 v80, v64, v81, vcc
	v_and_b32_e32 v64, 0x7f800000, v80
	v_cmp_ne_u32_e64 s[26:27], s51, v64
                                        ; implicit-def: $vgpr64
	s_and_saveexec_b64 s[42:43], s[26:27]
	s_xor_b64 s[26:27], exec, s[42:43]
; %bb.1542:                             ;   in Loop: Header=BB35_1377 Depth=2
	v_bfe_u32 v64, v80, 16, 1
	v_add3_u32 v64, v80, v64, s72
                                        ; implicit-def: $vgpr80
; %bb.1543:                             ;   in Loop: Header=BB35_1377 Depth=2
	s_andn2_saveexec_b64 s[42:43], s[26:27]
; %bb.1544:                             ;   in Loop: Header=BB35_1377 Depth=2
	v_or_b32_e32 v64, 0x10000, v80
	v_cmp_eq_u32_sdwa s[26:27], v80, v3 src0_sel:WORD_0 src1_sel:DWORD
	s_nop 1
	v_cndmask_b32_e64 v64, v64, v80, s[26:27]
; %bb.1545:                             ;   in Loop: Header=BB35_1377 Depth=2
	s_or_b64 exec, exec, s[42:43]
	v_and_b32_e32 v80, 0xffff0000, v52
	v_lshlrev_b32_e32 v81, 16, v17
	v_max_f32_e32 v80, v80, v80
	v_max_f32_e32 v81, v81, v81
	v_min_f32_e32 v82, v80, v81
	v_max_f32_e32 v80, v80, v81
	v_cndmask_b32_e32 v81, v80, v82, vcc
	v_and_b32_e32 v80, 0x7f800000, v81
	v_cmp_ne_u32_e64 s[26:27], s51, v80
                                        ; implicit-def: $vgpr80
	s_and_saveexec_b64 s[42:43], s[26:27]
	s_xor_b64 s[26:27], exec, s[42:43]
; %bb.1546:                             ;   in Loop: Header=BB35_1377 Depth=2
	v_bfe_u32 v80, v81, 16, 1
	v_add3_u32 v80, v81, v80, s72
                                        ; implicit-def: $vgpr81
; %bb.1547:                             ;   in Loop: Header=BB35_1377 Depth=2
	s_andn2_saveexec_b64 s[42:43], s[26:27]
; %bb.1548:                             ;   in Loop: Header=BB35_1377 Depth=2
	v_or_b32_e32 v80, 0x10000, v81
	v_cmp_eq_u32_sdwa s[26:27], v81, v3 src0_sel:WORD_0 src1_sel:DWORD
	s_nop 1
	v_cndmask_b32_e64 v80, v80, v81, s[26:27]
; %bb.1549:                             ;   in Loop: Header=BB35_1377 Depth=2
	s_or_b64 exec, exec, s[42:43]
	v_and_b32_e32 v81, 0xffff0000, v17
	v_and_b32_e32 v17, 0xffff0000, v65
	v_max_f32_e32 v65, v81, v81
	v_max_f32_e32 v81, v17, v17
	v_min_f32_e32 v82, v81, v65
	v_max_f32_e32 v65, v81, v65
	v_cndmask_b32_e32 v81, v65, v82, vcc
	v_and_b32_e32 v65, 0x7f800000, v81
	v_cmp_ne_u32_e64 s[26:27], s51, v65
                                        ; implicit-def: $vgpr65
	s_and_saveexec_b64 s[42:43], s[26:27]
	s_xor_b64 s[26:27], exec, s[42:43]
; %bb.1550:                             ;   in Loop: Header=BB35_1377 Depth=2
	v_bfe_u32 v65, v81, 16, 1
	v_add3_u32 v65, v81, v65, s72
                                        ; implicit-def: $vgpr81
; %bb.1551:                             ;   in Loop: Header=BB35_1377 Depth=2
	s_andn2_saveexec_b64 s[42:43], s[26:27]
; %bb.1552:                             ;   in Loop: Header=BB35_1377 Depth=2
	v_or_b32_e32 v65, 0x10000, v81
	v_cmp_eq_u32_sdwa s[26:27], v81, v3 src0_sel:WORD_0 src1_sel:DWORD
	s_nop 1
	v_cndmask_b32_e64 v65, v65, v81, s[26:27]
; %bb.1553:                             ;   in Loop: Header=BB35_1377 Depth=2
	s_or_b64 exec, exec, s[42:43]
	v_and_b32_e32 v81, 0xffff0000, v53
	v_lshlrev_b32_e32 v82, 16, v18
	v_max_f32_e32 v81, v81, v81
	v_max_f32_e32 v82, v82, v82
	v_min_f32_e32 v83, v81, v82
	v_max_f32_e32 v81, v81, v82
	v_cndmask_b32_e32 v82, v81, v83, vcc
	v_and_b32_e32 v81, 0x7f800000, v82
	v_cmp_ne_u32_e64 s[26:27], s51, v81
                                        ; implicit-def: $vgpr81
	s_and_saveexec_b64 s[42:43], s[26:27]
	s_xor_b64 s[26:27], exec, s[42:43]
; %bb.1554:                             ;   in Loop: Header=BB35_1377 Depth=2
	v_bfe_u32 v81, v82, 16, 1
	v_add3_u32 v81, v82, v81, s72
                                        ; implicit-def: $vgpr82
; %bb.1555:                             ;   in Loop: Header=BB35_1377 Depth=2
	s_andn2_saveexec_b64 s[42:43], s[26:27]
; %bb.1556:                             ;   in Loop: Header=BB35_1377 Depth=2
	v_or_b32_e32 v81, 0x10000, v82
	v_cmp_eq_u32_sdwa s[26:27], v82, v3 src0_sel:WORD_0 src1_sel:DWORD
	s_nop 1
	v_cndmask_b32_e64 v81, v81, v82, s[26:27]
; %bb.1557:                             ;   in Loop: Header=BB35_1377 Depth=2
	s_or_b64 exec, exec, s[42:43]
	v_and_b32_e32 v82, 0xffff0000, v18
	v_and_b32_e32 v18, 0xffff0000, v66
	v_max_f32_e32 v66, v82, v82
	v_max_f32_e32 v82, v18, v18
	v_min_f32_e32 v83, v82, v66
	v_max_f32_e32 v66, v82, v66
	v_cndmask_b32_e32 v82, v66, v83, vcc
	v_and_b32_e32 v66, 0x7f800000, v82
	v_cmp_ne_u32_e64 s[26:27], s51, v66
                                        ; implicit-def: $vgpr66
	s_and_saveexec_b64 s[42:43], s[26:27]
	s_xor_b64 s[26:27], exec, s[42:43]
; %bb.1558:                             ;   in Loop: Header=BB35_1377 Depth=2
	v_bfe_u32 v66, v82, 16, 1
	v_add3_u32 v66, v82, v66, s72
                                        ; implicit-def: $vgpr82
; %bb.1559:                             ;   in Loop: Header=BB35_1377 Depth=2
	s_andn2_saveexec_b64 s[42:43], s[26:27]
; %bb.1560:                             ;   in Loop: Header=BB35_1377 Depth=2
	v_or_b32_e32 v66, 0x10000, v82
	v_cmp_eq_u32_sdwa s[26:27], v82, v3 src0_sel:WORD_0 src1_sel:DWORD
	s_nop 1
	v_cndmask_b32_e64 v66, v66, v82, s[26:27]
; %bb.1561:                             ;   in Loop: Header=BB35_1377 Depth=2
	s_or_b64 exec, exec, s[42:43]
	v_and_b32_e32 v82, 0xffff0000, v54
	v_lshlrev_b32_e32 v83, 16, v19
	v_max_f32_e32 v82, v82, v82
	v_max_f32_e32 v83, v83, v83
	v_min_f32_e32 v118, v82, v83
	v_max_f32_e32 v82, v82, v83
	v_cndmask_b32_e32 v83, v82, v118, vcc
	v_and_b32_e32 v82, 0x7f800000, v83
	v_cmp_ne_u32_e64 s[26:27], s51, v82
                                        ; implicit-def: $vgpr82
	s_and_saveexec_b64 s[42:43], s[26:27]
	s_xor_b64 s[26:27], exec, s[42:43]
; %bb.1562:                             ;   in Loop: Header=BB35_1377 Depth=2
	v_bfe_u32 v82, v83, 16, 1
	v_add3_u32 v82, v83, v82, s72
                                        ; implicit-def: $vgpr83
; %bb.1563:                             ;   in Loop: Header=BB35_1377 Depth=2
	s_andn2_saveexec_b64 s[42:43], s[26:27]
; %bb.1564:                             ;   in Loop: Header=BB35_1377 Depth=2
	v_or_b32_e32 v82, 0x10000, v83
	v_cmp_eq_u32_sdwa s[26:27], v83, v3 src0_sel:WORD_0 src1_sel:DWORD
	s_nop 1
	v_cndmask_b32_e64 v82, v82, v83, s[26:27]
; %bb.1565:                             ;   in Loop: Header=BB35_1377 Depth=2
	s_or_b64 exec, exec, s[42:43]
	v_and_b32_e32 v83, 0xffff0000, v19
	v_and_b32_e32 v19, 0xffff0000, v67
	v_max_f32_e32 v67, v83, v83
	v_max_f32_e32 v83, v19, v19
	v_min_f32_e32 v118, v83, v67
	v_max_f32_e32 v67, v83, v67
	v_cndmask_b32_e32 v83, v67, v118, vcc
	v_and_b32_e32 v67, 0x7f800000, v83
	v_cmp_ne_u32_e64 s[26:27], s51, v67
                                        ; implicit-def: $vgpr67
	s_and_saveexec_b64 s[42:43], s[26:27]
	s_xor_b64 s[26:27], exec, s[42:43]
; %bb.1566:                             ;   in Loop: Header=BB35_1377 Depth=2
	v_bfe_u32 v67, v83, 16, 1
	v_add3_u32 v67, v83, v67, s72
                                        ; implicit-def: $vgpr83
; %bb.1567:                             ;   in Loop: Header=BB35_1377 Depth=2
	s_andn2_saveexec_b64 s[42:43], s[26:27]
; %bb.1568:                             ;   in Loop: Header=BB35_1377 Depth=2
	v_or_b32_e32 v67, 0x10000, v83
	v_cmp_eq_u32_sdwa s[26:27], v83, v3 src0_sel:WORD_0 src1_sel:DWORD
	s_nop 1
	v_cndmask_b32_e64 v67, v67, v83, s[26:27]
; %bb.1569:                             ;   in Loop: Header=BB35_1377 Depth=2
	s_or_b64 exec, exec, s[42:43]
	v_lshrrev_b32_e32 v35, 16, v35
	v_and_or_b32 v64, v64, s73, v35
	v_lshrrev_b32_e32 v35, 16, v81
	v_lshrrev_b32_e32 v80, 16, v80
	v_and_or_b32 v66, v66, s73, v35
	v_lshrrev_b32_e32 v35, 16, v82
	v_and_or_b32 v65, v65, s73, v80
	v_and_or_b32 v67, v67, s73, v35
	global_store_dwordx4 v[100:101], v[64:67], off offset:1024
	v_and_b32_e32 v35, 0xffff0000, v55
	v_max_f32_e32 v35, v35, v35
	v_lshlrev_b32_e32 v64, 16, v12
	v_max_f32_e32 v64, v64, v64
	v_min_f32_e32 v65, v35, v64
	v_max_f32_e32 v35, v35, v64
	v_cndmask_b32_e32 v64, v35, v65, vcc
	v_and_b32_e32 v35, 0x7f800000, v64
	v_cmp_ne_u32_e64 s[26:27], s51, v35
                                        ; implicit-def: $vgpr35
	s_and_saveexec_b64 s[42:43], s[26:27]
	s_xor_b64 s[26:27], exec, s[42:43]
; %bb.1570:                             ;   in Loop: Header=BB35_1377 Depth=2
	v_bfe_u32 v35, v64, 16, 1
	v_add3_u32 v35, v64, v35, s72
                                        ; implicit-def: $vgpr64
; %bb.1571:                             ;   in Loop: Header=BB35_1377 Depth=2
	s_andn2_saveexec_b64 s[42:43], s[26:27]
; %bb.1572:                             ;   in Loop: Header=BB35_1377 Depth=2
	v_or_b32_e32 v35, 0x10000, v64
	v_cmp_eq_u32_sdwa s[26:27], v64, v3 src0_sel:WORD_0 src1_sel:DWORD
	s_nop 1
	v_cndmask_b32_e64 v35, v35, v64, s[26:27]
; %bb.1573:                             ;   in Loop: Header=BB35_1377 Depth=2
	s_or_b64 exec, exec, s[42:43]
	v_and_b32_e32 v64, 0xffff0000, v12
	v_and_b32_e32 v12, 0xffff0000, v48
	v_max_f32_e32 v48, v64, v64
	v_max_f32_e32 v64, v12, v12
	v_min_f32_e32 v65, v64, v48
	v_max_f32_e32 v48, v64, v48
	v_cndmask_b32_e32 v64, v48, v65, vcc
	v_and_b32_e32 v48, 0x7f800000, v64
	v_cmp_ne_u32_e64 s[26:27], s51, v48
                                        ; implicit-def: $vgpr48
	s_and_saveexec_b64 s[42:43], s[26:27]
	s_xor_b64 s[26:27], exec, s[42:43]
; %bb.1574:                             ;   in Loop: Header=BB35_1377 Depth=2
	v_bfe_u32 v48, v64, 16, 1
	v_add3_u32 v48, v64, v48, s72
                                        ; implicit-def: $vgpr64
; %bb.1575:                             ;   in Loop: Header=BB35_1377 Depth=2
	s_andn2_saveexec_b64 s[42:43], s[26:27]
; %bb.1576:                             ;   in Loop: Header=BB35_1377 Depth=2
	v_or_b32_e32 v48, 0x10000, v64
	v_cmp_eq_u32_sdwa s[26:27], v64, v3 src0_sel:WORD_0 src1_sel:DWORD
	s_nop 1
	v_cndmask_b32_e64 v48, v48, v64, s[26:27]
; %bb.1577:                             ;   in Loop: Header=BB35_1377 Depth=2
	s_or_b64 exec, exec, s[42:43]
	v_and_b32_e32 v64, 0xffff0000, v36
	v_lshlrev_b32_e32 v65, 16, v13
	v_max_f32_e32 v64, v64, v64
	v_max_f32_e32 v65, v65, v65
	v_min_f32_e32 v66, v64, v65
	v_max_f32_e32 v64, v64, v65
	v_cndmask_b32_e32 v65, v64, v66, vcc
	v_and_b32_e32 v64, 0x7f800000, v65
	v_cmp_ne_u32_e64 s[26:27], s51, v64
                                        ; implicit-def: $vgpr64
	s_and_saveexec_b64 s[42:43], s[26:27]
	s_xor_b64 s[26:27], exec, s[42:43]
; %bb.1578:                             ;   in Loop: Header=BB35_1377 Depth=2
	v_bfe_u32 v64, v65, 16, 1
	v_add3_u32 v64, v65, v64, s72
                                        ; implicit-def: $vgpr65
; %bb.1579:                             ;   in Loop: Header=BB35_1377 Depth=2
	s_andn2_saveexec_b64 s[42:43], s[26:27]
; %bb.1580:                             ;   in Loop: Header=BB35_1377 Depth=2
	v_or_b32_e32 v64, 0x10000, v65
	v_cmp_eq_u32_sdwa s[26:27], v65, v3 src0_sel:WORD_0 src1_sel:DWORD
	s_nop 1
	v_cndmask_b32_e64 v64, v64, v65, s[26:27]
; %bb.1581:                             ;   in Loop: Header=BB35_1377 Depth=2
	s_or_b64 exec, exec, s[42:43]
	v_and_b32_e32 v65, 0xffff0000, v13
	v_and_b32_e32 v13, 0xffff0000, v49
	v_max_f32_e32 v49, v65, v65
	v_max_f32_e32 v65, v13, v13
	v_min_f32_e32 v66, v65, v49
	v_max_f32_e32 v49, v65, v49
	v_cndmask_b32_e32 v65, v49, v66, vcc
	v_and_b32_e32 v49, 0x7f800000, v65
	v_cmp_ne_u32_e64 s[26:27], s51, v49
                                        ; implicit-def: $vgpr49
	s_and_saveexec_b64 s[42:43], s[26:27]
	s_xor_b64 s[26:27], exec, s[42:43]
; %bb.1582:                             ;   in Loop: Header=BB35_1377 Depth=2
	v_bfe_u32 v49, v65, 16, 1
	v_add3_u32 v49, v65, v49, s72
                                        ; implicit-def: $vgpr65
; %bb.1583:                             ;   in Loop: Header=BB35_1377 Depth=2
	s_andn2_saveexec_b64 s[42:43], s[26:27]
; %bb.1584:                             ;   in Loop: Header=BB35_1377 Depth=2
	v_or_b32_e32 v49, 0x10000, v65
	v_cmp_eq_u32_sdwa s[26:27], v65, v3 src0_sel:WORD_0 src1_sel:DWORD
	s_nop 1
	v_cndmask_b32_e64 v49, v49, v65, s[26:27]
; %bb.1585:                             ;   in Loop: Header=BB35_1377 Depth=2
	s_or_b64 exec, exec, s[42:43]
	v_and_b32_e32 v65, 0xffff0000, v37
	v_lshlrev_b32_e32 v66, 16, v14
	v_max_f32_e32 v65, v65, v65
	v_max_f32_e32 v66, v66, v66
	v_min_f32_e32 v67, v65, v66
	v_max_f32_e32 v65, v65, v66
	v_cndmask_b32_e32 v66, v65, v67, vcc
	v_and_b32_e32 v65, 0x7f800000, v66
	v_cmp_ne_u32_e64 s[26:27], s51, v65
                                        ; implicit-def: $vgpr65
	s_and_saveexec_b64 s[42:43], s[26:27]
	s_xor_b64 s[26:27], exec, s[42:43]
; %bb.1586:                             ;   in Loop: Header=BB35_1377 Depth=2
	v_bfe_u32 v65, v66, 16, 1
	v_add3_u32 v65, v66, v65, s72
                                        ; implicit-def: $vgpr66
; %bb.1587:                             ;   in Loop: Header=BB35_1377 Depth=2
	s_andn2_saveexec_b64 s[42:43], s[26:27]
; %bb.1588:                             ;   in Loop: Header=BB35_1377 Depth=2
	v_or_b32_e32 v65, 0x10000, v66
	v_cmp_eq_u32_sdwa s[26:27], v66, v3 src0_sel:WORD_0 src1_sel:DWORD
	s_nop 1
	v_cndmask_b32_e64 v65, v65, v66, s[26:27]
; %bb.1589:                             ;   in Loop: Header=BB35_1377 Depth=2
	s_or_b64 exec, exec, s[42:43]
	v_and_b32_e32 v66, 0xffff0000, v14
	v_and_b32_e32 v14, 0xffff0000, v50
	v_max_f32_e32 v50, v66, v66
	v_max_f32_e32 v66, v14, v14
	v_min_f32_e32 v67, v66, v50
	v_max_f32_e32 v50, v66, v50
	v_cndmask_b32_e32 v66, v50, v67, vcc
	v_and_b32_e32 v50, 0x7f800000, v66
	v_cmp_ne_u32_e64 s[26:27], s51, v50
                                        ; implicit-def: $vgpr50
	s_and_saveexec_b64 s[42:43], s[26:27]
	s_xor_b64 s[26:27], exec, s[42:43]
; %bb.1590:                             ;   in Loop: Header=BB35_1377 Depth=2
	v_bfe_u32 v50, v66, 16, 1
	v_add3_u32 v50, v66, v50, s72
                                        ; implicit-def: $vgpr66
; %bb.1591:                             ;   in Loop: Header=BB35_1377 Depth=2
	s_andn2_saveexec_b64 s[42:43], s[26:27]
; %bb.1592:                             ;   in Loop: Header=BB35_1377 Depth=2
	v_or_b32_e32 v50, 0x10000, v66
	v_cmp_eq_u32_sdwa s[26:27], v66, v3 src0_sel:WORD_0 src1_sel:DWORD
	s_nop 1
	v_cndmask_b32_e64 v50, v50, v66, s[26:27]
; %bb.1593:                             ;   in Loop: Header=BB35_1377 Depth=2
	s_or_b64 exec, exec, s[42:43]
	v_and_b32_e32 v66, 0xffff0000, v38
	v_lshlrev_b32_e32 v67, 16, v15
	v_max_f32_e32 v66, v66, v66
	v_max_f32_e32 v67, v67, v67
	v_min_f32_e32 v80, v66, v67
	v_max_f32_e32 v66, v66, v67
	v_cndmask_b32_e32 v67, v66, v80, vcc
	v_and_b32_e32 v66, 0x7f800000, v67
	v_cmp_ne_u32_e64 s[26:27], s51, v66
                                        ; implicit-def: $vgpr66
	s_and_saveexec_b64 s[42:43], s[26:27]
	s_xor_b64 s[26:27], exec, s[42:43]
; %bb.1594:                             ;   in Loop: Header=BB35_1377 Depth=2
	v_bfe_u32 v66, v67, 16, 1
	v_add3_u32 v66, v67, v66, s72
                                        ; implicit-def: $vgpr67
; %bb.1595:                             ;   in Loop: Header=BB35_1377 Depth=2
	s_andn2_saveexec_b64 s[42:43], s[26:27]
; %bb.1596:                             ;   in Loop: Header=BB35_1377 Depth=2
	v_or_b32_e32 v66, 0x10000, v67
	v_cmp_eq_u32_sdwa s[26:27], v67, v3 src0_sel:WORD_0 src1_sel:DWORD
	s_nop 1
	v_cndmask_b32_e64 v66, v66, v67, s[26:27]
; %bb.1597:                             ;   in Loop: Header=BB35_1377 Depth=2
	s_or_b64 exec, exec, s[42:43]
	v_and_b32_e32 v67, 0xffff0000, v15
	v_and_b32_e32 v15, 0xffff0000, v51
	v_max_f32_e32 v51, v67, v67
	v_max_f32_e32 v67, v15, v15
	v_min_f32_e32 v80, v67, v51
	v_max_f32_e32 v51, v67, v51
	v_cndmask_b32_e32 v67, v51, v80, vcc
	v_and_b32_e32 v51, 0x7f800000, v67
	v_cmp_ne_u32_e64 s[26:27], s51, v51
                                        ; implicit-def: $vgpr51
	s_and_saveexec_b64 s[42:43], s[26:27]
	s_xor_b64 s[26:27], exec, s[42:43]
; %bb.1598:                             ;   in Loop: Header=BB35_1377 Depth=2
	v_bfe_u32 v51, v67, 16, 1
	v_add3_u32 v51, v67, v51, s72
                                        ; implicit-def: $vgpr67
; %bb.1599:                             ;   in Loop: Header=BB35_1377 Depth=2
	s_andn2_saveexec_b64 s[42:43], s[26:27]
; %bb.1600:                             ;   in Loop: Header=BB35_1377 Depth=2
	v_or_b32_e32 v51, 0x10000, v67
	v_cmp_eq_u32_sdwa s[26:27], v67, v3 src0_sel:WORD_0 src1_sel:DWORD
	s_nop 1
	v_cndmask_b32_e64 v51, v51, v67, s[26:27]
; %bb.1601:                             ;   in Loop: Header=BB35_1377 Depth=2
	s_or_b64 exec, exec, s[42:43]
	v_lshrrev_b32_e32 v35, 16, v35
	v_and_or_b32 v48, v48, s73, v35
	v_lshrrev_b32_e32 v35, 16, v65
	v_lshrrev_b32_e32 v64, 16, v64
	v_and_or_b32 v50, v50, s73, v35
	v_lshrrev_b32_e32 v35, 16, v66
	v_and_or_b32 v49, v49, s73, v64
	v_and_or_b32 v51, v51, s73, v35
	global_store_dwordx4 v[100:101], v[48:51], off offset:2048
	v_and_b32_e32 v35, 0xffff0000, v39
	v_max_f32_e32 v35, v35, v35
	v_lshlrev_b32_e32 v48, 16, v8
	v_max_f32_e32 v48, v48, v48
	v_min_f32_e32 v49, v35, v48
	v_max_f32_e32 v35, v35, v48
	v_cndmask_b32_e32 v48, v35, v49, vcc
	v_and_b32_e32 v35, 0x7f800000, v48
	v_cmp_ne_u32_e64 s[26:27], s51, v35
                                        ; implicit-def: $vgpr35
	s_and_saveexec_b64 s[42:43], s[26:27]
	s_xor_b64 s[26:27], exec, s[42:43]
; %bb.1602:                             ;   in Loop: Header=BB35_1377 Depth=2
	v_bfe_u32 v35, v48, 16, 1
	v_add3_u32 v35, v48, v35, s72
                                        ; implicit-def: $vgpr48
; %bb.1603:                             ;   in Loop: Header=BB35_1377 Depth=2
	s_andn2_saveexec_b64 s[42:43], s[26:27]
; %bb.1604:                             ;   in Loop: Header=BB35_1377 Depth=2
	v_or_b32_e32 v35, 0x10000, v48
	v_cmp_eq_u32_sdwa s[26:27], v48, v3 src0_sel:WORD_0 src1_sel:DWORD
	s_nop 1
	v_cndmask_b32_e64 v35, v35, v48, s[26:27]
; %bb.1605:                             ;   in Loop: Header=BB35_1377 Depth=2
	s_or_b64 exec, exec, s[42:43]
	v_and_b32_e32 v8, 0xffff0000, v8
	v_and_b32_e32 v32, 0xffff0000, v32
	v_max_f32_e32 v8, v8, v8
	v_max_f32_e32 v48, v32, v32
	v_min_f32_e32 v49, v48, v8
	v_max_f32_e32 v8, v48, v8
	v_cndmask_b32_e32 v48, v8, v49, vcc
	v_and_b32_e32 v8, 0x7f800000, v48
	v_cmp_ne_u32_e64 s[26:27], s51, v8
                                        ; implicit-def: $vgpr8
	s_and_saveexec_b64 s[42:43], s[26:27]
	s_xor_b64 s[26:27], exec, s[42:43]
; %bb.1606:                             ;   in Loop: Header=BB35_1377 Depth=2
	v_bfe_u32 v8, v48, 16, 1
	v_add3_u32 v8, v48, v8, s72
                                        ; implicit-def: $vgpr48
; %bb.1607:                             ;   in Loop: Header=BB35_1377 Depth=2
	s_andn2_saveexec_b64 s[42:43], s[26:27]
; %bb.1608:                             ;   in Loop: Header=BB35_1377 Depth=2
	v_or_b32_e32 v8, 0x10000, v48
	v_cmp_eq_u32_sdwa s[26:27], v48, v3 src0_sel:WORD_0 src1_sel:DWORD
	s_nop 1
	v_cndmask_b32_e64 v8, v8, v48, s[26:27]
; %bb.1609:                             ;   in Loop: Header=BB35_1377 Depth=2
	s_or_b64 exec, exec, s[42:43]
	v_and_b32_e32 v48, 0xffff0000, v24
	v_lshlrev_b32_e32 v49, 16, v9
	v_max_f32_e32 v48, v48, v48
	v_max_f32_e32 v49, v49, v49
	v_min_f32_e32 v50, v48, v49
	v_max_f32_e32 v48, v48, v49
	v_cndmask_b32_e32 v49, v48, v50, vcc
	v_and_b32_e32 v48, 0x7f800000, v49
	v_cmp_ne_u32_e64 s[26:27], s51, v48
                                        ; implicit-def: $vgpr48
	s_and_saveexec_b64 s[42:43], s[26:27]
	s_xor_b64 s[26:27], exec, s[42:43]
; %bb.1610:                             ;   in Loop: Header=BB35_1377 Depth=2
	v_bfe_u32 v48, v49, 16, 1
	v_add3_u32 v48, v49, v48, s72
                                        ; implicit-def: $vgpr49
; %bb.1611:                             ;   in Loop: Header=BB35_1377 Depth=2
	s_andn2_saveexec_b64 s[42:43], s[26:27]
; %bb.1612:                             ;   in Loop: Header=BB35_1377 Depth=2
	v_or_b32_e32 v48, 0x10000, v49
	v_cmp_eq_u32_sdwa s[26:27], v49, v3 src0_sel:WORD_0 src1_sel:DWORD
	s_nop 1
	v_cndmask_b32_e64 v48, v48, v49, s[26:27]
; %bb.1613:                             ;   in Loop: Header=BB35_1377 Depth=2
	s_or_b64 exec, exec, s[42:43]
	v_and_b32_e32 v9, 0xffff0000, v9
	v_and_b32_e32 v33, 0xffff0000, v33
	v_max_f32_e32 v9, v9, v9
	v_max_f32_e32 v49, v33, v33
	v_min_f32_e32 v50, v49, v9
	v_max_f32_e32 v9, v49, v9
	v_cndmask_b32_e32 v49, v9, v50, vcc
	v_and_b32_e32 v9, 0x7f800000, v49
	v_cmp_ne_u32_e64 s[26:27], s51, v9
                                        ; implicit-def: $vgpr9
	s_and_saveexec_b64 s[42:43], s[26:27]
	s_xor_b64 s[26:27], exec, s[42:43]
; %bb.1614:                             ;   in Loop: Header=BB35_1377 Depth=2
	v_bfe_u32 v9, v49, 16, 1
	v_add3_u32 v9, v49, v9, s72
                                        ; implicit-def: $vgpr49
; %bb.1615:                             ;   in Loop: Header=BB35_1377 Depth=2
	s_andn2_saveexec_b64 s[42:43], s[26:27]
; %bb.1616:                             ;   in Loop: Header=BB35_1377 Depth=2
	v_or_b32_e32 v9, 0x10000, v49
	v_cmp_eq_u32_sdwa s[26:27], v49, v3 src0_sel:WORD_0 src1_sel:DWORD
	s_nop 1
	v_cndmask_b32_e64 v9, v9, v49, s[26:27]
; %bb.1617:                             ;   in Loop: Header=BB35_1377 Depth=2
	s_or_b64 exec, exec, s[42:43]
	v_and_b32_e32 v49, 0xffff0000, v25
	v_lshlrev_b32_e32 v50, 16, v10
	v_max_f32_e32 v49, v49, v49
	v_max_f32_e32 v50, v50, v50
	v_min_f32_e32 v51, v49, v50
	v_max_f32_e32 v49, v49, v50
	v_cndmask_b32_e32 v50, v49, v51, vcc
	v_and_b32_e32 v49, 0x7f800000, v50
	v_cmp_ne_u32_e64 s[26:27], s51, v49
                                        ; implicit-def: $vgpr49
	s_and_saveexec_b64 s[42:43], s[26:27]
	s_xor_b64 s[26:27], exec, s[42:43]
; %bb.1618:                             ;   in Loop: Header=BB35_1377 Depth=2
	v_bfe_u32 v49, v50, 16, 1
	v_add3_u32 v49, v50, v49, s72
                                        ; implicit-def: $vgpr50
; %bb.1619:                             ;   in Loop: Header=BB35_1377 Depth=2
	s_andn2_saveexec_b64 s[42:43], s[26:27]
; %bb.1620:                             ;   in Loop: Header=BB35_1377 Depth=2
	v_or_b32_e32 v49, 0x10000, v50
	v_cmp_eq_u32_sdwa s[26:27], v50, v3 src0_sel:WORD_0 src1_sel:DWORD
	s_nop 1
	v_cndmask_b32_e64 v49, v49, v50, s[26:27]
; %bb.1621:                             ;   in Loop: Header=BB35_1377 Depth=2
	s_or_b64 exec, exec, s[42:43]
	v_and_b32_e32 v10, 0xffff0000, v10
	v_and_b32_e32 v34, 0xffff0000, v34
	v_max_f32_e32 v10, v10, v10
	v_max_f32_e32 v50, v34, v34
	v_min_f32_e32 v51, v50, v10
	v_max_f32_e32 v10, v50, v10
	v_cndmask_b32_e32 v50, v10, v51, vcc
	v_and_b32_e32 v10, 0x7f800000, v50
	v_cmp_ne_u32_e64 s[26:27], s51, v10
                                        ; implicit-def: $vgpr10
	s_and_saveexec_b64 s[42:43], s[26:27]
	s_xor_b64 s[26:27], exec, s[42:43]
; %bb.1622:                             ;   in Loop: Header=BB35_1377 Depth=2
	v_bfe_u32 v10, v50, 16, 1
	v_add3_u32 v10, v50, v10, s72
                                        ; implicit-def: $vgpr50
; %bb.1623:                             ;   in Loop: Header=BB35_1377 Depth=2
	s_andn2_saveexec_b64 s[42:43], s[26:27]
; %bb.1624:                             ;   in Loop: Header=BB35_1377 Depth=2
	v_or_b32_e32 v10, 0x10000, v50
	v_cmp_eq_u32_sdwa s[26:27], v50, v3 src0_sel:WORD_0 src1_sel:DWORD
	s_nop 1
	v_cndmask_b32_e64 v10, v10, v50, s[26:27]
; %bb.1625:                             ;   in Loop: Header=BB35_1377 Depth=2
	s_or_b64 exec, exec, s[42:43]
	v_and_b32_e32 v50, 0xffff0000, v26
	v_lshlrev_b32_e32 v51, 16, v11
	v_max_f32_e32 v50, v50, v50
	v_max_f32_e32 v51, v51, v51
	v_min_f32_e32 v64, v50, v51
	v_max_f32_e32 v50, v50, v51
	v_cndmask_b32_e32 v51, v50, v64, vcc
	v_and_b32_e32 v50, 0x7f800000, v51
	v_cmp_ne_u32_e64 s[26:27], s51, v50
                                        ; implicit-def: $vgpr50
	s_and_saveexec_b64 s[42:43], s[26:27]
	s_xor_b64 s[26:27], exec, s[42:43]
; %bb.1626:                             ;   in Loop: Header=BB35_1377 Depth=2
	v_bfe_u32 v50, v51, 16, 1
	v_add3_u32 v50, v51, v50, s72
                                        ; implicit-def: $vgpr51
; %bb.1627:                             ;   in Loop: Header=BB35_1377 Depth=2
	s_andn2_saveexec_b64 s[42:43], s[26:27]
; %bb.1628:                             ;   in Loop: Header=BB35_1377 Depth=2
	v_or_b32_e32 v50, 0x10000, v51
	v_cmp_eq_u32_sdwa s[26:27], v51, v3 src0_sel:WORD_0 src1_sel:DWORD
	s_nop 1
	v_cndmask_b32_e64 v50, v50, v51, s[26:27]
; %bb.1629:                             ;   in Loop: Header=BB35_1377 Depth=2
	s_or_b64 exec, exec, s[42:43]
	v_and_b32_e32 v11, 0xffff0000, v11
	v_and_b32_e32 v27, 0xffff0000, v27
	v_max_f32_e32 v11, v11, v11
	v_max_f32_e32 v51, v27, v27
	v_min_f32_e32 v64, v51, v11
	v_max_f32_e32 v11, v51, v11
	v_cndmask_b32_e32 v51, v11, v64, vcc
	v_and_b32_e32 v11, 0x7f800000, v51
	v_cmp_ne_u32_e64 s[26:27], s51, v11
                                        ; implicit-def: $vgpr11
	s_and_saveexec_b64 s[42:43], s[26:27]
	s_xor_b64 s[26:27], exec, s[42:43]
; %bb.1630:                             ;   in Loop: Header=BB35_1377 Depth=2
	v_bfe_u32 v11, v51, 16, 1
	v_add3_u32 v11, v51, v11, s72
                                        ; implicit-def: $vgpr51
; %bb.1631:                             ;   in Loop: Header=BB35_1377 Depth=2
	s_andn2_saveexec_b64 s[42:43], s[26:27]
	s_cbranch_execz .LBB35_1376
; %bb.1632:                             ;   in Loop: Header=BB35_1377 Depth=2
	v_or_b32_e32 v11, 0x10000, v51
	v_cmp_eq_u32_sdwa s[26:27], v51, v3 src0_sel:WORD_0 src1_sel:DWORD
	s_nop 1
	v_cndmask_b32_e64 v11, v11, v51, s[26:27]
	s_branch .LBB35_1376
.LBB35_1633:                            ;   in Loop: Header=BB35_47 Depth=1
	s_or_b64 exec, exec, s[46:47]
	s_and_saveexec_b64 s[12:13], s[56:57]
	s_xor_b64 s[12:13], exec, s[12:13]
	s_cbranch_execz .LBB35_1635
; %bb.1634:                             ;   in Loop: Header=BB35_47 Depth=1
	v_mov_b32_e32 v0, 1
	ds_write_b32 v0, v0
	s_trap 2
.LBB35_1635:                            ;   in Loop: Header=BB35_47 Depth=1
	s_or_b64 exec, exec, s[44:45]
	;;#ASMSTART
	s_wakeup
	;;#ASMEND
.LBB35_1636:                            ;   in Loop: Header=BB35_47 Depth=1
	s_or_b64 exec, exec, s[42:43]
.LBB35_1637:                            ;   in Loop: Header=BB35_47 Depth=1
	s_andn2_saveexec_b64 s[40:41], s[40:41]
	s_cbranch_execz .LBB35_1639
; %bb.1638:                             ;   in Loop: Header=BB35_47 Depth=1
	;;#ASMSTART
	s_waitcnt lgkmcnt(0) vmcnt(0)
	;;#ASMEND
	s_barrier
.LBB35_1639:                            ;   in Loop: Header=BB35_47 Depth=1
	s_or_b64 exec, exec, s[40:41]
.LBB35_1640:                            ;   in Loop: Header=BB35_47 Depth=1
	s_or_b64 exec, exec, s[26:27]
	v_cmp_ne_u32_e32 vcc, 0, v1
	s_xor_b64 s[12:13], s[10:11], -1
	s_and_b64 s[12:13], vcc, s[12:13]
	s_and_saveexec_b64 s[26:27], s[12:13]
	s_cbranch_execz .LBB35_1642
; %bb.1641:                             ;   in Loop: Header=BB35_47 Depth=1
	scratch_load_dwordx2 v[0:1], off, s33 offset:304 ; 8-byte Folded Reload
	v_mov_b32_e32 v2, 1
	s_waitcnt vmcnt(0)
	flat_store_dword v[0:1], v2 sc0 sc1
.LBB35_1642:                            ;   in Loop: Header=BB35_47 Depth=1
	s_or_b64 exec, exec, s[26:27]
	v_and_b32_e32 v0, 48, v106
	v_cmp_ne_u32_e32 vcc, 0, v0
	s_and_saveexec_b64 s[26:27], vcc
	s_cbranch_execz .LBB35_1644
; %bb.1643:                             ;   in Loop: Header=BB35_47 Depth=1
	v_lshl_add_u64 v[4:5], v[4:5], 0, 4
	flat_store_dwordx2 v[40:41], v[4:5] sc0 sc1
.LBB35_1644:                            ;   in Loop: Header=BB35_47 Depth=1
	s_or_b64 exec, exec, s[26:27]
	s_or_b64 exec, exec, s[28:29]
	s_and_b64 vcc, exec, s[24:25]
	s_cbranch_vccnz .LBB35_3088
	s_branch .LBB35_2323
.LBB35_1645:                            ;   in Loop: Header=BB35_47 Depth=1
	s_or_b64 exec, exec, s[40:41]
.LBB35_1646:                            ;   in Loop: Header=BB35_47 Depth=1
	s_or_b64 exec, exec, s[28:29]
	v_lshlrev_b32_e32 v34, 12, v6
	v_cmp_ne_u32_e32 vcc, v30, v34
	s_mov_b64 s[26:27], 0
	v_mov_b32_e32 v6, 0
                                        ; implicit-def: $vgpr7
	s_and_saveexec_b64 s[64:65], vcc
	s_cbranch_execz .LBB35_1686
; %bb.1647:                             ;   in Loop: Header=BB35_47 Depth=1
	v_lshlrev_b32_e32 v2, 6, v2
	v_and_b32_e32 v6, 63, v31
	v_sub_u32_e32 v2, v6, v2
	v_ashrrev_i32_e32 v6, 31, v2
	v_lshrrev_b32_e32 v6, 26, v6
	v_add_u32_e32 v6, v2, v6
	v_sub_u32_e32 v8, v30, v34
	v_ashrrev_i32_e32 v9, 6, v6
	v_and_b32_e32 v6, 0xffffffc0, v6
	v_sub_u32_e32 v7, v2, v6
	v_ashrrev_i32_e32 v6, 31, v8
	v_lshrrev_b32_e32 v6, 22, v6
	v_add_u32_e32 v6, v8, v6
	v_ashrrev_i32_e32 v10, 10, v6
	v_and_b32_e32 v6, 0xfffffc00, v6
	v_lshlrev_b32_e32 v2, 4, v7
	v_sub_u32_e32 v35, v8, v6
	v_lshl_add_u32 v2, v9, 10, v2
	v_cmp_lt_i32_e64 s[26:27], 15, v35
	v_sub_u32_e32 v37, v8, v2
	s_nop 0
	v_addc_co_u32_e64 v8, vcc, 0, v10, s[26:27]
	v_sub_u32_e32 v36, v8, v9
	v_cmp_lt_i32_e32 vcc, 15, v37
	s_and_saveexec_b64 s[66:67], vcc
	s_cbranch_execz .LBB35_1685
; %bb.1648:                             ;   in Loop: Header=BB35_47 Depth=1
	s_trap 2
	ds_read_b64 v[10:11], v0
	v_add_u32_e32 v8, v2, v34
	s_and_b32 s76, s12, 1
	v_ashrrev_i32_e32 v9, 31, v8
	s_cmp_eq_u64 s[76:77], 0
	s_waitcnt lgkmcnt(1)
	v_lshl_add_u64 v[20:21], v[8:9], 0, v[28:29]
	v_lshl_add_u64 v[22:23], v[8:9], 0, v[86:87]
	;; [unrolled: 1-line block ×4, first 2 shown]
	s_waitcnt lgkmcnt(0)
	v_lshl_add_u64 v[32:33], v[10:11], 0, v[8:9]
	s_mov_b64 s[68:69], 0
	s_cselect_b64 s[28:29], -1, 0
.LBB35_1649:                            ;   Parent Loop BB35_47 Depth=1
                                        ; =>  This Loop Header: Depth=2
                                        ;       Child Loop BB35_1682 Depth 3
	global_load_dwordx4 v[12:15], v[32:33], off nt
	global_load_dwordx4 v[16:19], v[26:27], off nt
	global_load_dwordx4 v[8:11], v[20:21], off nt
	s_waitcnt vmcnt(2)
	v_lshlrev_b32_e32 v2, 16, v12
	s_waitcnt vmcnt(1)
	v_lshlrev_b32_e32 v38, 16, v16
	v_max_f32_e32 v2, v2, v2
	v_max_f32_e32 v38, v38, v38
	v_min_f32_e32 v39, v38, v2
	v_max_f32_e32 v2, v38, v2
	v_cndmask_b32_e64 v2, v2, v39, s[28:29]
	v_and_b32_e32 v38, 0x7f800000, v2
	v_cmp_ne_u32_e32 vcc, s51, v38
                                        ; implicit-def: $vgpr38
	s_and_saveexec_b64 s[40:41], vcc
	s_xor_b64 s[40:41], exec, s[40:41]
; %bb.1650:                             ;   in Loop: Header=BB35_1649 Depth=2
	v_bfe_u32 v38, v2, 16, 1
	v_add3_u32 v38, v2, v38, s72
                                        ; implicit-def: $vgpr2
; %bb.1651:                             ;   in Loop: Header=BB35_1649 Depth=2
	s_andn2_saveexec_b64 s[40:41], s[40:41]
; %bb.1652:                             ;   in Loop: Header=BB35_1649 Depth=2
	v_or_b32_e32 v38, 0x10000, v2
	v_cmp_eq_u32_sdwa vcc, v2, v3 src0_sel:WORD_0 src1_sel:DWORD
	s_nop 1
	v_cndmask_b32_e32 v38, v38, v2, vcc
; %bb.1653:                             ;   in Loop: Header=BB35_1649 Depth=2
	s_or_b64 exec, exec, s[40:41]
	v_and_b32_e32 v2, 0xffff0000, v12
	v_and_b32_e32 v12, 0xffff0000, v16
	v_max_f32_e32 v2, v2, v2
	v_max_f32_e32 v12, v12, v12
	v_min_f32_e32 v16, v12, v2
	v_max_f32_e32 v2, v12, v2
	v_cndmask_b32_e64 v12, v2, v16, s[28:29]
	v_and_b32_e32 v2, 0x7f800000, v12
	v_cmp_ne_u32_e32 vcc, s51, v2
                                        ; implicit-def: $vgpr2
	s_and_saveexec_b64 s[40:41], vcc
	s_xor_b64 s[40:41], exec, s[40:41]
; %bb.1654:                             ;   in Loop: Header=BB35_1649 Depth=2
	v_bfe_u32 v2, v12, 16, 1
	v_add3_u32 v2, v12, v2, s72
                                        ; implicit-def: $vgpr12
; %bb.1655:                             ;   in Loop: Header=BB35_1649 Depth=2
	s_andn2_saveexec_b64 s[40:41], s[40:41]
; %bb.1656:                             ;   in Loop: Header=BB35_1649 Depth=2
	v_or_b32_e32 v2, 0x10000, v12
	v_cmp_eq_u32_sdwa vcc, v12, v3 src0_sel:WORD_0 src1_sel:DWORD
	s_nop 1
	v_cndmask_b32_e32 v2, v2, v12, vcc
; %bb.1657:                             ;   in Loop: Header=BB35_1649 Depth=2
	s_or_b64 exec, exec, s[40:41]
	v_lshlrev_b32_e32 v12, 16, v13
	v_lshlrev_b32_e32 v16, 16, v17
	v_max_f32_e32 v12, v12, v12
	v_max_f32_e32 v16, v16, v16
	v_min_f32_e32 v39, v16, v12
	v_max_f32_e32 v12, v16, v12
	v_cndmask_b32_e64 v12, v12, v39, s[28:29]
	v_and_b32_e32 v16, 0x7f800000, v12
	v_cmp_ne_u32_e32 vcc, s51, v16
                                        ; implicit-def: $vgpr16
	s_and_saveexec_b64 s[40:41], vcc
	s_xor_b64 s[40:41], exec, s[40:41]
; %bb.1658:                             ;   in Loop: Header=BB35_1649 Depth=2
	v_bfe_u32 v16, v12, 16, 1
	v_add3_u32 v16, v12, v16, s72
                                        ; implicit-def: $vgpr12
; %bb.1659:                             ;   in Loop: Header=BB35_1649 Depth=2
	s_andn2_saveexec_b64 s[40:41], s[40:41]
; %bb.1660:                             ;   in Loop: Header=BB35_1649 Depth=2
	v_or_b32_e32 v16, 0x10000, v12
	v_cmp_eq_u32_sdwa vcc, v12, v3 src0_sel:WORD_0 src1_sel:DWORD
	s_nop 1
	v_cndmask_b32_e32 v16, v16, v12, vcc
; %bb.1661:                             ;   in Loop: Header=BB35_1649 Depth=2
	s_or_b64 exec, exec, s[40:41]
	v_and_b32_e32 v12, 0xffff0000, v17
	v_and_b32_e32 v13, 0xffff0000, v13
	v_max_f32_e32 v13, v13, v13
	v_max_f32_e32 v12, v12, v12
	v_min_f32_e32 v17, v12, v13
	v_max_f32_e32 v12, v12, v13
	v_cndmask_b32_e64 v13, v12, v17, s[28:29]
	v_and_b32_e32 v12, 0x7f800000, v13
	v_cmp_ne_u32_e32 vcc, s51, v12
                                        ; implicit-def: $vgpr12
	s_and_saveexec_b64 s[40:41], vcc
	s_xor_b64 s[40:41], exec, s[40:41]
; %bb.1662:                             ;   in Loop: Header=BB35_1649 Depth=2
	v_bfe_u32 v12, v13, 16, 1
	v_add3_u32 v12, v13, v12, s72
                                        ; implicit-def: $vgpr13
; %bb.1663:                             ;   in Loop: Header=BB35_1649 Depth=2
	s_andn2_saveexec_b64 s[40:41], s[40:41]
; %bb.1664:                             ;   in Loop: Header=BB35_1649 Depth=2
	v_or_b32_e32 v12, 0x10000, v13
	v_cmp_eq_u32_sdwa vcc, v13, v3 src0_sel:WORD_0 src1_sel:DWORD
	s_nop 1
	v_cndmask_b32_e32 v12, v12, v13, vcc
; %bb.1665:                             ;   in Loop: Header=BB35_1649 Depth=2
	s_or_b64 exec, exec, s[40:41]
	v_lshlrev_b32_e32 v13, 16, v14
	v_lshlrev_b32_e32 v17, 16, v18
	v_max_f32_e32 v13, v13, v13
	v_max_f32_e32 v17, v17, v17
	v_min_f32_e32 v39, v17, v13
	v_max_f32_e32 v13, v17, v13
	v_cndmask_b32_e64 v13, v13, v39, s[28:29]
	v_and_b32_e32 v17, 0x7f800000, v13
	v_cmp_ne_u32_e32 vcc, s51, v17
                                        ; implicit-def: $vgpr17
	s_and_saveexec_b64 s[40:41], vcc
	s_xor_b64 s[40:41], exec, s[40:41]
; %bb.1666:                             ;   in Loop: Header=BB35_1649 Depth=2
	v_bfe_u32 v17, v13, 16, 1
	v_add3_u32 v17, v13, v17, s72
                                        ; implicit-def: $vgpr13
; %bb.1667:                             ;   in Loop: Header=BB35_1649 Depth=2
	s_andn2_saveexec_b64 s[40:41], s[40:41]
; %bb.1668:                             ;   in Loop: Header=BB35_1649 Depth=2
	v_or_b32_e32 v17, 0x10000, v13
	v_cmp_eq_u32_sdwa vcc, v13, v3 src0_sel:WORD_0 src1_sel:DWORD
	s_nop 1
	v_cndmask_b32_e32 v17, v17, v13, vcc
; %bb.1669:                             ;   in Loop: Header=BB35_1649 Depth=2
	s_or_b64 exec, exec, s[40:41]
	v_and_b32_e32 v13, 0xffff0000, v18
	v_and_b32_e32 v14, 0xffff0000, v14
	v_max_f32_e32 v14, v14, v14
	v_max_f32_e32 v13, v13, v13
	v_min_f32_e32 v18, v13, v14
	v_max_f32_e32 v13, v13, v14
	v_cndmask_b32_e64 v13, v13, v18, s[28:29]
	v_and_b32_e32 v14, 0x7f800000, v13
	v_cmp_ne_u32_e32 vcc, s51, v14
                                        ; implicit-def: $vgpr18
	s_and_saveexec_b64 s[40:41], vcc
	s_xor_b64 s[40:41], exec, s[40:41]
; %bb.1670:                             ;   in Loop: Header=BB35_1649 Depth=2
	v_bfe_u32 v14, v13, 16, 1
	v_add3_u32 v18, v13, v14, s72
                                        ; implicit-def: $vgpr13
; %bb.1671:                             ;   in Loop: Header=BB35_1649 Depth=2
	s_andn2_saveexec_b64 s[40:41], s[40:41]
; %bb.1672:                             ;   in Loop: Header=BB35_1649 Depth=2
	v_or_b32_e32 v14, 0x10000, v13
	v_cmp_eq_u32_sdwa vcc, v13, v3 src0_sel:WORD_0 src1_sel:DWORD
	s_nop 1
	v_cndmask_b32_e32 v18, v14, v13, vcc
; %bb.1673:                             ;   in Loop: Header=BB35_1649 Depth=2
	s_or_b64 exec, exec, s[40:41]
	v_lshlrev_b32_e32 v13, 16, v15
	v_lshlrev_b32_e32 v14, 16, v19
	v_max_f32_e32 v13, v13, v13
	v_max_f32_e32 v14, v14, v14
	v_min_f32_e32 v39, v14, v13
	v_max_f32_e32 v13, v14, v13
	v_cndmask_b32_e64 v13, v13, v39, s[28:29]
	v_and_b32_e32 v14, 0x7f800000, v13
	v_cmp_ne_u32_e32 vcc, s51, v14
                                        ; implicit-def: $vgpr14
	s_and_saveexec_b64 s[40:41], vcc
	s_xor_b64 s[40:41], exec, s[40:41]
; %bb.1674:                             ;   in Loop: Header=BB35_1649 Depth=2
	v_bfe_u32 v14, v13, 16, 1
	v_add3_u32 v14, v13, v14, s72
                                        ; implicit-def: $vgpr13
; %bb.1675:                             ;   in Loop: Header=BB35_1649 Depth=2
	s_andn2_saveexec_b64 s[40:41], s[40:41]
; %bb.1676:                             ;   in Loop: Header=BB35_1649 Depth=2
	v_or_b32_e32 v14, 0x10000, v13
	v_cmp_eq_u32_sdwa vcc, v13, v3 src0_sel:WORD_0 src1_sel:DWORD
	s_nop 1
	v_cndmask_b32_e32 v14, v14, v13, vcc
; %bb.1677:                             ;   in Loop: Header=BB35_1649 Depth=2
	s_or_b64 exec, exec, s[40:41]
	v_and_b32_e32 v13, 0xffff0000, v19
	v_and_b32_e32 v15, 0xffff0000, v15
	v_max_f32_e32 v15, v15, v15
	v_max_f32_e32 v13, v13, v13
	v_min_f32_e32 v19, v13, v15
	v_max_f32_e32 v13, v13, v15
	v_cndmask_b32_e64 v13, v13, v19, s[28:29]
	v_and_b32_e32 v15, 0x7f800000, v13
	v_cmp_ne_u32_e32 vcc, s51, v15
                                        ; implicit-def: $vgpr15
	s_and_saveexec_b64 s[40:41], vcc
	s_xor_b64 s[40:41], exec, s[40:41]
; %bb.1678:                             ;   in Loop: Header=BB35_1649 Depth=2
	v_bfe_u32 v15, v13, 16, 1
	v_add3_u32 v15, v13, v15, s72
                                        ; implicit-def: $vgpr13
; %bb.1679:                             ;   in Loop: Header=BB35_1649 Depth=2
	s_andn2_saveexec_b64 s[40:41], s[40:41]
; %bb.1680:                             ;   in Loop: Header=BB35_1649 Depth=2
	v_or_b32_e32 v15, 0x10000, v13
	v_cmp_eq_u32_sdwa vcc, v13, v3 src0_sel:WORD_0 src1_sel:DWORD
	s_nop 1
	v_cndmask_b32_e32 v15, v15, v13, vcc
; %bb.1681:                             ;   in Loop: Header=BB35_1649 Depth=2
	s_or_b64 exec, exec, s[40:41]
	v_and_b32_e32 v39, 0xffff0000, v2
	v_or_b32_sdwa v2, v39, v38 dst_sel:DWORD dst_unused:UNUSED_PAD src0_sel:DWORD src1_sel:WORD_1
	s_waitcnt vmcnt(0)
	v_and_b32_e32 v49, 0xffff0000, v8
	v_and_b32_e32 v38, 0xffff0000, v38
	v_lshlrev_b32_e32 v8, 16, v8
	v_max_f32_e32 v38, v38, v38
	v_max_f32_e32 v8, v8, v8
	v_min_f32_e32 v50, v38, v8
	v_max_f32_e32 v8, v38, v8
	v_cndmask_b32_e64 v8, v8, v50, s[28:29]
	v_and_b32_e32 v38, 0x7f800000, v8
	v_cmp_eq_u32_e32 vcc, s51, v38
	v_bfe_u32 v38, v8, 16, 1
	v_cmp_eq_u32_sdwa s[40:41], v8, v3 src0_sel:WORD_0 src1_sel:DWORD
	v_or_b32_e32 v50, 0x10000, v8
	v_max_f32_e32 v39, v39, v39
	v_max_f32_e32 v49, v49, v49
	v_add3_u32 v38, v8, v38, s72
	v_cndmask_b32_e64 v8, v50, v8, s[40:41]
	v_min_f32_e32 v50, v39, v49
	v_max_f32_e32 v39, v39, v49
	v_cndmask_b32_e64 v39, v39, v50, s[28:29]
	v_and_b32_e32 v49, 0x7f800000, v39
	v_and_b32_e32 v19, 0xffff0000, v12
	v_cmp_eq_u32_e64 s[40:41], s51, v49
	v_bfe_u32 v49, v39, 16, 1
	v_cmp_eq_u32_sdwa s[42:43], v39, v3 src0_sel:WORD_0 src1_sel:DWORD
	v_or_b32_e32 v50, 0x10000, v39
	v_or_b32_sdwa v13, v19, v16 dst_sel:DWORD dst_unused:UNUSED_PAD src0_sel:DWORD src1_sel:WORD_1
	v_add3_u32 v49, v39, v49, s72
	v_cndmask_b32_e64 v39, v50, v39, s[42:43]
	v_and_b32_e32 v50, 0xffff0000, v9
	v_and_b32_e32 v16, 0xffff0000, v16
	v_lshlrev_b32_e32 v9, 16, v9
	v_max_f32_e32 v16, v16, v16
	v_max_f32_e32 v9, v9, v9
	v_min_f32_e32 v51, v16, v9
	v_max_f32_e32 v9, v16, v9
	v_cndmask_b32_e64 v9, v9, v51, s[28:29]
	v_and_b32_e32 v16, 0x7f800000, v9
	v_cmp_eq_u32_e64 s[42:43], s51, v16
	v_bfe_u32 v16, v9, 16, 1
	v_cmp_eq_u32_sdwa s[44:45], v9, v3 src0_sel:WORD_0 src1_sel:DWORD
	v_or_b32_e32 v51, 0x10000, v9
	v_max_f32_e32 v19, v19, v19
	v_max_f32_e32 v50, v50, v50
	v_add3_u32 v16, v9, v16, s72
	v_cndmask_b32_e64 v9, v51, v9, s[44:45]
	v_min_f32_e32 v51, v19, v50
	v_max_f32_e32 v19, v19, v50
	v_cndmask_b32_e64 v19, v19, v51, s[28:29]
	v_and_b32_e32 v50, 0x7f800000, v19
	v_and_b32_e32 v18, 0xffff0000, v18
	v_cmp_eq_u32_e64 s[44:45], s51, v50
	v_bfe_u32 v50, v19, 16, 1
	v_cmp_eq_u32_sdwa s[46:47], v19, v3 src0_sel:WORD_0 src1_sel:DWORD
	v_or_b32_e32 v51, 0x10000, v19
	v_or_b32_sdwa v12, v18, v17 dst_sel:DWORD dst_unused:UNUSED_PAD src0_sel:DWORD src1_sel:WORD_1
	v_add3_u32 v50, v19, v50, s72
	v_cndmask_b32_e64 v19, v51, v19, s[46:47]
	v_and_b32_e32 v51, 0xffff0000, v10
	v_and_b32_e32 v17, 0xffff0000, v17
	v_lshlrev_b32_e32 v10, 16, v10
	v_max_f32_e32 v17, v17, v17
	v_max_f32_e32 v10, v10, v10
	v_min_f32_e32 v52, v17, v10
	v_max_f32_e32 v10, v17, v10
	v_cndmask_b32_e64 v10, v10, v52, s[28:29]
	v_and_b32_e32 v17, 0x7f800000, v10
	v_cmp_eq_u32_e64 s[46:47], s51, v17
	;; [unrolled: 29-line block ×3, first 2 shown]
	v_bfe_u32 v14, v11, 16, 1
	v_cmp_eq_u32_sdwa s[60:61], v11, v3 src0_sel:WORD_0 src1_sel:DWORD
	v_or_b32_e32 v53, 0x10000, v11
	v_max_f32_e32 v48, v48, v48
	v_max_f32_e32 v52, v52, v52
	v_add3_u32 v14, v11, v14, s72
	v_cndmask_b32_e64 v11, v53, v11, s[60:61]
	v_min_f32_e32 v53, v48, v52
	v_max_f32_e32 v48, v48, v52
	v_cndmask_b32_e64 v48, v48, v53, s[28:29]
	v_and_b32_e32 v52, 0x7f800000, v48
	v_cmp_eq_u32_e64 s[60:61], s51, v52
	v_bfe_u32 v52, v48, 16, 1
	v_cmp_eq_u32_sdwa s[62:63], v48, v3 src0_sel:WORD_0 src1_sel:DWORD
	v_or_b32_e32 v53, 0x10000, v48
	v_add3_u32 v52, v48, v52, s72
	v_cndmask_b32_e64 v48, v53, v48, s[62:63]
	v_cndmask_b32_e32 v8, v38, v8, vcc
	v_cndmask_b32_e64 v9, v16, v9, s[42:43]
	v_cndmask_b32_e64 v10, v17, v10, s[46:47]
	;; [unrolled: 1-line block ×7, first 2 shown]
	v_lshrrev_b32_e32 v9, 16, v9
	v_lshrrev_b32_e32 v8, 16, v8
	;; [unrolled: 1-line block ×4, first 2 shown]
	v_and_or_b32 v9, v16, s73, v9
	v_and_or_b32 v8, v38, s73, v8
	v_and_or_b32 v10, v17, s73, v10
	v_and_or_b32 v11, v14, s73, v11
	s_mov_b64 s[42:43], 0
	s_mov_b64 s[40:41], -1
.LBB35_1682:                            ;   Parent Loop BB35_47 Depth=1
                                        ;     Parent Loop BB35_1649 Depth=2
                                        ; =>    This Inner Loop Header: Depth=3
	v_cndmask_b32_e64 v14, 0, 1, s[40:41]
	v_cmp_ne_u32_e32 vcc, 1, v14
	s_cmp_eq_u32 s42, 1
	v_cndmask_b32_e64 v17, v13, v9, s[40:41]
	v_cndmask_b32_e64 v16, v2, v8, s[40:41]
	;; [unrolled: 1-line block ×4, first 2 shown]
	v_cndmask_b32_e32 v39, v23, v25, vcc
	v_cndmask_b32_e32 v38, v22, v24, vcc
	s_cselect_b64 vcc, -1, 0
	global_store_dwordx4 v[38:39], v[16:19], off
	s_cmp_eq_u32 s42, 0
	s_mov_b64 s[42:43], 1
	v_cndmask_b32_e32 v17, v23, v25, vcc
	v_cndmask_b32_e32 v16, v22, v24, vcc
	v_lshl_add_u64 v[16:17], v[16:17], 0, s[90:91]
	v_cndmask_b32_e32 v25, v25, v17, vcc
	v_cndmask_b32_e32 v24, v24, v16, vcc
	s_cselect_b64 vcc, -1, 0
	v_cndmask_b32_e32 v23, v23, v17, vcc
	v_cndmask_b32_e32 v22, v22, v16, vcc
	s_and_b64 vcc, exec, s[40:41]
	s_mov_b64 s[40:41], 0
	s_cbranch_vccnz .LBB35_1682
; %bb.1683:                             ;   in Loop: Header=BB35_1649 Depth=2
	scratch_load_dwordx2 v[8:9], off, s33 offset:312 ; 8-byte Folded Reload
	v_lshl_add_u64 v[22:23], v[22:23], 0, v[92:93]
	v_lshl_add_u64 v[24:25], v[24:25], 0, v[92:93]
	v_sub_u32_e32 v36, v36, v60
	s_waitcnt vmcnt(0)
	v_lshl_add_u64 v[26:27], v[26:27], 0, v[8:9]
	v_lshl_add_u64 v[32:33], v[32:33], 0, v[8:9]
	;; [unrolled: 1-line block ×3, first 2 shown]
	scratch_load_dwordx2 v[8:9], off, s33 offset:256 ; 8-byte Folded Reload
	s_waitcnt vmcnt(0)
	v_sub_u32_e32 v37, v37, v8
	v_cmp_gt_i32_e32 vcc, 16, v37
	s_or_b64 s[68:69], vcc, s[68:69]
	s_andn2_b64 exec, exec, s[68:69]
	s_cbranch_execnz .LBB35_1649
; %bb.1684:                             ;   in Loop: Header=BB35_47 Depth=1
	s_or_b64 exec, exec, s[68:69]
.LBB35_1685:                            ;   in Loop: Header=BB35_47 Depth=1
	s_or_b64 exec, exec, s[66:67]
	v_and_b32_e32 v2, 14, v30
	v_cmp_lt_i32_e32 vcc, 0, v36
	v_sub_u32_e32 v8, v35, v2
	v_cndmask_b32_e64 v30, v35, v2, s[26:27]
	v_cndmask_b32_e32 v2, 0, v60, vcc
	v_cndmask_b32_e64 v8, 0, v8, s[26:27]
	v_sub_u32_e32 v2, v2, v36
	v_cmp_ne_u32_e32 vcc, 0, v30
	v_add3_u32 v6, v6, v34, v8
	v_lshl_add_u32 v7, v2, 6, v7
	s_and_b64 s[26:27], vcc, exec
.LBB35_1686:                            ;   in Loop: Header=BB35_47 Depth=1
	s_or_b64 exec, exec, s[64:65]
	s_and_saveexec_b64 s[42:43], s[26:27]
	s_cbranch_execz .LBB35_1829
.LBB35_1687:                            ;   in Loop: Header=BB35_47 Depth=1
	v_ashrrev_i32_e32 v2, 31, v7
	v_ashrrev_i32_e32 v9, 31, v30
	v_lshrrev_b32_e32 v2, 26, v2
	v_lshrrev_b32_e32 v9, 21, v9
	v_add_u32_e32 v8, v7, v2
	v_add_u32_e32 v9, v30, v9
	v_ashrrev_i32_e32 v2, 6, v8
	v_ashrrev_i32_e32 v19, 11, v9
	v_sub_u32_e32 v18, v19, v2
	v_cmp_lt_i32_e32 vcc, 0, v18
	s_and_saveexec_b64 s[28:29], vcc
	s_cbranch_execz .LBB35_1819
; %bb.1688:                             ;   in Loop: Header=BB35_47 Depth=1
	v_and_b32_e32 v8, 0x7fffffc0, v8
	s_trap 2
	ds_read_b64 v[14:15], v0
	v_sub_u32_e32 v8, v7, v8
	v_lshlrev_b32_e32 v8, 1, v8
	v_lshlrev_b32_e32 v9, 11, v2
	v_add3_u32 v16, v8, v6, v9
	s_and_b32 s76, s12, 1
	s_mov_b64 s[44:45], 0x780
	v_ashrrev_i32_e32 v17, 31, v16
	s_cmp_eq_u64 s[76:77], 0
	s_waitcnt lgkmcnt(1)
	v_lshl_add_u64 v[20:21], v[28:29], 0, s[44:45]
	v_lshl_add_u64 v[8:9], v[16:17], 0, v[86:87]
	;; [unrolled: 1-line block ×4, first 2 shown]
	s_waitcnt lgkmcnt(0)
	v_lshl_add_u64 v[14:15], v[14:15], 0, v[16:17]
	s_mov_b64 s[40:41], 0
	s_cselect_b64 s[26:27], -1, 0
	v_lshl_add_u64 v[16:17], v[20:21], 0, v[16:17]
	s_branch .LBB35_1690
.LBB35_1689:                            ;   in Loop: Header=BB35_1690 Depth=2
	s_or_b64 exec, exec, s[44:45]
	flat_store_short_d16_hi v[8:9], v22 offset:1920 nt
	flat_store_short_d16_hi v[10:11], v21 nt
	flat_store_short_d16_hi v[10:11], v23 offset:128 nt
	flat_store_short_d16_hi v[10:11], v25 offset:256 nt
	flat_store_short_d16_hi v[10:11], v32 offset:384 nt
	flat_store_short_d16_hi v[10:11], v34 offset:512 nt
	flat_store_short_d16_hi v[10:11], v36 offset:640 nt
	flat_store_short_d16_hi v[10:11], v39 offset:768 nt
	flat_store_short_d16_hi v[10:11], v49 offset:896 nt
	flat_store_short_d16_hi v[10:11], v51 offset:1024 nt
	flat_store_short_d16_hi v[10:11], v54 offset:1152 nt
	flat_store_short_d16_hi v[10:11], v64 offset:1280 nt
	flat_store_short_d16_hi v[10:11], v66 offset:1408 nt
	flat_store_short_d16_hi v[10:11], v68 offset:1536 nt
	flat_store_short_d16_hi v[10:11], v69 offset:1664 nt
	flat_store_short_d16_hi v[10:11], v70 offset:1792 nt
	flat_store_short_d16_hi v[10:11], v71 offset:1920 nt
	scratch_load_dwordx2 v[20:21], off, s33 offset:280 ; 8-byte Folded Reload
	v_sub_u32_e32 v18, v18, v60
	v_cmp_gt_i32_e32 vcc, 1, v18
	s_or_b64 s[40:41], vcc, s[40:41]
	v_lshl_add_u64 v[16:17], v[16:17], 0, v[120:121]
	s_waitcnt vmcnt(0)
	v_lshl_add_u64 v[12:13], v[12:13], 0, v[20:21]
	v_lshl_add_u64 v[14:15], v[14:15], 0, v[20:21]
	;; [unrolled: 1-line block ×4, first 2 shown]
	s_andn2_b64 exec, exec, s[40:41]
	s_cbranch_execz .LBB35_1818
.LBB35_1690:                            ;   Parent Loop BB35_47 Depth=1
                                        ; =>  This Inner Loop Header: Depth=2
	v_add_co_u32_e32 v20, vcc, 0xfffff880, v16
	s_nop 1
	v_addc_co_u32_e32 v21, vcc, -1, v17, vcc
	flat_load_ushort v67, v[20:21] nt
	v_add_co_u32_e32 v20, vcc, 0xfffff900, v16
	s_nop 1
	v_addc_co_u32_e32 v21, vcc, -1, v17, vcc
	flat_load_ushort v65, v[20:21] nt
	;; [unrolled: 4-line block ×15, first 2 shown]
	flat_load_ushort v51, v[12:13] offset:1024 nt
	flat_load_ushort v54, v[12:13] offset:1152 nt
	;; [unrolled: 1-line block ×8, first 2 shown]
	flat_load_ushort v20, v[16:17] nt
	flat_load_ushort v23, v[12:13] offset:128 nt
	flat_load_ushort v25, v[12:13] offset:256 nt
	flat_load_ushort v32, v[12:13] offset:384 nt
	flat_load_ushort v34, v[12:13] offset:512 nt
	flat_load_ushort v36, v[12:13] offset:640 nt
	flat_load_ushort v39, v[12:13] offset:768 nt
	flat_load_ushort v49, v[12:13] offset:896 nt
	flat_load_ushort v21, v[12:13] nt
	flat_load_ushort v118, v[14:15] offset:128 nt
	flat_load_ushort v115, v[14:15] offset:256 nt
	flat_load_ushort v114, v[14:15] offset:384 nt
	flat_load_ushort v113, v[14:15] offset:512 nt
	flat_load_ushort v112, v[14:15] offset:640 nt
	flat_load_ushort v103, v[14:15] offset:768 nt
	flat_load_ushort v102, v[14:15] offset:896 nt
	;; [unrolled: 8-line block ×3, first 2 shown]
	flat_load_ushort v80, v[14:15] offset:1920 nt
	s_waitcnt vmcnt(0) lgkmcnt(0)
	v_lshlrev_b32_e32 v21, 16, v21
	v_max_f32_e32 v21, v21, v21
	v_lshlrev_b32_e32 v119, 16, v119
	v_max_f32_e32 v119, v119, v119
	v_min_f32_e32 v42, v21, v119
	v_max_f32_e32 v21, v21, v119
	v_cndmask_b32_e64 v119, v21, v42, s[26:27]
	v_and_b32_e32 v21, 0x7f800000, v119
	v_cmp_ne_u32_e32 vcc, s51, v21
                                        ; implicit-def: $vgpr21
	s_and_saveexec_b64 s[44:45], vcc
	s_xor_b64 s[44:45], exec, s[44:45]
; %bb.1691:                             ;   in Loop: Header=BB35_1690 Depth=2
	v_bfe_u32 v21, v119, 16, 1
	v_add3_u32 v21, v119, v21, s72
                                        ; implicit-def: $vgpr119
; %bb.1692:                             ;   in Loop: Header=BB35_1690 Depth=2
	s_andn2_saveexec_b64 s[44:45], s[44:45]
; %bb.1693:                             ;   in Loop: Header=BB35_1690 Depth=2
	v_or_b32_e32 v21, 0x10000, v119
	v_cmp_eq_u32_sdwa vcc, v119, v3 src0_sel:WORD_0 src1_sel:DWORD
	s_nop 1
	v_cndmask_b32_e32 v21, v21, v119, vcc
; %bb.1694:                             ;   in Loop: Header=BB35_1690 Depth=2
	s_or_b64 exec, exec, s[44:45]
	v_lshlrev_b32_e32 v23, 16, v23
	v_lshlrev_b32_e32 v118, 16, v118
	v_max_f32_e32 v118, v118, v118
	v_max_f32_e32 v23, v23, v23
	v_min_f32_e32 v119, v23, v118
	v_max_f32_e32 v23, v23, v118
	v_cndmask_b32_e64 v118, v23, v119, s[26:27]
	v_and_b32_e32 v23, 0x7f800000, v118
	v_cmp_ne_u32_e32 vcc, s51, v23
                                        ; implicit-def: $vgpr23
	s_and_saveexec_b64 s[44:45], vcc
	s_xor_b64 s[44:45], exec, s[44:45]
; %bb.1695:                             ;   in Loop: Header=BB35_1690 Depth=2
	v_bfe_u32 v23, v118, 16, 1
	v_add3_u32 v23, v118, v23, s72
                                        ; implicit-def: $vgpr118
; %bb.1696:                             ;   in Loop: Header=BB35_1690 Depth=2
	s_andn2_saveexec_b64 s[44:45], s[44:45]
; %bb.1697:                             ;   in Loop: Header=BB35_1690 Depth=2
	v_or_b32_e32 v23, 0x10000, v118
	v_cmp_eq_u32_sdwa vcc, v118, v3 src0_sel:WORD_0 src1_sel:DWORD
	s_nop 1
	v_cndmask_b32_e32 v23, v23, v118, vcc
; %bb.1698:                             ;   in Loop: Header=BB35_1690 Depth=2
	s_or_b64 exec, exec, s[44:45]
	v_lshlrev_b32_e32 v25, 16, v25
	v_lshlrev_b32_e32 v115, 16, v115
	v_max_f32_e32 v115, v115, v115
	v_max_f32_e32 v25, v25, v25
	v_min_f32_e32 v118, v25, v115
	v_max_f32_e32 v25, v25, v115
	v_cndmask_b32_e64 v115, v25, v118, s[26:27]
	v_and_b32_e32 v25, 0x7f800000, v115
	v_cmp_ne_u32_e32 vcc, s51, v25
                                        ; implicit-def: $vgpr25
	s_and_saveexec_b64 s[44:45], vcc
	s_xor_b64 s[44:45], exec, s[44:45]
; %bb.1699:                             ;   in Loop: Header=BB35_1690 Depth=2
	v_bfe_u32 v25, v115, 16, 1
	v_add3_u32 v25, v115, v25, s72
                                        ; implicit-def: $vgpr115
; %bb.1700:                             ;   in Loop: Header=BB35_1690 Depth=2
	s_andn2_saveexec_b64 s[44:45], s[44:45]
; %bb.1701:                             ;   in Loop: Header=BB35_1690 Depth=2
	v_or_b32_e32 v25, 0x10000, v115
	v_cmp_eq_u32_sdwa vcc, v115, v3 src0_sel:WORD_0 src1_sel:DWORD
	s_nop 1
	v_cndmask_b32_e32 v25, v25, v115, vcc
; %bb.1702:                             ;   in Loop: Header=BB35_1690 Depth=2
	s_or_b64 exec, exec, s[44:45]
	v_lshlrev_b32_e32 v32, 16, v32
	v_lshlrev_b32_e32 v114, 16, v114
	v_max_f32_e32 v114, v114, v114
	v_max_f32_e32 v32, v32, v32
	v_min_f32_e32 v115, v32, v114
	v_max_f32_e32 v32, v32, v114
	v_cndmask_b32_e64 v114, v32, v115, s[26:27]
	v_and_b32_e32 v32, 0x7f800000, v114
	v_cmp_ne_u32_e32 vcc, s51, v32
                                        ; implicit-def: $vgpr32
	s_and_saveexec_b64 s[44:45], vcc
	s_xor_b64 s[44:45], exec, s[44:45]
; %bb.1703:                             ;   in Loop: Header=BB35_1690 Depth=2
	v_bfe_u32 v32, v114, 16, 1
	v_add3_u32 v32, v114, v32, s72
                                        ; implicit-def: $vgpr114
; %bb.1704:                             ;   in Loop: Header=BB35_1690 Depth=2
	s_andn2_saveexec_b64 s[44:45], s[44:45]
; %bb.1705:                             ;   in Loop: Header=BB35_1690 Depth=2
	v_or_b32_e32 v32, 0x10000, v114
	v_cmp_eq_u32_sdwa vcc, v114, v3 src0_sel:WORD_0 src1_sel:DWORD
	s_nop 1
	v_cndmask_b32_e32 v32, v32, v114, vcc
; %bb.1706:                             ;   in Loop: Header=BB35_1690 Depth=2
	s_or_b64 exec, exec, s[44:45]
	v_lshlrev_b32_e32 v34, 16, v34
	v_lshlrev_b32_e32 v113, 16, v113
	v_max_f32_e32 v113, v113, v113
	v_max_f32_e32 v34, v34, v34
	v_min_f32_e32 v114, v34, v113
	v_max_f32_e32 v34, v34, v113
	v_cndmask_b32_e64 v113, v34, v114, s[26:27]
	v_and_b32_e32 v34, 0x7f800000, v113
	v_cmp_ne_u32_e32 vcc, s51, v34
                                        ; implicit-def: $vgpr34
	s_and_saveexec_b64 s[44:45], vcc
	s_xor_b64 s[44:45], exec, s[44:45]
; %bb.1707:                             ;   in Loop: Header=BB35_1690 Depth=2
	v_bfe_u32 v34, v113, 16, 1
	v_add3_u32 v34, v113, v34, s72
                                        ; implicit-def: $vgpr113
; %bb.1708:                             ;   in Loop: Header=BB35_1690 Depth=2
	s_andn2_saveexec_b64 s[44:45], s[44:45]
; %bb.1709:                             ;   in Loop: Header=BB35_1690 Depth=2
	v_or_b32_e32 v34, 0x10000, v113
	v_cmp_eq_u32_sdwa vcc, v113, v3 src0_sel:WORD_0 src1_sel:DWORD
	s_nop 1
	v_cndmask_b32_e32 v34, v34, v113, vcc
; %bb.1710:                             ;   in Loop: Header=BB35_1690 Depth=2
	s_or_b64 exec, exec, s[44:45]
	v_lshlrev_b32_e32 v36, 16, v36
	v_lshlrev_b32_e32 v112, 16, v112
	v_max_f32_e32 v112, v112, v112
	v_max_f32_e32 v36, v36, v36
	v_min_f32_e32 v113, v36, v112
	v_max_f32_e32 v36, v36, v112
	v_cndmask_b32_e64 v112, v36, v113, s[26:27]
	v_and_b32_e32 v36, 0x7f800000, v112
	v_cmp_ne_u32_e32 vcc, s51, v36
                                        ; implicit-def: $vgpr36
	s_and_saveexec_b64 s[44:45], vcc
	s_xor_b64 s[44:45], exec, s[44:45]
; %bb.1711:                             ;   in Loop: Header=BB35_1690 Depth=2
	v_bfe_u32 v36, v112, 16, 1
	v_add3_u32 v36, v112, v36, s72
                                        ; implicit-def: $vgpr112
; %bb.1712:                             ;   in Loop: Header=BB35_1690 Depth=2
	s_andn2_saveexec_b64 s[44:45], s[44:45]
; %bb.1713:                             ;   in Loop: Header=BB35_1690 Depth=2
	v_or_b32_e32 v36, 0x10000, v112
	v_cmp_eq_u32_sdwa vcc, v112, v3 src0_sel:WORD_0 src1_sel:DWORD
	s_nop 1
	v_cndmask_b32_e32 v36, v36, v112, vcc
; %bb.1714:                             ;   in Loop: Header=BB35_1690 Depth=2
	s_or_b64 exec, exec, s[44:45]
	v_lshlrev_b32_e32 v39, 16, v39
	v_lshlrev_b32_e32 v103, 16, v103
	v_max_f32_e32 v103, v103, v103
	v_max_f32_e32 v39, v39, v39
	v_min_f32_e32 v112, v39, v103
	v_max_f32_e32 v39, v39, v103
	v_cndmask_b32_e64 v103, v39, v112, s[26:27]
	v_and_b32_e32 v39, 0x7f800000, v103
	v_cmp_ne_u32_e32 vcc, s51, v39
                                        ; implicit-def: $vgpr39
	s_and_saveexec_b64 s[44:45], vcc
	s_xor_b64 s[44:45], exec, s[44:45]
; %bb.1715:                             ;   in Loop: Header=BB35_1690 Depth=2
	v_bfe_u32 v39, v103, 16, 1
	v_add3_u32 v39, v103, v39, s72
                                        ; implicit-def: $vgpr103
; %bb.1716:                             ;   in Loop: Header=BB35_1690 Depth=2
	s_andn2_saveexec_b64 s[44:45], s[44:45]
; %bb.1717:                             ;   in Loop: Header=BB35_1690 Depth=2
	v_or_b32_e32 v39, 0x10000, v103
	v_cmp_eq_u32_sdwa vcc, v103, v3 src0_sel:WORD_0 src1_sel:DWORD
	s_nop 1
	v_cndmask_b32_e32 v39, v39, v103, vcc
; %bb.1718:                             ;   in Loop: Header=BB35_1690 Depth=2
	s_or_b64 exec, exec, s[44:45]
	v_lshlrev_b32_e32 v49, 16, v49
	v_lshlrev_b32_e32 v102, 16, v102
	v_max_f32_e32 v102, v102, v102
	v_max_f32_e32 v49, v49, v49
	v_min_f32_e32 v103, v49, v102
	v_max_f32_e32 v49, v49, v102
	v_cndmask_b32_e64 v102, v49, v103, s[26:27]
	v_and_b32_e32 v49, 0x7f800000, v102
	v_cmp_ne_u32_e32 vcc, s51, v49
                                        ; implicit-def: $vgpr49
	s_and_saveexec_b64 s[44:45], vcc
	s_xor_b64 s[44:45], exec, s[44:45]
; %bb.1719:                             ;   in Loop: Header=BB35_1690 Depth=2
	v_bfe_u32 v49, v102, 16, 1
	v_add3_u32 v49, v102, v49, s72
                                        ; implicit-def: $vgpr102
; %bb.1720:                             ;   in Loop: Header=BB35_1690 Depth=2
	s_andn2_saveexec_b64 s[44:45], s[44:45]
; %bb.1721:                             ;   in Loop: Header=BB35_1690 Depth=2
	v_or_b32_e32 v49, 0x10000, v102
	v_cmp_eq_u32_sdwa vcc, v102, v3 src0_sel:WORD_0 src1_sel:DWORD
	s_nop 1
	v_cndmask_b32_e32 v49, v49, v102, vcc
; %bb.1722:                             ;   in Loop: Header=BB35_1690 Depth=2
	s_or_b64 exec, exec, s[44:45]
	v_lshlrev_b32_e32 v51, 16, v51
	v_lshlrev_b32_e32 v101, 16, v101
	v_max_f32_e32 v101, v101, v101
	v_max_f32_e32 v51, v51, v51
	v_min_f32_e32 v102, v51, v101
	v_max_f32_e32 v51, v51, v101
	v_cndmask_b32_e64 v101, v51, v102, s[26:27]
	v_and_b32_e32 v51, 0x7f800000, v101
	v_cmp_ne_u32_e32 vcc, s51, v51
                                        ; implicit-def: $vgpr51
	s_and_saveexec_b64 s[44:45], vcc
	s_xor_b64 s[44:45], exec, s[44:45]
; %bb.1723:                             ;   in Loop: Header=BB35_1690 Depth=2
	v_bfe_u32 v51, v101, 16, 1
	v_add3_u32 v51, v101, v51, s72
                                        ; implicit-def: $vgpr101
; %bb.1724:                             ;   in Loop: Header=BB35_1690 Depth=2
	s_andn2_saveexec_b64 s[44:45], s[44:45]
; %bb.1725:                             ;   in Loop: Header=BB35_1690 Depth=2
	v_or_b32_e32 v51, 0x10000, v101
	v_cmp_eq_u32_sdwa vcc, v101, v3 src0_sel:WORD_0 src1_sel:DWORD
	s_nop 1
	v_cndmask_b32_e32 v51, v51, v101, vcc
; %bb.1726:                             ;   in Loop: Header=BB35_1690 Depth=2
	s_or_b64 exec, exec, s[44:45]
	v_lshlrev_b32_e32 v54, 16, v54
	v_lshlrev_b32_e32 v100, 16, v100
	v_max_f32_e32 v100, v100, v100
	v_max_f32_e32 v54, v54, v54
	v_min_f32_e32 v101, v54, v100
	v_max_f32_e32 v54, v54, v100
	v_cndmask_b32_e64 v100, v54, v101, s[26:27]
	v_and_b32_e32 v54, 0x7f800000, v100
	v_cmp_ne_u32_e32 vcc, s51, v54
                                        ; implicit-def: $vgpr54
	s_and_saveexec_b64 s[44:45], vcc
	s_xor_b64 s[44:45], exec, s[44:45]
; %bb.1727:                             ;   in Loop: Header=BB35_1690 Depth=2
	v_bfe_u32 v54, v100, 16, 1
	v_add3_u32 v54, v100, v54, s72
                                        ; implicit-def: $vgpr100
; %bb.1728:                             ;   in Loop: Header=BB35_1690 Depth=2
	s_andn2_saveexec_b64 s[44:45], s[44:45]
; %bb.1729:                             ;   in Loop: Header=BB35_1690 Depth=2
	v_or_b32_e32 v54, 0x10000, v100
	v_cmp_eq_u32_sdwa vcc, v100, v3 src0_sel:WORD_0 src1_sel:DWORD
	s_nop 1
	v_cndmask_b32_e32 v54, v54, v100, vcc
; %bb.1730:                             ;   in Loop: Header=BB35_1690 Depth=2
	s_or_b64 exec, exec, s[44:45]
	v_lshlrev_b32_e32 v64, 16, v64
	v_lshlrev_b32_e32 v99, 16, v99
	v_max_f32_e32 v99, v99, v99
	v_max_f32_e32 v64, v64, v64
	v_min_f32_e32 v100, v64, v99
	v_max_f32_e32 v64, v64, v99
	v_cndmask_b32_e64 v99, v64, v100, s[26:27]
	v_and_b32_e32 v64, 0x7f800000, v99
	v_cmp_ne_u32_e32 vcc, s51, v64
                                        ; implicit-def: $vgpr64
	s_and_saveexec_b64 s[44:45], vcc
	s_xor_b64 s[44:45], exec, s[44:45]
; %bb.1731:                             ;   in Loop: Header=BB35_1690 Depth=2
	v_bfe_u32 v64, v99, 16, 1
	v_add3_u32 v64, v99, v64, s72
                                        ; implicit-def: $vgpr99
; %bb.1732:                             ;   in Loop: Header=BB35_1690 Depth=2
	s_andn2_saveexec_b64 s[44:45], s[44:45]
; %bb.1733:                             ;   in Loop: Header=BB35_1690 Depth=2
	v_or_b32_e32 v64, 0x10000, v99
	v_cmp_eq_u32_sdwa vcc, v99, v3 src0_sel:WORD_0 src1_sel:DWORD
	s_nop 1
	v_cndmask_b32_e32 v64, v64, v99, vcc
; %bb.1734:                             ;   in Loop: Header=BB35_1690 Depth=2
	s_or_b64 exec, exec, s[44:45]
	v_lshlrev_b32_e32 v66, 16, v66
	v_lshlrev_b32_e32 v98, 16, v98
	v_max_f32_e32 v98, v98, v98
	v_max_f32_e32 v66, v66, v66
	v_min_f32_e32 v99, v66, v98
	v_max_f32_e32 v66, v66, v98
	v_cndmask_b32_e64 v98, v66, v99, s[26:27]
	v_and_b32_e32 v66, 0x7f800000, v98
	v_cmp_ne_u32_e32 vcc, s51, v66
                                        ; implicit-def: $vgpr66
	s_and_saveexec_b64 s[44:45], vcc
	s_xor_b64 s[44:45], exec, s[44:45]
; %bb.1735:                             ;   in Loop: Header=BB35_1690 Depth=2
	v_bfe_u32 v66, v98, 16, 1
	v_add3_u32 v66, v98, v66, s72
                                        ; implicit-def: $vgpr98
; %bb.1736:                             ;   in Loop: Header=BB35_1690 Depth=2
	s_andn2_saveexec_b64 s[44:45], s[44:45]
; %bb.1737:                             ;   in Loop: Header=BB35_1690 Depth=2
	v_or_b32_e32 v66, 0x10000, v98
	v_cmp_eq_u32_sdwa vcc, v98, v3 src0_sel:WORD_0 src1_sel:DWORD
	s_nop 1
	v_cndmask_b32_e32 v66, v66, v98, vcc
; %bb.1738:                             ;   in Loop: Header=BB35_1690 Depth=2
	s_or_b64 exec, exec, s[44:45]
	v_lshlrev_b32_e32 v68, 16, v68
	v_lshlrev_b32_e32 v83, 16, v83
	v_max_f32_e32 v83, v83, v83
	v_max_f32_e32 v68, v68, v68
	v_min_f32_e32 v98, v68, v83
	v_max_f32_e32 v68, v68, v83
	v_cndmask_b32_e64 v83, v68, v98, s[26:27]
	v_and_b32_e32 v68, 0x7f800000, v83
	v_cmp_ne_u32_e32 vcc, s51, v68
                                        ; implicit-def: $vgpr68
	s_and_saveexec_b64 s[44:45], vcc
	s_xor_b64 s[44:45], exec, s[44:45]
; %bb.1739:                             ;   in Loop: Header=BB35_1690 Depth=2
	v_bfe_u32 v68, v83, 16, 1
	v_add3_u32 v68, v83, v68, s72
                                        ; implicit-def: $vgpr83
; %bb.1740:                             ;   in Loop: Header=BB35_1690 Depth=2
	s_andn2_saveexec_b64 s[44:45], s[44:45]
; %bb.1741:                             ;   in Loop: Header=BB35_1690 Depth=2
	v_or_b32_e32 v68, 0x10000, v83
	v_cmp_eq_u32_sdwa vcc, v83, v3 src0_sel:WORD_0 src1_sel:DWORD
	s_nop 1
	v_cndmask_b32_e32 v68, v68, v83, vcc
; %bb.1742:                             ;   in Loop: Header=BB35_1690 Depth=2
	s_or_b64 exec, exec, s[44:45]
	v_lshlrev_b32_e32 v69, 16, v69
	v_lshlrev_b32_e32 v82, 16, v82
	v_max_f32_e32 v82, v82, v82
	v_max_f32_e32 v69, v69, v69
	v_min_f32_e32 v83, v69, v82
	v_max_f32_e32 v69, v69, v82
	v_cndmask_b32_e64 v82, v69, v83, s[26:27]
	v_and_b32_e32 v69, 0x7f800000, v82
	v_cmp_ne_u32_e32 vcc, s51, v69
                                        ; implicit-def: $vgpr69
	s_and_saveexec_b64 s[44:45], vcc
	s_xor_b64 s[44:45], exec, s[44:45]
; %bb.1743:                             ;   in Loop: Header=BB35_1690 Depth=2
	v_bfe_u32 v69, v82, 16, 1
	v_add3_u32 v69, v82, v69, s72
                                        ; implicit-def: $vgpr82
; %bb.1744:                             ;   in Loop: Header=BB35_1690 Depth=2
	s_andn2_saveexec_b64 s[44:45], s[44:45]
; %bb.1745:                             ;   in Loop: Header=BB35_1690 Depth=2
	v_or_b32_e32 v69, 0x10000, v82
	v_cmp_eq_u32_sdwa vcc, v82, v3 src0_sel:WORD_0 src1_sel:DWORD
	s_nop 1
	v_cndmask_b32_e32 v69, v69, v82, vcc
; %bb.1746:                             ;   in Loop: Header=BB35_1690 Depth=2
	s_or_b64 exec, exec, s[44:45]
	v_lshlrev_b32_e32 v70, 16, v70
	v_lshlrev_b32_e32 v81, 16, v81
	v_max_f32_e32 v81, v81, v81
	v_max_f32_e32 v70, v70, v70
	v_min_f32_e32 v82, v70, v81
	v_max_f32_e32 v70, v70, v81
	v_cndmask_b32_e64 v81, v70, v82, s[26:27]
	v_and_b32_e32 v70, 0x7f800000, v81
	v_cmp_ne_u32_e32 vcc, s51, v70
                                        ; implicit-def: $vgpr70
	s_and_saveexec_b64 s[44:45], vcc
	s_xor_b64 s[44:45], exec, s[44:45]
; %bb.1747:                             ;   in Loop: Header=BB35_1690 Depth=2
	v_bfe_u32 v70, v81, 16, 1
	v_add3_u32 v70, v81, v70, s72
                                        ; implicit-def: $vgpr81
; %bb.1748:                             ;   in Loop: Header=BB35_1690 Depth=2
	s_andn2_saveexec_b64 s[44:45], s[44:45]
; %bb.1749:                             ;   in Loop: Header=BB35_1690 Depth=2
	v_or_b32_e32 v70, 0x10000, v81
	v_cmp_eq_u32_sdwa vcc, v81, v3 src0_sel:WORD_0 src1_sel:DWORD
	s_nop 1
	v_cndmask_b32_e32 v70, v70, v81, vcc
; %bb.1750:                             ;   in Loop: Header=BB35_1690 Depth=2
	s_or_b64 exec, exec, s[44:45]
	v_lshlrev_b32_e32 v71, 16, v71
	v_lshlrev_b32_e32 v80, 16, v80
	v_max_f32_e32 v80, v80, v80
	v_max_f32_e32 v71, v71, v71
	v_min_f32_e32 v81, v71, v80
	v_max_f32_e32 v71, v71, v80
	v_cndmask_b32_e64 v80, v71, v81, s[26:27]
	v_and_b32_e32 v71, 0x7f800000, v80
	v_cmp_ne_u32_e32 vcc, s51, v71
                                        ; implicit-def: $vgpr71
	s_and_saveexec_b64 s[44:45], vcc
	s_xor_b64 s[44:45], exec, s[44:45]
; %bb.1751:                             ;   in Loop: Header=BB35_1690 Depth=2
	v_bfe_u32 v71, v80, 16, 1
	v_add3_u32 v71, v80, v71, s72
                                        ; implicit-def: $vgpr80
; %bb.1752:                             ;   in Loop: Header=BB35_1690 Depth=2
	s_andn2_saveexec_b64 s[44:45], s[44:45]
; %bb.1753:                             ;   in Loop: Header=BB35_1690 Depth=2
	v_or_b32_e32 v71, 0x10000, v80
	v_cmp_eq_u32_sdwa vcc, v80, v3 src0_sel:WORD_0 src1_sel:DWORD
	s_nop 1
	v_cndmask_b32_e32 v71, v71, v80, vcc
; %bb.1754:                             ;   in Loop: Header=BB35_1690 Depth=2
	s_or_b64 exec, exec, s[44:45]
	v_and_b32_e32 v80, 0xffff0000, v21
	v_lshlrev_b32_e32 v67, 16, v67
	v_max_f32_e32 v80, v80, v80
	v_max_f32_e32 v67, v67, v67
	v_min_f32_e32 v81, v80, v67
	v_max_f32_e32 v67, v80, v67
	v_cndmask_b32_e64 v67, v67, v81, s[26:27]
	v_and_b32_e32 v80, 0x7f800000, v67
	v_cmp_ne_u32_e32 vcc, s51, v80
                                        ; implicit-def: $vgpr80
	s_and_saveexec_b64 s[44:45], vcc
	s_xor_b64 s[44:45], exec, s[44:45]
; %bb.1755:                             ;   in Loop: Header=BB35_1690 Depth=2
	v_bfe_u32 v80, v67, 16, 1
	v_add3_u32 v80, v67, v80, s72
                                        ; implicit-def: $vgpr67
; %bb.1756:                             ;   in Loop: Header=BB35_1690 Depth=2
	s_andn2_saveexec_b64 s[44:45], s[44:45]
; %bb.1757:                             ;   in Loop: Header=BB35_1690 Depth=2
	v_or_b32_e32 v80, 0x10000, v67
	v_cmp_eq_u32_sdwa vcc, v67, v3 src0_sel:WORD_0 src1_sel:DWORD
	s_nop 1
	v_cndmask_b32_e32 v80, v80, v67, vcc
; %bb.1758:                             ;   in Loop: Header=BB35_1690 Depth=2
	s_or_b64 exec, exec, s[44:45]
	v_and_b32_e32 v67, 0xffff0000, v23
	v_lshlrev_b32_e32 v65, 16, v65
	v_max_f32_e32 v67, v67, v67
	v_max_f32_e32 v65, v65, v65
	flat_store_short_d16_hi v[8:9], v80 nt
	v_min_f32_e32 v80, v67, v65
	v_max_f32_e32 v65, v67, v65
	v_cndmask_b32_e64 v65, v65, v80, s[26:27]
	v_and_b32_e32 v67, 0x7f800000, v65
	v_cmp_ne_u32_e32 vcc, s51, v67
                                        ; implicit-def: $vgpr67
	s_and_saveexec_b64 s[44:45], vcc
	s_xor_b64 s[44:45], exec, s[44:45]
; %bb.1759:                             ;   in Loop: Header=BB35_1690 Depth=2
	v_bfe_u32 v67, v65, 16, 1
	v_add3_u32 v67, v65, v67, s72
                                        ; implicit-def: $vgpr65
; %bb.1760:                             ;   in Loop: Header=BB35_1690 Depth=2
	s_andn2_saveexec_b64 s[44:45], s[44:45]
; %bb.1761:                             ;   in Loop: Header=BB35_1690 Depth=2
	v_or_b32_e32 v67, 0x10000, v65
	v_cmp_eq_u32_sdwa vcc, v65, v3 src0_sel:WORD_0 src1_sel:DWORD
	s_nop 1
	v_cndmask_b32_e32 v67, v67, v65, vcc
; %bb.1762:                             ;   in Loop: Header=BB35_1690 Depth=2
	s_or_b64 exec, exec, s[44:45]
	v_and_b32_e32 v65, 0xffff0000, v25
	v_lshlrev_b32_e32 v55, 16, v55
	v_max_f32_e32 v65, v65, v65
	v_max_f32_e32 v55, v55, v55
	flat_store_short_d16_hi v[8:9], v67 offset:128 nt
	v_min_f32_e32 v67, v65, v55
	v_max_f32_e32 v55, v65, v55
	v_cndmask_b32_e64 v55, v55, v67, s[26:27]
	v_and_b32_e32 v65, 0x7f800000, v55
	v_cmp_ne_u32_e32 vcc, s51, v65
                                        ; implicit-def: $vgpr65
	s_and_saveexec_b64 s[44:45], vcc
	s_xor_b64 s[44:45], exec, s[44:45]
; %bb.1763:                             ;   in Loop: Header=BB35_1690 Depth=2
	v_bfe_u32 v65, v55, 16, 1
	v_add3_u32 v65, v55, v65, s72
                                        ; implicit-def: $vgpr55
; %bb.1764:                             ;   in Loop: Header=BB35_1690 Depth=2
	s_andn2_saveexec_b64 s[44:45], s[44:45]
; %bb.1765:                             ;   in Loop: Header=BB35_1690 Depth=2
	v_or_b32_e32 v65, 0x10000, v55
	v_cmp_eq_u32_sdwa vcc, v55, v3 src0_sel:WORD_0 src1_sel:DWORD
	s_nop 1
	v_cndmask_b32_e32 v65, v65, v55, vcc
; %bb.1766:                             ;   in Loop: Header=BB35_1690 Depth=2
	s_or_b64 exec, exec, s[44:45]
	v_and_b32_e32 v55, 0xffff0000, v32
	v_lshlrev_b32_e32 v53, 16, v53
	v_max_f32_e32 v55, v55, v55
	v_max_f32_e32 v53, v53, v53
	flat_store_short_d16_hi v[8:9], v65 offset:256 nt
	v_min_f32_e32 v65, v55, v53
	v_max_f32_e32 v53, v55, v53
	v_cndmask_b32_e64 v53, v53, v65, s[26:27]
	v_and_b32_e32 v55, 0x7f800000, v53
	v_cmp_ne_u32_e32 vcc, s51, v55
                                        ; implicit-def: $vgpr55
	s_and_saveexec_b64 s[44:45], vcc
	s_xor_b64 s[44:45], exec, s[44:45]
; %bb.1767:                             ;   in Loop: Header=BB35_1690 Depth=2
	v_bfe_u32 v55, v53, 16, 1
	v_add3_u32 v55, v53, v55, s72
                                        ; implicit-def: $vgpr53
; %bb.1768:                             ;   in Loop: Header=BB35_1690 Depth=2
	s_andn2_saveexec_b64 s[44:45], s[44:45]
; %bb.1769:                             ;   in Loop: Header=BB35_1690 Depth=2
	v_or_b32_e32 v55, 0x10000, v53
	v_cmp_eq_u32_sdwa vcc, v53, v3 src0_sel:WORD_0 src1_sel:DWORD
	s_nop 1
	v_cndmask_b32_e32 v55, v55, v53, vcc
; %bb.1770:                             ;   in Loop: Header=BB35_1690 Depth=2
	s_or_b64 exec, exec, s[44:45]
	v_and_b32_e32 v53, 0xffff0000, v34
	v_lshlrev_b32_e32 v52, 16, v52
	v_max_f32_e32 v53, v53, v53
	v_max_f32_e32 v52, v52, v52
	flat_store_short_d16_hi v[8:9], v55 offset:384 nt
	v_min_f32_e32 v55, v53, v52
	v_max_f32_e32 v52, v53, v52
	v_cndmask_b32_e64 v52, v52, v55, s[26:27]
	v_and_b32_e32 v53, 0x7f800000, v52
	v_cmp_ne_u32_e32 vcc, s51, v53
                                        ; implicit-def: $vgpr53
	s_and_saveexec_b64 s[44:45], vcc
	s_xor_b64 s[44:45], exec, s[44:45]
; %bb.1771:                             ;   in Loop: Header=BB35_1690 Depth=2
	v_bfe_u32 v53, v52, 16, 1
	v_add3_u32 v53, v52, v53, s72
                                        ; implicit-def: $vgpr52
; %bb.1772:                             ;   in Loop: Header=BB35_1690 Depth=2
	s_andn2_saveexec_b64 s[44:45], s[44:45]
; %bb.1773:                             ;   in Loop: Header=BB35_1690 Depth=2
	v_or_b32_e32 v53, 0x10000, v52
	v_cmp_eq_u32_sdwa vcc, v52, v3 src0_sel:WORD_0 src1_sel:DWORD
	s_nop 1
	v_cndmask_b32_e32 v53, v53, v52, vcc
; %bb.1774:                             ;   in Loop: Header=BB35_1690 Depth=2
	s_or_b64 exec, exec, s[44:45]
	v_and_b32_e32 v52, 0xffff0000, v36
	v_lshlrev_b32_e32 v50, 16, v50
	v_max_f32_e32 v52, v52, v52
	v_max_f32_e32 v50, v50, v50
	flat_store_short_d16_hi v[8:9], v53 offset:512 nt
	v_min_f32_e32 v53, v52, v50
	v_max_f32_e32 v50, v52, v50
	v_cndmask_b32_e64 v50, v50, v53, s[26:27]
	v_and_b32_e32 v52, 0x7f800000, v50
	v_cmp_ne_u32_e32 vcc, s51, v52
                                        ; implicit-def: $vgpr52
	s_and_saveexec_b64 s[44:45], vcc
	s_xor_b64 s[44:45], exec, s[44:45]
; %bb.1775:                             ;   in Loop: Header=BB35_1690 Depth=2
	v_bfe_u32 v52, v50, 16, 1
	v_add3_u32 v52, v50, v52, s72
                                        ; implicit-def: $vgpr50
; %bb.1776:                             ;   in Loop: Header=BB35_1690 Depth=2
	s_andn2_saveexec_b64 s[44:45], s[44:45]
; %bb.1777:                             ;   in Loop: Header=BB35_1690 Depth=2
	v_or_b32_e32 v52, 0x10000, v50
	v_cmp_eq_u32_sdwa vcc, v50, v3 src0_sel:WORD_0 src1_sel:DWORD
	s_nop 1
	v_cndmask_b32_e32 v52, v52, v50, vcc
; %bb.1778:                             ;   in Loop: Header=BB35_1690 Depth=2
	s_or_b64 exec, exec, s[44:45]
	v_and_b32_e32 v50, 0xffff0000, v39
	v_lshlrev_b32_e32 v48, 16, v48
	v_max_f32_e32 v50, v50, v50
	v_max_f32_e32 v48, v48, v48
	flat_store_short_d16_hi v[8:9], v52 offset:640 nt
	v_min_f32_e32 v52, v50, v48
	v_max_f32_e32 v48, v50, v48
	v_cndmask_b32_e64 v48, v48, v52, s[26:27]
	v_and_b32_e32 v50, 0x7f800000, v48
	v_cmp_ne_u32_e32 vcc, s51, v50
                                        ; implicit-def: $vgpr50
	s_and_saveexec_b64 s[44:45], vcc
	s_xor_b64 s[44:45], exec, s[44:45]
; %bb.1779:                             ;   in Loop: Header=BB35_1690 Depth=2
	v_bfe_u32 v50, v48, 16, 1
	v_add3_u32 v50, v48, v50, s72
                                        ; implicit-def: $vgpr48
; %bb.1780:                             ;   in Loop: Header=BB35_1690 Depth=2
	s_andn2_saveexec_b64 s[44:45], s[44:45]
; %bb.1781:                             ;   in Loop: Header=BB35_1690 Depth=2
	v_or_b32_e32 v50, 0x10000, v48
	v_cmp_eq_u32_sdwa vcc, v48, v3 src0_sel:WORD_0 src1_sel:DWORD
	s_nop 1
	v_cndmask_b32_e32 v50, v50, v48, vcc
; %bb.1782:                             ;   in Loop: Header=BB35_1690 Depth=2
	s_or_b64 exec, exec, s[44:45]
	v_and_b32_e32 v48, 0xffff0000, v49
	v_lshlrev_b32_e32 v38, 16, v38
	v_max_f32_e32 v48, v48, v48
	v_max_f32_e32 v38, v38, v38
	flat_store_short_d16_hi v[8:9], v50 offset:768 nt
	v_min_f32_e32 v50, v48, v38
	v_max_f32_e32 v38, v48, v38
	v_cndmask_b32_e64 v38, v38, v50, s[26:27]
	v_and_b32_e32 v48, 0x7f800000, v38
	v_cmp_ne_u32_e32 vcc, s51, v48
                                        ; implicit-def: $vgpr48
	s_and_saveexec_b64 s[44:45], vcc
	s_xor_b64 s[44:45], exec, s[44:45]
; %bb.1783:                             ;   in Loop: Header=BB35_1690 Depth=2
	v_bfe_u32 v48, v38, 16, 1
	v_add3_u32 v48, v38, v48, s72
                                        ; implicit-def: $vgpr38
; %bb.1784:                             ;   in Loop: Header=BB35_1690 Depth=2
	s_andn2_saveexec_b64 s[44:45], s[44:45]
; %bb.1785:                             ;   in Loop: Header=BB35_1690 Depth=2
	v_or_b32_e32 v48, 0x10000, v38
	v_cmp_eq_u32_sdwa vcc, v38, v3 src0_sel:WORD_0 src1_sel:DWORD
	s_nop 1
	v_cndmask_b32_e32 v48, v48, v38, vcc
; %bb.1786:                             ;   in Loop: Header=BB35_1690 Depth=2
	s_or_b64 exec, exec, s[44:45]
	v_and_b32_e32 v38, 0xffff0000, v51
	v_lshlrev_b32_e32 v37, 16, v37
	v_max_f32_e32 v38, v38, v38
	v_max_f32_e32 v37, v37, v37
	flat_store_short_d16_hi v[8:9], v48 offset:896 nt
	v_min_f32_e32 v48, v38, v37
	v_max_f32_e32 v37, v38, v37
	v_cndmask_b32_e64 v37, v37, v48, s[26:27]
	v_and_b32_e32 v38, 0x7f800000, v37
	v_cmp_ne_u32_e32 vcc, s51, v38
                                        ; implicit-def: $vgpr38
	s_and_saveexec_b64 s[44:45], vcc
	s_xor_b64 s[44:45], exec, s[44:45]
; %bb.1787:                             ;   in Loop: Header=BB35_1690 Depth=2
	v_bfe_u32 v38, v37, 16, 1
	v_add3_u32 v38, v37, v38, s72
                                        ; implicit-def: $vgpr37
; %bb.1788:                             ;   in Loop: Header=BB35_1690 Depth=2
	s_andn2_saveexec_b64 s[44:45], s[44:45]
; %bb.1789:                             ;   in Loop: Header=BB35_1690 Depth=2
	v_or_b32_e32 v38, 0x10000, v37
	v_cmp_eq_u32_sdwa vcc, v37, v3 src0_sel:WORD_0 src1_sel:DWORD
	s_nop 1
	v_cndmask_b32_e32 v38, v38, v37, vcc
; %bb.1790:                             ;   in Loop: Header=BB35_1690 Depth=2
	s_or_b64 exec, exec, s[44:45]
	v_and_b32_e32 v37, 0xffff0000, v54
	v_lshlrev_b32_e32 v35, 16, v35
	v_max_f32_e32 v37, v37, v37
	v_max_f32_e32 v35, v35, v35
	flat_store_short_d16_hi v[8:9], v38 offset:1024 nt
	v_min_f32_e32 v38, v37, v35
	v_max_f32_e32 v35, v37, v35
	v_cndmask_b32_e64 v35, v35, v38, s[26:27]
	v_and_b32_e32 v37, 0x7f800000, v35
	v_cmp_ne_u32_e32 vcc, s51, v37
                                        ; implicit-def: $vgpr37
	s_and_saveexec_b64 s[44:45], vcc
	s_xor_b64 s[44:45], exec, s[44:45]
; %bb.1791:                             ;   in Loop: Header=BB35_1690 Depth=2
	v_bfe_u32 v37, v35, 16, 1
	v_add3_u32 v37, v35, v37, s72
                                        ; implicit-def: $vgpr35
; %bb.1792:                             ;   in Loop: Header=BB35_1690 Depth=2
	s_andn2_saveexec_b64 s[44:45], s[44:45]
; %bb.1793:                             ;   in Loop: Header=BB35_1690 Depth=2
	v_or_b32_e32 v37, 0x10000, v35
	v_cmp_eq_u32_sdwa vcc, v35, v3 src0_sel:WORD_0 src1_sel:DWORD
	s_nop 1
	v_cndmask_b32_e32 v37, v37, v35, vcc
; %bb.1794:                             ;   in Loop: Header=BB35_1690 Depth=2
	s_or_b64 exec, exec, s[44:45]
	v_and_b32_e32 v35, 0xffff0000, v64
	v_lshlrev_b32_e32 v33, 16, v33
	v_max_f32_e32 v35, v35, v35
	v_max_f32_e32 v33, v33, v33
	flat_store_short_d16_hi v[8:9], v37 offset:1152 nt
	v_min_f32_e32 v37, v35, v33
	v_max_f32_e32 v33, v35, v33
	v_cndmask_b32_e64 v33, v33, v37, s[26:27]
	v_and_b32_e32 v35, 0x7f800000, v33
	v_cmp_ne_u32_e32 vcc, s51, v35
                                        ; implicit-def: $vgpr35
	s_and_saveexec_b64 s[44:45], vcc
	s_xor_b64 s[44:45], exec, s[44:45]
; %bb.1795:                             ;   in Loop: Header=BB35_1690 Depth=2
	v_bfe_u32 v35, v33, 16, 1
	v_add3_u32 v35, v33, v35, s72
                                        ; implicit-def: $vgpr33
; %bb.1796:                             ;   in Loop: Header=BB35_1690 Depth=2
	s_andn2_saveexec_b64 s[44:45], s[44:45]
; %bb.1797:                             ;   in Loop: Header=BB35_1690 Depth=2
	v_or_b32_e32 v35, 0x10000, v33
	v_cmp_eq_u32_sdwa vcc, v33, v3 src0_sel:WORD_0 src1_sel:DWORD
	s_nop 1
	v_cndmask_b32_e32 v35, v35, v33, vcc
; %bb.1798:                             ;   in Loop: Header=BB35_1690 Depth=2
	s_or_b64 exec, exec, s[44:45]
	v_and_b32_e32 v33, 0xffff0000, v66
	v_lshlrev_b32_e32 v27, 16, v27
	v_max_f32_e32 v33, v33, v33
	v_max_f32_e32 v27, v27, v27
	flat_store_short_d16_hi v[8:9], v35 offset:1280 nt
	v_min_f32_e32 v35, v33, v27
	v_max_f32_e32 v27, v33, v27
	v_cndmask_b32_e64 v27, v27, v35, s[26:27]
	v_and_b32_e32 v33, 0x7f800000, v27
	v_cmp_ne_u32_e32 vcc, s51, v33
                                        ; implicit-def: $vgpr33
	s_and_saveexec_b64 s[44:45], vcc
	s_xor_b64 s[44:45], exec, s[44:45]
; %bb.1799:                             ;   in Loop: Header=BB35_1690 Depth=2
	v_bfe_u32 v33, v27, 16, 1
	v_add3_u32 v33, v27, v33, s72
                                        ; implicit-def: $vgpr27
; %bb.1800:                             ;   in Loop: Header=BB35_1690 Depth=2
	s_andn2_saveexec_b64 s[44:45], s[44:45]
; %bb.1801:                             ;   in Loop: Header=BB35_1690 Depth=2
	v_or_b32_e32 v33, 0x10000, v27
	v_cmp_eq_u32_sdwa vcc, v27, v3 src0_sel:WORD_0 src1_sel:DWORD
	s_nop 1
	v_cndmask_b32_e32 v33, v33, v27, vcc
; %bb.1802:                             ;   in Loop: Header=BB35_1690 Depth=2
	s_or_b64 exec, exec, s[44:45]
	v_and_b32_e32 v27, 0xffff0000, v68
	v_lshlrev_b32_e32 v26, 16, v26
	v_max_f32_e32 v27, v27, v27
	v_max_f32_e32 v26, v26, v26
	flat_store_short_d16_hi v[8:9], v33 offset:1408 nt
	v_min_f32_e32 v33, v27, v26
	v_max_f32_e32 v26, v27, v26
	v_cndmask_b32_e64 v26, v26, v33, s[26:27]
	v_and_b32_e32 v27, 0x7f800000, v26
	v_cmp_ne_u32_e32 vcc, s51, v27
                                        ; implicit-def: $vgpr27
	s_and_saveexec_b64 s[44:45], vcc
	s_xor_b64 s[44:45], exec, s[44:45]
; %bb.1803:                             ;   in Loop: Header=BB35_1690 Depth=2
	v_bfe_u32 v27, v26, 16, 1
	v_add3_u32 v27, v26, v27, s72
                                        ; implicit-def: $vgpr26
; %bb.1804:                             ;   in Loop: Header=BB35_1690 Depth=2
	s_andn2_saveexec_b64 s[44:45], s[44:45]
; %bb.1805:                             ;   in Loop: Header=BB35_1690 Depth=2
	v_or_b32_e32 v27, 0x10000, v26
	v_cmp_eq_u32_sdwa vcc, v26, v3 src0_sel:WORD_0 src1_sel:DWORD
	s_nop 1
	v_cndmask_b32_e32 v27, v27, v26, vcc
; %bb.1806:                             ;   in Loop: Header=BB35_1690 Depth=2
	s_or_b64 exec, exec, s[44:45]
	v_and_b32_e32 v26, 0xffff0000, v69
	v_lshlrev_b32_e32 v24, 16, v24
	v_max_f32_e32 v26, v26, v26
	v_max_f32_e32 v24, v24, v24
	flat_store_short_d16_hi v[8:9], v27 offset:1536 nt
	v_min_f32_e32 v27, v26, v24
	v_max_f32_e32 v24, v26, v24
	v_cndmask_b32_e64 v24, v24, v27, s[26:27]
	v_and_b32_e32 v26, 0x7f800000, v24
	v_cmp_ne_u32_e32 vcc, s51, v26
                                        ; implicit-def: $vgpr26
	s_and_saveexec_b64 s[44:45], vcc
	s_xor_b64 s[44:45], exec, s[44:45]
; %bb.1807:                             ;   in Loop: Header=BB35_1690 Depth=2
	v_bfe_u32 v26, v24, 16, 1
	v_add3_u32 v26, v24, v26, s72
                                        ; implicit-def: $vgpr24
; %bb.1808:                             ;   in Loop: Header=BB35_1690 Depth=2
	s_andn2_saveexec_b64 s[44:45], s[44:45]
; %bb.1809:                             ;   in Loop: Header=BB35_1690 Depth=2
	v_or_b32_e32 v26, 0x10000, v24
	v_cmp_eq_u32_sdwa vcc, v24, v3 src0_sel:WORD_0 src1_sel:DWORD
	s_nop 1
	v_cndmask_b32_e32 v26, v26, v24, vcc
; %bb.1810:                             ;   in Loop: Header=BB35_1690 Depth=2
	s_or_b64 exec, exec, s[44:45]
	v_and_b32_e32 v24, 0xffff0000, v70
	v_lshlrev_b32_e32 v22, 16, v22
	v_max_f32_e32 v24, v24, v24
	v_max_f32_e32 v22, v22, v22
	flat_store_short_d16_hi v[8:9], v26 offset:1664 nt
	v_min_f32_e32 v26, v24, v22
	v_max_f32_e32 v22, v24, v22
	v_cndmask_b32_e64 v22, v22, v26, s[26:27]
	v_and_b32_e32 v24, 0x7f800000, v22
	v_cmp_ne_u32_e32 vcc, s51, v24
                                        ; implicit-def: $vgpr24
	s_and_saveexec_b64 s[44:45], vcc
	s_xor_b64 s[44:45], exec, s[44:45]
; %bb.1811:                             ;   in Loop: Header=BB35_1690 Depth=2
	v_bfe_u32 v24, v22, 16, 1
	v_add3_u32 v24, v22, v24, s72
                                        ; implicit-def: $vgpr22
; %bb.1812:                             ;   in Loop: Header=BB35_1690 Depth=2
	s_andn2_saveexec_b64 s[44:45], s[44:45]
; %bb.1813:                             ;   in Loop: Header=BB35_1690 Depth=2
	v_or_b32_e32 v24, 0x10000, v22
	v_cmp_eq_u32_sdwa vcc, v22, v3 src0_sel:WORD_0 src1_sel:DWORD
	s_nop 1
	v_cndmask_b32_e32 v24, v24, v22, vcc
; %bb.1814:                             ;   in Loop: Header=BB35_1690 Depth=2
	s_or_b64 exec, exec, s[44:45]
	v_and_b32_e32 v22, 0xffff0000, v71
	v_lshlrev_b32_e32 v20, 16, v20
	v_max_f32_e32 v22, v22, v22
	v_max_f32_e32 v20, v20, v20
	flat_store_short_d16_hi v[8:9], v24 offset:1792 nt
	v_min_f32_e32 v24, v22, v20
	v_max_f32_e32 v20, v22, v20
	v_cndmask_b32_e64 v20, v20, v24, s[26:27]
	v_and_b32_e32 v22, 0x7f800000, v20
	v_cmp_ne_u32_e32 vcc, s51, v22
                                        ; implicit-def: $vgpr22
	s_and_saveexec_b64 s[44:45], vcc
	s_xor_b64 s[44:45], exec, s[44:45]
; %bb.1815:                             ;   in Loop: Header=BB35_1690 Depth=2
	v_bfe_u32 v22, v20, 16, 1
	v_add3_u32 v22, v20, v22, s72
                                        ; implicit-def: $vgpr20
; %bb.1816:                             ;   in Loop: Header=BB35_1690 Depth=2
	s_andn2_saveexec_b64 s[44:45], s[44:45]
	s_cbranch_execz .LBB35_1689
; %bb.1817:                             ;   in Loop: Header=BB35_1690 Depth=2
	v_or_b32_e32 v22, 0x10000, v20
	v_cmp_eq_u32_sdwa vcc, v20, v3 src0_sel:WORD_0 src1_sel:DWORD
	s_nop 1
	v_cndmask_b32_e32 v22, v22, v20, vcc
	s_branch .LBB35_1689
.LBB35_1818:                            ;   in Loop: Header=BB35_47 Depth=1
	s_or_b64 exec, exec, s[40:41]
.LBB35_1819:                            ;   in Loop: Header=BB35_47 Depth=1
	s_or_b64 exec, exec, s[28:29]
	v_lshlrev_b32_e32 v8, 11, v19
	v_cmp_ne_u32_e32 vcc, v30, v8
	s_and_b64 exec, exec, vcc
	s_cbranch_execz .LBB35_1829
; %bb.1820:                             ;   in Loop: Header=BB35_47 Depth=1
	v_lshlrev_b32_e32 v2, 6, v2
	v_sub_u32_e32 v2, v7, v2
	v_lshlrev_b32_e32 v7, 6, v18
	v_sub_u32_e32 v2, v2, v7
	v_ashrrev_i32_e32 v7, 31, v2
	v_lshrrev_b32_e32 v7, 26, v7
	v_add_u32_e32 v7, v2, v7
	v_and_b32_e32 v9, 0x7fffffc0, v7
	v_sub_u32_e32 v2, v2, v9
	v_lshlrev_b32_e32 v7, 1, v7
	v_and_b32_e32 v7, 0xffffff80, v7
	v_lshlrev_b32_e32 v2, 1, v2
	v_add3_u32 v7, v7, v2, v8
	v_sub_u32_e32 v2, v30, v7
	v_cmp_lt_i32_e32 vcc, 1, v2
	s_and_b64 exec, exec, vcc
	s_cbranch_execz .LBB35_1829
; %bb.1821:                             ;   in Loop: Header=BB35_47 Depth=1
	s_trap 2
	ds_read_b64 v[14:15], v0
	v_add_u32_e32 v6, v7, v6
	s_and_b32 s76, s12, 1
	v_ashrrev_i32_e32 v7, 31, v6
	s_cmp_eq_u64 s[76:77], 0
	s_waitcnt lgkmcnt(0)
	v_lshl_add_u64 v[8:9], v[6:7], 0, v[28:29]
	v_lshl_add_u64 v[10:11], v[6:7], 0, v[86:87]
	;; [unrolled: 1-line block ×5, first 2 shown]
	s_mov_b64 s[44:45], 0
	s_cselect_b64 s[26:27], -1, 0
.LBB35_1822:                            ;   Parent Loop BB35_47 Depth=1
                                        ; =>  This Loop Header: Depth=2
                                        ;       Child Loop BB35_1827 Depth 3
	flat_load_ushort v6, v[14:15] nt
	flat_load_ushort v16, v[12:13] nt
	;; [unrolled: 1-line block ×3, first 2 shown]
	s_waitcnt vmcnt(0) lgkmcnt(0)
	v_lshlrev_b32_e32 v6, 16, v6
	v_lshlrev_b32_e32 v16, 16, v16
	v_max_f32_e32 v6, v6, v6
	v_max_f32_e32 v16, v16, v16
	v_min_f32_e32 v17, v16, v6
	v_max_f32_e32 v6, v16, v6
	v_cndmask_b32_e64 v16, v6, v17, s[26:27]
	v_and_b32_e32 v6, 0x7f800000, v16
	v_cmp_ne_u32_e32 vcc, s51, v6
                                        ; implicit-def: $vgpr6
	s_and_saveexec_b64 s[28:29], vcc
	s_xor_b64 s[28:29], exec, s[28:29]
; %bb.1823:                             ;   in Loop: Header=BB35_1822 Depth=2
	v_bfe_u32 v6, v16, 16, 1
	v_add3_u32 v6, v16, v6, s72
                                        ; implicit-def: $vgpr16
; %bb.1824:                             ;   in Loop: Header=BB35_1822 Depth=2
	s_andn2_saveexec_b64 s[28:29], s[28:29]
; %bb.1825:                             ;   in Loop: Header=BB35_1822 Depth=2
	v_or_b32_e32 v6, 0x10000, v16
	v_cmp_eq_u32_sdwa vcc, v16, v3 src0_sel:WORD_0 src1_sel:DWORD
	s_nop 1
	v_cndmask_b32_e32 v6, v6, v16, vcc
; %bb.1826:                             ;   in Loop: Header=BB35_1822 Depth=2
	s_or_b64 exec, exec, s[28:29]
	v_and_b32_e32 v16, 0xffff0000, v6
	v_lshlrev_b32_e32 v7, 16, v7
	v_max_f32_e32 v16, v16, v16
	v_max_f32_e32 v7, v7, v7
	v_min_f32_e32 v17, v16, v7
	v_max_f32_e32 v7, v16, v7
	v_cndmask_b32_e64 v7, v7, v17, s[26:27]
	v_and_b32_e32 v16, 0x7f800000, v7
	v_bfe_u32 v17, v7, 16, 1
	v_or_b32_e32 v18, 0x10000, v7
	v_cmp_eq_u32_sdwa vcc, v7, v3 src0_sel:WORD_0 src1_sel:DWORD
	v_add3_u32 v17, v7, v17, s72
	s_mov_b64 s[56:57], 0
	v_cndmask_b32_e32 v7, v18, v7, vcc
	v_cmp_eq_u32_e32 vcc, s51, v16
	s_mov_b64 s[46:47], -1
	s_nop 0
	v_cndmask_b32_e32 v7, v17, v7, vcc
.LBB35_1827:                            ;   Parent Loop BB35_47 Depth=1
                                        ;     Parent Loop BB35_1822 Depth=2
                                        ; =>    This Inner Loop Header: Depth=3
	v_cndmask_b32_e64 v16, 0, 1, s[46:47]
	s_cmp_eq_u32 s56, 1
	v_cmp_ne_u32_e32 vcc, 1, v16
	s_cselect_b64 s[28:29], -1, 0
	v_cndmask_b32_e64 v20, v6, v7, s[46:47]
	v_cndmask_b32_e32 v17, v11, v1, vcc
	v_cndmask_b32_e64 v19, v11, v1, s[28:29]
	s_cmp_eq_u32 s56, 0
	v_cndmask_b32_e32 v16, v10, v0, vcc
	v_cndmask_b32_e64 v18, v10, v0, s[28:29]
	flat_store_short_d16_hi v[16:17], v20 nt
	v_lshl_add_u64 v[16:17], v[18:19], 0, s[94:95]
	s_cselect_b64 vcc, -1, 0
	s_and_b64 s[40:41], exec, s[46:47]
	s_mov_b64 s[56:57], 1
	s_mov_b64 s[46:47], 0
	v_cndmask_b32_e64 v1, v1, v17, s[28:29]
	v_cndmask_b32_e64 v0, v0, v16, s[28:29]
	v_cndmask_b32_e32 v11, v11, v17, vcc
	v_cndmask_b32_e32 v10, v10, v16, vcc
	s_mov_b64 vcc, s[40:41]
	s_cbranch_vccnz .LBB35_1827
; %bb.1828:                             ;   in Loop: Header=BB35_1822 Depth=2
	scratch_load_dwordx2 v[6:7], off, s33 offset:368 ; 8-byte Folded Reload
	scratch_load_dwordx2 v[16:17], off, s33 offset:376 ; 8-byte Folded Reload
	s_waitcnt vmcnt(0)
	v_lshl_add_u64 v[10:11], v[10:11], 0, v[6:7]
	v_lshl_add_u64 v[0:1], v[0:1], 0, v[6:7]
	scratch_load_dwordx2 v[6:7], off, s33 offset:344 ; 8-byte Folded Reload
	v_lshl_add_u64 v[12:13], v[12:13], 0, v[16:17]
	v_lshl_add_u64 v[14:15], v[14:15], 0, v[16:17]
	;; [unrolled: 1-line block ×3, first 2 shown]
	s_waitcnt vmcnt(0)
	v_sub_u32_e32 v2, v2, v6
	v_cmp_gt_i32_e32 vcc, 2, v2
	s_or_b64 s[44:45], vcc, s[44:45]
	s_andn2_b64 exec, exec, s[44:45]
	s_cbranch_execnz .LBB35_1822
.LBB35_1829:                            ;   in Loop: Header=BB35_47 Depth=1
	s_or_b64 exec, exec, s[42:43]
	s_branch .LBB35_1373
.LBB35_1830:                            ;   in Loop: Header=BB35_47 Depth=1
	s_mov_b64 s[28:29], -1
	s_and_saveexec_b64 s[26:27], s[20:21]
	s_cbranch_execz .LBB35_1832
; %bb.1831:                             ;   in Loop: Header=BB35_47 Depth=1
	ds_read_b32 v0, v0 offset:720
	s_waitcnt lgkmcnt(0)
	v_and_b32_e32 v0, 15, v0
	v_cmp_eq_u32_e32 vcc, 0, v0
	s_orn2_b64 s[28:29], vcc, exec
.LBB35_1832:                            ;   in Loop: Header=BB35_47 Depth=1
	s_or_b64 exec, exec, s[26:27]
	s_and_saveexec_b64 s[26:27], s[16:17]
	s_cbranch_execz .LBB35_1834
; %bb.1833:                             ;   in Loop: Header=BB35_47 Depth=1
	ds_read_b32 v0, v0 offset:784
	s_waitcnt lgkmcnt(0)
	v_and_b32_e32 v0, 15, v0
	v_cmp_eq_u32_e32 vcc, 0, v0
	s_and_b64 s[40:41], s[28:29], vcc
	s_andn2_b64 s[28:29], s[28:29], exec
	s_and_b64 s[40:41], s[40:41], exec
	s_or_b64 s[28:29], s[28:29], s[40:41]
.LBB35_1834:                            ;   in Loop: Header=BB35_47 Depth=1
	s_or_b64 exec, exec, s[26:27]
	s_xor_b64 s[28:29], s[28:29], -1
	v_cndmask_b32_e64 v0, 0, 1, s[28:29]
	v_lshlrev_b32_e32 v2, 1, v85
	s_mov_b64 s[26:27], -1
	v_mov_b32_e32 v7, 0
	v_cmp_ne_u32_e32 vcc, 0, v0
	s_cbranch_vccz .LBB35_1836
; %bb.1835:                             ;   in Loop: Header=BB35_47 Depth=1
	v_mov_b32_e32 v14, v31
	s_and_saveexec_b64 s[28:29], s[26:27]
	s_cbranch_execnz .LBB35_2135
	s_branch .LBB35_2275
.LBB35_1836:                            ;   in Loop: Header=BB35_47 Depth=1
	v_ashrrev_i32_e32 v0, 31, v2
	v_lshrrev_b32_e32 v0, 20, v0
	v_add_u32_e32 v0, v2, v0
	v_ashrrev_i32_e32 v7, 12, v0
	v_lshrrev_b32_e32 v0, 6, v31
	v_sub_u32_e32 v6, v7, v0
	v_cmp_lt_i32_e32 vcc, 0, v6
	s_and_saveexec_b64 s[28:29], vcc
	s_cbranch_execz .LBB35_2096
; %bb.1837:                             ;   in Loop: Header=BB35_47 Depth=1
	s_trap 2
	scratch_load_dwordx2 v[10:11], off, s33 offset:320 ; 8-byte Folded Reload
	scratch_load_dwordx2 v[98:99], off, s33 offset:492 ; 8-byte Folded Reload
	ds_read_b64 v[8:9], v0
	s_and_b32 s76, s12, 1
	s_cmp_eq_u64 s[76:77], 0
	s_mov_b64 s[40:41], 0
	s_cselect_b64 vcc, -1, 0
	s_waitcnt vmcnt(0)
	v_lshl_add_u64 v[0:1], v[96:97], 0, v[10:11]
	s_waitcnt lgkmcnt(0)
	v_lshl_add_u64 v[28:29], v[8:9], 0, v[10:11]
	s_branch .LBB35_1839
.LBB35_1838:                            ;   in Loop: Header=BB35_1839 Depth=2
	s_or_b64 exec, exec, s[42:43]
	v_lshrrev_b32_e32 v12, 16, v12
	v_and_or_b32 v8, v8, s73, v12
	v_lshrrev_b32_e32 v12, 16, v14
	v_lshrrev_b32_e32 v13, 16, v13
	v_and_or_b32 v10, v10, s73, v12
	v_lshrrev_b32_e32 v12, 16, v15
	v_and_or_b32 v9, v9, s73, v13
	v_and_or_b32 v11, v11, s73, v12
	global_store_dwordx4 v[20:21], v[8:11], off
	scratch_load_dwordx2 v[8:9], off, s33 offset:328 ; 8-byte Folded Reload
	v_sub_u32_e32 v6, v6, v60
	v_cmp_gt_i32_e64 s[26:27], 1, v6
	s_or_b64 s[40:41], s[26:27], s[40:41]
	v_lshl_add_u64 v[98:99], v[98:99], 0, v[116:117]
	s_waitcnt vmcnt(0)
	v_lshl_add_u64 v[0:1], v[0:1], 0, v[8:9]
	v_lshl_add_u64 v[28:29], v[28:29], 0, v[8:9]
	s_andn2_b64 exec, exec, s[40:41]
	s_cbranch_execz .LBB35_2095
.LBB35_1839:                            ;   Parent Loop BB35_47 Depth=1
                                        ; =>  This Inner Loop Header: Depth=2
	global_load_dwordx4 v[68:71], v[0:1], off nt
	global_load_dwordx4 v[52:55], v[0:1], off offset:1024 nt
	global_load_dwordx4 v[80:83], v[28:29], off nt
	global_load_dwordx4 v[20:23], v[98:99], off offset:-3072 nt
	global_load_dwordx4 v[16:19], v[98:99], off offset:-2048 nt
	global_load_dwordx4 v[36:39], v[0:1], off offset:2048 nt
	global_load_dwordx4 v[24:27], v[0:1], off offset:3072 nt
	global_load_dwordx4 v[12:15], v[98:99], off offset:-1024 nt
	global_load_dwordx4 v[8:11], v[98:99], off nt
	global_load_dwordx4 v[64:67], v[28:29], off offset:1024 nt
	global_load_dwordx4 v[48:51], v[28:29], off offset:2048 nt
	;; [unrolled: 1-line block ×3, first 2 shown]
	s_waitcnt vmcnt(11)
	v_lshlrev_b32_e32 v30, 16, v68
	v_max_f32_e32 v30, v30, v30
	s_waitcnt vmcnt(9)
	v_lshlrev_b32_e32 v100, 16, v80
	v_max_f32_e32 v100, v100, v100
	v_min_f32_e32 v101, v30, v100
	v_max_f32_e32 v30, v30, v100
	v_cndmask_b32_e32 v30, v30, v101, vcc
	v_and_b32_e32 v100, 0x7f800000, v30
	v_cmp_ne_u32_e64 s[26:27], s51, v100
                                        ; implicit-def: $vgpr100
	s_and_saveexec_b64 s[42:43], s[26:27]
	s_xor_b64 s[26:27], exec, s[42:43]
; %bb.1840:                             ;   in Loop: Header=BB35_1839 Depth=2
	v_bfe_u32 v100, v30, 16, 1
	v_add3_u32 v100, v30, v100, s72
                                        ; implicit-def: $vgpr30
; %bb.1841:                             ;   in Loop: Header=BB35_1839 Depth=2
	s_andn2_saveexec_b64 s[42:43], s[26:27]
; %bb.1842:                             ;   in Loop: Header=BB35_1839 Depth=2
	v_or_b32_e32 v100, 0x10000, v30
	v_cmp_eq_u32_sdwa s[26:27], v30, v3 src0_sel:WORD_0 src1_sel:DWORD
	s_nop 1
	v_cndmask_b32_e64 v100, v100, v30, s[26:27]
; %bb.1843:                             ;   in Loop: Header=BB35_1839 Depth=2
	s_or_b64 exec, exec, s[42:43]
	v_and_b32_e32 v30, 0xffff0000, v68
	v_and_b32_e32 v68, 0xffff0000, v80
	v_max_f32_e32 v68, v68, v68
	v_max_f32_e32 v30, v30, v30
	v_min_f32_e32 v80, v30, v68
	v_max_f32_e32 v30, v30, v68
	v_cndmask_b32_e32 v30, v30, v80, vcc
	v_and_b32_e32 v68, 0x7f800000, v30
	v_cmp_ne_u32_e64 s[26:27], s51, v68
                                        ; implicit-def: $vgpr68
	s_and_saveexec_b64 s[42:43], s[26:27]
	s_xor_b64 s[26:27], exec, s[42:43]
; %bb.1844:                             ;   in Loop: Header=BB35_1839 Depth=2
	v_bfe_u32 v68, v30, 16, 1
	v_add3_u32 v68, v30, v68, s72
                                        ; implicit-def: $vgpr30
; %bb.1845:                             ;   in Loop: Header=BB35_1839 Depth=2
	s_andn2_saveexec_b64 s[42:43], s[26:27]
; %bb.1846:                             ;   in Loop: Header=BB35_1839 Depth=2
	v_or_b32_e32 v68, 0x10000, v30
	v_cmp_eq_u32_sdwa s[26:27], v30, v3 src0_sel:WORD_0 src1_sel:DWORD
	s_nop 1
	v_cndmask_b32_e64 v68, v68, v30, s[26:27]
; %bb.1847:                             ;   in Loop: Header=BB35_1839 Depth=2
	s_or_b64 exec, exec, s[42:43]
	v_lshlrev_b32_e32 v30, 16, v69
	v_lshlrev_b32_e32 v80, 16, v81
	v_max_f32_e32 v80, v80, v80
	v_max_f32_e32 v30, v30, v30
	v_min_f32_e32 v101, v30, v80
	v_max_f32_e32 v30, v30, v80
	v_cndmask_b32_e32 v30, v30, v101, vcc
	v_and_b32_e32 v80, 0x7f800000, v30
	v_cmp_ne_u32_e64 s[26:27], s51, v80
                                        ; implicit-def: $vgpr80
	s_and_saveexec_b64 s[42:43], s[26:27]
	s_xor_b64 s[26:27], exec, s[42:43]
; %bb.1848:                             ;   in Loop: Header=BB35_1839 Depth=2
	v_bfe_u32 v80, v30, 16, 1
	v_add3_u32 v80, v30, v80, s72
                                        ; implicit-def: $vgpr30
; %bb.1849:                             ;   in Loop: Header=BB35_1839 Depth=2
	s_andn2_saveexec_b64 s[42:43], s[26:27]
; %bb.1850:                             ;   in Loop: Header=BB35_1839 Depth=2
	v_or_b32_e32 v80, 0x10000, v30
	v_cmp_eq_u32_sdwa s[26:27], v30, v3 src0_sel:WORD_0 src1_sel:DWORD
	s_nop 1
	v_cndmask_b32_e64 v80, v80, v30, s[26:27]
; %bb.1851:                             ;   in Loop: Header=BB35_1839 Depth=2
	s_or_b64 exec, exec, s[42:43]
	v_and_b32_e32 v30, 0xffff0000, v69
	v_and_b32_e32 v69, 0xffff0000, v81
	v_max_f32_e32 v69, v69, v69
	v_max_f32_e32 v30, v30, v30
	v_min_f32_e32 v81, v30, v69
	v_max_f32_e32 v30, v30, v69
	v_cndmask_b32_e32 v30, v30, v81, vcc
	v_and_b32_e32 v69, 0x7f800000, v30
	v_cmp_ne_u32_e64 s[26:27], s51, v69
                                        ; implicit-def: $vgpr69
	s_and_saveexec_b64 s[42:43], s[26:27]
	s_xor_b64 s[26:27], exec, s[42:43]
; %bb.1852:                             ;   in Loop: Header=BB35_1839 Depth=2
	v_bfe_u32 v69, v30, 16, 1
	v_add3_u32 v69, v30, v69, s72
                                        ; implicit-def: $vgpr30
; %bb.1853:                             ;   in Loop: Header=BB35_1839 Depth=2
	s_andn2_saveexec_b64 s[42:43], s[26:27]
; %bb.1854:                             ;   in Loop: Header=BB35_1839 Depth=2
	v_or_b32_e32 v69, 0x10000, v30
	v_cmp_eq_u32_sdwa s[26:27], v30, v3 src0_sel:WORD_0 src1_sel:DWORD
	s_nop 1
	v_cndmask_b32_e64 v69, v69, v30, s[26:27]
; %bb.1855:                             ;   in Loop: Header=BB35_1839 Depth=2
	s_or_b64 exec, exec, s[42:43]
	v_lshlrev_b32_e32 v30, 16, v70
	v_lshlrev_b32_e32 v81, 16, v82
	v_max_f32_e32 v81, v81, v81
	v_max_f32_e32 v30, v30, v30
	v_min_f32_e32 v101, v30, v81
	v_max_f32_e32 v30, v30, v81
	v_cndmask_b32_e32 v30, v30, v101, vcc
	v_and_b32_e32 v81, 0x7f800000, v30
	v_cmp_ne_u32_e64 s[26:27], s51, v81
                                        ; implicit-def: $vgpr81
	s_and_saveexec_b64 s[42:43], s[26:27]
	s_xor_b64 s[26:27], exec, s[42:43]
; %bb.1856:                             ;   in Loop: Header=BB35_1839 Depth=2
	v_bfe_u32 v81, v30, 16, 1
	v_add3_u32 v81, v30, v81, s72
                                        ; implicit-def: $vgpr30
; %bb.1857:                             ;   in Loop: Header=BB35_1839 Depth=2
	s_andn2_saveexec_b64 s[42:43], s[26:27]
; %bb.1858:                             ;   in Loop: Header=BB35_1839 Depth=2
	v_or_b32_e32 v81, 0x10000, v30
	v_cmp_eq_u32_sdwa s[26:27], v30, v3 src0_sel:WORD_0 src1_sel:DWORD
	s_nop 1
	v_cndmask_b32_e64 v81, v81, v30, s[26:27]
; %bb.1859:                             ;   in Loop: Header=BB35_1839 Depth=2
	s_or_b64 exec, exec, s[42:43]
	v_and_b32_e32 v30, 0xffff0000, v70
	v_and_b32_e32 v70, 0xffff0000, v82
	v_max_f32_e32 v70, v70, v70
	v_max_f32_e32 v30, v30, v30
	v_min_f32_e32 v82, v30, v70
	v_max_f32_e32 v30, v30, v70
	v_cndmask_b32_e32 v30, v30, v82, vcc
	v_and_b32_e32 v70, 0x7f800000, v30
	v_cmp_ne_u32_e64 s[26:27], s51, v70
                                        ; implicit-def: $vgpr70
	s_and_saveexec_b64 s[42:43], s[26:27]
	s_xor_b64 s[26:27], exec, s[42:43]
; %bb.1860:                             ;   in Loop: Header=BB35_1839 Depth=2
	v_bfe_u32 v70, v30, 16, 1
	v_add3_u32 v70, v30, v70, s72
                                        ; implicit-def: $vgpr30
; %bb.1861:                             ;   in Loop: Header=BB35_1839 Depth=2
	s_andn2_saveexec_b64 s[42:43], s[26:27]
; %bb.1862:                             ;   in Loop: Header=BB35_1839 Depth=2
	v_or_b32_e32 v70, 0x10000, v30
	v_cmp_eq_u32_sdwa s[26:27], v30, v3 src0_sel:WORD_0 src1_sel:DWORD
	s_nop 1
	v_cndmask_b32_e64 v70, v70, v30, s[26:27]
; %bb.1863:                             ;   in Loop: Header=BB35_1839 Depth=2
	s_or_b64 exec, exec, s[42:43]
	v_lshlrev_b32_e32 v30, 16, v71
	v_lshlrev_b32_e32 v82, 16, v83
	v_max_f32_e32 v82, v82, v82
	v_max_f32_e32 v30, v30, v30
	v_min_f32_e32 v101, v30, v82
	v_max_f32_e32 v30, v30, v82
	v_cndmask_b32_e32 v30, v30, v101, vcc
	v_and_b32_e32 v82, 0x7f800000, v30
	v_cmp_ne_u32_e64 s[26:27], s51, v82
                                        ; implicit-def: $vgpr82
	s_and_saveexec_b64 s[42:43], s[26:27]
	s_xor_b64 s[26:27], exec, s[42:43]
; %bb.1864:                             ;   in Loop: Header=BB35_1839 Depth=2
	v_bfe_u32 v82, v30, 16, 1
	v_add3_u32 v82, v30, v82, s72
                                        ; implicit-def: $vgpr30
; %bb.1865:                             ;   in Loop: Header=BB35_1839 Depth=2
	s_andn2_saveexec_b64 s[42:43], s[26:27]
; %bb.1866:                             ;   in Loop: Header=BB35_1839 Depth=2
	v_or_b32_e32 v82, 0x10000, v30
	v_cmp_eq_u32_sdwa s[26:27], v30, v3 src0_sel:WORD_0 src1_sel:DWORD
	s_nop 1
	v_cndmask_b32_e64 v82, v82, v30, s[26:27]
; %bb.1867:                             ;   in Loop: Header=BB35_1839 Depth=2
	s_or_b64 exec, exec, s[42:43]
	v_and_b32_e32 v30, 0xffff0000, v71
	v_and_b32_e32 v71, 0xffff0000, v83
	v_max_f32_e32 v71, v71, v71
	v_max_f32_e32 v30, v30, v30
	v_min_f32_e32 v83, v30, v71
	v_max_f32_e32 v30, v30, v71
	v_cndmask_b32_e32 v30, v30, v83, vcc
	v_and_b32_e32 v71, 0x7f800000, v30
	v_cmp_ne_u32_e64 s[26:27], s51, v71
                                        ; implicit-def: $vgpr71
	s_and_saveexec_b64 s[42:43], s[26:27]
	s_xor_b64 s[26:27], exec, s[42:43]
; %bb.1868:                             ;   in Loop: Header=BB35_1839 Depth=2
	v_bfe_u32 v71, v30, 16, 1
	v_add3_u32 v71, v30, v71, s72
                                        ; implicit-def: $vgpr30
; %bb.1869:                             ;   in Loop: Header=BB35_1839 Depth=2
	s_andn2_saveexec_b64 s[42:43], s[26:27]
; %bb.1870:                             ;   in Loop: Header=BB35_1839 Depth=2
	v_or_b32_e32 v71, 0x10000, v30
	v_cmp_eq_u32_sdwa s[26:27], v30, v3 src0_sel:WORD_0 src1_sel:DWORD
	s_nop 1
	v_cndmask_b32_e64 v71, v71, v30, s[26:27]
; %bb.1871:                             ;   in Loop: Header=BB35_1839 Depth=2
	s_or_b64 exec, exec, s[42:43]
	v_lshlrev_b32_e32 v30, 16, v52
	s_waitcnt vmcnt(2)
	v_lshlrev_b32_e32 v83, 16, v64
	v_max_f32_e32 v83, v83, v83
	v_max_f32_e32 v30, v30, v30
	v_min_f32_e32 v101, v30, v83
	v_max_f32_e32 v30, v30, v83
	v_cndmask_b32_e32 v30, v30, v101, vcc
	v_and_b32_e32 v83, 0x7f800000, v30
	v_cmp_ne_u32_e64 s[26:27], s51, v83
                                        ; implicit-def: $vgpr83
	s_and_saveexec_b64 s[42:43], s[26:27]
	s_xor_b64 s[26:27], exec, s[42:43]
; %bb.1872:                             ;   in Loop: Header=BB35_1839 Depth=2
	v_bfe_u32 v83, v30, 16, 1
	v_add3_u32 v83, v30, v83, s72
                                        ; implicit-def: $vgpr30
; %bb.1873:                             ;   in Loop: Header=BB35_1839 Depth=2
	s_andn2_saveexec_b64 s[42:43], s[26:27]
; %bb.1874:                             ;   in Loop: Header=BB35_1839 Depth=2
	v_or_b32_e32 v83, 0x10000, v30
	v_cmp_eq_u32_sdwa s[26:27], v30, v3 src0_sel:WORD_0 src1_sel:DWORD
	s_nop 1
	v_cndmask_b32_e64 v83, v83, v30, s[26:27]
; %bb.1875:                             ;   in Loop: Header=BB35_1839 Depth=2
	s_or_b64 exec, exec, s[42:43]
	v_and_b32_e32 v30, 0xffff0000, v52
	v_and_b32_e32 v52, 0xffff0000, v64
	v_max_f32_e32 v52, v52, v52
	v_max_f32_e32 v30, v30, v30
	v_min_f32_e32 v64, v30, v52
	v_max_f32_e32 v30, v30, v52
	v_cndmask_b32_e32 v30, v30, v64, vcc
	v_and_b32_e32 v52, 0x7f800000, v30
	v_cmp_ne_u32_e64 s[26:27], s51, v52
                                        ; implicit-def: $vgpr52
	s_and_saveexec_b64 s[42:43], s[26:27]
	s_xor_b64 s[26:27], exec, s[42:43]
; %bb.1876:                             ;   in Loop: Header=BB35_1839 Depth=2
	v_bfe_u32 v52, v30, 16, 1
	v_add3_u32 v52, v30, v52, s72
                                        ; implicit-def: $vgpr30
; %bb.1877:                             ;   in Loop: Header=BB35_1839 Depth=2
	s_andn2_saveexec_b64 s[42:43], s[26:27]
; %bb.1878:                             ;   in Loop: Header=BB35_1839 Depth=2
	v_or_b32_e32 v52, 0x10000, v30
	v_cmp_eq_u32_sdwa s[26:27], v30, v3 src0_sel:WORD_0 src1_sel:DWORD
	s_nop 1
	v_cndmask_b32_e64 v52, v52, v30, s[26:27]
; %bb.1879:                             ;   in Loop: Header=BB35_1839 Depth=2
	s_or_b64 exec, exec, s[42:43]
	v_lshlrev_b32_e32 v30, 16, v53
	v_lshlrev_b32_e32 v64, 16, v65
	v_max_f32_e32 v64, v64, v64
	v_max_f32_e32 v30, v30, v30
	v_min_f32_e32 v101, v30, v64
	v_max_f32_e32 v30, v30, v64
	v_cndmask_b32_e32 v30, v30, v101, vcc
	v_and_b32_e32 v64, 0x7f800000, v30
	v_cmp_ne_u32_e64 s[26:27], s51, v64
                                        ; implicit-def: $vgpr64
	s_and_saveexec_b64 s[42:43], s[26:27]
	s_xor_b64 s[26:27], exec, s[42:43]
; %bb.1880:                             ;   in Loop: Header=BB35_1839 Depth=2
	v_bfe_u32 v64, v30, 16, 1
	v_add3_u32 v64, v30, v64, s72
                                        ; implicit-def: $vgpr30
; %bb.1881:                             ;   in Loop: Header=BB35_1839 Depth=2
	s_andn2_saveexec_b64 s[42:43], s[26:27]
; %bb.1882:                             ;   in Loop: Header=BB35_1839 Depth=2
	v_or_b32_e32 v64, 0x10000, v30
	v_cmp_eq_u32_sdwa s[26:27], v30, v3 src0_sel:WORD_0 src1_sel:DWORD
	s_nop 1
	v_cndmask_b32_e64 v64, v64, v30, s[26:27]
; %bb.1883:                             ;   in Loop: Header=BB35_1839 Depth=2
	s_or_b64 exec, exec, s[42:43]
	v_and_b32_e32 v30, 0xffff0000, v53
	v_and_b32_e32 v53, 0xffff0000, v65
	v_max_f32_e32 v53, v53, v53
	v_max_f32_e32 v30, v30, v30
	v_min_f32_e32 v65, v30, v53
	v_max_f32_e32 v30, v30, v53
	v_cndmask_b32_e32 v30, v30, v65, vcc
	v_and_b32_e32 v53, 0x7f800000, v30
	v_cmp_ne_u32_e64 s[26:27], s51, v53
                                        ; implicit-def: $vgpr53
	s_and_saveexec_b64 s[42:43], s[26:27]
	s_xor_b64 s[26:27], exec, s[42:43]
; %bb.1884:                             ;   in Loop: Header=BB35_1839 Depth=2
	v_bfe_u32 v53, v30, 16, 1
	v_add3_u32 v53, v30, v53, s72
                                        ; implicit-def: $vgpr30
; %bb.1885:                             ;   in Loop: Header=BB35_1839 Depth=2
	s_andn2_saveexec_b64 s[42:43], s[26:27]
; %bb.1886:                             ;   in Loop: Header=BB35_1839 Depth=2
	v_or_b32_e32 v53, 0x10000, v30
	v_cmp_eq_u32_sdwa s[26:27], v30, v3 src0_sel:WORD_0 src1_sel:DWORD
	s_nop 1
	v_cndmask_b32_e64 v53, v53, v30, s[26:27]
; %bb.1887:                             ;   in Loop: Header=BB35_1839 Depth=2
	s_or_b64 exec, exec, s[42:43]
	v_lshlrev_b32_e32 v30, 16, v54
	v_lshlrev_b32_e32 v65, 16, v66
	v_max_f32_e32 v65, v65, v65
	v_max_f32_e32 v30, v30, v30
	v_min_f32_e32 v101, v30, v65
	v_max_f32_e32 v30, v30, v65
	v_cndmask_b32_e32 v30, v30, v101, vcc
	v_and_b32_e32 v65, 0x7f800000, v30
	v_cmp_ne_u32_e64 s[26:27], s51, v65
                                        ; implicit-def: $vgpr65
	s_and_saveexec_b64 s[42:43], s[26:27]
	s_xor_b64 s[26:27], exec, s[42:43]
; %bb.1888:                             ;   in Loop: Header=BB35_1839 Depth=2
	v_bfe_u32 v65, v30, 16, 1
	v_add3_u32 v65, v30, v65, s72
                                        ; implicit-def: $vgpr30
; %bb.1889:                             ;   in Loop: Header=BB35_1839 Depth=2
	s_andn2_saveexec_b64 s[42:43], s[26:27]
; %bb.1890:                             ;   in Loop: Header=BB35_1839 Depth=2
	v_or_b32_e32 v65, 0x10000, v30
	v_cmp_eq_u32_sdwa s[26:27], v30, v3 src0_sel:WORD_0 src1_sel:DWORD
	s_nop 1
	v_cndmask_b32_e64 v65, v65, v30, s[26:27]
; %bb.1891:                             ;   in Loop: Header=BB35_1839 Depth=2
	s_or_b64 exec, exec, s[42:43]
	v_and_b32_e32 v30, 0xffff0000, v54
	v_and_b32_e32 v54, 0xffff0000, v66
	v_max_f32_e32 v54, v54, v54
	v_max_f32_e32 v30, v30, v30
	v_min_f32_e32 v66, v30, v54
	v_max_f32_e32 v30, v30, v54
	v_cndmask_b32_e32 v30, v30, v66, vcc
	v_and_b32_e32 v54, 0x7f800000, v30
	v_cmp_ne_u32_e64 s[26:27], s51, v54
                                        ; implicit-def: $vgpr54
	s_and_saveexec_b64 s[42:43], s[26:27]
	s_xor_b64 s[26:27], exec, s[42:43]
; %bb.1892:                             ;   in Loop: Header=BB35_1839 Depth=2
	v_bfe_u32 v54, v30, 16, 1
	v_add3_u32 v54, v30, v54, s72
                                        ; implicit-def: $vgpr30
; %bb.1893:                             ;   in Loop: Header=BB35_1839 Depth=2
	s_andn2_saveexec_b64 s[42:43], s[26:27]
; %bb.1894:                             ;   in Loop: Header=BB35_1839 Depth=2
	v_or_b32_e32 v54, 0x10000, v30
	v_cmp_eq_u32_sdwa s[26:27], v30, v3 src0_sel:WORD_0 src1_sel:DWORD
	s_nop 1
	v_cndmask_b32_e64 v54, v54, v30, s[26:27]
; %bb.1895:                             ;   in Loop: Header=BB35_1839 Depth=2
	s_or_b64 exec, exec, s[42:43]
	v_lshlrev_b32_e32 v30, 16, v55
	v_lshlrev_b32_e32 v66, 16, v67
	v_max_f32_e32 v66, v66, v66
	v_max_f32_e32 v30, v30, v30
	v_min_f32_e32 v101, v30, v66
	v_max_f32_e32 v30, v30, v66
	v_cndmask_b32_e32 v30, v30, v101, vcc
	v_and_b32_e32 v66, 0x7f800000, v30
	v_cmp_ne_u32_e64 s[26:27], s51, v66
                                        ; implicit-def: $vgpr66
	s_and_saveexec_b64 s[42:43], s[26:27]
	s_xor_b64 s[26:27], exec, s[42:43]
; %bb.1896:                             ;   in Loop: Header=BB35_1839 Depth=2
	v_bfe_u32 v66, v30, 16, 1
	v_add3_u32 v66, v30, v66, s72
                                        ; implicit-def: $vgpr30
; %bb.1897:                             ;   in Loop: Header=BB35_1839 Depth=2
	s_andn2_saveexec_b64 s[42:43], s[26:27]
; %bb.1898:                             ;   in Loop: Header=BB35_1839 Depth=2
	v_or_b32_e32 v66, 0x10000, v30
	v_cmp_eq_u32_sdwa s[26:27], v30, v3 src0_sel:WORD_0 src1_sel:DWORD
	s_nop 1
	v_cndmask_b32_e64 v66, v66, v30, s[26:27]
; %bb.1899:                             ;   in Loop: Header=BB35_1839 Depth=2
	s_or_b64 exec, exec, s[42:43]
	v_and_b32_e32 v30, 0xffff0000, v55
	v_and_b32_e32 v55, 0xffff0000, v67
	v_max_f32_e32 v55, v55, v55
	v_max_f32_e32 v30, v30, v30
	v_min_f32_e32 v67, v30, v55
	v_max_f32_e32 v30, v30, v55
	v_cndmask_b32_e32 v30, v30, v67, vcc
	v_and_b32_e32 v55, 0x7f800000, v30
	v_cmp_ne_u32_e64 s[26:27], s51, v55
                                        ; implicit-def: $vgpr55
	s_and_saveexec_b64 s[42:43], s[26:27]
	s_xor_b64 s[26:27], exec, s[42:43]
; %bb.1900:                             ;   in Loop: Header=BB35_1839 Depth=2
	v_bfe_u32 v55, v30, 16, 1
	v_add3_u32 v55, v30, v55, s72
                                        ; implicit-def: $vgpr30
; %bb.1901:                             ;   in Loop: Header=BB35_1839 Depth=2
	s_andn2_saveexec_b64 s[42:43], s[26:27]
; %bb.1902:                             ;   in Loop: Header=BB35_1839 Depth=2
	v_or_b32_e32 v55, 0x10000, v30
	v_cmp_eq_u32_sdwa s[26:27], v30, v3 src0_sel:WORD_0 src1_sel:DWORD
	s_nop 1
	v_cndmask_b32_e64 v55, v55, v30, s[26:27]
; %bb.1903:                             ;   in Loop: Header=BB35_1839 Depth=2
	s_or_b64 exec, exec, s[42:43]
	v_lshlrev_b32_e32 v30, 16, v36
	s_waitcnt vmcnt(1)
	v_lshlrev_b32_e32 v67, 16, v48
	v_max_f32_e32 v67, v67, v67
	v_max_f32_e32 v30, v30, v30
	v_min_f32_e32 v101, v30, v67
	v_max_f32_e32 v30, v30, v67
	v_cndmask_b32_e32 v30, v30, v101, vcc
	v_and_b32_e32 v67, 0x7f800000, v30
	v_cmp_ne_u32_e64 s[26:27], s51, v67
                                        ; implicit-def: $vgpr67
	s_and_saveexec_b64 s[42:43], s[26:27]
	s_xor_b64 s[26:27], exec, s[42:43]
; %bb.1904:                             ;   in Loop: Header=BB35_1839 Depth=2
	v_bfe_u32 v67, v30, 16, 1
	v_add3_u32 v67, v30, v67, s72
                                        ; implicit-def: $vgpr30
; %bb.1905:                             ;   in Loop: Header=BB35_1839 Depth=2
	s_andn2_saveexec_b64 s[42:43], s[26:27]
; %bb.1906:                             ;   in Loop: Header=BB35_1839 Depth=2
	v_or_b32_e32 v67, 0x10000, v30
	v_cmp_eq_u32_sdwa s[26:27], v30, v3 src0_sel:WORD_0 src1_sel:DWORD
	s_nop 1
	v_cndmask_b32_e64 v67, v67, v30, s[26:27]
; %bb.1907:                             ;   in Loop: Header=BB35_1839 Depth=2
	s_or_b64 exec, exec, s[42:43]
	v_and_b32_e32 v30, 0xffff0000, v36
	v_and_b32_e32 v36, 0xffff0000, v48
	v_max_f32_e32 v36, v36, v36
	v_max_f32_e32 v30, v30, v30
	v_min_f32_e32 v48, v30, v36
	v_max_f32_e32 v30, v30, v36
	v_cndmask_b32_e32 v30, v30, v48, vcc
	v_and_b32_e32 v36, 0x7f800000, v30
	v_cmp_ne_u32_e64 s[26:27], s51, v36
                                        ; implicit-def: $vgpr36
	s_and_saveexec_b64 s[42:43], s[26:27]
	s_xor_b64 s[26:27], exec, s[42:43]
; %bb.1908:                             ;   in Loop: Header=BB35_1839 Depth=2
	v_bfe_u32 v36, v30, 16, 1
	v_add3_u32 v36, v30, v36, s72
                                        ; implicit-def: $vgpr30
; %bb.1909:                             ;   in Loop: Header=BB35_1839 Depth=2
	s_andn2_saveexec_b64 s[42:43], s[26:27]
; %bb.1910:                             ;   in Loop: Header=BB35_1839 Depth=2
	v_or_b32_e32 v36, 0x10000, v30
	v_cmp_eq_u32_sdwa s[26:27], v30, v3 src0_sel:WORD_0 src1_sel:DWORD
	s_nop 1
	v_cndmask_b32_e64 v36, v36, v30, s[26:27]
; %bb.1911:                             ;   in Loop: Header=BB35_1839 Depth=2
	s_or_b64 exec, exec, s[42:43]
	v_lshlrev_b32_e32 v30, 16, v37
	v_lshlrev_b32_e32 v48, 16, v49
	v_max_f32_e32 v48, v48, v48
	v_max_f32_e32 v30, v30, v30
	v_min_f32_e32 v101, v30, v48
	v_max_f32_e32 v30, v30, v48
	v_cndmask_b32_e32 v30, v30, v101, vcc
	v_and_b32_e32 v48, 0x7f800000, v30
	v_cmp_ne_u32_e64 s[26:27], s51, v48
                                        ; implicit-def: $vgpr48
	s_and_saveexec_b64 s[42:43], s[26:27]
	s_xor_b64 s[26:27], exec, s[42:43]
; %bb.1912:                             ;   in Loop: Header=BB35_1839 Depth=2
	v_bfe_u32 v48, v30, 16, 1
	v_add3_u32 v48, v30, v48, s72
                                        ; implicit-def: $vgpr30
; %bb.1913:                             ;   in Loop: Header=BB35_1839 Depth=2
	s_andn2_saveexec_b64 s[42:43], s[26:27]
; %bb.1914:                             ;   in Loop: Header=BB35_1839 Depth=2
	v_or_b32_e32 v48, 0x10000, v30
	v_cmp_eq_u32_sdwa s[26:27], v30, v3 src0_sel:WORD_0 src1_sel:DWORD
	s_nop 1
	v_cndmask_b32_e64 v48, v48, v30, s[26:27]
; %bb.1915:                             ;   in Loop: Header=BB35_1839 Depth=2
	s_or_b64 exec, exec, s[42:43]
	v_and_b32_e32 v30, 0xffff0000, v37
	v_and_b32_e32 v37, 0xffff0000, v49
	v_max_f32_e32 v37, v37, v37
	v_max_f32_e32 v30, v30, v30
	v_min_f32_e32 v49, v30, v37
	v_max_f32_e32 v30, v30, v37
	v_cndmask_b32_e32 v30, v30, v49, vcc
	v_and_b32_e32 v37, 0x7f800000, v30
	v_cmp_ne_u32_e64 s[26:27], s51, v37
                                        ; implicit-def: $vgpr37
	s_and_saveexec_b64 s[42:43], s[26:27]
	s_xor_b64 s[26:27], exec, s[42:43]
; %bb.1916:                             ;   in Loop: Header=BB35_1839 Depth=2
	v_bfe_u32 v37, v30, 16, 1
	v_add3_u32 v37, v30, v37, s72
                                        ; implicit-def: $vgpr30
; %bb.1917:                             ;   in Loop: Header=BB35_1839 Depth=2
	s_andn2_saveexec_b64 s[42:43], s[26:27]
; %bb.1918:                             ;   in Loop: Header=BB35_1839 Depth=2
	v_or_b32_e32 v37, 0x10000, v30
	v_cmp_eq_u32_sdwa s[26:27], v30, v3 src0_sel:WORD_0 src1_sel:DWORD
	s_nop 1
	v_cndmask_b32_e64 v37, v37, v30, s[26:27]
; %bb.1919:                             ;   in Loop: Header=BB35_1839 Depth=2
	s_or_b64 exec, exec, s[42:43]
	v_lshlrev_b32_e32 v30, 16, v38
	v_lshlrev_b32_e32 v49, 16, v50
	v_max_f32_e32 v49, v49, v49
	v_max_f32_e32 v30, v30, v30
	v_min_f32_e32 v101, v30, v49
	v_max_f32_e32 v30, v30, v49
	v_cndmask_b32_e32 v30, v30, v101, vcc
	v_and_b32_e32 v49, 0x7f800000, v30
	v_cmp_ne_u32_e64 s[26:27], s51, v49
                                        ; implicit-def: $vgpr49
	s_and_saveexec_b64 s[42:43], s[26:27]
	s_xor_b64 s[26:27], exec, s[42:43]
; %bb.1920:                             ;   in Loop: Header=BB35_1839 Depth=2
	v_bfe_u32 v49, v30, 16, 1
	v_add3_u32 v49, v30, v49, s72
                                        ; implicit-def: $vgpr30
; %bb.1921:                             ;   in Loop: Header=BB35_1839 Depth=2
	s_andn2_saveexec_b64 s[42:43], s[26:27]
; %bb.1922:                             ;   in Loop: Header=BB35_1839 Depth=2
	v_or_b32_e32 v49, 0x10000, v30
	v_cmp_eq_u32_sdwa s[26:27], v30, v3 src0_sel:WORD_0 src1_sel:DWORD
	s_nop 1
	v_cndmask_b32_e64 v49, v49, v30, s[26:27]
; %bb.1923:                             ;   in Loop: Header=BB35_1839 Depth=2
	s_or_b64 exec, exec, s[42:43]
	v_and_b32_e32 v30, 0xffff0000, v38
	v_and_b32_e32 v38, 0xffff0000, v50
	v_max_f32_e32 v38, v38, v38
	v_max_f32_e32 v30, v30, v30
	v_min_f32_e32 v50, v30, v38
	v_max_f32_e32 v30, v30, v38
	v_cndmask_b32_e32 v30, v30, v50, vcc
	v_and_b32_e32 v38, 0x7f800000, v30
	v_cmp_ne_u32_e64 s[26:27], s51, v38
                                        ; implicit-def: $vgpr38
	s_and_saveexec_b64 s[42:43], s[26:27]
	s_xor_b64 s[26:27], exec, s[42:43]
; %bb.1924:                             ;   in Loop: Header=BB35_1839 Depth=2
	v_bfe_u32 v38, v30, 16, 1
	v_add3_u32 v38, v30, v38, s72
                                        ; implicit-def: $vgpr30
; %bb.1925:                             ;   in Loop: Header=BB35_1839 Depth=2
	s_andn2_saveexec_b64 s[42:43], s[26:27]
; %bb.1926:                             ;   in Loop: Header=BB35_1839 Depth=2
	v_or_b32_e32 v38, 0x10000, v30
	v_cmp_eq_u32_sdwa s[26:27], v30, v3 src0_sel:WORD_0 src1_sel:DWORD
	s_nop 1
	v_cndmask_b32_e64 v38, v38, v30, s[26:27]
; %bb.1927:                             ;   in Loop: Header=BB35_1839 Depth=2
	s_or_b64 exec, exec, s[42:43]
	v_lshlrev_b32_e32 v30, 16, v39
	v_lshlrev_b32_e32 v50, 16, v51
	v_max_f32_e32 v50, v50, v50
	v_max_f32_e32 v30, v30, v30
	v_min_f32_e32 v101, v30, v50
	v_max_f32_e32 v30, v30, v50
	v_cndmask_b32_e32 v30, v30, v101, vcc
	v_and_b32_e32 v50, 0x7f800000, v30
	v_cmp_ne_u32_e64 s[26:27], s51, v50
                                        ; implicit-def: $vgpr50
	s_and_saveexec_b64 s[42:43], s[26:27]
	s_xor_b64 s[26:27], exec, s[42:43]
; %bb.1928:                             ;   in Loop: Header=BB35_1839 Depth=2
	v_bfe_u32 v50, v30, 16, 1
	v_add3_u32 v50, v30, v50, s72
                                        ; implicit-def: $vgpr30
; %bb.1929:                             ;   in Loop: Header=BB35_1839 Depth=2
	s_andn2_saveexec_b64 s[42:43], s[26:27]
; %bb.1930:                             ;   in Loop: Header=BB35_1839 Depth=2
	v_or_b32_e32 v50, 0x10000, v30
	v_cmp_eq_u32_sdwa s[26:27], v30, v3 src0_sel:WORD_0 src1_sel:DWORD
	s_nop 1
	v_cndmask_b32_e64 v50, v50, v30, s[26:27]
; %bb.1931:                             ;   in Loop: Header=BB35_1839 Depth=2
	s_or_b64 exec, exec, s[42:43]
	v_and_b32_e32 v30, 0xffff0000, v39
	v_and_b32_e32 v39, 0xffff0000, v51
	v_max_f32_e32 v39, v39, v39
	v_max_f32_e32 v30, v30, v30
	v_min_f32_e32 v51, v30, v39
	v_max_f32_e32 v30, v30, v39
	v_cndmask_b32_e32 v30, v30, v51, vcc
	v_and_b32_e32 v39, 0x7f800000, v30
	v_cmp_ne_u32_e64 s[26:27], s51, v39
                                        ; implicit-def: $vgpr39
	s_and_saveexec_b64 s[42:43], s[26:27]
	s_xor_b64 s[26:27], exec, s[42:43]
; %bb.1932:                             ;   in Loop: Header=BB35_1839 Depth=2
	v_bfe_u32 v39, v30, 16, 1
	v_add3_u32 v39, v30, v39, s72
                                        ; implicit-def: $vgpr30
; %bb.1933:                             ;   in Loop: Header=BB35_1839 Depth=2
	s_andn2_saveexec_b64 s[42:43], s[26:27]
; %bb.1934:                             ;   in Loop: Header=BB35_1839 Depth=2
	v_or_b32_e32 v39, 0x10000, v30
	v_cmp_eq_u32_sdwa s[26:27], v30, v3 src0_sel:WORD_0 src1_sel:DWORD
	s_nop 1
	v_cndmask_b32_e64 v39, v39, v30, s[26:27]
; %bb.1935:                             ;   in Loop: Header=BB35_1839 Depth=2
	s_or_b64 exec, exec, s[42:43]
	v_lshlrev_b32_e32 v30, 16, v24
	s_waitcnt vmcnt(0)
	v_lshlrev_b32_e32 v51, 16, v32
	v_max_f32_e32 v51, v51, v51
	v_max_f32_e32 v30, v30, v30
	v_min_f32_e32 v101, v30, v51
	v_max_f32_e32 v30, v30, v51
	v_cndmask_b32_e32 v30, v30, v101, vcc
	v_and_b32_e32 v51, 0x7f800000, v30
	v_cmp_ne_u32_e64 s[26:27], s51, v51
                                        ; implicit-def: $vgpr51
	s_and_saveexec_b64 s[42:43], s[26:27]
	s_xor_b64 s[26:27], exec, s[42:43]
; %bb.1936:                             ;   in Loop: Header=BB35_1839 Depth=2
	v_bfe_u32 v51, v30, 16, 1
	v_add3_u32 v51, v30, v51, s72
                                        ; implicit-def: $vgpr30
; %bb.1937:                             ;   in Loop: Header=BB35_1839 Depth=2
	s_andn2_saveexec_b64 s[42:43], s[26:27]
; %bb.1938:                             ;   in Loop: Header=BB35_1839 Depth=2
	v_or_b32_e32 v51, 0x10000, v30
	v_cmp_eq_u32_sdwa s[26:27], v30, v3 src0_sel:WORD_0 src1_sel:DWORD
	s_nop 1
	v_cndmask_b32_e64 v51, v51, v30, s[26:27]
; %bb.1939:                             ;   in Loop: Header=BB35_1839 Depth=2
	s_or_b64 exec, exec, s[42:43]
	v_and_b32_e32 v24, 0xffff0000, v24
	v_and_b32_e32 v30, 0xffff0000, v32
	v_max_f32_e32 v30, v30, v30
	v_max_f32_e32 v24, v24, v24
	v_min_f32_e32 v32, v24, v30
	v_max_f32_e32 v24, v24, v30
	v_cndmask_b32_e32 v30, v24, v32, vcc
	v_and_b32_e32 v24, 0x7f800000, v30
	v_cmp_ne_u32_e64 s[26:27], s51, v24
                                        ; implicit-def: $vgpr24
	s_and_saveexec_b64 s[42:43], s[26:27]
	s_xor_b64 s[26:27], exec, s[42:43]
; %bb.1940:                             ;   in Loop: Header=BB35_1839 Depth=2
	v_bfe_u32 v24, v30, 16, 1
	v_add3_u32 v24, v30, v24, s72
                                        ; implicit-def: $vgpr30
; %bb.1941:                             ;   in Loop: Header=BB35_1839 Depth=2
	s_andn2_saveexec_b64 s[42:43], s[26:27]
; %bb.1942:                             ;   in Loop: Header=BB35_1839 Depth=2
	v_or_b32_e32 v24, 0x10000, v30
	v_cmp_eq_u32_sdwa s[26:27], v30, v3 src0_sel:WORD_0 src1_sel:DWORD
	s_nop 1
	v_cndmask_b32_e64 v24, v24, v30, s[26:27]
; %bb.1943:                             ;   in Loop: Header=BB35_1839 Depth=2
	s_or_b64 exec, exec, s[42:43]
	v_lshlrev_b32_e32 v30, 16, v25
	v_lshlrev_b32_e32 v32, 16, v33
	v_max_f32_e32 v32, v32, v32
	v_max_f32_e32 v30, v30, v30
	v_min_f32_e32 v101, v30, v32
	v_max_f32_e32 v30, v30, v32
	v_cndmask_b32_e32 v32, v30, v101, vcc
	v_and_b32_e32 v30, 0x7f800000, v32
	v_cmp_ne_u32_e64 s[26:27], s51, v30
                                        ; implicit-def: $vgpr30
	s_and_saveexec_b64 s[42:43], s[26:27]
	s_xor_b64 s[26:27], exec, s[42:43]
; %bb.1944:                             ;   in Loop: Header=BB35_1839 Depth=2
	v_bfe_u32 v30, v32, 16, 1
	v_add3_u32 v30, v32, v30, s72
                                        ; implicit-def: $vgpr32
; %bb.1945:                             ;   in Loop: Header=BB35_1839 Depth=2
	s_andn2_saveexec_b64 s[42:43], s[26:27]
; %bb.1946:                             ;   in Loop: Header=BB35_1839 Depth=2
	v_or_b32_e32 v30, 0x10000, v32
	v_cmp_eq_u32_sdwa s[26:27], v32, v3 src0_sel:WORD_0 src1_sel:DWORD
	s_nop 1
	v_cndmask_b32_e64 v30, v30, v32, s[26:27]
; %bb.1947:                             ;   in Loop: Header=BB35_1839 Depth=2
	s_or_b64 exec, exec, s[42:43]
	v_and_b32_e32 v25, 0xffff0000, v25
	v_and_b32_e32 v32, 0xffff0000, v33
	v_max_f32_e32 v32, v32, v32
	v_max_f32_e32 v25, v25, v25
	v_min_f32_e32 v33, v25, v32
	v_max_f32_e32 v25, v25, v32
	v_cndmask_b32_e32 v32, v25, v33, vcc
	v_and_b32_e32 v25, 0x7f800000, v32
	v_cmp_ne_u32_e64 s[26:27], s51, v25
                                        ; implicit-def: $vgpr25
	s_and_saveexec_b64 s[42:43], s[26:27]
	s_xor_b64 s[26:27], exec, s[42:43]
; %bb.1948:                             ;   in Loop: Header=BB35_1839 Depth=2
	v_bfe_u32 v25, v32, 16, 1
	v_add3_u32 v25, v32, v25, s72
                                        ; implicit-def: $vgpr32
; %bb.1949:                             ;   in Loop: Header=BB35_1839 Depth=2
	s_andn2_saveexec_b64 s[42:43], s[26:27]
; %bb.1950:                             ;   in Loop: Header=BB35_1839 Depth=2
	v_or_b32_e32 v25, 0x10000, v32
	v_cmp_eq_u32_sdwa s[26:27], v32, v3 src0_sel:WORD_0 src1_sel:DWORD
	s_nop 1
	v_cndmask_b32_e64 v25, v25, v32, s[26:27]
; %bb.1951:                             ;   in Loop: Header=BB35_1839 Depth=2
	s_or_b64 exec, exec, s[42:43]
	v_lshlrev_b32_e32 v32, 16, v26
	v_lshlrev_b32_e32 v33, 16, v34
	v_max_f32_e32 v33, v33, v33
	v_max_f32_e32 v32, v32, v32
	v_min_f32_e32 v101, v32, v33
	v_max_f32_e32 v32, v32, v33
	v_cndmask_b32_e32 v33, v32, v101, vcc
	v_and_b32_e32 v32, 0x7f800000, v33
	v_cmp_ne_u32_e64 s[26:27], s51, v32
                                        ; implicit-def: $vgpr32
	s_and_saveexec_b64 s[42:43], s[26:27]
	s_xor_b64 s[26:27], exec, s[42:43]
; %bb.1952:                             ;   in Loop: Header=BB35_1839 Depth=2
	v_bfe_u32 v32, v33, 16, 1
	v_add3_u32 v32, v33, v32, s72
                                        ; implicit-def: $vgpr33
; %bb.1953:                             ;   in Loop: Header=BB35_1839 Depth=2
	s_andn2_saveexec_b64 s[42:43], s[26:27]
; %bb.1954:                             ;   in Loop: Header=BB35_1839 Depth=2
	v_or_b32_e32 v32, 0x10000, v33
	v_cmp_eq_u32_sdwa s[26:27], v33, v3 src0_sel:WORD_0 src1_sel:DWORD
	s_nop 1
	v_cndmask_b32_e64 v32, v32, v33, s[26:27]
; %bb.1955:                             ;   in Loop: Header=BB35_1839 Depth=2
	s_or_b64 exec, exec, s[42:43]
	v_and_b32_e32 v26, 0xffff0000, v26
	v_and_b32_e32 v33, 0xffff0000, v34
	v_max_f32_e32 v33, v33, v33
	v_max_f32_e32 v26, v26, v26
	v_min_f32_e32 v34, v26, v33
	v_max_f32_e32 v26, v26, v33
	v_cndmask_b32_e32 v33, v26, v34, vcc
	v_and_b32_e32 v26, 0x7f800000, v33
	v_cmp_ne_u32_e64 s[26:27], s51, v26
                                        ; implicit-def: $vgpr26
	s_and_saveexec_b64 s[42:43], s[26:27]
	s_xor_b64 s[26:27], exec, s[42:43]
; %bb.1956:                             ;   in Loop: Header=BB35_1839 Depth=2
	v_bfe_u32 v26, v33, 16, 1
	v_add3_u32 v26, v33, v26, s72
                                        ; implicit-def: $vgpr33
; %bb.1957:                             ;   in Loop: Header=BB35_1839 Depth=2
	s_andn2_saveexec_b64 s[42:43], s[26:27]
; %bb.1958:                             ;   in Loop: Header=BB35_1839 Depth=2
	v_or_b32_e32 v26, 0x10000, v33
	v_cmp_eq_u32_sdwa s[26:27], v33, v3 src0_sel:WORD_0 src1_sel:DWORD
	s_nop 1
	v_cndmask_b32_e64 v26, v26, v33, s[26:27]
; %bb.1959:                             ;   in Loop: Header=BB35_1839 Depth=2
	s_or_b64 exec, exec, s[42:43]
	v_lshlrev_b32_e32 v33, 16, v27
	v_lshlrev_b32_e32 v34, 16, v35
	v_max_f32_e32 v34, v34, v34
	v_max_f32_e32 v33, v33, v33
	v_min_f32_e32 v101, v33, v34
	v_max_f32_e32 v33, v33, v34
	v_cndmask_b32_e32 v34, v33, v101, vcc
	v_and_b32_e32 v33, 0x7f800000, v34
	v_cmp_ne_u32_e64 s[26:27], s51, v33
                                        ; implicit-def: $vgpr33
	s_and_saveexec_b64 s[42:43], s[26:27]
	s_xor_b64 s[26:27], exec, s[42:43]
; %bb.1960:                             ;   in Loop: Header=BB35_1839 Depth=2
	v_bfe_u32 v33, v34, 16, 1
	v_add3_u32 v33, v34, v33, s72
                                        ; implicit-def: $vgpr34
; %bb.1961:                             ;   in Loop: Header=BB35_1839 Depth=2
	s_andn2_saveexec_b64 s[42:43], s[26:27]
; %bb.1962:                             ;   in Loop: Header=BB35_1839 Depth=2
	v_or_b32_e32 v33, 0x10000, v34
	v_cmp_eq_u32_sdwa s[26:27], v34, v3 src0_sel:WORD_0 src1_sel:DWORD
	s_nop 1
	v_cndmask_b32_e64 v33, v33, v34, s[26:27]
; %bb.1963:                             ;   in Loop: Header=BB35_1839 Depth=2
	s_or_b64 exec, exec, s[42:43]
	v_and_b32_e32 v27, 0xffff0000, v27
	v_and_b32_e32 v34, 0xffff0000, v35
	v_max_f32_e32 v34, v34, v34
	v_max_f32_e32 v27, v27, v27
	v_min_f32_e32 v35, v27, v34
	v_max_f32_e32 v27, v27, v34
	v_cndmask_b32_e32 v34, v27, v35, vcc
	v_and_b32_e32 v27, 0x7f800000, v34
	v_cmp_ne_u32_e64 s[26:27], s51, v27
                                        ; implicit-def: $vgpr27
	s_and_saveexec_b64 s[42:43], s[26:27]
	s_xor_b64 s[26:27], exec, s[42:43]
; %bb.1964:                             ;   in Loop: Header=BB35_1839 Depth=2
	v_bfe_u32 v27, v34, 16, 1
	v_add3_u32 v27, v34, v27, s72
                                        ; implicit-def: $vgpr34
; %bb.1965:                             ;   in Loop: Header=BB35_1839 Depth=2
	s_andn2_saveexec_b64 s[42:43], s[26:27]
; %bb.1966:                             ;   in Loop: Header=BB35_1839 Depth=2
	v_or_b32_e32 v27, 0x10000, v34
	v_cmp_eq_u32_sdwa s[26:27], v34, v3 src0_sel:WORD_0 src1_sel:DWORD
	s_nop 1
	v_cndmask_b32_e64 v27, v27, v34, s[26:27]
; %bb.1967:                             ;   in Loop: Header=BB35_1839 Depth=2
	s_or_b64 exec, exec, s[42:43]
	v_and_b32_e32 v34, 0xffff0000, v100
	v_lshlrev_b32_e32 v35, 16, v20
	v_max_f32_e32 v34, v34, v34
	v_max_f32_e32 v35, v35, v35
	v_min_f32_e32 v100, v34, v35
	v_max_f32_e32 v34, v34, v35
	v_cndmask_b32_e32 v35, v34, v100, vcc
	v_and_b32_e32 v34, 0x7f800000, v35
	v_cmp_ne_u32_e64 s[26:27], s51, v34
                                        ; implicit-def: $vgpr34
	s_and_saveexec_b64 s[42:43], s[26:27]
	s_xor_b64 s[26:27], exec, s[42:43]
; %bb.1968:                             ;   in Loop: Header=BB35_1839 Depth=2
	v_bfe_u32 v34, v35, 16, 1
	v_add3_u32 v34, v35, v34, s72
                                        ; implicit-def: $vgpr35
; %bb.1969:                             ;   in Loop: Header=BB35_1839 Depth=2
	s_andn2_saveexec_b64 s[42:43], s[26:27]
; %bb.1970:                             ;   in Loop: Header=BB35_1839 Depth=2
	v_or_b32_e32 v34, 0x10000, v35
	v_cmp_eq_u32_sdwa s[26:27], v35, v3 src0_sel:WORD_0 src1_sel:DWORD
	s_nop 1
	v_cndmask_b32_e64 v34, v34, v35, s[26:27]
; %bb.1971:                             ;   in Loop: Header=BB35_1839 Depth=2
	s_or_b64 exec, exec, s[42:43]
	v_and_b32_e32 v20, 0xffff0000, v20
	v_and_b32_e32 v35, 0xffff0000, v68
	v_max_f32_e32 v20, v20, v20
	v_max_f32_e32 v35, v35, v35
	v_min_f32_e32 v68, v35, v20
	v_max_f32_e32 v20, v35, v20
	v_cndmask_b32_e32 v20, v20, v68, vcc
	v_and_b32_e32 v35, 0x7f800000, v20
	v_cmp_ne_u32_e64 s[26:27], s51, v35
                                        ; implicit-def: $vgpr35
	s_and_saveexec_b64 s[42:43], s[26:27]
	s_xor_b64 s[26:27], exec, s[42:43]
; %bb.1972:                             ;   in Loop: Header=BB35_1839 Depth=2
	v_bfe_u32 v35, v20, 16, 1
	v_add3_u32 v35, v20, v35, s72
                                        ; implicit-def: $vgpr20
; %bb.1973:                             ;   in Loop: Header=BB35_1839 Depth=2
	s_andn2_saveexec_b64 s[42:43], s[26:27]
; %bb.1974:                             ;   in Loop: Header=BB35_1839 Depth=2
	v_or_b32_e32 v35, 0x10000, v20
	v_cmp_eq_u32_sdwa s[26:27], v20, v3 src0_sel:WORD_0 src1_sel:DWORD
	s_nop 1
	v_cndmask_b32_e64 v35, v35, v20, s[26:27]
; %bb.1975:                             ;   in Loop: Header=BB35_1839 Depth=2
	s_or_b64 exec, exec, s[42:43]
	v_and_b32_e32 v20, 0xffff0000, v80
	v_lshlrev_b32_e32 v68, 16, v21
	v_max_f32_e32 v20, v20, v20
	v_max_f32_e32 v68, v68, v68
	v_min_f32_e32 v80, v20, v68
	v_max_f32_e32 v20, v20, v68
	v_cndmask_b32_e32 v20, v20, v80, vcc
	v_and_b32_e32 v68, 0x7f800000, v20
	v_cmp_ne_u32_e64 s[26:27], s51, v68
                                        ; implicit-def: $vgpr68
	s_and_saveexec_b64 s[42:43], s[26:27]
	s_xor_b64 s[26:27], exec, s[42:43]
; %bb.1976:                             ;   in Loop: Header=BB35_1839 Depth=2
	v_bfe_u32 v68, v20, 16, 1
	v_add3_u32 v68, v20, v68, s72
                                        ; implicit-def: $vgpr20
; %bb.1977:                             ;   in Loop: Header=BB35_1839 Depth=2
	s_andn2_saveexec_b64 s[42:43], s[26:27]
; %bb.1978:                             ;   in Loop: Header=BB35_1839 Depth=2
	v_or_b32_e32 v68, 0x10000, v20
	v_cmp_eq_u32_sdwa s[26:27], v20, v3 src0_sel:WORD_0 src1_sel:DWORD
	s_nop 1
	v_cndmask_b32_e64 v68, v68, v20, s[26:27]
; %bb.1979:                             ;   in Loop: Header=BB35_1839 Depth=2
	s_or_b64 exec, exec, s[42:43]
	v_and_b32_e32 v20, 0xffff0000, v21
	v_and_b32_e32 v21, 0xffff0000, v69
	v_max_f32_e32 v20, v20, v20
	v_max_f32_e32 v21, v21, v21
	v_min_f32_e32 v69, v21, v20
	v_max_f32_e32 v20, v21, v20
	v_cndmask_b32_e32 v20, v20, v69, vcc
	v_and_b32_e32 v21, 0x7f800000, v20
	v_cmp_ne_u32_e64 s[26:27], s51, v21
                                        ; implicit-def: $vgpr69
	s_and_saveexec_b64 s[42:43], s[26:27]
	s_xor_b64 s[26:27], exec, s[42:43]
; %bb.1980:                             ;   in Loop: Header=BB35_1839 Depth=2
	v_bfe_u32 v21, v20, 16, 1
	v_add3_u32 v69, v20, v21, s72
                                        ; implicit-def: $vgpr20
; %bb.1981:                             ;   in Loop: Header=BB35_1839 Depth=2
	s_andn2_saveexec_b64 s[42:43], s[26:27]
; %bb.1982:                             ;   in Loop: Header=BB35_1839 Depth=2
	v_or_b32_e32 v21, 0x10000, v20
	v_cmp_eq_u32_sdwa s[26:27], v20, v3 src0_sel:WORD_0 src1_sel:DWORD
	s_nop 1
	v_cndmask_b32_e64 v69, v21, v20, s[26:27]
; %bb.1983:                             ;   in Loop: Header=BB35_1839 Depth=2
	s_or_b64 exec, exec, s[42:43]
	v_and_b32_e32 v20, 0xffff0000, v81
	v_lshlrev_b32_e32 v21, 16, v22
	v_max_f32_e32 v20, v20, v20
	v_max_f32_e32 v21, v21, v21
	v_min_f32_e32 v80, v20, v21
	v_max_f32_e32 v20, v20, v21
	v_cndmask_b32_e32 v20, v20, v80, vcc
	v_and_b32_e32 v21, 0x7f800000, v20
	v_cmp_ne_u32_e64 s[26:27], s51, v21
                                        ; implicit-def: $vgpr80
	s_and_saveexec_b64 s[42:43], s[26:27]
	s_xor_b64 s[26:27], exec, s[42:43]
; %bb.1984:                             ;   in Loop: Header=BB35_1839 Depth=2
	v_bfe_u32 v21, v20, 16, 1
	v_add3_u32 v80, v20, v21, s72
                                        ; implicit-def: $vgpr20
; %bb.1985:                             ;   in Loop: Header=BB35_1839 Depth=2
	s_andn2_saveexec_b64 s[42:43], s[26:27]
; %bb.1986:                             ;   in Loop: Header=BB35_1839 Depth=2
	v_or_b32_e32 v21, 0x10000, v20
	v_cmp_eq_u32_sdwa s[26:27], v20, v3 src0_sel:WORD_0 src1_sel:DWORD
	s_nop 1
	v_cndmask_b32_e64 v80, v21, v20, s[26:27]
; %bb.1987:                             ;   in Loop: Header=BB35_1839 Depth=2
	s_or_b64 exec, exec, s[42:43]
	v_and_b32_e32 v20, 0xffff0000, v22
	v_and_b32_e32 v21, 0xffff0000, v70
	v_max_f32_e32 v20, v20, v20
	v_max_f32_e32 v21, v21, v21
	v_min_f32_e32 v22, v21, v20
	v_max_f32_e32 v20, v21, v20
	v_cndmask_b32_e32 v20, v20, v22, vcc
	v_and_b32_e32 v21, 0x7f800000, v20
	v_cmp_ne_u32_e64 s[26:27], s51, v21
                                        ; implicit-def: $vgpr22
	s_and_saveexec_b64 s[42:43], s[26:27]
	s_xor_b64 s[26:27], exec, s[42:43]
; %bb.1988:                             ;   in Loop: Header=BB35_1839 Depth=2
	v_bfe_u32 v21, v20, 16, 1
	v_add3_u32 v22, v20, v21, s72
                                        ; implicit-def: $vgpr20
; %bb.1989:                             ;   in Loop: Header=BB35_1839 Depth=2
	s_andn2_saveexec_b64 s[42:43], s[26:27]
; %bb.1990:                             ;   in Loop: Header=BB35_1839 Depth=2
	v_or_b32_e32 v21, 0x10000, v20
	v_cmp_eq_u32_sdwa s[26:27], v20, v3 src0_sel:WORD_0 src1_sel:DWORD
	s_nop 1
	v_cndmask_b32_e64 v22, v21, v20, s[26:27]
; %bb.1991:                             ;   in Loop: Header=BB35_1839 Depth=2
	s_or_b64 exec, exec, s[42:43]
	v_and_b32_e32 v20, 0xffff0000, v82
	v_lshlrev_b32_e32 v21, 16, v23
	v_max_f32_e32 v20, v20, v20
	v_max_f32_e32 v21, v21, v21
	v_min_f32_e32 v70, v20, v21
	v_max_f32_e32 v20, v20, v21
	v_cndmask_b32_e32 v20, v20, v70, vcc
	v_and_b32_e32 v21, 0x7f800000, v20
	v_cmp_ne_u32_e64 s[26:27], s51, v21
                                        ; implicit-def: $vgpr70
	s_and_saveexec_b64 s[42:43], s[26:27]
	s_xor_b64 s[26:27], exec, s[42:43]
; %bb.1992:                             ;   in Loop: Header=BB35_1839 Depth=2
	v_bfe_u32 v21, v20, 16, 1
	v_add3_u32 v70, v20, v21, s72
                                        ; implicit-def: $vgpr20
; %bb.1993:                             ;   in Loop: Header=BB35_1839 Depth=2
	s_andn2_saveexec_b64 s[42:43], s[26:27]
; %bb.1994:                             ;   in Loop: Header=BB35_1839 Depth=2
	v_or_b32_e32 v21, 0x10000, v20
	v_cmp_eq_u32_sdwa s[26:27], v20, v3 src0_sel:WORD_0 src1_sel:DWORD
	s_nop 1
	v_cndmask_b32_e64 v70, v21, v20, s[26:27]
; %bb.1995:                             ;   in Loop: Header=BB35_1839 Depth=2
	s_or_b64 exec, exec, s[42:43]
	v_and_b32_e32 v20, 0xffff0000, v23
	v_and_b32_e32 v21, 0xffff0000, v71
	v_max_f32_e32 v20, v20, v20
	v_max_f32_e32 v21, v21, v21
	v_min_f32_e32 v23, v21, v20
	v_max_f32_e32 v20, v21, v20
	v_cndmask_b32_e32 v20, v20, v23, vcc
	v_and_b32_e32 v21, 0x7f800000, v20
	v_cmp_ne_u32_e64 s[26:27], s51, v21
                                        ; implicit-def: $vgpr23
	s_and_saveexec_b64 s[42:43], s[26:27]
	s_xor_b64 s[26:27], exec, s[42:43]
; %bb.1996:                             ;   in Loop: Header=BB35_1839 Depth=2
	v_bfe_u32 v21, v20, 16, 1
	v_add3_u32 v23, v20, v21, s72
                                        ; implicit-def: $vgpr20
; %bb.1997:                             ;   in Loop: Header=BB35_1839 Depth=2
	s_andn2_saveexec_b64 s[42:43], s[26:27]
; %bb.1998:                             ;   in Loop: Header=BB35_1839 Depth=2
	v_or_b32_e32 v21, 0x10000, v20
	v_cmp_eq_u32_sdwa s[26:27], v20, v3 src0_sel:WORD_0 src1_sel:DWORD
	s_nop 1
	v_cndmask_b32_e64 v23, v21, v20, s[26:27]
; %bb.1999:                             ;   in Loop: Header=BB35_1839 Depth=2
	s_or_b64 exec, exec, s[42:43]
	v_lshrrev_b32_e32 v34, 16, v34
	v_and_or_b32 v100, v35, s73, v34
	v_lshrrev_b32_e32 v34, 16, v80
	v_and_or_b32 v102, v22, s73, v34
	v_lshrrev_b32_e32 v22, 16, v70
	v_and_b32_e32 v71, 0xffff0000, v83
	v_and_or_b32 v103, v23, s73, v22
	v_lshlrev_b32_e32 v22, 16, v16
	v_max_f32_e32 v23, v71, v71
	v_max_f32_e32 v22, v22, v22
	v_min_f32_e32 v34, v23, v22
	v_max_f32_e32 v22, v23, v22
	v_cndmask_b32_e32 v23, v22, v34, vcc
	v_lshrrev_b32_e32 v68, 16, v68
	v_and_b32_e32 v22, 0x7f800000, v23
	v_lshl_add_u64 v[20:21], v[86:87], 0, v[98:99]
	v_and_or_b32 v101, v69, s73, v68
	v_cmp_ne_u32_e64 s[26:27], s51, v22
	global_store_dwordx4 v[20:21], v[100:103], off offset:-3072
                                        ; implicit-def: $vgpr22
	s_and_saveexec_b64 s[42:43], s[26:27]
	s_xor_b64 s[26:27], exec, s[42:43]
; %bb.2000:                             ;   in Loop: Header=BB35_1839 Depth=2
	v_bfe_u32 v22, v23, 16, 1
	v_add3_u32 v22, v23, v22, s72
                                        ; implicit-def: $vgpr23
; %bb.2001:                             ;   in Loop: Header=BB35_1839 Depth=2
	s_andn2_saveexec_b64 s[42:43], s[26:27]
; %bb.2002:                             ;   in Loop: Header=BB35_1839 Depth=2
	v_or_b32_e32 v22, 0x10000, v23
	v_cmp_eq_u32_sdwa s[26:27], v23, v3 src0_sel:WORD_0 src1_sel:DWORD
	s_nop 1
	v_cndmask_b32_e64 v22, v22, v23, s[26:27]
; %bb.2003:                             ;   in Loop: Header=BB35_1839 Depth=2
	s_or_b64 exec, exec, s[42:43]
	v_and_b32_e32 v16, 0xffff0000, v16
	v_and_b32_e32 v23, 0xffff0000, v52
	v_max_f32_e32 v16, v16, v16
	v_max_f32_e32 v23, v23, v23
	v_min_f32_e32 v34, v23, v16
	v_max_f32_e32 v16, v23, v16
	v_cndmask_b32_e32 v23, v16, v34, vcc
	v_and_b32_e32 v16, 0x7f800000, v23
	v_cmp_ne_u32_e64 s[26:27], s51, v16
                                        ; implicit-def: $vgpr16
	s_and_saveexec_b64 s[42:43], s[26:27]
	s_xor_b64 s[26:27], exec, s[42:43]
; %bb.2004:                             ;   in Loop: Header=BB35_1839 Depth=2
	v_bfe_u32 v16, v23, 16, 1
	v_add3_u32 v16, v23, v16, s72
                                        ; implicit-def: $vgpr23
; %bb.2005:                             ;   in Loop: Header=BB35_1839 Depth=2
	s_andn2_saveexec_b64 s[42:43], s[26:27]
; %bb.2006:                             ;   in Loop: Header=BB35_1839 Depth=2
	v_or_b32_e32 v16, 0x10000, v23
	v_cmp_eq_u32_sdwa s[26:27], v23, v3 src0_sel:WORD_0 src1_sel:DWORD
	s_nop 1
	v_cndmask_b32_e64 v16, v16, v23, s[26:27]
; %bb.2007:                             ;   in Loop: Header=BB35_1839 Depth=2
	s_or_b64 exec, exec, s[42:43]
	v_and_b32_e32 v23, 0xffff0000, v64
	v_lshlrev_b32_e32 v34, 16, v17
	v_max_f32_e32 v23, v23, v23
	v_max_f32_e32 v34, v34, v34
	v_min_f32_e32 v35, v23, v34
	v_max_f32_e32 v23, v23, v34
	v_cndmask_b32_e32 v34, v23, v35, vcc
	v_and_b32_e32 v23, 0x7f800000, v34
	v_cmp_ne_u32_e64 s[26:27], s51, v23
                                        ; implicit-def: $vgpr23
	s_and_saveexec_b64 s[42:43], s[26:27]
	s_xor_b64 s[26:27], exec, s[42:43]
; %bb.2008:                             ;   in Loop: Header=BB35_1839 Depth=2
	v_bfe_u32 v23, v34, 16, 1
	v_add3_u32 v23, v34, v23, s72
                                        ; implicit-def: $vgpr34
; %bb.2009:                             ;   in Loop: Header=BB35_1839 Depth=2
	s_andn2_saveexec_b64 s[42:43], s[26:27]
; %bb.2010:                             ;   in Loop: Header=BB35_1839 Depth=2
	v_or_b32_e32 v23, 0x10000, v34
	v_cmp_eq_u32_sdwa s[26:27], v34, v3 src0_sel:WORD_0 src1_sel:DWORD
	s_nop 1
	v_cndmask_b32_e64 v23, v23, v34, s[26:27]
; %bb.2011:                             ;   in Loop: Header=BB35_1839 Depth=2
	s_or_b64 exec, exec, s[42:43]
	v_and_b32_e32 v17, 0xffff0000, v17
	v_and_b32_e32 v34, 0xffff0000, v53
	v_max_f32_e32 v17, v17, v17
	v_max_f32_e32 v34, v34, v34
	v_min_f32_e32 v35, v34, v17
	v_max_f32_e32 v17, v34, v17
	v_cndmask_b32_e32 v34, v17, v35, vcc
	v_and_b32_e32 v17, 0x7f800000, v34
	v_cmp_ne_u32_e64 s[26:27], s51, v17
                                        ; implicit-def: $vgpr17
	s_and_saveexec_b64 s[42:43], s[26:27]
	s_xor_b64 s[26:27], exec, s[42:43]
; %bb.2012:                             ;   in Loop: Header=BB35_1839 Depth=2
	v_bfe_u32 v17, v34, 16, 1
	v_add3_u32 v17, v34, v17, s72
                                        ; implicit-def: $vgpr34
; %bb.2013:                             ;   in Loop: Header=BB35_1839 Depth=2
	s_andn2_saveexec_b64 s[42:43], s[26:27]
; %bb.2014:                             ;   in Loop: Header=BB35_1839 Depth=2
	v_or_b32_e32 v17, 0x10000, v34
	v_cmp_eq_u32_sdwa s[26:27], v34, v3 src0_sel:WORD_0 src1_sel:DWORD
	s_nop 1
	v_cndmask_b32_e64 v17, v17, v34, s[26:27]
; %bb.2015:                             ;   in Loop: Header=BB35_1839 Depth=2
	s_or_b64 exec, exec, s[42:43]
	v_and_b32_e32 v34, 0xffff0000, v65
	v_lshlrev_b32_e32 v35, 16, v18
	v_max_f32_e32 v34, v34, v34
	v_max_f32_e32 v35, v35, v35
	v_min_f32_e32 v52, v34, v35
	v_max_f32_e32 v34, v34, v35
	v_cndmask_b32_e32 v35, v34, v52, vcc
	v_and_b32_e32 v34, 0x7f800000, v35
	v_cmp_ne_u32_e64 s[26:27], s51, v34
                                        ; implicit-def: $vgpr34
	s_and_saveexec_b64 s[42:43], s[26:27]
	s_xor_b64 s[26:27], exec, s[42:43]
; %bb.2016:                             ;   in Loop: Header=BB35_1839 Depth=2
	v_bfe_u32 v34, v35, 16, 1
	v_add3_u32 v34, v35, v34, s72
                                        ; implicit-def: $vgpr35
; %bb.2017:                             ;   in Loop: Header=BB35_1839 Depth=2
	s_andn2_saveexec_b64 s[42:43], s[26:27]
; %bb.2018:                             ;   in Loop: Header=BB35_1839 Depth=2
	v_or_b32_e32 v34, 0x10000, v35
	v_cmp_eq_u32_sdwa s[26:27], v35, v3 src0_sel:WORD_0 src1_sel:DWORD
	s_nop 1
	v_cndmask_b32_e64 v34, v34, v35, s[26:27]
; %bb.2019:                             ;   in Loop: Header=BB35_1839 Depth=2
	s_or_b64 exec, exec, s[42:43]
	v_and_b32_e32 v18, 0xffff0000, v18
	v_and_b32_e32 v35, 0xffff0000, v54
	v_max_f32_e32 v18, v18, v18
	v_max_f32_e32 v35, v35, v35
	v_min_f32_e32 v52, v35, v18
	v_max_f32_e32 v18, v35, v18
	v_cndmask_b32_e32 v35, v18, v52, vcc
	v_and_b32_e32 v18, 0x7f800000, v35
	v_cmp_ne_u32_e64 s[26:27], s51, v18
                                        ; implicit-def: $vgpr18
	s_and_saveexec_b64 s[42:43], s[26:27]
	s_xor_b64 s[26:27], exec, s[42:43]
; %bb.2020:                             ;   in Loop: Header=BB35_1839 Depth=2
	v_bfe_u32 v18, v35, 16, 1
	v_add3_u32 v18, v35, v18, s72
                                        ; implicit-def: $vgpr35
; %bb.2021:                             ;   in Loop: Header=BB35_1839 Depth=2
	s_andn2_saveexec_b64 s[42:43], s[26:27]
; %bb.2022:                             ;   in Loop: Header=BB35_1839 Depth=2
	v_or_b32_e32 v18, 0x10000, v35
	v_cmp_eq_u32_sdwa s[26:27], v35, v3 src0_sel:WORD_0 src1_sel:DWORD
	s_nop 1
	v_cndmask_b32_e64 v18, v18, v35, s[26:27]
; %bb.2023:                             ;   in Loop: Header=BB35_1839 Depth=2
	s_or_b64 exec, exec, s[42:43]
	v_and_b32_e32 v35, 0xffff0000, v66
	v_lshlrev_b32_e32 v52, 16, v19
	v_max_f32_e32 v35, v35, v35
	v_max_f32_e32 v52, v52, v52
	v_min_f32_e32 v53, v35, v52
	v_max_f32_e32 v35, v35, v52
	v_cndmask_b32_e32 v52, v35, v53, vcc
	v_and_b32_e32 v35, 0x7f800000, v52
	v_cmp_ne_u32_e64 s[26:27], s51, v35
                                        ; implicit-def: $vgpr35
	s_and_saveexec_b64 s[42:43], s[26:27]
	s_xor_b64 s[26:27], exec, s[42:43]
; %bb.2024:                             ;   in Loop: Header=BB35_1839 Depth=2
	v_bfe_u32 v35, v52, 16, 1
	v_add3_u32 v35, v52, v35, s72
                                        ; implicit-def: $vgpr52
; %bb.2025:                             ;   in Loop: Header=BB35_1839 Depth=2
	s_andn2_saveexec_b64 s[42:43], s[26:27]
; %bb.2026:                             ;   in Loop: Header=BB35_1839 Depth=2
	v_or_b32_e32 v35, 0x10000, v52
	v_cmp_eq_u32_sdwa s[26:27], v52, v3 src0_sel:WORD_0 src1_sel:DWORD
	s_nop 1
	v_cndmask_b32_e64 v35, v35, v52, s[26:27]
; %bb.2027:                             ;   in Loop: Header=BB35_1839 Depth=2
	s_or_b64 exec, exec, s[42:43]
	v_and_b32_e32 v19, 0xffff0000, v19
	v_and_b32_e32 v52, 0xffff0000, v55
	v_max_f32_e32 v19, v19, v19
	v_max_f32_e32 v52, v52, v52
	v_min_f32_e32 v53, v52, v19
	v_max_f32_e32 v19, v52, v19
	v_cndmask_b32_e32 v52, v19, v53, vcc
	v_and_b32_e32 v19, 0x7f800000, v52
	v_cmp_ne_u32_e64 s[26:27], s51, v19
                                        ; implicit-def: $vgpr19
	s_and_saveexec_b64 s[42:43], s[26:27]
	s_xor_b64 s[26:27], exec, s[42:43]
; %bb.2028:                             ;   in Loop: Header=BB35_1839 Depth=2
	v_bfe_u32 v19, v52, 16, 1
	v_add3_u32 v19, v52, v19, s72
                                        ; implicit-def: $vgpr52
; %bb.2029:                             ;   in Loop: Header=BB35_1839 Depth=2
	s_andn2_saveexec_b64 s[42:43], s[26:27]
; %bb.2030:                             ;   in Loop: Header=BB35_1839 Depth=2
	v_or_b32_e32 v19, 0x10000, v52
	v_cmp_eq_u32_sdwa s[26:27], v52, v3 src0_sel:WORD_0 src1_sel:DWORD
	s_nop 1
	v_cndmask_b32_e64 v19, v19, v52, s[26:27]
; %bb.2031:                             ;   in Loop: Header=BB35_1839 Depth=2
	s_or_b64 exec, exec, s[42:43]
	v_lshrrev_b32_e32 v22, 16, v22
	v_and_or_b32 v16, v16, s73, v22
	v_lshrrev_b32_e32 v22, 16, v34
	v_lshrrev_b32_e32 v23, 16, v23
	v_and_or_b32 v18, v18, s73, v22
	v_lshrrev_b32_e32 v22, 16, v35
	v_and_or_b32 v17, v17, s73, v23
	v_and_or_b32 v19, v19, s73, v22
	v_and_b32_e32 v52, 0xffff0000, v67
	global_store_dwordx4 v[20:21], v[16:19], off offset:-2048
	s_nop 1
	v_lshlrev_b32_e32 v16, 16, v12
	v_max_f32_e32 v17, v52, v52
	v_max_f32_e32 v16, v16, v16
	v_min_f32_e32 v18, v17, v16
	v_max_f32_e32 v16, v17, v16
	v_cndmask_b32_e32 v17, v16, v18, vcc
	v_and_b32_e32 v16, 0x7f800000, v17
	v_cmp_ne_u32_e64 s[26:27], s51, v16
                                        ; implicit-def: $vgpr16
	s_and_saveexec_b64 s[42:43], s[26:27]
	s_xor_b64 s[26:27], exec, s[42:43]
; %bb.2032:                             ;   in Loop: Header=BB35_1839 Depth=2
	v_bfe_u32 v16, v17, 16, 1
	v_add3_u32 v16, v17, v16, s72
                                        ; implicit-def: $vgpr17
; %bb.2033:                             ;   in Loop: Header=BB35_1839 Depth=2
	s_andn2_saveexec_b64 s[42:43], s[26:27]
; %bb.2034:                             ;   in Loop: Header=BB35_1839 Depth=2
	v_or_b32_e32 v16, 0x10000, v17
	v_cmp_eq_u32_sdwa s[26:27], v17, v3 src0_sel:WORD_0 src1_sel:DWORD
	s_nop 1
	v_cndmask_b32_e64 v16, v16, v17, s[26:27]
; %bb.2035:                             ;   in Loop: Header=BB35_1839 Depth=2
	s_or_b64 exec, exec, s[42:43]
	v_and_b32_e32 v12, 0xffff0000, v12
	v_and_b32_e32 v17, 0xffff0000, v36
	v_max_f32_e32 v12, v12, v12
	v_max_f32_e32 v17, v17, v17
	v_min_f32_e32 v18, v17, v12
	v_max_f32_e32 v12, v17, v12
	v_cndmask_b32_e32 v17, v12, v18, vcc
	v_and_b32_e32 v12, 0x7f800000, v17
	v_cmp_ne_u32_e64 s[26:27], s51, v12
                                        ; implicit-def: $vgpr12
	s_and_saveexec_b64 s[42:43], s[26:27]
	s_xor_b64 s[26:27], exec, s[42:43]
; %bb.2036:                             ;   in Loop: Header=BB35_1839 Depth=2
	v_bfe_u32 v12, v17, 16, 1
	v_add3_u32 v12, v17, v12, s72
                                        ; implicit-def: $vgpr17
; %bb.2037:                             ;   in Loop: Header=BB35_1839 Depth=2
	s_andn2_saveexec_b64 s[42:43], s[26:27]
; %bb.2038:                             ;   in Loop: Header=BB35_1839 Depth=2
	v_or_b32_e32 v12, 0x10000, v17
	v_cmp_eq_u32_sdwa s[26:27], v17, v3 src0_sel:WORD_0 src1_sel:DWORD
	s_nop 1
	v_cndmask_b32_e64 v12, v12, v17, s[26:27]
; %bb.2039:                             ;   in Loop: Header=BB35_1839 Depth=2
	s_or_b64 exec, exec, s[42:43]
	v_and_b32_e32 v17, 0xffff0000, v48
	v_lshlrev_b32_e32 v18, 16, v13
	v_max_f32_e32 v17, v17, v17
	v_max_f32_e32 v18, v18, v18
	v_min_f32_e32 v19, v17, v18
	v_max_f32_e32 v17, v17, v18
	v_cndmask_b32_e32 v18, v17, v19, vcc
	v_and_b32_e32 v17, 0x7f800000, v18
	v_cmp_ne_u32_e64 s[26:27], s51, v17
                                        ; implicit-def: $vgpr17
	s_and_saveexec_b64 s[42:43], s[26:27]
	s_xor_b64 s[26:27], exec, s[42:43]
; %bb.2040:                             ;   in Loop: Header=BB35_1839 Depth=2
	v_bfe_u32 v17, v18, 16, 1
	v_add3_u32 v17, v18, v17, s72
                                        ; implicit-def: $vgpr18
; %bb.2041:                             ;   in Loop: Header=BB35_1839 Depth=2
	s_andn2_saveexec_b64 s[42:43], s[26:27]
; %bb.2042:                             ;   in Loop: Header=BB35_1839 Depth=2
	v_or_b32_e32 v17, 0x10000, v18
	v_cmp_eq_u32_sdwa s[26:27], v18, v3 src0_sel:WORD_0 src1_sel:DWORD
	s_nop 1
	v_cndmask_b32_e64 v17, v17, v18, s[26:27]
; %bb.2043:                             ;   in Loop: Header=BB35_1839 Depth=2
	s_or_b64 exec, exec, s[42:43]
	v_and_b32_e32 v13, 0xffff0000, v13
	v_and_b32_e32 v18, 0xffff0000, v37
	v_max_f32_e32 v13, v13, v13
	v_max_f32_e32 v18, v18, v18
	v_min_f32_e32 v19, v18, v13
	v_max_f32_e32 v13, v18, v13
	v_cndmask_b32_e32 v18, v13, v19, vcc
	v_and_b32_e32 v13, 0x7f800000, v18
	v_cmp_ne_u32_e64 s[26:27], s51, v13
                                        ; implicit-def: $vgpr13
	s_and_saveexec_b64 s[42:43], s[26:27]
	s_xor_b64 s[26:27], exec, s[42:43]
; %bb.2044:                             ;   in Loop: Header=BB35_1839 Depth=2
	v_bfe_u32 v13, v18, 16, 1
	v_add3_u32 v13, v18, v13, s72
                                        ; implicit-def: $vgpr18
; %bb.2045:                             ;   in Loop: Header=BB35_1839 Depth=2
	s_andn2_saveexec_b64 s[42:43], s[26:27]
; %bb.2046:                             ;   in Loop: Header=BB35_1839 Depth=2
	v_or_b32_e32 v13, 0x10000, v18
	v_cmp_eq_u32_sdwa s[26:27], v18, v3 src0_sel:WORD_0 src1_sel:DWORD
	s_nop 1
	v_cndmask_b32_e64 v13, v13, v18, s[26:27]
; %bb.2047:                             ;   in Loop: Header=BB35_1839 Depth=2
	s_or_b64 exec, exec, s[42:43]
	v_and_b32_e32 v18, 0xffff0000, v49
	v_lshlrev_b32_e32 v19, 16, v14
	v_max_f32_e32 v18, v18, v18
	v_max_f32_e32 v19, v19, v19
	v_min_f32_e32 v22, v18, v19
	v_max_f32_e32 v18, v18, v19
	v_cndmask_b32_e32 v19, v18, v22, vcc
	v_and_b32_e32 v18, 0x7f800000, v19
	v_cmp_ne_u32_e64 s[26:27], s51, v18
                                        ; implicit-def: $vgpr18
	s_and_saveexec_b64 s[42:43], s[26:27]
	s_xor_b64 s[26:27], exec, s[42:43]
; %bb.2048:                             ;   in Loop: Header=BB35_1839 Depth=2
	v_bfe_u32 v18, v19, 16, 1
	v_add3_u32 v18, v19, v18, s72
                                        ; implicit-def: $vgpr19
; %bb.2049:                             ;   in Loop: Header=BB35_1839 Depth=2
	s_andn2_saveexec_b64 s[42:43], s[26:27]
; %bb.2050:                             ;   in Loop: Header=BB35_1839 Depth=2
	v_or_b32_e32 v18, 0x10000, v19
	v_cmp_eq_u32_sdwa s[26:27], v19, v3 src0_sel:WORD_0 src1_sel:DWORD
	s_nop 1
	v_cndmask_b32_e64 v18, v18, v19, s[26:27]
; %bb.2051:                             ;   in Loop: Header=BB35_1839 Depth=2
	s_or_b64 exec, exec, s[42:43]
	v_and_b32_e32 v14, 0xffff0000, v14
	v_and_b32_e32 v19, 0xffff0000, v38
	v_max_f32_e32 v14, v14, v14
	v_max_f32_e32 v19, v19, v19
	v_min_f32_e32 v22, v19, v14
	v_max_f32_e32 v14, v19, v14
	v_cndmask_b32_e32 v19, v14, v22, vcc
	v_and_b32_e32 v14, 0x7f800000, v19
	v_cmp_ne_u32_e64 s[26:27], s51, v14
                                        ; implicit-def: $vgpr14
	s_and_saveexec_b64 s[42:43], s[26:27]
	s_xor_b64 s[26:27], exec, s[42:43]
; %bb.2052:                             ;   in Loop: Header=BB35_1839 Depth=2
	v_bfe_u32 v14, v19, 16, 1
	v_add3_u32 v14, v19, v14, s72
                                        ; implicit-def: $vgpr19
; %bb.2053:                             ;   in Loop: Header=BB35_1839 Depth=2
	s_andn2_saveexec_b64 s[42:43], s[26:27]
; %bb.2054:                             ;   in Loop: Header=BB35_1839 Depth=2
	v_or_b32_e32 v14, 0x10000, v19
	v_cmp_eq_u32_sdwa s[26:27], v19, v3 src0_sel:WORD_0 src1_sel:DWORD
	s_nop 1
	v_cndmask_b32_e64 v14, v14, v19, s[26:27]
; %bb.2055:                             ;   in Loop: Header=BB35_1839 Depth=2
	s_or_b64 exec, exec, s[42:43]
	v_and_b32_e32 v19, 0xffff0000, v50
	v_lshlrev_b32_e32 v22, 16, v15
	v_max_f32_e32 v19, v19, v19
	v_max_f32_e32 v22, v22, v22
	v_min_f32_e32 v23, v19, v22
	v_max_f32_e32 v19, v19, v22
	v_cndmask_b32_e32 v22, v19, v23, vcc
	v_and_b32_e32 v19, 0x7f800000, v22
	v_cmp_ne_u32_e64 s[26:27], s51, v19
                                        ; implicit-def: $vgpr19
	s_and_saveexec_b64 s[42:43], s[26:27]
	s_xor_b64 s[26:27], exec, s[42:43]
; %bb.2056:                             ;   in Loop: Header=BB35_1839 Depth=2
	v_bfe_u32 v19, v22, 16, 1
	v_add3_u32 v19, v22, v19, s72
                                        ; implicit-def: $vgpr22
; %bb.2057:                             ;   in Loop: Header=BB35_1839 Depth=2
	s_andn2_saveexec_b64 s[42:43], s[26:27]
; %bb.2058:                             ;   in Loop: Header=BB35_1839 Depth=2
	v_or_b32_e32 v19, 0x10000, v22
	v_cmp_eq_u32_sdwa s[26:27], v22, v3 src0_sel:WORD_0 src1_sel:DWORD
	s_nop 1
	v_cndmask_b32_e64 v19, v19, v22, s[26:27]
; %bb.2059:                             ;   in Loop: Header=BB35_1839 Depth=2
	s_or_b64 exec, exec, s[42:43]
	v_and_b32_e32 v15, 0xffff0000, v15
	v_and_b32_e32 v22, 0xffff0000, v39
	v_max_f32_e32 v15, v15, v15
	v_max_f32_e32 v22, v22, v22
	v_min_f32_e32 v23, v22, v15
	v_max_f32_e32 v15, v22, v15
	v_cndmask_b32_e32 v22, v15, v23, vcc
	v_and_b32_e32 v15, 0x7f800000, v22
	v_cmp_ne_u32_e64 s[26:27], s51, v15
                                        ; implicit-def: $vgpr15
	s_and_saveexec_b64 s[42:43], s[26:27]
	s_xor_b64 s[26:27], exec, s[42:43]
; %bb.2060:                             ;   in Loop: Header=BB35_1839 Depth=2
	v_bfe_u32 v15, v22, 16, 1
	v_add3_u32 v15, v22, v15, s72
                                        ; implicit-def: $vgpr22
; %bb.2061:                             ;   in Loop: Header=BB35_1839 Depth=2
	s_andn2_saveexec_b64 s[42:43], s[26:27]
; %bb.2062:                             ;   in Loop: Header=BB35_1839 Depth=2
	v_or_b32_e32 v15, 0x10000, v22
	v_cmp_eq_u32_sdwa s[26:27], v22, v3 src0_sel:WORD_0 src1_sel:DWORD
	s_nop 1
	v_cndmask_b32_e64 v15, v15, v22, s[26:27]
; %bb.2063:                             ;   in Loop: Header=BB35_1839 Depth=2
	s_or_b64 exec, exec, s[42:43]
	v_lshrrev_b32_e32 v16, 16, v16
	v_and_or_b32 v12, v12, s73, v16
	v_lshrrev_b32_e32 v16, 16, v18
	v_lshrrev_b32_e32 v17, 16, v17
	v_and_or_b32 v14, v14, s73, v16
	v_lshrrev_b32_e32 v16, 16, v19
	v_and_or_b32 v13, v13, s73, v17
	v_and_or_b32 v15, v15, s73, v16
	v_and_b32_e32 v22, 0xffff0000, v51
	global_store_dwordx4 v[20:21], v[12:15], off offset:-1024
	s_nop 1
	v_lshlrev_b32_e32 v12, 16, v8
	v_max_f32_e32 v13, v22, v22
	v_max_f32_e32 v12, v12, v12
	v_min_f32_e32 v14, v13, v12
	v_max_f32_e32 v12, v13, v12
	v_cndmask_b32_e32 v13, v12, v14, vcc
	v_and_b32_e32 v12, 0x7f800000, v13
	v_cmp_ne_u32_e64 s[26:27], s51, v12
                                        ; implicit-def: $vgpr12
	s_and_saveexec_b64 s[42:43], s[26:27]
	s_xor_b64 s[26:27], exec, s[42:43]
; %bb.2064:                             ;   in Loop: Header=BB35_1839 Depth=2
	v_bfe_u32 v12, v13, 16, 1
	v_add3_u32 v12, v13, v12, s72
                                        ; implicit-def: $vgpr13
; %bb.2065:                             ;   in Loop: Header=BB35_1839 Depth=2
	s_andn2_saveexec_b64 s[42:43], s[26:27]
; %bb.2066:                             ;   in Loop: Header=BB35_1839 Depth=2
	v_or_b32_e32 v12, 0x10000, v13
	v_cmp_eq_u32_sdwa s[26:27], v13, v3 src0_sel:WORD_0 src1_sel:DWORD
	s_nop 1
	v_cndmask_b32_e64 v12, v12, v13, s[26:27]
; %bb.2067:                             ;   in Loop: Header=BB35_1839 Depth=2
	s_or_b64 exec, exec, s[42:43]
	v_and_b32_e32 v8, 0xffff0000, v8
	v_and_b32_e32 v13, 0xffff0000, v24
	v_max_f32_e32 v8, v8, v8
	v_max_f32_e32 v13, v13, v13
	v_min_f32_e32 v14, v13, v8
	v_max_f32_e32 v8, v13, v8
	v_cndmask_b32_e32 v13, v8, v14, vcc
	v_and_b32_e32 v8, 0x7f800000, v13
	v_cmp_ne_u32_e64 s[26:27], s51, v8
                                        ; implicit-def: $vgpr8
	s_and_saveexec_b64 s[42:43], s[26:27]
	s_xor_b64 s[26:27], exec, s[42:43]
; %bb.2068:                             ;   in Loop: Header=BB35_1839 Depth=2
	v_bfe_u32 v8, v13, 16, 1
	v_add3_u32 v8, v13, v8, s72
                                        ; implicit-def: $vgpr13
; %bb.2069:                             ;   in Loop: Header=BB35_1839 Depth=2
	s_andn2_saveexec_b64 s[42:43], s[26:27]
; %bb.2070:                             ;   in Loop: Header=BB35_1839 Depth=2
	v_or_b32_e32 v8, 0x10000, v13
	v_cmp_eq_u32_sdwa s[26:27], v13, v3 src0_sel:WORD_0 src1_sel:DWORD
	s_nop 1
	v_cndmask_b32_e64 v8, v8, v13, s[26:27]
; %bb.2071:                             ;   in Loop: Header=BB35_1839 Depth=2
	s_or_b64 exec, exec, s[42:43]
	v_and_b32_e32 v13, 0xffff0000, v30
	v_lshlrev_b32_e32 v14, 16, v9
	v_max_f32_e32 v13, v13, v13
	v_max_f32_e32 v14, v14, v14
	v_min_f32_e32 v15, v13, v14
	v_max_f32_e32 v13, v13, v14
	v_cndmask_b32_e32 v14, v13, v15, vcc
	v_and_b32_e32 v13, 0x7f800000, v14
	v_cmp_ne_u32_e64 s[26:27], s51, v13
                                        ; implicit-def: $vgpr13
	s_and_saveexec_b64 s[42:43], s[26:27]
	s_xor_b64 s[26:27], exec, s[42:43]
; %bb.2072:                             ;   in Loop: Header=BB35_1839 Depth=2
	v_bfe_u32 v13, v14, 16, 1
	v_add3_u32 v13, v14, v13, s72
                                        ; implicit-def: $vgpr14
; %bb.2073:                             ;   in Loop: Header=BB35_1839 Depth=2
	s_andn2_saveexec_b64 s[42:43], s[26:27]
; %bb.2074:                             ;   in Loop: Header=BB35_1839 Depth=2
	v_or_b32_e32 v13, 0x10000, v14
	v_cmp_eq_u32_sdwa s[26:27], v14, v3 src0_sel:WORD_0 src1_sel:DWORD
	s_nop 1
	v_cndmask_b32_e64 v13, v13, v14, s[26:27]
; %bb.2075:                             ;   in Loop: Header=BB35_1839 Depth=2
	s_or_b64 exec, exec, s[42:43]
	v_and_b32_e32 v9, 0xffff0000, v9
	v_and_b32_e32 v14, 0xffff0000, v25
	v_max_f32_e32 v9, v9, v9
	v_max_f32_e32 v14, v14, v14
	v_min_f32_e32 v15, v14, v9
	v_max_f32_e32 v9, v14, v9
	v_cndmask_b32_e32 v14, v9, v15, vcc
	v_and_b32_e32 v9, 0x7f800000, v14
	v_cmp_ne_u32_e64 s[26:27], s51, v9
                                        ; implicit-def: $vgpr9
	s_and_saveexec_b64 s[42:43], s[26:27]
	s_xor_b64 s[26:27], exec, s[42:43]
; %bb.2076:                             ;   in Loop: Header=BB35_1839 Depth=2
	v_bfe_u32 v9, v14, 16, 1
	v_add3_u32 v9, v14, v9, s72
                                        ; implicit-def: $vgpr14
; %bb.2077:                             ;   in Loop: Header=BB35_1839 Depth=2
	s_andn2_saveexec_b64 s[42:43], s[26:27]
; %bb.2078:                             ;   in Loop: Header=BB35_1839 Depth=2
	v_or_b32_e32 v9, 0x10000, v14
	v_cmp_eq_u32_sdwa s[26:27], v14, v3 src0_sel:WORD_0 src1_sel:DWORD
	s_nop 1
	v_cndmask_b32_e64 v9, v9, v14, s[26:27]
; %bb.2079:                             ;   in Loop: Header=BB35_1839 Depth=2
	s_or_b64 exec, exec, s[42:43]
	v_and_b32_e32 v14, 0xffff0000, v32
	v_lshlrev_b32_e32 v15, 16, v10
	v_max_f32_e32 v14, v14, v14
	v_max_f32_e32 v15, v15, v15
	v_min_f32_e32 v16, v14, v15
	v_max_f32_e32 v14, v14, v15
	v_cndmask_b32_e32 v15, v14, v16, vcc
	v_and_b32_e32 v14, 0x7f800000, v15
	v_cmp_ne_u32_e64 s[26:27], s51, v14
                                        ; implicit-def: $vgpr14
	s_and_saveexec_b64 s[42:43], s[26:27]
	s_xor_b64 s[26:27], exec, s[42:43]
; %bb.2080:                             ;   in Loop: Header=BB35_1839 Depth=2
	v_bfe_u32 v14, v15, 16, 1
	v_add3_u32 v14, v15, v14, s72
                                        ; implicit-def: $vgpr15
; %bb.2081:                             ;   in Loop: Header=BB35_1839 Depth=2
	s_andn2_saveexec_b64 s[42:43], s[26:27]
; %bb.2082:                             ;   in Loop: Header=BB35_1839 Depth=2
	v_or_b32_e32 v14, 0x10000, v15
	v_cmp_eq_u32_sdwa s[26:27], v15, v3 src0_sel:WORD_0 src1_sel:DWORD
	s_nop 1
	v_cndmask_b32_e64 v14, v14, v15, s[26:27]
; %bb.2083:                             ;   in Loop: Header=BB35_1839 Depth=2
	s_or_b64 exec, exec, s[42:43]
	v_and_b32_e32 v10, 0xffff0000, v10
	v_and_b32_e32 v15, 0xffff0000, v26
	v_max_f32_e32 v10, v10, v10
	v_max_f32_e32 v15, v15, v15
	v_min_f32_e32 v16, v15, v10
	v_max_f32_e32 v10, v15, v10
	v_cndmask_b32_e32 v15, v10, v16, vcc
	v_and_b32_e32 v10, 0x7f800000, v15
	v_cmp_ne_u32_e64 s[26:27], s51, v10
                                        ; implicit-def: $vgpr10
	s_and_saveexec_b64 s[42:43], s[26:27]
	s_xor_b64 s[26:27], exec, s[42:43]
; %bb.2084:                             ;   in Loop: Header=BB35_1839 Depth=2
	v_bfe_u32 v10, v15, 16, 1
	v_add3_u32 v10, v15, v10, s72
                                        ; implicit-def: $vgpr15
; %bb.2085:                             ;   in Loop: Header=BB35_1839 Depth=2
	s_andn2_saveexec_b64 s[42:43], s[26:27]
; %bb.2086:                             ;   in Loop: Header=BB35_1839 Depth=2
	v_or_b32_e32 v10, 0x10000, v15
	v_cmp_eq_u32_sdwa s[26:27], v15, v3 src0_sel:WORD_0 src1_sel:DWORD
	s_nop 1
	v_cndmask_b32_e64 v10, v10, v15, s[26:27]
; %bb.2087:                             ;   in Loop: Header=BB35_1839 Depth=2
	s_or_b64 exec, exec, s[42:43]
	v_and_b32_e32 v15, 0xffff0000, v33
	v_lshlrev_b32_e32 v16, 16, v11
	v_max_f32_e32 v15, v15, v15
	v_max_f32_e32 v16, v16, v16
	v_min_f32_e32 v17, v15, v16
	v_max_f32_e32 v15, v15, v16
	v_cndmask_b32_e32 v16, v15, v17, vcc
	v_and_b32_e32 v15, 0x7f800000, v16
	v_cmp_ne_u32_e64 s[26:27], s51, v15
                                        ; implicit-def: $vgpr15
	s_and_saveexec_b64 s[42:43], s[26:27]
	s_xor_b64 s[26:27], exec, s[42:43]
; %bb.2088:                             ;   in Loop: Header=BB35_1839 Depth=2
	v_bfe_u32 v15, v16, 16, 1
	v_add3_u32 v15, v16, v15, s72
                                        ; implicit-def: $vgpr16
; %bb.2089:                             ;   in Loop: Header=BB35_1839 Depth=2
	s_andn2_saveexec_b64 s[42:43], s[26:27]
; %bb.2090:                             ;   in Loop: Header=BB35_1839 Depth=2
	v_or_b32_e32 v15, 0x10000, v16
	v_cmp_eq_u32_sdwa s[26:27], v16, v3 src0_sel:WORD_0 src1_sel:DWORD
	s_nop 1
	v_cndmask_b32_e64 v15, v15, v16, s[26:27]
; %bb.2091:                             ;   in Loop: Header=BB35_1839 Depth=2
	s_or_b64 exec, exec, s[42:43]
	v_and_b32_e32 v11, 0xffff0000, v11
	v_and_b32_e32 v16, 0xffff0000, v27
	v_max_f32_e32 v11, v11, v11
	v_max_f32_e32 v16, v16, v16
	v_min_f32_e32 v17, v16, v11
	v_max_f32_e32 v11, v16, v11
	v_cndmask_b32_e32 v16, v11, v17, vcc
	v_and_b32_e32 v11, 0x7f800000, v16
	v_cmp_ne_u32_e64 s[26:27], s51, v11
                                        ; implicit-def: $vgpr11
	s_and_saveexec_b64 s[42:43], s[26:27]
	s_xor_b64 s[26:27], exec, s[42:43]
; %bb.2092:                             ;   in Loop: Header=BB35_1839 Depth=2
	v_bfe_u32 v11, v16, 16, 1
	v_add3_u32 v11, v16, v11, s72
                                        ; implicit-def: $vgpr16
; %bb.2093:                             ;   in Loop: Header=BB35_1839 Depth=2
	s_andn2_saveexec_b64 s[42:43], s[26:27]
	s_cbranch_execz .LBB35_1838
; %bb.2094:                             ;   in Loop: Header=BB35_1839 Depth=2
	v_or_b32_e32 v11, 0x10000, v16
	v_cmp_eq_u32_sdwa s[26:27], v16, v3 src0_sel:WORD_0 src1_sel:DWORD
	s_nop 1
	v_cndmask_b32_e64 v11, v11, v16, s[26:27]
	s_branch .LBB35_1838
.LBB35_2095:                            ;   in Loop: Header=BB35_47 Depth=1
	s_or_b64 exec, exec, s[40:41]
.LBB35_2096:                            ;   in Loop: Header=BB35_47 Depth=1
	s_or_b64 exec, exec, s[28:29]
	v_lshlrev_b32_e32 v24, 12, v7
	v_cmp_ne_u32_e32 vcc, v2, v24
	s_mov_b64 s[26:27], 0
	v_mov_b32_e32 v7, 0
                                        ; implicit-def: $vgpr14
	s_and_saveexec_b64 s[64:65], vcc
	s_cbranch_execz .LBB35_2134
; %bb.2097:                             ;   in Loop: Header=BB35_47 Depth=1
	v_lshlrev_b32_e32 v0, 6, v6
	v_and_b32_e32 v6, 63, v31
	v_sub_u32_e32 v0, v6, v0
	v_sub_u32_e32 v1, v2, v24
	v_ashrrev_i32_e32 v6, 31, v0
	v_lshrrev_b32_e32 v6, 26, v6
	v_ashrrev_i32_e32 v7, 31, v1
	v_add_u32_e32 v6, v0, v6
	v_lshrrev_b32_e32 v7, 22, v7
	v_ashrrev_i32_e32 v8, 6, v6
	v_and_b32_e32 v6, 0xffffffc0, v6
	v_add_u32_e32 v7, v1, v7
	v_sub_u32_e32 v6, v0, v6
	v_ashrrev_i32_e32 v9, 10, v7
	v_and_b32_e32 v7, 0xfffffc00, v7
	v_lshlrev_b32_e32 v0, 4, v6
	v_sub_u32_e32 v25, v1, v7
	v_lshl_add_u32 v0, v8, 10, v0
	v_cmp_lt_i32_e32 vcc, 15, v25
	v_sub_u32_e32 v27, v1, v0
	s_nop 0
	v_addc_co_u32_e64 v1, s[26:27], 0, v9, vcc
	v_sub_u32_e32 v26, v1, v8
	v_cmp_lt_i32_e64 s[26:27], 15, v27
	s_and_saveexec_b64 s[66:67], s[26:27]
	s_cbranch_execz .LBB35_2133
; %bb.2098:                             ;   in Loop: Header=BB35_47 Depth=1
	s_trap 2
	ds_read_b64 v[8:9], v0
	v_add_u32_e32 v0, v0, v24
	s_and_b32 s76, s12, 1
	v_ashrrev_i32_e32 v1, 31, v0
	s_cmp_eq_u64 s[76:77], 0
	v_lshl_add_u64 v[20:21], v[0:1], 0, v[96:97]
	s_waitcnt lgkmcnt(0)
	v_lshl_add_u64 v[22:23], v[8:9], 0, v[0:1]
	s_mov_b64 s[68:69], 0
	s_cselect_b64 s[26:27], -1, 0
	s_branch .LBB35_2100
.LBB35_2099:                            ;   in Loop: Header=BB35_2100 Depth=2
	s_or_b64 exec, exec, s[40:41]
	v_and_b32_e32 v19, 0xffff0000, v29
	v_and_b32_e32 v28, 0xffff0000, v28
	v_and_b32_e32 v29, 0xffff0000, v30
	s_waitcnt vmcnt(0)
	v_and_b32_e32 v30, 0xffff0000, v8
	v_lshlrev_b32_e32 v8, 16, v8
	v_max_f32_e32 v28, v28, v28
	v_max_f32_e32 v8, v8, v8
	v_min_f32_e32 v32, v28, v8
	v_max_f32_e32 v8, v28, v8
	v_cndmask_b32_e64 v8, v8, v32, s[26:27]
	v_and_b32_e32 v16, 0xffff0000, v16
	v_and_b32_e32 v28, 0x7f800000, v8
	v_cmp_eq_u32_e64 s[28:29], s51, v28
	v_bfe_u32 v28, v8, 16, 1
	v_cmp_eq_u32_sdwa s[40:41], v8, v3 src0_sel:WORD_0 src1_sel:DWORD
	v_or_b32_e32 v32, 0x10000, v8
	v_max_f32_e32 v16, v16, v16
	v_max_f32_e32 v30, v30, v30
	v_add3_u32 v28, v8, v28, s72
	v_cndmask_b32_e64 v8, v32, v8, s[40:41]
	v_min_f32_e32 v32, v16, v30
	v_max_f32_e32 v16, v16, v30
	v_cndmask_b32_e64 v16, v16, v32, s[26:27]
	v_and_b32_e32 v30, 0x7f800000, v16
	v_cmp_eq_u32_e64 s[40:41], s51, v30
	v_bfe_u32 v30, v16, 16, 1
	v_cmp_eq_u32_sdwa s[42:43], v16, v3 src0_sel:WORD_0 src1_sel:DWORD
	v_or_b32_e32 v32, 0x10000, v16
	v_add3_u32 v30, v16, v30, s72
	v_cndmask_b32_e64 v16, v32, v16, s[42:43]
	v_and_b32_e32 v32, 0xffff0000, v9
	v_lshlrev_b32_e32 v9, 16, v9
	v_max_f32_e32 v19, v19, v19
	v_max_f32_e32 v9, v9, v9
	v_min_f32_e32 v33, v19, v9
	v_max_f32_e32 v9, v19, v9
	v_cndmask_b32_e64 v9, v9, v33, s[26:27]
	v_and_b32_e32 v17, 0xffff0000, v17
	v_and_b32_e32 v19, 0x7f800000, v9
	v_cmp_eq_u32_e64 s[42:43], s51, v19
	v_bfe_u32 v19, v9, 16, 1
	v_cmp_eq_u32_sdwa s[44:45], v9, v3 src0_sel:WORD_0 src1_sel:DWORD
	v_or_b32_e32 v33, 0x10000, v9
	v_max_f32_e32 v17, v17, v17
	v_max_f32_e32 v32, v32, v32
	v_add3_u32 v19, v9, v19, s72
	v_cndmask_b32_e64 v9, v33, v9, s[44:45]
	v_min_f32_e32 v33, v17, v32
	v_max_f32_e32 v17, v17, v32
	v_cndmask_b32_e64 v17, v17, v33, s[26:27]
	v_and_b32_e32 v32, 0x7f800000, v17
	v_cmp_eq_u32_e64 s[44:45], s51, v32
	v_bfe_u32 v32, v17, 16, 1
	v_cmp_eq_u32_sdwa s[46:47], v17, v3 src0_sel:WORD_0 src1_sel:DWORD
	v_or_b32_e32 v33, 0x10000, v17
	v_add3_u32 v32, v17, v32, s72
	v_cndmask_b32_e64 v17, v33, v17, s[46:47]
	v_and_b32_e32 v33, 0xffff0000, v10
	v_lshlrev_b32_e32 v10, 16, v10
	v_max_f32_e32 v29, v29, v29
	v_max_f32_e32 v10, v10, v10
	v_min_f32_e32 v34, v29, v10
	v_max_f32_e32 v10, v29, v10
	v_cndmask_b32_e64 v10, v10, v34, s[26:27]
	v_and_b32_e32 v14, 0xffff0000, v14
	v_and_b32_e32 v29, 0x7f800000, v10
	v_cmp_eq_u32_e64 s[46:47], s51, v29
	v_bfe_u32 v29, v10, 16, 1
	v_cmp_eq_u32_sdwa s[56:57], v10, v3 src0_sel:WORD_0 src1_sel:DWORD
	v_or_b32_e32 v34, 0x10000, v10
	v_max_f32_e32 v14, v14, v14
	v_max_f32_e32 v33, v33, v33
	v_add3_u32 v29, v10, v29, s72
	v_cndmask_b32_e64 v10, v34, v10, s[56:57]
	v_min_f32_e32 v34, v14, v33
	v_max_f32_e32 v14, v14, v33
	v_cndmask_b32_e64 v14, v14, v34, s[26:27]
	v_and_b32_e32 v33, 0x7f800000, v14
	v_cmp_eq_u32_e64 s[56:57], s51, v33
	v_bfe_u32 v33, v14, 16, 1
	v_cmp_eq_u32_sdwa s[58:59], v14, v3 src0_sel:WORD_0 src1_sel:DWORD
	v_or_b32_e32 v34, 0x10000, v14
	v_and_b32_e32 v18, 0xffff0000, v18
	v_add3_u32 v33, v14, v33, s72
	v_cndmask_b32_e64 v14, v34, v14, s[58:59]
	v_and_b32_e32 v34, 0xffff0000, v11
	v_lshlrev_b32_e32 v11, 16, v11
	v_max_f32_e32 v18, v18, v18
	v_max_f32_e32 v11, v11, v11
	v_min_f32_e32 v35, v18, v11
	v_max_f32_e32 v11, v18, v11
	v_cndmask_b32_e64 v11, v11, v35, s[26:27]
	v_and_b32_e32 v15, 0xffff0000, v15
	v_and_b32_e32 v18, 0x7f800000, v11
	v_cmp_eq_u32_e64 s[58:59], s51, v18
	v_bfe_u32 v18, v11, 16, 1
	v_cmp_eq_u32_sdwa s[60:61], v11, v3 src0_sel:WORD_0 src1_sel:DWORD
	v_or_b32_e32 v35, 0x10000, v11
	v_max_f32_e32 v15, v15, v15
	v_max_f32_e32 v34, v34, v34
	v_add3_u32 v18, v11, v18, s72
	v_cndmask_b32_e64 v11, v35, v11, s[60:61]
	v_min_f32_e32 v35, v15, v34
	v_max_f32_e32 v15, v15, v34
	v_cndmask_b32_e64 v15, v15, v35, s[26:27]
	v_and_b32_e32 v34, 0x7f800000, v15
	v_cmp_eq_u32_e64 s[60:61], s51, v34
	v_bfe_u32 v34, v15, 16, 1
	v_cmp_eq_u32_sdwa s[62:63], v15, v3 src0_sel:WORD_0 src1_sel:DWORD
	v_or_b32_e32 v35, 0x10000, v15
	v_add3_u32 v34, v15, v34, s72
	v_cndmask_b32_e64 v15, v35, v15, s[62:63]
	v_cndmask_b32_e64 v8, v28, v8, s[28:29]
	;; [unrolled: 1-line block ×9, first 2 shown]
	v_lshrrev_b32_e32 v9, 16, v9
	v_lshrrev_b32_e32 v8, 16, v8
	;; [unrolled: 1-line block ×4, first 2 shown]
	v_lshl_add_u64 v[12:13], v[86:87], 0, v[0:1]
	v_and_or_b32 v9, v17, s73, v9
	v_and_or_b32 v8, v16, s73, v8
	;; [unrolled: 1-line block ×4, first 2 shown]
	global_store_dwordx4 v[12:13], v[8:11], off
	scratch_load_dwordx2 v[8:9], off, s33 offset:256 ; 8-byte Folded Reload
	v_sub_u32_e32 v26, v26, v60
	s_waitcnt vmcnt(0)
	v_sub_u32_e32 v27, v27, v8
	v_cmp_gt_i32_e64 s[28:29], 16, v27
	v_lshl_add_u64 v[20:21], v[20:21], 0, v[8:9]
	v_lshl_add_u64 v[22:23], v[22:23], 0, v[8:9]
	;; [unrolled: 1-line block ×3, first 2 shown]
	s_or_b64 s[68:69], s[28:29], s[68:69]
	s_andn2_b64 exec, exec, s[68:69]
	s_cbranch_execz .LBB35_2132
.LBB35_2100:                            ;   Parent Loop BB35_47 Depth=1
                                        ; =>  This Inner Loop Header: Depth=2
	global_load_dwordx4 v[12:15], v[22:23], off nt
	global_load_dwordx4 v[16:19], v[20:21], off nt
	;; [unrolled: 1-line block ×3, first 2 shown]
	s_waitcnt vmcnt(2)
	v_lshlrev_b32_e32 v28, 16, v12
	s_waitcnt vmcnt(1)
	v_lshlrev_b32_e32 v29, 16, v16
	v_max_f32_e32 v28, v28, v28
	v_max_f32_e32 v29, v29, v29
	v_min_f32_e32 v30, v29, v28
	v_max_f32_e32 v28, v29, v28
	v_cndmask_b32_e64 v29, v28, v30, s[26:27]
	v_and_b32_e32 v28, 0x7f800000, v29
	v_cmp_ne_u32_e64 s[28:29], s51, v28
                                        ; implicit-def: $vgpr28
	s_and_saveexec_b64 s[40:41], s[28:29]
	s_xor_b64 s[28:29], exec, s[40:41]
; %bb.2101:                             ;   in Loop: Header=BB35_2100 Depth=2
	v_bfe_u32 v28, v29, 16, 1
	v_add3_u32 v28, v29, v28, s72
                                        ; implicit-def: $vgpr29
; %bb.2102:                             ;   in Loop: Header=BB35_2100 Depth=2
	s_andn2_saveexec_b64 s[40:41], s[28:29]
; %bb.2103:                             ;   in Loop: Header=BB35_2100 Depth=2
	v_or_b32_e32 v28, 0x10000, v29
	v_cmp_eq_u32_sdwa s[28:29], v29, v3 src0_sel:WORD_0 src1_sel:DWORD
	s_nop 1
	v_cndmask_b32_e64 v28, v28, v29, s[28:29]
; %bb.2104:                             ;   in Loop: Header=BB35_2100 Depth=2
	s_or_b64 exec, exec, s[40:41]
	v_and_b32_e32 v12, 0xffff0000, v12
	v_and_b32_e32 v16, 0xffff0000, v16
	v_max_f32_e32 v12, v12, v12
	v_max_f32_e32 v16, v16, v16
	v_min_f32_e32 v29, v16, v12
	v_max_f32_e32 v12, v16, v12
	v_cndmask_b32_e64 v12, v12, v29, s[26:27]
	v_and_b32_e32 v16, 0x7f800000, v12
	v_cmp_ne_u32_e64 s[28:29], s51, v16
                                        ; implicit-def: $vgpr16
	s_and_saveexec_b64 s[40:41], s[28:29]
	s_xor_b64 s[28:29], exec, s[40:41]
; %bb.2105:                             ;   in Loop: Header=BB35_2100 Depth=2
	v_bfe_u32 v16, v12, 16, 1
	v_add3_u32 v16, v12, v16, s72
                                        ; implicit-def: $vgpr12
; %bb.2106:                             ;   in Loop: Header=BB35_2100 Depth=2
	s_andn2_saveexec_b64 s[40:41], s[28:29]
; %bb.2107:                             ;   in Loop: Header=BB35_2100 Depth=2
	v_or_b32_e32 v16, 0x10000, v12
	v_cmp_eq_u32_sdwa s[28:29], v12, v3 src0_sel:WORD_0 src1_sel:DWORD
	s_nop 1
	v_cndmask_b32_e64 v16, v16, v12, s[28:29]
; %bb.2108:                             ;   in Loop: Header=BB35_2100 Depth=2
	s_or_b64 exec, exec, s[40:41]
	v_lshlrev_b32_e32 v12, 16, v13
	v_lshlrev_b32_e32 v29, 16, v17
	v_max_f32_e32 v12, v12, v12
	v_max_f32_e32 v29, v29, v29
	v_min_f32_e32 v30, v29, v12
	v_max_f32_e32 v12, v29, v12
	v_cndmask_b32_e64 v12, v12, v30, s[26:27]
	v_and_b32_e32 v29, 0x7f800000, v12
	v_cmp_ne_u32_e64 s[28:29], s51, v29
                                        ; implicit-def: $vgpr29
	s_and_saveexec_b64 s[40:41], s[28:29]
	s_xor_b64 s[28:29], exec, s[40:41]
; %bb.2109:                             ;   in Loop: Header=BB35_2100 Depth=2
	v_bfe_u32 v29, v12, 16, 1
	v_add3_u32 v29, v12, v29, s72
                                        ; implicit-def: $vgpr12
; %bb.2110:                             ;   in Loop: Header=BB35_2100 Depth=2
	s_andn2_saveexec_b64 s[40:41], s[28:29]
; %bb.2111:                             ;   in Loop: Header=BB35_2100 Depth=2
	v_or_b32_e32 v29, 0x10000, v12
	v_cmp_eq_u32_sdwa s[28:29], v12, v3 src0_sel:WORD_0 src1_sel:DWORD
	s_nop 1
	v_cndmask_b32_e64 v29, v29, v12, s[28:29]
; %bb.2112:                             ;   in Loop: Header=BB35_2100 Depth=2
	s_or_b64 exec, exec, s[40:41]
	v_and_b32_e32 v12, 0xffff0000, v17
	v_and_b32_e32 v13, 0xffff0000, v13
	v_max_f32_e32 v13, v13, v13
	v_max_f32_e32 v12, v12, v12
	v_min_f32_e32 v17, v12, v13
	v_max_f32_e32 v12, v12, v13
	v_cndmask_b32_e64 v12, v12, v17, s[26:27]
	v_and_b32_e32 v13, 0x7f800000, v12
	v_cmp_ne_u32_e64 s[28:29], s51, v13
                                        ; implicit-def: $vgpr17
	s_and_saveexec_b64 s[40:41], s[28:29]
	s_xor_b64 s[28:29], exec, s[40:41]
; %bb.2113:                             ;   in Loop: Header=BB35_2100 Depth=2
	v_bfe_u32 v13, v12, 16, 1
	v_add3_u32 v17, v12, v13, s72
                                        ; implicit-def: $vgpr12
; %bb.2114:                             ;   in Loop: Header=BB35_2100 Depth=2
	s_andn2_saveexec_b64 s[40:41], s[28:29]
; %bb.2115:                             ;   in Loop: Header=BB35_2100 Depth=2
	v_or_b32_e32 v13, 0x10000, v12
	v_cmp_eq_u32_sdwa s[28:29], v12, v3 src0_sel:WORD_0 src1_sel:DWORD
	s_nop 1
	v_cndmask_b32_e64 v17, v13, v12, s[28:29]
; %bb.2116:                             ;   in Loop: Header=BB35_2100 Depth=2
	s_or_b64 exec, exec, s[40:41]
	v_lshlrev_b32_e32 v12, 16, v14
	v_lshlrev_b32_e32 v13, 16, v18
	v_max_f32_e32 v12, v12, v12
	v_max_f32_e32 v13, v13, v13
	v_min_f32_e32 v30, v13, v12
	v_max_f32_e32 v12, v13, v12
	v_cndmask_b32_e64 v12, v12, v30, s[26:27]
	v_and_b32_e32 v13, 0x7f800000, v12
	v_cmp_ne_u32_e64 s[28:29], s51, v13
                                        ; implicit-def: $vgpr30
	s_and_saveexec_b64 s[40:41], s[28:29]
	s_xor_b64 s[28:29], exec, s[40:41]
; %bb.2117:                             ;   in Loop: Header=BB35_2100 Depth=2
	v_bfe_u32 v13, v12, 16, 1
	v_add3_u32 v30, v12, v13, s72
                                        ; implicit-def: $vgpr12
; %bb.2118:                             ;   in Loop: Header=BB35_2100 Depth=2
	s_andn2_saveexec_b64 s[40:41], s[28:29]
; %bb.2119:                             ;   in Loop: Header=BB35_2100 Depth=2
	v_or_b32_e32 v13, 0x10000, v12
	v_cmp_eq_u32_sdwa s[28:29], v12, v3 src0_sel:WORD_0 src1_sel:DWORD
	s_nop 1
	v_cndmask_b32_e64 v30, v13, v12, s[28:29]
; %bb.2120:                             ;   in Loop: Header=BB35_2100 Depth=2
	s_or_b64 exec, exec, s[40:41]
	v_and_b32_e32 v12, 0xffff0000, v18
	v_and_b32_e32 v13, 0xffff0000, v14
	v_max_f32_e32 v13, v13, v13
	v_max_f32_e32 v12, v12, v12
	v_min_f32_e32 v14, v12, v13
	v_max_f32_e32 v12, v12, v13
	v_cndmask_b32_e64 v12, v12, v14, s[26:27]
	v_and_b32_e32 v13, 0x7f800000, v12
	v_cmp_ne_u32_e64 s[28:29], s51, v13
                                        ; implicit-def: $vgpr14
	s_and_saveexec_b64 s[40:41], s[28:29]
	s_xor_b64 s[28:29], exec, s[40:41]
; %bb.2121:                             ;   in Loop: Header=BB35_2100 Depth=2
	v_bfe_u32 v13, v12, 16, 1
	v_add3_u32 v14, v12, v13, s72
                                        ; implicit-def: $vgpr12
; %bb.2122:                             ;   in Loop: Header=BB35_2100 Depth=2
	s_andn2_saveexec_b64 s[40:41], s[28:29]
; %bb.2123:                             ;   in Loop: Header=BB35_2100 Depth=2
	v_or_b32_e32 v13, 0x10000, v12
	v_cmp_eq_u32_sdwa s[28:29], v12, v3 src0_sel:WORD_0 src1_sel:DWORD
	s_nop 1
	v_cndmask_b32_e64 v14, v13, v12, s[28:29]
; %bb.2124:                             ;   in Loop: Header=BB35_2100 Depth=2
	s_or_b64 exec, exec, s[40:41]
	v_lshlrev_b32_e32 v12, 16, v15
	v_lshlrev_b32_e32 v13, 16, v19
	v_max_f32_e32 v12, v12, v12
	v_max_f32_e32 v13, v13, v13
	v_min_f32_e32 v18, v13, v12
	v_max_f32_e32 v12, v13, v12
	v_cndmask_b32_e64 v12, v12, v18, s[26:27]
	v_and_b32_e32 v13, 0x7f800000, v12
	v_cmp_ne_u32_e64 s[28:29], s51, v13
                                        ; implicit-def: $vgpr18
	s_and_saveexec_b64 s[40:41], s[28:29]
	s_xor_b64 s[28:29], exec, s[40:41]
; %bb.2125:                             ;   in Loop: Header=BB35_2100 Depth=2
	v_bfe_u32 v13, v12, 16, 1
	v_add3_u32 v18, v12, v13, s72
                                        ; implicit-def: $vgpr12
; %bb.2126:                             ;   in Loop: Header=BB35_2100 Depth=2
	s_andn2_saveexec_b64 s[40:41], s[28:29]
; %bb.2127:                             ;   in Loop: Header=BB35_2100 Depth=2
	v_or_b32_e32 v13, 0x10000, v12
	v_cmp_eq_u32_sdwa s[28:29], v12, v3 src0_sel:WORD_0 src1_sel:DWORD
	s_nop 1
	v_cndmask_b32_e64 v18, v13, v12, s[28:29]
; %bb.2128:                             ;   in Loop: Header=BB35_2100 Depth=2
	s_or_b64 exec, exec, s[40:41]
	v_and_b32_e32 v12, 0xffff0000, v19
	v_and_b32_e32 v13, 0xffff0000, v15
	v_max_f32_e32 v13, v13, v13
	v_max_f32_e32 v12, v12, v12
	v_min_f32_e32 v15, v12, v13
	v_max_f32_e32 v12, v12, v13
	v_cndmask_b32_e64 v12, v12, v15, s[26:27]
	v_and_b32_e32 v13, 0x7f800000, v12
	v_cmp_ne_u32_e64 s[28:29], s51, v13
                                        ; implicit-def: $vgpr15
	s_and_saveexec_b64 s[40:41], s[28:29]
	s_xor_b64 s[28:29], exec, s[40:41]
; %bb.2129:                             ;   in Loop: Header=BB35_2100 Depth=2
	v_bfe_u32 v13, v12, 16, 1
	v_add3_u32 v15, v12, v13, s72
                                        ; implicit-def: $vgpr12
; %bb.2130:                             ;   in Loop: Header=BB35_2100 Depth=2
	s_andn2_saveexec_b64 s[40:41], s[28:29]
	s_cbranch_execz .LBB35_2099
; %bb.2131:                             ;   in Loop: Header=BB35_2100 Depth=2
	v_or_b32_e32 v13, 0x10000, v12
	v_cmp_eq_u32_sdwa s[28:29], v12, v3 src0_sel:WORD_0 src1_sel:DWORD
	s_nop 1
	v_cndmask_b32_e64 v15, v13, v12, s[28:29]
	s_branch .LBB35_2099
.LBB35_2132:                            ;   in Loop: Header=BB35_47 Depth=1
	s_or_b64 exec, exec, s[68:69]
.LBB35_2133:                            ;   in Loop: Header=BB35_47 Depth=1
	s_or_b64 exec, exec, s[66:67]
	v_and_b32_e32 v0, 14, v2
	v_sub_u32_e32 v1, v25, v0
	v_cndmask_b32_e32 v1, 0, v1, vcc
	v_cndmask_b32_e32 v2, v25, v0, vcc
	v_cmp_lt_i32_e32 vcc, 0, v26
	v_add3_u32 v7, v7, v24, v1
	s_nop 0
	v_cndmask_b32_e32 v0, 0, v60, vcc
	v_sub_u32_e32 v0, v0, v26
	v_cmp_ne_u32_e32 vcc, 0, v2
	v_lshl_add_u32 v14, v0, 6, v6
	s_and_b64 s[26:27], vcc, exec
.LBB35_2134:                            ;   in Loop: Header=BB35_47 Depth=1
	s_or_b64 exec, exec, s[64:65]
	s_and_saveexec_b64 s[28:29], s[26:27]
	s_cbranch_execz .LBB35_2275
.LBB35_2135:                            ;   in Loop: Header=BB35_47 Depth=1
	v_ashrrev_i32_e32 v0, 31, v14
	v_ashrrev_i32_e32 v1, 31, v2
	v_lshrrev_b32_e32 v0, 26, v0
	v_lshrrev_b32_e32 v1, 21, v1
	v_add_u32_e32 v0, v14, v0
	v_add_u32_e32 v1, v2, v1
	v_ashrrev_i32_e32 v6, 6, v0
	v_ashrrev_i32_e32 v16, 11, v1
	v_sub_u32_e32 v15, v16, v6
	v_cmp_lt_i32_e32 vcc, 0, v15
	s_and_saveexec_b64 s[40:41], vcc
	s_cbranch_execz .LBB35_2267
; %bb.2136:                             ;   in Loop: Header=BB35_47 Depth=1
	v_and_b32_e32 v0, 0x7fffffc0, v0
	v_sub_u32_e32 v0, v14, v0
	v_lshlrev_b32_e32 v0, 1, v0
	s_trap 2
	ds_read_b64 v[8:9], v0
	v_lshlrev_b32_e32 v1, 11, v6
	v_add3_u32 v10, v0, v7, v1
	s_and_b32 s76, s12, 1
	v_ashrrev_i32_e32 v11, 31, v10
	s_cmp_eq_u64 s[76:77], 0
	s_mov_b64 s[44:45], 0x780
	v_lshl_add_u64 v[0:1], v[10:11], 0, v[96:97]
	s_waitcnt lgkmcnt(0)
	v_lshl_add_u64 v[8:9], v[8:9], 0, v[10:11]
	s_mov_b64 s[42:43], 0
	s_cselect_b64 s[26:27], -1, 0
	v_lshl_add_u64 v[10:11], v[10:11], 0, s[44:45]
	s_branch .LBB35_2138
.LBB35_2137:                            ;   in Loop: Header=BB35_2138 Depth=2
	s_or_b64 exec, exec, s[44:45]
	flat_store_short_d16_hi v[12:13], v18 nt
	scratch_load_dwordx2 v[12:13], off, s33 offset:280 ; 8-byte Folded Reload
	v_sub_u32_e32 v15, v15, v60
	v_cmp_gt_i32_e32 vcc, 1, v15
	s_or_b64 s[42:43], vcc, s[42:43]
	v_lshl_add_u64 v[10:11], v[10:11], 0, v[120:121]
	s_waitcnt vmcnt(0)
	v_lshl_add_u64 v[0:1], v[0:1], 0, v[12:13]
	v_lshl_add_u64 v[8:9], v[8:9], 0, v[12:13]
	s_andn2_b64 exec, exec, s[42:43]
	s_cbranch_execz .LBB35_2266
.LBB35_2138:                            ;   Parent Loop BB35_47 Depth=1
                                        ; =>  This Inner Loop Header: Depth=2
	v_add_co_u32_e32 v12, vcc, 0xfffff880, v10
	s_nop 1
	v_addc_co_u32_e32 v13, vcc, -1, v11, vcc
	v_add_co_u32_e32 v18, vcc, 0xfffff900, v10
	flat_load_ushort v12, v[12:13] nt
	s_nop 0
	v_addc_co_u32_e32 v19, vcc, -1, v11, vcc
	flat_load_ushort v32, v[18:19] nt
	v_add_co_u32_e32 v18, vcc, 0xfffff980, v10
	s_nop 1
	v_addc_co_u32_e32 v19, vcc, -1, v11, vcc
	flat_load_ushort v30, v[18:19] nt
	v_add_co_u32_e32 v18, vcc, 0xfffffa00, v10
	;; [unrolled: 4-line block ×13, first 2 shown]
	s_nop 1
	v_addc_co_u32_e32 v35, vcc, -1, v11, vcc
	flat_load_ushort v18, v[34:35] nt
	flat_load_ushort v39, v[0:1] offset:1024 nt
	flat_load_ushort v38, v[0:1] offset:1152 nt
	;; [unrolled: 1-line block ×4, first 2 shown]
	s_nop 0
	flat_load_ushort v35, v[0:1] offset:1536 nt
	flat_load_ushort v34, v[0:1] offset:1664 nt
	flat_load_ushort v33, v[0:1] offset:1792 nt
	flat_load_ushort v13, v[0:1] offset:1920 nt
	flat_load_ushort v17, v[10:11] nt
	flat_load_ushort v64, v[0:1] offset:128 nt
	flat_load_ushort v54, v[0:1] offset:256 nt
	flat_load_ushort v53, v[0:1] offset:384 nt
	flat_load_ushort v52, v[0:1] offset:512 nt
	flat_load_ushort v51, v[0:1] offset:640 nt
	flat_load_ushort v50, v[0:1] offset:768 nt
	flat_load_ushort v49, v[0:1] offset:896 nt
	flat_load_ushort v55, v[0:1] nt
	flat_load_ushort v100, v[8:9] offset:128 nt
	flat_load_ushort v99, v[8:9] offset:256 nt
	flat_load_ushort v98, v[8:9] offset:384 nt
	;; [unrolled: 8-line block ×3, first 2 shown]
	flat_load_ushort v69, v[8:9] offset:1408 nt
	flat_load_ushort v68, v[8:9] offset:1536 nt
	;; [unrolled: 1-line block ×5, first 2 shown]
	s_waitcnt vmcnt(0) lgkmcnt(0)
	v_lshlrev_b32_e32 v55, 16, v55
	v_max_f32_e32 v55, v55, v55
	v_lshlrev_b32_e32 v101, 16, v101
	v_max_f32_e32 v101, v101, v101
	v_min_f32_e32 v102, v55, v101
	v_max_f32_e32 v55, v55, v101
	v_cndmask_b32_e64 v101, v55, v102, s[26:27]
	v_and_b32_e32 v55, 0x7f800000, v101
	v_cmp_ne_u32_e32 vcc, s51, v55
                                        ; implicit-def: $vgpr55
	s_and_saveexec_b64 s[44:45], vcc
	s_xor_b64 s[44:45], exec, s[44:45]
; %bb.2139:                             ;   in Loop: Header=BB35_2138 Depth=2
	v_bfe_u32 v55, v101, 16, 1
	v_add3_u32 v55, v101, v55, s72
                                        ; implicit-def: $vgpr101
; %bb.2140:                             ;   in Loop: Header=BB35_2138 Depth=2
	s_andn2_saveexec_b64 s[44:45], s[44:45]
; %bb.2141:                             ;   in Loop: Header=BB35_2138 Depth=2
	v_or_b32_e32 v55, 0x10000, v101
	v_cmp_eq_u32_sdwa vcc, v101, v3 src0_sel:WORD_0 src1_sel:DWORD
	s_nop 1
	v_cndmask_b32_e32 v55, v55, v101, vcc
; %bb.2142:                             ;   in Loop: Header=BB35_2138 Depth=2
	s_or_b64 exec, exec, s[44:45]
	v_lshlrev_b32_e32 v64, 16, v64
	v_lshlrev_b32_e32 v100, 16, v100
	v_max_f32_e32 v100, v100, v100
	v_max_f32_e32 v64, v64, v64
	v_min_f32_e32 v101, v64, v100
	v_max_f32_e32 v64, v64, v100
	v_cndmask_b32_e64 v100, v64, v101, s[26:27]
	v_and_b32_e32 v64, 0x7f800000, v100
	v_cmp_ne_u32_e32 vcc, s51, v64
                                        ; implicit-def: $vgpr64
	s_and_saveexec_b64 s[44:45], vcc
	s_xor_b64 s[44:45], exec, s[44:45]
; %bb.2143:                             ;   in Loop: Header=BB35_2138 Depth=2
	v_bfe_u32 v64, v100, 16, 1
	v_add3_u32 v64, v100, v64, s72
                                        ; implicit-def: $vgpr100
; %bb.2144:                             ;   in Loop: Header=BB35_2138 Depth=2
	s_andn2_saveexec_b64 s[44:45], s[44:45]
; %bb.2145:                             ;   in Loop: Header=BB35_2138 Depth=2
	v_or_b32_e32 v64, 0x10000, v100
	v_cmp_eq_u32_sdwa vcc, v100, v3 src0_sel:WORD_0 src1_sel:DWORD
	s_nop 1
	v_cndmask_b32_e32 v64, v64, v100, vcc
; %bb.2146:                             ;   in Loop: Header=BB35_2138 Depth=2
	s_or_b64 exec, exec, s[44:45]
	v_lshlrev_b32_e32 v54, 16, v54
	v_lshlrev_b32_e32 v99, 16, v99
	v_max_f32_e32 v99, v99, v99
	v_max_f32_e32 v54, v54, v54
	v_min_f32_e32 v100, v54, v99
	v_max_f32_e32 v54, v54, v99
	v_cndmask_b32_e64 v99, v54, v100, s[26:27]
	v_and_b32_e32 v54, 0x7f800000, v99
	v_cmp_ne_u32_e32 vcc, s51, v54
                                        ; implicit-def: $vgpr54
	s_and_saveexec_b64 s[44:45], vcc
	s_xor_b64 s[44:45], exec, s[44:45]
; %bb.2147:                             ;   in Loop: Header=BB35_2138 Depth=2
	v_bfe_u32 v54, v99, 16, 1
	v_add3_u32 v54, v99, v54, s72
                                        ; implicit-def: $vgpr99
; %bb.2148:                             ;   in Loop: Header=BB35_2138 Depth=2
	s_andn2_saveexec_b64 s[44:45], s[44:45]
; %bb.2149:                             ;   in Loop: Header=BB35_2138 Depth=2
	v_or_b32_e32 v54, 0x10000, v99
	v_cmp_eq_u32_sdwa vcc, v99, v3 src0_sel:WORD_0 src1_sel:DWORD
	s_nop 1
	v_cndmask_b32_e32 v54, v54, v99, vcc
; %bb.2150:                             ;   in Loop: Header=BB35_2138 Depth=2
	s_or_b64 exec, exec, s[44:45]
	v_lshlrev_b32_e32 v53, 16, v53
	v_lshlrev_b32_e32 v98, 16, v98
	v_max_f32_e32 v98, v98, v98
	v_max_f32_e32 v53, v53, v53
	v_min_f32_e32 v99, v53, v98
	v_max_f32_e32 v53, v53, v98
	v_cndmask_b32_e64 v98, v53, v99, s[26:27]
	v_and_b32_e32 v53, 0x7f800000, v98
	v_cmp_ne_u32_e32 vcc, s51, v53
                                        ; implicit-def: $vgpr53
	s_and_saveexec_b64 s[44:45], vcc
	s_xor_b64 s[44:45], exec, s[44:45]
; %bb.2151:                             ;   in Loop: Header=BB35_2138 Depth=2
	v_bfe_u32 v53, v98, 16, 1
	v_add3_u32 v53, v98, v53, s72
                                        ; implicit-def: $vgpr98
; %bb.2152:                             ;   in Loop: Header=BB35_2138 Depth=2
	s_andn2_saveexec_b64 s[44:45], s[44:45]
; %bb.2153:                             ;   in Loop: Header=BB35_2138 Depth=2
	v_or_b32_e32 v53, 0x10000, v98
	v_cmp_eq_u32_sdwa vcc, v98, v3 src0_sel:WORD_0 src1_sel:DWORD
	s_nop 1
	v_cndmask_b32_e32 v53, v53, v98, vcc
; %bb.2154:                             ;   in Loop: Header=BB35_2138 Depth=2
	s_or_b64 exec, exec, s[44:45]
	v_lshlrev_b32_e32 v52, 16, v52
	v_lshlrev_b32_e32 v83, 16, v83
	v_max_f32_e32 v83, v83, v83
	v_max_f32_e32 v52, v52, v52
	v_min_f32_e32 v98, v52, v83
	v_max_f32_e32 v52, v52, v83
	v_cndmask_b32_e64 v83, v52, v98, s[26:27]
	v_and_b32_e32 v52, 0x7f800000, v83
	v_cmp_ne_u32_e32 vcc, s51, v52
                                        ; implicit-def: $vgpr52
	s_and_saveexec_b64 s[44:45], vcc
	s_xor_b64 s[44:45], exec, s[44:45]
; %bb.2155:                             ;   in Loop: Header=BB35_2138 Depth=2
	v_bfe_u32 v52, v83, 16, 1
	v_add3_u32 v52, v83, v52, s72
                                        ; implicit-def: $vgpr83
; %bb.2156:                             ;   in Loop: Header=BB35_2138 Depth=2
	s_andn2_saveexec_b64 s[44:45], s[44:45]
; %bb.2157:                             ;   in Loop: Header=BB35_2138 Depth=2
	v_or_b32_e32 v52, 0x10000, v83
	v_cmp_eq_u32_sdwa vcc, v83, v3 src0_sel:WORD_0 src1_sel:DWORD
	s_nop 1
	v_cndmask_b32_e32 v52, v52, v83, vcc
; %bb.2158:                             ;   in Loop: Header=BB35_2138 Depth=2
	s_or_b64 exec, exec, s[44:45]
	v_lshlrev_b32_e32 v51, 16, v51
	v_lshlrev_b32_e32 v82, 16, v82
	v_max_f32_e32 v82, v82, v82
	v_max_f32_e32 v51, v51, v51
	v_min_f32_e32 v83, v51, v82
	v_max_f32_e32 v51, v51, v82
	v_cndmask_b32_e64 v82, v51, v83, s[26:27]
	v_and_b32_e32 v51, 0x7f800000, v82
	v_cmp_ne_u32_e32 vcc, s51, v51
                                        ; implicit-def: $vgpr51
	s_and_saveexec_b64 s[44:45], vcc
	s_xor_b64 s[44:45], exec, s[44:45]
; %bb.2159:                             ;   in Loop: Header=BB35_2138 Depth=2
	v_bfe_u32 v51, v82, 16, 1
	v_add3_u32 v51, v82, v51, s72
                                        ; implicit-def: $vgpr82
; %bb.2160:                             ;   in Loop: Header=BB35_2138 Depth=2
	s_andn2_saveexec_b64 s[44:45], s[44:45]
; %bb.2161:                             ;   in Loop: Header=BB35_2138 Depth=2
	v_or_b32_e32 v51, 0x10000, v82
	v_cmp_eq_u32_sdwa vcc, v82, v3 src0_sel:WORD_0 src1_sel:DWORD
	s_nop 1
	v_cndmask_b32_e32 v51, v51, v82, vcc
; %bb.2162:                             ;   in Loop: Header=BB35_2138 Depth=2
	s_or_b64 exec, exec, s[44:45]
	v_lshlrev_b32_e32 v50, 16, v50
	v_lshlrev_b32_e32 v81, 16, v81
	v_max_f32_e32 v81, v81, v81
	v_max_f32_e32 v50, v50, v50
	v_min_f32_e32 v82, v50, v81
	v_max_f32_e32 v50, v50, v81
	v_cndmask_b32_e64 v81, v50, v82, s[26:27]
	v_and_b32_e32 v50, 0x7f800000, v81
	v_cmp_ne_u32_e32 vcc, s51, v50
                                        ; implicit-def: $vgpr50
	s_and_saveexec_b64 s[44:45], vcc
	s_xor_b64 s[44:45], exec, s[44:45]
; %bb.2163:                             ;   in Loop: Header=BB35_2138 Depth=2
	v_bfe_u32 v50, v81, 16, 1
	v_add3_u32 v50, v81, v50, s72
                                        ; implicit-def: $vgpr81
; %bb.2164:                             ;   in Loop: Header=BB35_2138 Depth=2
	s_andn2_saveexec_b64 s[44:45], s[44:45]
; %bb.2165:                             ;   in Loop: Header=BB35_2138 Depth=2
	v_or_b32_e32 v50, 0x10000, v81
	v_cmp_eq_u32_sdwa vcc, v81, v3 src0_sel:WORD_0 src1_sel:DWORD
	s_nop 1
	v_cndmask_b32_e32 v50, v50, v81, vcc
; %bb.2166:                             ;   in Loop: Header=BB35_2138 Depth=2
	s_or_b64 exec, exec, s[44:45]
	v_lshlrev_b32_e32 v49, 16, v49
	v_lshlrev_b32_e32 v80, 16, v80
	v_max_f32_e32 v80, v80, v80
	v_max_f32_e32 v49, v49, v49
	v_min_f32_e32 v81, v49, v80
	v_max_f32_e32 v49, v49, v80
	v_cndmask_b32_e64 v80, v49, v81, s[26:27]
	v_and_b32_e32 v49, 0x7f800000, v80
	v_cmp_ne_u32_e32 vcc, s51, v49
                                        ; implicit-def: $vgpr49
	s_and_saveexec_b64 s[44:45], vcc
	s_xor_b64 s[44:45], exec, s[44:45]
; %bb.2167:                             ;   in Loop: Header=BB35_2138 Depth=2
	v_bfe_u32 v49, v80, 16, 1
	v_add3_u32 v49, v80, v49, s72
                                        ; implicit-def: $vgpr80
; %bb.2168:                             ;   in Loop: Header=BB35_2138 Depth=2
	s_andn2_saveexec_b64 s[44:45], s[44:45]
; %bb.2169:                             ;   in Loop: Header=BB35_2138 Depth=2
	v_or_b32_e32 v49, 0x10000, v80
	v_cmp_eq_u32_sdwa vcc, v80, v3 src0_sel:WORD_0 src1_sel:DWORD
	s_nop 1
	v_cndmask_b32_e32 v49, v49, v80, vcc
; %bb.2170:                             ;   in Loop: Header=BB35_2138 Depth=2
	s_or_b64 exec, exec, s[44:45]
	v_lshlrev_b32_e32 v39, 16, v39
	v_lshlrev_b32_e32 v48, 16, v48
	v_max_f32_e32 v48, v48, v48
	v_max_f32_e32 v39, v39, v39
	v_min_f32_e32 v80, v39, v48
	v_max_f32_e32 v39, v39, v48
	v_cndmask_b32_e64 v39, v39, v80, s[26:27]
	v_and_b32_e32 v48, 0x7f800000, v39
	v_cmp_ne_u32_e32 vcc, s51, v48
                                        ; implicit-def: $vgpr48
	s_and_saveexec_b64 s[44:45], vcc
	s_xor_b64 s[44:45], exec, s[44:45]
; %bb.2171:                             ;   in Loop: Header=BB35_2138 Depth=2
	v_bfe_u32 v48, v39, 16, 1
	v_add3_u32 v48, v39, v48, s72
                                        ; implicit-def: $vgpr39
; %bb.2172:                             ;   in Loop: Header=BB35_2138 Depth=2
	s_andn2_saveexec_b64 s[44:45], s[44:45]
; %bb.2173:                             ;   in Loop: Header=BB35_2138 Depth=2
	v_or_b32_e32 v48, 0x10000, v39
	v_cmp_eq_u32_sdwa vcc, v39, v3 src0_sel:WORD_0 src1_sel:DWORD
	s_nop 1
	v_cndmask_b32_e32 v48, v48, v39, vcc
; %bb.2174:                             ;   in Loop: Header=BB35_2138 Depth=2
	s_or_b64 exec, exec, s[44:45]
	v_lshlrev_b32_e32 v38, 16, v38
	v_lshlrev_b32_e32 v39, 16, v71
	v_max_f32_e32 v39, v39, v39
	v_max_f32_e32 v38, v38, v38
	v_min_f32_e32 v71, v38, v39
	v_max_f32_e32 v38, v38, v39
	v_cndmask_b32_e64 v38, v38, v71, s[26:27]
	v_and_b32_e32 v39, 0x7f800000, v38
	v_cmp_ne_u32_e32 vcc, s51, v39
                                        ; implicit-def: $vgpr39
	s_and_saveexec_b64 s[44:45], vcc
	s_xor_b64 s[44:45], exec, s[44:45]
; %bb.2175:                             ;   in Loop: Header=BB35_2138 Depth=2
	v_bfe_u32 v39, v38, 16, 1
	v_add3_u32 v39, v38, v39, s72
                                        ; implicit-def: $vgpr38
; %bb.2176:                             ;   in Loop: Header=BB35_2138 Depth=2
	s_andn2_saveexec_b64 s[44:45], s[44:45]
; %bb.2177:                             ;   in Loop: Header=BB35_2138 Depth=2
	v_or_b32_e32 v39, 0x10000, v38
	v_cmp_eq_u32_sdwa vcc, v38, v3 src0_sel:WORD_0 src1_sel:DWORD
	s_nop 1
	v_cndmask_b32_e32 v39, v39, v38, vcc
; %bb.2178:                             ;   in Loop: Header=BB35_2138 Depth=2
	s_or_b64 exec, exec, s[44:45]
	v_lshlrev_b32_e32 v37, 16, v37
	v_lshlrev_b32_e32 v38, 16, v70
	v_max_f32_e32 v38, v38, v38
	v_max_f32_e32 v37, v37, v37
	v_min_f32_e32 v70, v37, v38
	v_max_f32_e32 v37, v37, v38
	v_cndmask_b32_e64 v37, v37, v70, s[26:27]
	v_and_b32_e32 v38, 0x7f800000, v37
	v_cmp_ne_u32_e32 vcc, s51, v38
                                        ; implicit-def: $vgpr38
	s_and_saveexec_b64 s[44:45], vcc
	s_xor_b64 s[44:45], exec, s[44:45]
; %bb.2179:                             ;   in Loop: Header=BB35_2138 Depth=2
	v_bfe_u32 v38, v37, 16, 1
	v_add3_u32 v38, v37, v38, s72
                                        ; implicit-def: $vgpr37
; %bb.2180:                             ;   in Loop: Header=BB35_2138 Depth=2
	s_andn2_saveexec_b64 s[44:45], s[44:45]
; %bb.2181:                             ;   in Loop: Header=BB35_2138 Depth=2
	v_or_b32_e32 v38, 0x10000, v37
	v_cmp_eq_u32_sdwa vcc, v37, v3 src0_sel:WORD_0 src1_sel:DWORD
	s_nop 1
	v_cndmask_b32_e32 v38, v38, v37, vcc
; %bb.2182:                             ;   in Loop: Header=BB35_2138 Depth=2
	s_or_b64 exec, exec, s[44:45]
	v_lshlrev_b32_e32 v36, 16, v36
	v_lshlrev_b32_e32 v37, 16, v69
	v_max_f32_e32 v37, v37, v37
	v_max_f32_e32 v36, v36, v36
	v_min_f32_e32 v69, v36, v37
	v_max_f32_e32 v36, v36, v37
	v_cndmask_b32_e64 v36, v36, v69, s[26:27]
	v_and_b32_e32 v37, 0x7f800000, v36
	v_cmp_ne_u32_e32 vcc, s51, v37
                                        ; implicit-def: $vgpr37
	s_and_saveexec_b64 s[44:45], vcc
	s_xor_b64 s[44:45], exec, s[44:45]
; %bb.2183:                             ;   in Loop: Header=BB35_2138 Depth=2
	v_bfe_u32 v37, v36, 16, 1
	v_add3_u32 v37, v36, v37, s72
                                        ; implicit-def: $vgpr36
; %bb.2184:                             ;   in Loop: Header=BB35_2138 Depth=2
	s_andn2_saveexec_b64 s[44:45], s[44:45]
; %bb.2185:                             ;   in Loop: Header=BB35_2138 Depth=2
	v_or_b32_e32 v37, 0x10000, v36
	v_cmp_eq_u32_sdwa vcc, v36, v3 src0_sel:WORD_0 src1_sel:DWORD
	s_nop 1
	v_cndmask_b32_e32 v37, v37, v36, vcc
; %bb.2186:                             ;   in Loop: Header=BB35_2138 Depth=2
	s_or_b64 exec, exec, s[44:45]
	v_lshlrev_b32_e32 v35, 16, v35
	v_lshlrev_b32_e32 v36, 16, v68
	v_max_f32_e32 v36, v36, v36
	v_max_f32_e32 v35, v35, v35
	v_min_f32_e32 v68, v35, v36
	v_max_f32_e32 v35, v35, v36
	v_cndmask_b32_e64 v35, v35, v68, s[26:27]
	v_and_b32_e32 v36, 0x7f800000, v35
	v_cmp_ne_u32_e32 vcc, s51, v36
                                        ; implicit-def: $vgpr36
	s_and_saveexec_b64 s[44:45], vcc
	s_xor_b64 s[44:45], exec, s[44:45]
; %bb.2187:                             ;   in Loop: Header=BB35_2138 Depth=2
	v_bfe_u32 v36, v35, 16, 1
	v_add3_u32 v36, v35, v36, s72
                                        ; implicit-def: $vgpr35
; %bb.2188:                             ;   in Loop: Header=BB35_2138 Depth=2
	s_andn2_saveexec_b64 s[44:45], s[44:45]
; %bb.2189:                             ;   in Loop: Header=BB35_2138 Depth=2
	v_or_b32_e32 v36, 0x10000, v35
	v_cmp_eq_u32_sdwa vcc, v35, v3 src0_sel:WORD_0 src1_sel:DWORD
	s_nop 1
	v_cndmask_b32_e32 v36, v36, v35, vcc
; %bb.2190:                             ;   in Loop: Header=BB35_2138 Depth=2
	s_or_b64 exec, exec, s[44:45]
	v_lshlrev_b32_e32 v34, 16, v34
	v_lshlrev_b32_e32 v35, 16, v67
	v_max_f32_e32 v35, v35, v35
	v_max_f32_e32 v34, v34, v34
	v_min_f32_e32 v67, v34, v35
	v_max_f32_e32 v34, v34, v35
	v_cndmask_b32_e64 v34, v34, v67, s[26:27]
	v_and_b32_e32 v35, 0x7f800000, v34
	v_cmp_ne_u32_e32 vcc, s51, v35
                                        ; implicit-def: $vgpr35
	s_and_saveexec_b64 s[44:45], vcc
	s_xor_b64 s[44:45], exec, s[44:45]
; %bb.2191:                             ;   in Loop: Header=BB35_2138 Depth=2
	v_bfe_u32 v35, v34, 16, 1
	v_add3_u32 v35, v34, v35, s72
                                        ; implicit-def: $vgpr34
; %bb.2192:                             ;   in Loop: Header=BB35_2138 Depth=2
	s_andn2_saveexec_b64 s[44:45], s[44:45]
; %bb.2193:                             ;   in Loop: Header=BB35_2138 Depth=2
	v_or_b32_e32 v35, 0x10000, v34
	v_cmp_eq_u32_sdwa vcc, v34, v3 src0_sel:WORD_0 src1_sel:DWORD
	s_nop 1
	v_cndmask_b32_e32 v35, v35, v34, vcc
; %bb.2194:                             ;   in Loop: Header=BB35_2138 Depth=2
	s_or_b64 exec, exec, s[44:45]
	v_lshlrev_b32_e32 v33, 16, v33
	v_lshlrev_b32_e32 v34, 16, v66
	v_max_f32_e32 v34, v34, v34
	v_max_f32_e32 v33, v33, v33
	v_min_f32_e32 v66, v33, v34
	v_max_f32_e32 v33, v33, v34
	v_cndmask_b32_e64 v33, v33, v66, s[26:27]
	v_and_b32_e32 v34, 0x7f800000, v33
	v_cmp_ne_u32_e32 vcc, s51, v34
                                        ; implicit-def: $vgpr34
	s_and_saveexec_b64 s[44:45], vcc
	s_xor_b64 s[44:45], exec, s[44:45]
; %bb.2195:                             ;   in Loop: Header=BB35_2138 Depth=2
	v_bfe_u32 v34, v33, 16, 1
	v_add3_u32 v34, v33, v34, s72
                                        ; implicit-def: $vgpr33
; %bb.2196:                             ;   in Loop: Header=BB35_2138 Depth=2
	s_andn2_saveexec_b64 s[44:45], s[44:45]
; %bb.2197:                             ;   in Loop: Header=BB35_2138 Depth=2
	v_or_b32_e32 v34, 0x10000, v33
	v_cmp_eq_u32_sdwa vcc, v33, v3 src0_sel:WORD_0 src1_sel:DWORD
	s_nop 1
	v_cndmask_b32_e32 v34, v34, v33, vcc
; %bb.2198:                             ;   in Loop: Header=BB35_2138 Depth=2
	s_or_b64 exec, exec, s[44:45]
	v_lshlrev_b32_e32 v13, 16, v13
	v_lshlrev_b32_e32 v33, 16, v65
	v_max_f32_e32 v33, v33, v33
	v_max_f32_e32 v13, v13, v13
	v_min_f32_e32 v65, v13, v33
	v_max_f32_e32 v13, v13, v33
	v_cndmask_b32_e64 v13, v13, v65, s[26:27]
	v_and_b32_e32 v33, 0x7f800000, v13
	v_cmp_ne_u32_e32 vcc, s51, v33
                                        ; implicit-def: $vgpr33
	s_and_saveexec_b64 s[44:45], vcc
	s_xor_b64 s[44:45], exec, s[44:45]
; %bb.2199:                             ;   in Loop: Header=BB35_2138 Depth=2
	v_bfe_u32 v33, v13, 16, 1
	v_add3_u32 v33, v13, v33, s72
                                        ; implicit-def: $vgpr13
; %bb.2200:                             ;   in Loop: Header=BB35_2138 Depth=2
	s_andn2_saveexec_b64 s[44:45], s[44:45]
; %bb.2201:                             ;   in Loop: Header=BB35_2138 Depth=2
	v_or_b32_e32 v33, 0x10000, v13
	v_cmp_eq_u32_sdwa vcc, v13, v3 src0_sel:WORD_0 src1_sel:DWORD
	s_nop 1
	v_cndmask_b32_e32 v33, v33, v13, vcc
; %bb.2202:                             ;   in Loop: Header=BB35_2138 Depth=2
	s_or_b64 exec, exec, s[44:45]
	v_and_b32_e32 v13, 0xffff0000, v55
	v_lshlrev_b32_e32 v12, 16, v12
	v_max_f32_e32 v13, v13, v13
	v_max_f32_e32 v12, v12, v12
	v_min_f32_e32 v55, v13, v12
	v_max_f32_e32 v12, v13, v12
	v_cndmask_b32_e64 v12, v12, v55, s[26:27]
	v_and_b32_e32 v13, 0x7f800000, v12
	v_cmp_ne_u32_e32 vcc, s51, v13
                                        ; implicit-def: $vgpr55
	s_and_saveexec_b64 s[44:45], vcc
	s_xor_b64 s[44:45], exec, s[44:45]
; %bb.2203:                             ;   in Loop: Header=BB35_2138 Depth=2
	v_bfe_u32 v13, v12, 16, 1
	v_add3_u32 v55, v12, v13, s72
                                        ; implicit-def: $vgpr12
; %bb.2204:                             ;   in Loop: Header=BB35_2138 Depth=2
	s_andn2_saveexec_b64 s[44:45], s[44:45]
; %bb.2205:                             ;   in Loop: Header=BB35_2138 Depth=2
	v_or_b32_e32 v13, 0x10000, v12
	v_cmp_eq_u32_sdwa vcc, v12, v3 src0_sel:WORD_0 src1_sel:DWORD
	s_nop 1
	v_cndmask_b32_e32 v55, v13, v12, vcc
; %bb.2206:                             ;   in Loop: Header=BB35_2138 Depth=2
	s_or_b64 exec, exec, s[44:45]
	v_lshl_add_u64 v[12:13], v[86:87], 0, v[10:11]
	v_and_b32_e32 v66, 0xffff0000, v64
	v_add_co_u32_e32 v64, vcc, 0xfffff880, v12
	v_lshlrev_b32_e32 v32, 16, v32
	s_nop 0
	v_addc_co_u32_e32 v65, vcc, -1, v13, vcc
	flat_store_short_d16_hi v[64:65], v55 nt
	v_max_f32_e32 v55, v66, v66
	v_max_f32_e32 v32, v32, v32
	v_min_f32_e32 v64, v55, v32
	v_max_f32_e32 v32, v55, v32
	v_cndmask_b32_e64 v55, v32, v64, s[26:27]
	v_and_b32_e32 v32, 0x7f800000, v55
	v_cmp_ne_u32_e32 vcc, s51, v32
                                        ; implicit-def: $vgpr32
	s_and_saveexec_b64 s[44:45], vcc
	s_xor_b64 s[44:45], exec, s[44:45]
; %bb.2207:                             ;   in Loop: Header=BB35_2138 Depth=2
	v_bfe_u32 v32, v55, 16, 1
	v_add3_u32 v32, v55, v32, s72
                                        ; implicit-def: $vgpr55
; %bb.2208:                             ;   in Loop: Header=BB35_2138 Depth=2
	s_andn2_saveexec_b64 s[44:45], s[44:45]
; %bb.2209:                             ;   in Loop: Header=BB35_2138 Depth=2
	v_or_b32_e32 v32, 0x10000, v55
	v_cmp_eq_u32_sdwa vcc, v55, v3 src0_sel:WORD_0 src1_sel:DWORD
	s_nop 1
	v_cndmask_b32_e32 v32, v32, v55, vcc
; %bb.2210:                             ;   in Loop: Header=BB35_2138 Depth=2
	s_or_b64 exec, exec, s[44:45]
	v_and_b32_e32 v64, 0xffff0000, v54
	v_add_co_u32_e32 v54, vcc, 0xfffff900, v12
	v_lshlrev_b32_e32 v30, 16, v30
	s_nop 0
	v_addc_co_u32_e32 v55, vcc, -1, v13, vcc
	flat_store_short_d16_hi v[54:55], v32 nt
	v_max_f32_e32 v32, v64, v64
	v_max_f32_e32 v30, v30, v30
	v_min_f32_e32 v54, v32, v30
	v_max_f32_e32 v30, v32, v30
	v_cndmask_b32_e64 v32, v30, v54, s[26:27]
	v_and_b32_e32 v30, 0x7f800000, v32
	v_cmp_ne_u32_e32 vcc, s51, v30
                                        ; implicit-def: $vgpr30
	s_and_saveexec_b64 s[44:45], vcc
	s_xor_b64 s[44:45], exec, s[44:45]
; %bb.2211:                             ;   in Loop: Header=BB35_2138 Depth=2
	v_bfe_u32 v30, v32, 16, 1
	v_add3_u32 v30, v32, v30, s72
                                        ; implicit-def: $vgpr32
; %bb.2212:                             ;   in Loop: Header=BB35_2138 Depth=2
	s_andn2_saveexec_b64 s[44:45], s[44:45]
; %bb.2213:                             ;   in Loop: Header=BB35_2138 Depth=2
	v_or_b32_e32 v30, 0x10000, v32
	v_cmp_eq_u32_sdwa vcc, v32, v3 src0_sel:WORD_0 src1_sel:DWORD
	s_nop 1
	v_cndmask_b32_e32 v30, v30, v32, vcc
; %bb.2214:                             ;   in Loop: Header=BB35_2138 Depth=2
	s_or_b64 exec, exec, s[44:45]
	v_add_co_u32_e32 v54, vcc, 0xfffff980, v12
	v_and_b32_e32 v32, 0xffff0000, v53
	s_nop 0
	v_addc_co_u32_e32 v55, vcc, -1, v13, vcc
	v_lshlrev_b32_e32 v29, 16, v29
	flat_store_short_d16_hi v[54:55], v30 nt
	v_max_f32_e32 v30, v32, v32
	v_max_f32_e32 v29, v29, v29
	v_min_f32_e32 v32, v30, v29
	v_max_f32_e32 v29, v30, v29
	v_cndmask_b32_e64 v30, v29, v32, s[26:27]
	v_and_b32_e32 v29, 0x7f800000, v30
	v_cmp_ne_u32_e32 vcc, s51, v29
                                        ; implicit-def: $vgpr29
	s_and_saveexec_b64 s[44:45], vcc
	s_xor_b64 s[44:45], exec, s[44:45]
; %bb.2215:                             ;   in Loop: Header=BB35_2138 Depth=2
	v_bfe_u32 v29, v30, 16, 1
	v_add3_u32 v29, v30, v29, s72
                                        ; implicit-def: $vgpr30
; %bb.2216:                             ;   in Loop: Header=BB35_2138 Depth=2
	s_andn2_saveexec_b64 s[44:45], s[44:45]
; %bb.2217:                             ;   in Loop: Header=BB35_2138 Depth=2
	v_or_b32_e32 v29, 0x10000, v30
	v_cmp_eq_u32_sdwa vcc, v30, v3 src0_sel:WORD_0 src1_sel:DWORD
	s_nop 1
	v_cndmask_b32_e32 v29, v29, v30, vcc
; %bb.2218:                             ;   in Loop: Header=BB35_2138 Depth=2
	s_or_b64 exec, exec, s[44:45]
	v_and_b32_e32 v30, 0xffff0000, v52
	v_add_co_u32_e32 v52, vcc, 0xfffffa00, v12
	v_lshlrev_b32_e32 v28, 16, v28
	s_nop 0
	v_addc_co_u32_e32 v53, vcc, -1, v13, vcc
	flat_store_short_d16_hi v[52:53], v29 nt
	v_max_f32_e32 v29, v30, v30
	v_max_f32_e32 v28, v28, v28
	v_min_f32_e32 v30, v29, v28
	v_max_f32_e32 v28, v29, v28
	v_cndmask_b32_e64 v29, v28, v30, s[26:27]
	v_and_b32_e32 v28, 0x7f800000, v29
	v_cmp_ne_u32_e32 vcc, s51, v28
                                        ; implicit-def: $vgpr28
	s_and_saveexec_b64 s[44:45], vcc
	s_xor_b64 s[44:45], exec, s[44:45]
; %bb.2219:                             ;   in Loop: Header=BB35_2138 Depth=2
	v_bfe_u32 v28, v29, 16, 1
	v_add3_u32 v28, v29, v28, s72
                                        ; implicit-def: $vgpr29
; %bb.2220:                             ;   in Loop: Header=BB35_2138 Depth=2
	s_andn2_saveexec_b64 s[44:45], s[44:45]
; %bb.2221:                             ;   in Loop: Header=BB35_2138 Depth=2
	v_or_b32_e32 v28, 0x10000, v29
	v_cmp_eq_u32_sdwa vcc, v29, v3 src0_sel:WORD_0 src1_sel:DWORD
	s_nop 1
	v_cndmask_b32_e32 v28, v28, v29, vcc
; %bb.2222:                             ;   in Loop: Header=BB35_2138 Depth=2
	s_or_b64 exec, exec, s[44:45]
	v_add_co_u32_e32 v52, vcc, 0xfffffa80, v12
	v_and_b32_e32 v29, 0xffff0000, v51
	s_nop 0
	v_addc_co_u32_e32 v53, vcc, -1, v13, vcc
	v_lshlrev_b32_e32 v27, 16, v27
	flat_store_short_d16_hi v[52:53], v28 nt
	v_max_f32_e32 v28, v29, v29
	v_max_f32_e32 v27, v27, v27
	v_min_f32_e32 v29, v28, v27
	v_max_f32_e32 v27, v28, v27
	v_cndmask_b32_e64 v28, v27, v29, s[26:27]
	v_and_b32_e32 v27, 0x7f800000, v28
	v_cmp_ne_u32_e32 vcc, s51, v27
                                        ; implicit-def: $vgpr27
	s_and_saveexec_b64 s[44:45], vcc
	s_xor_b64 s[44:45], exec, s[44:45]
; %bb.2223:                             ;   in Loop: Header=BB35_2138 Depth=2
	v_bfe_u32 v27, v28, 16, 1
	v_add3_u32 v27, v28, v27, s72
                                        ; implicit-def: $vgpr28
; %bb.2224:                             ;   in Loop: Header=BB35_2138 Depth=2
	s_andn2_saveexec_b64 s[44:45], s[44:45]
; %bb.2225:                             ;   in Loop: Header=BB35_2138 Depth=2
	v_or_b32_e32 v27, 0x10000, v28
	v_cmp_eq_u32_sdwa vcc, v28, v3 src0_sel:WORD_0 src1_sel:DWORD
	s_nop 1
	v_cndmask_b32_e32 v27, v27, v28, vcc
; %bb.2226:                             ;   in Loop: Header=BB35_2138 Depth=2
	s_or_b64 exec, exec, s[44:45]
	v_add_co_u32_e32 v28, vcc, 0xfffffb00, v12
	v_and_b32_e32 v30, 0xffff0000, v50
	s_nop 0
	v_addc_co_u32_e32 v29, vcc, -1, v13, vcc
	v_lshlrev_b32_e32 v26, 16, v26
	flat_store_short_d16_hi v[28:29], v27 nt
	v_max_f32_e32 v27, v30, v30
	v_max_f32_e32 v26, v26, v26
	v_min_f32_e32 v28, v27, v26
	v_max_f32_e32 v26, v27, v26
	v_cndmask_b32_e64 v27, v26, v28, s[26:27]
	v_and_b32_e32 v26, 0x7f800000, v27
	v_cmp_ne_u32_e32 vcc, s51, v26
                                        ; implicit-def: $vgpr26
	s_and_saveexec_b64 s[44:45], vcc
	s_xor_b64 s[44:45], exec, s[44:45]
; %bb.2227:                             ;   in Loop: Header=BB35_2138 Depth=2
	v_bfe_u32 v26, v27, 16, 1
	v_add3_u32 v26, v27, v26, s72
                                        ; implicit-def: $vgpr27
; %bb.2228:                             ;   in Loop: Header=BB35_2138 Depth=2
	s_andn2_saveexec_b64 s[44:45], s[44:45]
; %bb.2229:                             ;   in Loop: Header=BB35_2138 Depth=2
	v_or_b32_e32 v26, 0x10000, v27
	v_cmp_eq_u32_sdwa vcc, v27, v3 src0_sel:WORD_0 src1_sel:DWORD
	s_nop 1
	v_cndmask_b32_e32 v26, v26, v27, vcc
; %bb.2230:                             ;   in Loop: Header=BB35_2138 Depth=2
	s_or_b64 exec, exec, s[44:45]
	v_add_co_u32_e32 v28, vcc, 0xfffffb80, v12
	v_and_b32_e32 v27, 0xffff0000, v49
	s_nop 0
	v_addc_co_u32_e32 v29, vcc, -1, v13, vcc
	v_lshlrev_b32_e32 v25, 16, v25
	flat_store_short_d16_hi v[28:29], v26 nt
	v_max_f32_e32 v26, v27, v27
	v_max_f32_e32 v25, v25, v25
	v_min_f32_e32 v27, v26, v25
	v_max_f32_e32 v25, v26, v25
	v_cndmask_b32_e64 v26, v25, v27, s[26:27]
	v_and_b32_e32 v25, 0x7f800000, v26
	v_cmp_ne_u32_e32 vcc, s51, v25
                                        ; implicit-def: $vgpr25
	s_and_saveexec_b64 s[44:45], vcc
	s_xor_b64 s[44:45], exec, s[44:45]
; %bb.2231:                             ;   in Loop: Header=BB35_2138 Depth=2
	v_bfe_u32 v25, v26, 16, 1
	v_add3_u32 v25, v26, v25, s72
                                        ; implicit-def: $vgpr26
; %bb.2232:                             ;   in Loop: Header=BB35_2138 Depth=2
	s_andn2_saveexec_b64 s[44:45], s[44:45]
; %bb.2233:                             ;   in Loop: Header=BB35_2138 Depth=2
	v_or_b32_e32 v25, 0x10000, v26
	v_cmp_eq_u32_sdwa vcc, v26, v3 src0_sel:WORD_0 src1_sel:DWORD
	s_nop 1
	v_cndmask_b32_e32 v25, v25, v26, vcc
; %bb.2234:                             ;   in Loop: Header=BB35_2138 Depth=2
	s_or_b64 exec, exec, s[44:45]
	v_add_co_u32_e32 v26, vcc, 0xfffffc00, v12
	v_and_b32_e32 v28, 0xffff0000, v48
	s_nop 0
	v_addc_co_u32_e32 v27, vcc, -1, v13, vcc
	v_lshlrev_b32_e32 v24, 16, v24
	flat_store_short_d16_hi v[26:27], v25 nt
	v_max_f32_e32 v25, v28, v28
	v_max_f32_e32 v24, v24, v24
	v_min_f32_e32 v26, v25, v24
	v_max_f32_e32 v24, v25, v24
	v_cndmask_b32_e64 v25, v24, v26, s[26:27]
	v_and_b32_e32 v24, 0x7f800000, v25
	v_cmp_ne_u32_e32 vcc, s51, v24
                                        ; implicit-def: $vgpr24
	s_and_saveexec_b64 s[44:45], vcc
	s_xor_b64 s[44:45], exec, s[44:45]
; %bb.2235:                             ;   in Loop: Header=BB35_2138 Depth=2
	v_bfe_u32 v24, v25, 16, 1
	v_add3_u32 v24, v25, v24, s72
                                        ; implicit-def: $vgpr25
; %bb.2236:                             ;   in Loop: Header=BB35_2138 Depth=2
	s_andn2_saveexec_b64 s[44:45], s[44:45]
; %bb.2237:                             ;   in Loop: Header=BB35_2138 Depth=2
	v_or_b32_e32 v24, 0x10000, v25
	v_cmp_eq_u32_sdwa vcc, v25, v3 src0_sel:WORD_0 src1_sel:DWORD
	s_nop 1
	v_cndmask_b32_e32 v24, v24, v25, vcc
; %bb.2238:                             ;   in Loop: Header=BB35_2138 Depth=2
	s_or_b64 exec, exec, s[44:45]
	v_add_co_u32_e32 v26, vcc, 0xfffffc80, v12
	v_and_b32_e32 v25, 0xffff0000, v39
	s_nop 0
	v_addc_co_u32_e32 v27, vcc, -1, v13, vcc
	v_lshlrev_b32_e32 v23, 16, v23
	flat_store_short_d16_hi v[26:27], v24 nt
	v_max_f32_e32 v24, v25, v25
	v_max_f32_e32 v23, v23, v23
	v_min_f32_e32 v25, v24, v23
	v_max_f32_e32 v23, v24, v23
	v_cndmask_b32_e64 v24, v23, v25, s[26:27]
	v_and_b32_e32 v23, 0x7f800000, v24
	v_cmp_ne_u32_e32 vcc, s51, v23
                                        ; implicit-def: $vgpr23
	s_and_saveexec_b64 s[44:45], vcc
	s_xor_b64 s[44:45], exec, s[44:45]
; %bb.2239:                             ;   in Loop: Header=BB35_2138 Depth=2
	v_bfe_u32 v23, v24, 16, 1
	v_add3_u32 v23, v24, v23, s72
                                        ; implicit-def: $vgpr24
; %bb.2240:                             ;   in Loop: Header=BB35_2138 Depth=2
	s_andn2_saveexec_b64 s[44:45], s[44:45]
; %bb.2241:                             ;   in Loop: Header=BB35_2138 Depth=2
	v_or_b32_e32 v23, 0x10000, v24
	v_cmp_eq_u32_sdwa vcc, v24, v3 src0_sel:WORD_0 src1_sel:DWORD
	s_nop 1
	v_cndmask_b32_e32 v23, v23, v24, vcc
; %bb.2242:                             ;   in Loop: Header=BB35_2138 Depth=2
	s_or_b64 exec, exec, s[44:45]
	v_add_co_u32_e32 v24, vcc, 0xfffffd00, v12
	v_and_b32_e32 v26, 0xffff0000, v38
	s_nop 0
	v_addc_co_u32_e32 v25, vcc, -1, v13, vcc
	v_lshlrev_b32_e32 v22, 16, v22
	flat_store_short_d16_hi v[24:25], v23 nt
	v_max_f32_e32 v23, v26, v26
	v_max_f32_e32 v22, v22, v22
	v_min_f32_e32 v24, v23, v22
	v_max_f32_e32 v22, v23, v22
	v_cndmask_b32_e64 v23, v22, v24, s[26:27]
	v_and_b32_e32 v22, 0x7f800000, v23
	v_cmp_ne_u32_e32 vcc, s51, v22
                                        ; implicit-def: $vgpr22
	s_and_saveexec_b64 s[44:45], vcc
	s_xor_b64 s[44:45], exec, s[44:45]
; %bb.2243:                             ;   in Loop: Header=BB35_2138 Depth=2
	v_bfe_u32 v22, v23, 16, 1
	v_add3_u32 v22, v23, v22, s72
                                        ; implicit-def: $vgpr23
; %bb.2244:                             ;   in Loop: Header=BB35_2138 Depth=2
	s_andn2_saveexec_b64 s[44:45], s[44:45]
; %bb.2245:                             ;   in Loop: Header=BB35_2138 Depth=2
	v_or_b32_e32 v22, 0x10000, v23
	v_cmp_eq_u32_sdwa vcc, v23, v3 src0_sel:WORD_0 src1_sel:DWORD
	s_nop 1
	v_cndmask_b32_e32 v22, v22, v23, vcc
; %bb.2246:                             ;   in Loop: Header=BB35_2138 Depth=2
	s_or_b64 exec, exec, s[44:45]
	v_add_co_u32_e32 v24, vcc, 0xfffffd80, v12
	v_and_b32_e32 v23, 0xffff0000, v37
	s_nop 0
	v_addc_co_u32_e32 v25, vcc, -1, v13, vcc
	v_lshlrev_b32_e32 v21, 16, v21
	flat_store_short_d16_hi v[24:25], v22 nt
	v_max_f32_e32 v22, v23, v23
	v_max_f32_e32 v21, v21, v21
	v_min_f32_e32 v23, v22, v21
	v_max_f32_e32 v21, v22, v21
	v_cndmask_b32_e64 v22, v21, v23, s[26:27]
	v_and_b32_e32 v21, 0x7f800000, v22
	v_cmp_ne_u32_e32 vcc, s51, v21
                                        ; implicit-def: $vgpr21
	s_and_saveexec_b64 s[44:45], vcc
	s_xor_b64 s[44:45], exec, s[44:45]
; %bb.2247:                             ;   in Loop: Header=BB35_2138 Depth=2
	v_bfe_u32 v21, v22, 16, 1
	v_add3_u32 v21, v22, v21, s72
                                        ; implicit-def: $vgpr22
; %bb.2248:                             ;   in Loop: Header=BB35_2138 Depth=2
	s_andn2_saveexec_b64 s[44:45], s[44:45]
; %bb.2249:                             ;   in Loop: Header=BB35_2138 Depth=2
	v_or_b32_e32 v21, 0x10000, v22
	v_cmp_eq_u32_sdwa vcc, v22, v3 src0_sel:WORD_0 src1_sel:DWORD
	s_nop 1
	v_cndmask_b32_e32 v21, v21, v22, vcc
; %bb.2250:                             ;   in Loop: Header=BB35_2138 Depth=2
	s_or_b64 exec, exec, s[44:45]
	v_add_co_u32_e32 v22, vcc, 0xfffffe00, v12
	v_and_b32_e32 v24, 0xffff0000, v36
	s_nop 0
	v_addc_co_u32_e32 v23, vcc, -1, v13, vcc
	v_lshlrev_b32_e32 v20, 16, v20
	flat_store_short_d16_hi v[22:23], v21 nt
	v_max_f32_e32 v21, v24, v24
	v_max_f32_e32 v20, v20, v20
	v_min_f32_e32 v22, v21, v20
	v_max_f32_e32 v20, v21, v20
	v_cndmask_b32_e64 v21, v20, v22, s[26:27]
	v_and_b32_e32 v20, 0x7f800000, v21
	v_cmp_ne_u32_e32 vcc, s51, v20
                                        ; implicit-def: $vgpr20
	s_and_saveexec_b64 s[44:45], vcc
	s_xor_b64 s[44:45], exec, s[44:45]
; %bb.2251:                             ;   in Loop: Header=BB35_2138 Depth=2
	v_bfe_u32 v20, v21, 16, 1
	v_add3_u32 v20, v21, v20, s72
                                        ; implicit-def: $vgpr21
; %bb.2252:                             ;   in Loop: Header=BB35_2138 Depth=2
	s_andn2_saveexec_b64 s[44:45], s[44:45]
; %bb.2253:                             ;   in Loop: Header=BB35_2138 Depth=2
	v_or_b32_e32 v20, 0x10000, v21
	v_cmp_eq_u32_sdwa vcc, v21, v3 src0_sel:WORD_0 src1_sel:DWORD
	s_nop 1
	v_cndmask_b32_e32 v20, v20, v21, vcc
; %bb.2254:                             ;   in Loop: Header=BB35_2138 Depth=2
	s_or_b64 exec, exec, s[44:45]
	v_add_co_u32_e32 v22, vcc, 0xfffffe80, v12
	v_and_b32_e32 v21, 0xffff0000, v35
	s_nop 0
	v_addc_co_u32_e32 v23, vcc, -1, v13, vcc
	v_lshlrev_b32_e32 v19, 16, v19
	flat_store_short_d16_hi v[22:23], v20 nt
	v_max_f32_e32 v20, v21, v21
	v_max_f32_e32 v19, v19, v19
	v_min_f32_e32 v21, v20, v19
	v_max_f32_e32 v19, v20, v19
	v_cndmask_b32_e64 v20, v19, v21, s[26:27]
	v_and_b32_e32 v19, 0x7f800000, v20
	v_cmp_ne_u32_e32 vcc, s51, v19
                                        ; implicit-def: $vgpr19
	s_and_saveexec_b64 s[44:45], vcc
	s_xor_b64 s[44:45], exec, s[44:45]
; %bb.2255:                             ;   in Loop: Header=BB35_2138 Depth=2
	v_bfe_u32 v19, v20, 16, 1
	v_add3_u32 v19, v20, v19, s72
                                        ; implicit-def: $vgpr20
; %bb.2256:                             ;   in Loop: Header=BB35_2138 Depth=2
	s_andn2_saveexec_b64 s[44:45], s[44:45]
; %bb.2257:                             ;   in Loop: Header=BB35_2138 Depth=2
	v_or_b32_e32 v19, 0x10000, v20
	v_cmp_eq_u32_sdwa vcc, v20, v3 src0_sel:WORD_0 src1_sel:DWORD
	s_nop 1
	v_cndmask_b32_e32 v19, v19, v20, vcc
; %bb.2258:                             ;   in Loop: Header=BB35_2138 Depth=2
	s_or_b64 exec, exec, s[44:45]
	v_add_co_u32_e32 v20, vcc, 0xffffff00, v12
	v_and_b32_e32 v22, 0xffff0000, v34
	s_nop 0
	v_addc_co_u32_e32 v21, vcc, -1, v13, vcc
	v_lshlrev_b32_e32 v18, 16, v18
	flat_store_short_d16_hi v[20:21], v19 nt
	v_max_f32_e32 v19, v22, v22
	v_max_f32_e32 v18, v18, v18
	v_min_f32_e32 v20, v19, v18
	v_max_f32_e32 v18, v19, v18
	v_cndmask_b32_e64 v19, v18, v20, s[26:27]
	v_and_b32_e32 v18, 0x7f800000, v19
	v_cmp_ne_u32_e32 vcc, s51, v18
                                        ; implicit-def: $vgpr18
	s_and_saveexec_b64 s[44:45], vcc
	s_xor_b64 s[44:45], exec, s[44:45]
; %bb.2259:                             ;   in Loop: Header=BB35_2138 Depth=2
	v_bfe_u32 v18, v19, 16, 1
	v_add3_u32 v18, v19, v18, s72
                                        ; implicit-def: $vgpr19
; %bb.2260:                             ;   in Loop: Header=BB35_2138 Depth=2
	s_andn2_saveexec_b64 s[44:45], s[44:45]
; %bb.2261:                             ;   in Loop: Header=BB35_2138 Depth=2
	v_or_b32_e32 v18, 0x10000, v19
	v_cmp_eq_u32_sdwa vcc, v19, v3 src0_sel:WORD_0 src1_sel:DWORD
	s_nop 1
	v_cndmask_b32_e32 v18, v18, v19, vcc
; %bb.2262:                             ;   in Loop: Header=BB35_2138 Depth=2
	s_or_b64 exec, exec, s[44:45]
	v_add_co_u32_e32 v20, vcc, 0xffffff80, v12
	v_and_b32_e32 v19, 0xffff0000, v33
	s_nop 0
	v_addc_co_u32_e32 v21, vcc, -1, v13, vcc
	v_lshlrev_b32_e32 v17, 16, v17
	flat_store_short_d16_hi v[20:21], v18 nt
	v_max_f32_e32 v18, v19, v19
	v_max_f32_e32 v17, v17, v17
	v_min_f32_e32 v19, v18, v17
	v_max_f32_e32 v17, v18, v17
	v_cndmask_b32_e64 v17, v17, v19, s[26:27]
	v_and_b32_e32 v18, 0x7f800000, v17
	v_cmp_ne_u32_e32 vcc, s51, v18
                                        ; implicit-def: $vgpr18
	s_and_saveexec_b64 s[44:45], vcc
	s_xor_b64 s[44:45], exec, s[44:45]
; %bb.2263:                             ;   in Loop: Header=BB35_2138 Depth=2
	v_bfe_u32 v18, v17, 16, 1
	v_add3_u32 v18, v17, v18, s72
                                        ; implicit-def: $vgpr17
; %bb.2264:                             ;   in Loop: Header=BB35_2138 Depth=2
	s_andn2_saveexec_b64 s[44:45], s[44:45]
	s_cbranch_execz .LBB35_2137
; %bb.2265:                             ;   in Loop: Header=BB35_2138 Depth=2
	v_or_b32_e32 v18, 0x10000, v17
	v_cmp_eq_u32_sdwa vcc, v17, v3 src0_sel:WORD_0 src1_sel:DWORD
	s_nop 1
	v_cndmask_b32_e32 v18, v18, v17, vcc
	s_branch .LBB35_2137
.LBB35_2266:                            ;   in Loop: Header=BB35_47 Depth=1
	s_or_b64 exec, exec, s[42:43]
.LBB35_2267:                            ;   in Loop: Header=BB35_47 Depth=1
	s_or_b64 exec, exec, s[40:41]
	v_lshlrev_b32_e32 v0, 11, v16
	v_cmp_ne_u32_e32 vcc, v2, v0
	s_and_b64 exec, exec, vcc
	s_cbranch_execz .LBB35_2275
; %bb.2268:                             ;   in Loop: Header=BB35_47 Depth=1
	v_lshlrev_b32_e32 v1, 6, v6
	v_sub_u32_e32 v1, v14, v1
	v_lshlrev_b32_e32 v6, 6, v15
	v_sub_u32_e32 v1, v1, v6
	v_ashrrev_i32_e32 v6, 31, v1
	v_lshrrev_b32_e32 v6, 26, v6
	v_add_u32_e32 v6, v1, v6
	v_and_b32_e32 v8, 0x7fffffc0, v6
	v_sub_u32_e32 v1, v1, v8
	v_lshlrev_b32_e32 v6, 1, v6
	v_and_b32_e32 v6, 0xffffff80, v6
	v_lshlrev_b32_e32 v1, 1, v1
	v_add3_u32 v0, v6, v1, v0
	v_sub_u32_e32 v2, v2, v0
	v_cmp_lt_i32_e32 vcc, 1, v2
	s_and_b64 exec, exec, vcc
	s_cbranch_execz .LBB35_2275
; %bb.2269:                             ;   in Loop: Header=BB35_47 Depth=1
	s_trap 2
	ds_read_b64 v[10:11], v0
	v_add_u32_e32 v0, v0, v7
	s_and_b32 s76, s12, 1
	v_ashrrev_i32_e32 v1, 31, v0
	s_cmp_eq_u64 s[76:77], 0
	v_lshl_add_u64 v[8:9], v[0:1], 0, v[96:97]
	s_waitcnt lgkmcnt(0)
	v_lshl_add_u64 v[10:11], v[10:11], 0, v[0:1]
	s_mov_b64 s[40:41], 0
	s_cselect_b64 vcc, -1, 0
	s_branch .LBB35_2271
.LBB35_2270:                            ;   in Loop: Header=BB35_2271 Depth=2
	s_or_b64 exec, exec, s[42:43]
	v_and_b32_e32 v7, 0xffff0000, v12
	v_lshlrev_b32_e32 v6, 16, v6
	v_max_f32_e32 v7, v7, v7
	v_max_f32_e32 v6, v6, v6
	v_min_f32_e32 v12, v7, v6
	v_max_f32_e32 v6, v7, v6
	v_cndmask_b32_e32 v6, v6, v12, vcc
	v_and_b32_e32 v7, 0x7f800000, v6
	v_bfe_u32 v12, v6, 16, 1
	v_or_b32_e32 v13, 0x10000, v6
	v_cmp_eq_u32_sdwa s[26:27], v6, v3 src0_sel:WORD_0 src1_sel:DWORD
	v_add3_u32 v12, v6, v12, s72
	v_lshl_add_u64 v[14:15], v[86:87], 0, v[0:1]
	v_cndmask_b32_e64 v6, v13, v6, s[26:27]
	v_cmp_eq_u32_e64 s[26:27], s51, v7
	s_nop 1
	v_cndmask_b32_e64 v6, v12, v6, s[26:27]
	flat_store_short_d16_hi v[14:15], v6 nt
	scratch_load_dwordx2 v[6:7], off, s33 offset:344 ; 8-byte Folded Reload
	s_waitcnt vmcnt(0)
	v_sub_u32_e32 v2, v2, v6
	v_cmp_gt_i32_e64 s[26:27], 2, v2
	v_lshl_add_u64 v[8:9], v[8:9], 0, v[6:7]
	v_lshl_add_u64 v[10:11], v[10:11], 0, v[6:7]
	s_or_b64 s[40:41], s[26:27], s[40:41]
	v_lshl_add_u64 v[0:1], v[0:1], 0, v[6:7]
	s_andn2_b64 exec, exec, s[40:41]
	s_cbranch_execz .LBB35_2275
.LBB35_2271:                            ;   Parent Loop BB35_47 Depth=1
                                        ; =>  This Inner Loop Header: Depth=2
	flat_load_ushort v7, v[10:11] nt
	flat_load_ushort v12, v[8:9] nt
	;; [unrolled: 1-line block ×3, first 2 shown]
	s_waitcnt vmcnt(0) lgkmcnt(0)
	v_lshlrev_b32_e32 v7, 16, v7
	v_lshlrev_b32_e32 v12, 16, v12
	v_max_f32_e32 v7, v7, v7
	v_max_f32_e32 v12, v12, v12
	v_min_f32_e32 v13, v12, v7
	v_max_f32_e32 v7, v12, v7
	v_cndmask_b32_e32 v7, v7, v13, vcc
	v_and_b32_e32 v12, 0x7f800000, v7
	v_cmp_ne_u32_e64 s[26:27], s51, v12
                                        ; implicit-def: $vgpr12
	s_and_saveexec_b64 s[12:13], s[26:27]
	s_xor_b64 s[26:27], exec, s[12:13]
; %bb.2272:                             ;   in Loop: Header=BB35_2271 Depth=2
	v_bfe_u32 v12, v7, 16, 1
	v_add3_u32 v12, v7, v12, s72
                                        ; implicit-def: $vgpr7
; %bb.2273:                             ;   in Loop: Header=BB35_2271 Depth=2
	s_andn2_saveexec_b64 s[42:43], s[26:27]
	s_cbranch_execz .LBB35_2270
; %bb.2274:                             ;   in Loop: Header=BB35_2271 Depth=2
	v_or_b32_e32 v12, 0x10000, v7
	v_cmp_eq_u32_sdwa s[26:27], v7, v3 src0_sel:WORD_0 src1_sel:DWORD
	s_nop 1
	v_cndmask_b32_e64 v12, v12, v7, s[26:27]
	s_branch .LBB35_2270
.LBB35_2275:                            ;   in Loop: Header=BB35_47 Depth=1
	s_or_b64 exec, exec, s[28:29]
	v_cmp_lt_i32_e64 s[26:27], 0, v85
	s_and_saveexec_b64 s[28:29], s[6:7]
	s_cbranch_execz .LBB35_2294
.LBB35_2276:                            ;   in Loop: Header=BB35_47 Depth=1
	s_and_saveexec_b64 s[12:13], s[78:79]
	s_xor_b64 s[40:41], exec, s[12:13]
	s_cbranch_execz .LBB35_2291
; %bb.2277:                             ;   in Loop: Header=BB35_47 Depth=1
	s_and_saveexec_b64 s[42:43], s[14:15]
	s_cbranch_execz .LBB35_2290
; %bb.2278:                             ;   in Loop: Header=BB35_47 Depth=1
	s_mov_b64 s[46:47], exec
	v_mbcnt_lo_u32_b32 v0, s46, 0
	v_mbcnt_hi_u32_b32 v0, s47, v0
	v_cmp_eq_u32_e32 vcc, 0, v0
	s_waitcnt lgkmcnt(0)
	s_and_saveexec_b64 s[44:45], vcc
	s_cbranch_execz .LBB35_2280
; %bb.2279:                             ;   in Loop: Header=BB35_47 Depth=1
	s_bcnt1_i32_b64 s12, s[46:47]
	v_mov_b32_e32 v2, s12
	ds_add_u64 v0, v[2:3]
	s_trap 2
.LBB35_2280:                            ;   in Loop: Header=BB35_47 Depth=1
	s_or_b64 exec, exec, s[44:45]
	s_trap 2
	ds_read_b64 v[0:1], v0
	s_waitcnt lgkmcnt(0)
	v_lshl_add_u64 v[56:57], v[56:57], 0, v[60:61]
	v_cmp_lt_u64_e32 vcc, v[0:1], v[56:57]
	s_and_saveexec_b64 s[44:45], vcc
	s_cbranch_execz .LBB35_2289
; %bb.2281:                             ;   in Loop: Header=BB35_47 Depth=1
	s_mov_b32 s12, 0
	s_mov_b64 s[46:47], 0
                                        ; implicit-def: $sgpr56_sgpr57
                                        ; implicit-def: $sgpr58_sgpr59
	s_branch .LBB35_2283
.LBB35_2282:                            ;   in Loop: Header=BB35_2283 Depth=2
	s_or_b64 exec, exec, s[62:63]
	s_and_b64 s[60:61], exec, vcc
	s_or_b64 s[46:47], s[60:61], s[46:47]
	s_andn2_b64 s[56:57], s[56:57], exec
	s_and_b64 s[60:61], s[58:59], exec
	s_or_b64 s[56:57], s[56:57], s[60:61]
	s_andn2_b64 exec, exec, s[46:47]
	s_cbranch_execz .LBB35_2287
.LBB35_2283:                            ;   Parent Loop BB35_47 Depth=1
                                        ; =>  This Inner Loop Header: Depth=2
	s_add_i32 s12, s12, 1
	s_cmpk_lg_i32 s12, 0x2710
	s_cselect_b64 s[60:61], -1, 0
	s_and_b64 vcc, exec, s[60:61]
	s_cbranch_vccz .LBB35_2285
; %bb.2284:                             ;   in Loop: Header=BB35_2283 Depth=2
	s_mov_b64 vcc, -1
	s_or_b64 s[58:59], s[58:59], exec
	s_and_saveexec_b64 s[62:63], s[60:61]
	s_cbranch_execz .LBB35_2282
	s_branch .LBB35_2286
.LBB35_2285:                            ;   in Loop: Header=BB35_2283 Depth=2
	s_trap 2
	ds_read_b64 v[0:1], v0
	s_andn2_b64 s[60:61], s[60:61], exec
	s_mov_b32 s12, 0
	s_waitcnt lgkmcnt(0)
	flat_load_dword v0, v[0:1] sc0 sc1
	s_waitcnt vmcnt(0) lgkmcnt(0)
	buffer_inv sc0 sc1
	v_cmp_eq_u32_e32 vcc, 0, v0
	s_and_b64 s[62:63], vcc, exec
	s_or_b64 s[60:61], s[60:61], s[62:63]
	s_mov_b64 vcc, -1
	s_or_b64 s[58:59], s[58:59], exec
	s_and_saveexec_b64 s[62:63], s[60:61]
	s_cbranch_execz .LBB35_2282
.LBB35_2286:                            ;   in Loop: Header=BB35_2283 Depth=2
	s_sleep 1
	s_trap 2
	ds_read_b64 v[0:1], v0
	s_waitcnt lgkmcnt(0)
	s_andn2_b64 s[58:59], s[58:59], exec
	v_cmp_ge_u64_e32 vcc, v[0:1], v[56:57]
	s_orn2_b64 vcc, vcc, exec
	s_branch .LBB35_2282
.LBB35_2287:                            ;   in Loop: Header=BB35_47 Depth=1
	s_or_b64 exec, exec, s[46:47]
	s_and_saveexec_b64 s[12:13], s[56:57]
	s_xor_b64 s[12:13], exec, s[12:13]
	s_cbranch_execz .LBB35_2289
; %bb.2288:                             ;   in Loop: Header=BB35_47 Depth=1
	v_mov_b32_e32 v0, 1
	ds_write_b32 v0, v0
	s_trap 2
.LBB35_2289:                            ;   in Loop: Header=BB35_47 Depth=1
	s_or_b64 exec, exec, s[44:45]
	;;#ASMSTART
	s_wakeup
	;;#ASMEND
.LBB35_2290:                            ;   in Loop: Header=BB35_47 Depth=1
	s_or_b64 exec, exec, s[42:43]
.LBB35_2291:                            ;   in Loop: Header=BB35_47 Depth=1
	s_andn2_saveexec_b64 s[40:41], s[40:41]
	s_cbranch_execz .LBB35_2293
; %bb.2292:                             ;   in Loop: Header=BB35_47 Depth=1
	s_waitcnt lgkmcnt(0)
	s_barrier
.LBB35_2293:                            ;   in Loop: Header=BB35_47 Depth=1
	s_or_b64 exec, exec, s[40:41]
.LBB35_2294:                            ;   in Loop: Header=BB35_47 Depth=1
	s_or_b64 exec, exec, s[28:29]
	v_and_b32_e32 v0, 16, v106
	s_and_saveexec_b64 s[12:13], s[22:23]
	s_xor_b64 s[28:29], exec, s[12:13]
	s_cbranch_execz .LBB35_2298
; %bb.2295:                             ;   in Loop: Header=BB35_47 Depth=1
	v_and_b32_e32 v1, 16, v106
	v_cmp_ne_u32_e32 vcc, 0, v1
	v_and_b32_e32 v0, 16, v106
	s_and_b64 s[12:13], vcc, s[26:27]
	s_and_saveexec_b64 s[26:27], s[12:13]
	s_cbranch_execz .LBB35_2297
; %bb.2296:                             ;   in Loop: Header=BB35_47 Depth=1
	v_mov_b32_e32 v0, 1
	buffer_wbl2 sc1
	s_waitcnt lgkmcnt(0)
	buffer_inv sc1
.LBB35_2297:                            ;   in Loop: Header=BB35_47 Depth=1
	s_or_b64 exec, exec, s[26:27]
.LBB35_2298:                            ;   in Loop: Header=BB35_47 Depth=1
	s_andn2_saveexec_b64 s[26:27], s[28:29]
	s_cbranch_execz .LBB35_2317
; %bb.2299:                             ;   in Loop: Header=BB35_47 Depth=1
	s_and_saveexec_b64 s[12:13], s[78:79]
	s_xor_b64 s[28:29], exec, s[12:13]
	s_cbranch_execz .LBB35_2314
; %bb.2300:                             ;   in Loop: Header=BB35_47 Depth=1
	s_and_saveexec_b64 s[40:41], s[14:15]
	s_cbranch_execz .LBB35_2313
; %bb.2301:                             ;   in Loop: Header=BB35_47 Depth=1
	s_mov_b64 s[44:45], exec
	v_mbcnt_lo_u32_b32 v1, s44, 0
	v_mbcnt_hi_u32_b32 v1, s45, v1
	v_cmp_eq_u32_e32 vcc, 0, v1
	;;#ASMSTART
	s_waitcnt lgkmcnt(0) vmcnt(0)
	;;#ASMEND
	s_and_saveexec_b64 s[42:43], vcc
	s_cbranch_execz .LBB35_2303
; %bb.2302:                             ;   in Loop: Header=BB35_47 Depth=1
	s_bcnt1_i32_b64 s12, s[44:45]
	v_mov_b32_e32 v2, s12
	s_waitcnt lgkmcnt(0)
	ds_add_u64 v0, v[2:3]
	s_trap 2
.LBB35_2303:                            ;   in Loop: Header=BB35_47 Depth=1
	s_or_b64 exec, exec, s[42:43]
	s_trap 2
	ds_read_b64 v[6:7], v0
	s_waitcnt lgkmcnt(0)
	v_lshl_add_u64 v[56:57], v[56:57], 0, v[60:61]
	v_cmp_lt_u64_e32 vcc, v[6:7], v[56:57]
	s_and_saveexec_b64 s[42:43], vcc
	s_cbranch_execz .LBB35_2312
; %bb.2304:                             ;   in Loop: Header=BB35_47 Depth=1
	s_mov_b32 s12, 0
	s_mov_b64 s[44:45], 0
                                        ; implicit-def: $sgpr46_sgpr47
                                        ; implicit-def: $sgpr56_sgpr57
	s_branch .LBB35_2306
.LBB35_2305:                            ;   in Loop: Header=BB35_2306 Depth=2
	s_or_b64 exec, exec, s[60:61]
	s_and_b64 s[58:59], exec, s[62:63]
	s_or_b64 s[44:45], s[58:59], s[44:45]
	s_andn2_b64 s[46:47], s[46:47], exec
	s_and_b64 s[58:59], s[56:57], exec
	s_or_b64 s[46:47], s[46:47], s[58:59]
	s_andn2_b64 exec, exec, s[44:45]
	s_cbranch_execz .LBB35_2310
.LBB35_2306:                            ;   Parent Loop BB35_47 Depth=1
                                        ; =>  This Inner Loop Header: Depth=2
	s_add_i32 s12, s12, 1
	s_cmpk_lg_i32 s12, 0x2710
	s_cselect_b64 s[58:59], -1, 0
	s_and_b64 vcc, exec, s[58:59]
	s_cbranch_vccz .LBB35_2308
; %bb.2307:                             ;   in Loop: Header=BB35_2306 Depth=2
	s_mov_b64 s[62:63], -1
	s_or_b64 s[56:57], s[56:57], exec
	s_and_saveexec_b64 s[60:61], s[58:59]
	s_cbranch_execz .LBB35_2305
	s_branch .LBB35_2309
.LBB35_2308:                            ;   in Loop: Header=BB35_2306 Depth=2
	s_trap 2
	ds_read_b64 v[6:7], v0
	s_andn2_b64 s[58:59], s[58:59], exec
	s_mov_b32 s12, 0
	s_waitcnt lgkmcnt(0)
	flat_load_dword v1, v[6:7] sc0 sc1
	s_waitcnt vmcnt(0) lgkmcnt(0)
	buffer_inv sc0 sc1
	v_cmp_eq_u32_e32 vcc, 0, v1
	s_and_b64 s[60:61], vcc, exec
	s_or_b64 s[58:59], s[58:59], s[60:61]
	s_mov_b64 s[62:63], -1
	s_or_b64 s[56:57], s[56:57], exec
	s_and_saveexec_b64 s[60:61], s[58:59]
	s_cbranch_execz .LBB35_2305
.LBB35_2309:                            ;   in Loop: Header=BB35_2306 Depth=2
	s_sleep 1
	s_trap 2
	ds_read_b64 v[6:7], v0
	s_waitcnt lgkmcnt(0)
	s_andn2_b64 s[56:57], s[56:57], exec
	v_cmp_ge_u64_e32 vcc, v[6:7], v[56:57]
	s_orn2_b64 s[62:63], vcc, exec
	s_branch .LBB35_2305
.LBB35_2310:                            ;   in Loop: Header=BB35_47 Depth=1
	s_or_b64 exec, exec, s[44:45]
	s_and_saveexec_b64 s[12:13], s[46:47]
	s_xor_b64 s[12:13], exec, s[12:13]
	s_cbranch_execz .LBB35_2312
; %bb.2311:                             ;   in Loop: Header=BB35_47 Depth=1
	v_mov_b32_e32 v1, 1
	ds_write_b32 v0, v1
	s_trap 2
.LBB35_2312:                            ;   in Loop: Header=BB35_47 Depth=1
	s_or_b64 exec, exec, s[42:43]
	;;#ASMSTART
	s_wakeup
	;;#ASMEND
.LBB35_2313:                            ;   in Loop: Header=BB35_47 Depth=1
	s_or_b64 exec, exec, s[40:41]
.LBB35_2314:                            ;   in Loop: Header=BB35_47 Depth=1
	s_andn2_saveexec_b64 s[28:29], s[28:29]
	s_cbranch_execz .LBB35_2316
; %bb.2315:                             ;   in Loop: Header=BB35_47 Depth=1
	;;#ASMSTART
	s_waitcnt lgkmcnt(0) vmcnt(0)
	;;#ASMEND
	s_barrier
.LBB35_2316:                            ;   in Loop: Header=BB35_47 Depth=1
	s_or_b64 exec, exec, s[28:29]
.LBB35_2317:                            ;   in Loop: Header=BB35_47 Depth=1
	s_or_b64 exec, exec, s[26:27]
	v_cmp_ne_u32_e32 vcc, 0, v0
	s_xor_b64 s[12:13], s[10:11], -1
	s_and_b64 s[12:13], vcc, s[12:13]
	s_and_saveexec_b64 s[26:27], s[12:13]
	s_cbranch_execz .LBB35_2319
; %bb.2318:                             ;   in Loop: Header=BB35_47 Depth=1
	scratch_load_dwordx2 v[0:1], off, s33 offset:304 ; 8-byte Folded Reload
	v_mov_b32_e32 v2, 1
	s_waitcnt vmcnt(0)
	flat_store_dword v[0:1], v2 sc0 sc1
.LBB35_2319:                            ;   in Loop: Header=BB35_47 Depth=1
	s_or_b64 exec, exec, s[26:27]
	v_and_b32_e32 v0, 48, v106
	v_cmp_ne_u32_e32 vcc, 0, v0
	s_and_saveexec_b64 s[26:27], vcc
	s_cbranch_execz .LBB35_2321
; %bb.2320:                             ;   in Loop: Header=BB35_47 Depth=1
	v_lshl_add_u64 v[4:5], v[4:5], 0, 4
	flat_store_dwordx2 v[40:41], v[4:5] sc0 sc1
.LBB35_2321:                            ;   in Loop: Header=BB35_47 Depth=1
	s_or_b64 exec, exec, s[26:27]
	v_mov_b32_e32 v2, v84
	s_or_b64 exec, exec, s[54:55]
	s_and_saveexec_b64 s[28:29], s[52:53]
	s_cbranch_execnz .LBB35_1240
.LBB35_2322:                            ;   in Loop: Header=BB35_47 Depth=1
	s_or_b64 exec, exec, s[28:29]
	s_and_b64 vcc, exec, s[24:25]
	s_cbranch_vccnz .LBB35_3088
.LBB35_2323:                            ;   in Loop: Header=BB35_47 Depth=1
	s_mov_b32 s68, 1
.LBB35_2324:                            ;   Parent Loop BB35_47 Depth=1
                                        ; =>  This Loop Header: Depth=2
                                        ;       Child Loop BB35_2337 Depth 3
                                        ;       Child Loop BB35_2377 Depth 3
	;; [unrolled: 1-line block ×9, first 2 shown]
                                        ;         Child Loop BB35_2618 Depth 4
                                        ;       Child Loop BB35_2626 Depth 3
                                        ;       Child Loop BB35_2694 Depth 3
                                        ;         Child Loop BB35_2695 Depth 4
                                        ;       Child Loop BB35_3051 Depth 3
                                        ;       Child Loop BB35_3070 Depth 3
                                        ;       Child Loop BB35_2344 Depth 3
                                        ;       Child Loop BB35_2404 Depth 3
                                        ;       Child Loop BB35_2442 Depth 3
	s_sub_i32 s12, s82, s68
	s_cmp_ge_i32 s12, s70
	s_cselect_b32 s13, s70, 0
	s_sub_i32 s12, s12, s13
	s_ashr_i32 s13, s12, 31
	v_mul_lo_u32 v2, v62, s13
	v_mul_lo_u32 v6, v63, s12
	v_mad_u64_u32 v[0:1], s[12:13], v62, s12, 0
	v_add3_u32 v1, v1, v2, v6
	v_sub_co_u32_e32 v6, vcc, v72, v0
	s_nop 1
	v_subb_co_u32_e32 v7, vcc, v73, v1, vcc
	v_cmp_lt_i64_e32 vcc, v[62:63], v[6:7]
	s_nop 1
	v_cndmask_b32_e32 v2, v6, v62, vcc
	v_max_i32_e32 v30, 0, v2
	v_add_u32_e32 v6, 15, v30
	v_ashrrev_i32_e32 v7, 31, v6
	v_lshrrev_b32_e32 v7, 28, v7
	v_add_u32_e32 v6, v6, v7
	v_cmp_gt_i32_e32 vcc, 1, v2
	v_and_b32_e32 v6, -16, v6
	s_or_b64 s[62:63], s[2:3], vcc
	s_waitcnt lgkmcnt(0)
	v_max_i32_e32 v28, s85, v6
	s_xor_b64 s[12:13], s[62:63], -1
	v_mov_b32_e32 v2, 0
	s_and_saveexec_b64 s[52:53], s[12:13]
	s_cbranch_execz .LBB35_2330
; %bb.2325:                             ;   in Loop: Header=BB35_2324 Depth=2
	s_and_saveexec_b64 s[24:25], s[0:1]
	s_cbranch_execz .LBB35_2327
; %bb.2326:                             ;   in Loop: Header=BB35_2324 Depth=2
	s_trap 2
	scratch_load_dwordx2 v[10:11], off, s33 offset:352 ; 8-byte Folded Reload
	ds_read_b128 v[6:9], v0
	s_waitcnt lgkmcnt(0)
	v_cmp_ne_u64_e32 vcc, 0, v[8:9]
	s_waitcnt vmcnt(0)
	v_lshl_add_u64 v[0:1], v[0:1], 0, v[10:11]
	v_lshlrev_b64 v[0:1], 1, v[0:1]
	v_lshl_add_u64 v[6:7], v[6:7], 0, v[0:1]
	v_lshl_add_u64 v[0:1], v[8:9], 0, v[0:1]
	ds_write_b64 v0, v[6:7]
	v_cndmask_b32_e32 v1, 0, v1, vcc
	v_cndmask_b32_e32 v0, 0, v0, vcc
	ds_write_b64 v0, v[0:1]
.LBB35_2327:                            ;   in Loop: Header=BB35_2324 Depth=2
	s_or_b64 exec, exec, s[24:25]
	v_and_b32_e32 v0, 12, v106
	v_min_i32_e32 v28, v28, v30
	v_cmp_ne_u32_e32 vcc, 0, v0
	s_and_saveexec_b64 s[26:27], vcc
	s_cbranch_execz .LBB35_2369
; %bb.2328:                             ;   in Loop: Header=BB35_2324 Depth=2
	v_and_b32_e32 v2, 8, v106
	v_lshl_add_u64 v[6:7], v[46:47], 0, v[2:3]
	v_lshl_add_u64 v[0:1], v[4:5], 0, 4
	v_cmp_lt_u64_e32 vcc, v[6:7], v[0:1]
	s_and_saveexec_b64 s[28:29], vcc
	s_cbranch_execz .LBB35_2356
; %bb.2329:                             ;   in Loop: Header=BB35_2324 Depth=2
	v_and_b32_e32 v5, 64, v106
	s_mov_b32 s12, 0
	v_cmp_eq_u32_e32 vcc, 0, v5
	s_mov_b64 s[40:41], 0
                                        ; implicit-def: $sgpr42_sgpr43
                                        ; implicit-def: $sgpr44_sgpr45
                                        ; implicit-def: $sgpr46_sgpr47
	s_branch .LBB35_2337
.LBB35_2330:                            ;   in Loop: Header=BB35_2324 Depth=2
	s_or_b64 exec, exec, s[52:53]
	s_and_saveexec_b64 s[26:27], s[62:63]
	s_cbranch_execz .LBB35_3086
.LBB35_2331:                            ;   in Loop: Header=BB35_2324 Depth=2
	v_sub_u32_e32 v0, v30, v2
	v_and_b32_e32 v1, 12, v106
	v_min_i32_e32 v0, v28, v0
	v_cmp_ne_u32_e32 vcc, 0, v1
	s_and_saveexec_b64 s[28:29], vcc
	s_cbranch_execz .LBB35_2348
; %bb.2332:                             ;   in Loop: Header=BB35_2324 Depth=2
	v_and_b32_e32 v2, 8, v106
	v_lshl_add_u64 v[6:7], v[46:47], 0, v[2:3]
	v_lshl_add_u64 v[8:9], v[4:5], 0, 4
	v_cmp_lt_u64_e32 vcc, v[6:7], v[8:9]
	s_and_saveexec_b64 s[40:41], vcc
	s_cbranch_execz .LBB35_2384
; %bb.2333:                             ;   in Loop: Header=BB35_2324 Depth=2
	v_and_b32_e32 v1, 64, v106
	s_mov_b32 s12, 0
	v_cmp_eq_u32_e32 vcc, 0, v1
	s_mov_b64 s[42:43], 0
                                        ; implicit-def: $sgpr44_sgpr45
                                        ; implicit-def: $sgpr46_sgpr47
                                        ; implicit-def: $sgpr56_sgpr57
	s_branch .LBB35_2344
.LBB35_2334:                            ;   in Loop: Header=BB35_2337 Depth=3
	s_waitcnt vmcnt(0) lgkmcnt(0)
	v_lshl_add_u64 v[6:7], v[46:47], 0, v[2:3]
	v_cmp_ge_u64_e64 s[24:25], v[6:7], v[0:1]
	s_or_b64 s[60:61], s[60:61], exec
	s_orn2_b64 s[58:59], s[24:25], exec
.LBB35_2335:                            ;   in Loop: Header=BB35_2337 Depth=3
	s_or_b64 exec, exec, s[64:65]
	s_andn2_b64 s[24:25], s[46:47], exec
	s_and_b64 s[46:47], s[60:61], exec
	s_or_b64 s[46:47], s[24:25], s[46:47]
	s_andn2_b64 s[24:25], s[44:45], exec
	s_and_b64 s[44:45], s[58:59], exec
	s_or_b64 s[44:45], s[24:25], s[44:45]
.LBB35_2336:                            ;   in Loop: Header=BB35_2337 Depth=3
	s_or_b64 exec, exec, s[56:57]
	s_and_b64 s[24:25], exec, s[44:45]
	s_or_b64 s[40:41], s[24:25], s[40:41]
	s_andn2_b64 s[24:25], s[42:43], exec
	s_and_b64 s[42:43], s[46:47], exec
	s_or_b64 s[42:43], s[24:25], s[42:43]
	s_andn2_b64 exec, exec, s[40:41]
	s_cbranch_execz .LBB35_2353
.LBB35_2337:                            ;   Parent Loop BB35_47 Depth=1
                                        ;     Parent Loop BB35_2324 Depth=2
                                        ; =>    This Inner Loop Header: Depth=3
	s_sleep 1
	s_waitcnt vmcnt(0) lgkmcnt(0)
	flat_load_dwordx2 v[46:47], v[40:41] sc0 sc1
	s_or_b64 s[46:47], s[46:47], exec
	s_or_b64 s[44:45], s[44:45], exec
                                        ; implicit-def: $vgpr5
	s_and_saveexec_b64 s[56:57], vcc
	s_cbranch_execz .LBB35_2336
; %bb.2338:                             ;   in Loop: Header=BB35_2337 Depth=3
	s_cmpk_lt_i32 s12, 0x270f
	s_cselect_b64 s[54:55], -1, 0
	s_cmpk_gt_i32 s12, 0x270e
	s_mov_b64 s[58:59], -1
	s_cbranch_scc0 .LBB35_2340
; %bb.2339:                             ;   in Loop: Header=BB35_2337 Depth=3
	s_trap 2
	ds_read_b64 v[6:7], v0
	s_andn2_b64 s[54:55], s[54:55], exec
	s_mov_b32 s12, 0
	s_mov_b64 s[60:61], 0
	s_waitcnt vmcnt(0) lgkmcnt(0)
	flat_load_dword v5, v[6:7] sc0 sc1
	s_waitcnt vmcnt(0) lgkmcnt(0)
	buffer_inv sc0 sc1
	v_cmp_eq_u32_e64 s[24:25], 0, v5
	s_and_b64 s[24:25], s[24:25], exec
	s_or_b64 s[54:55], s[54:55], s[24:25]
	s_and_saveexec_b64 s[64:65], s[54:55]
	s_cbranch_execz .LBB35_2335
	s_branch .LBB35_2334
.LBB35_2340:                            ;   in Loop: Header=BB35_2337 Depth=3
	s_add_i32 s12, s12, 1
	s_mov_b64 s[60:61], -1
                                        ; implicit-def: $vgpr5
	s_and_saveexec_b64 s[64:65], s[54:55]
	s_cbranch_execz .LBB35_2335
	s_branch .LBB35_2334
.LBB35_2341:                            ;   in Loop: Header=BB35_2344 Depth=3
	s_waitcnt vmcnt(0) lgkmcnt(0)
	v_lshl_add_u64 v[6:7], v[46:47], 0, v[2:3]
	v_cmp_ge_u64_e64 s[24:25], v[6:7], v[8:9]
	s_or_b64 s[62:63], s[62:63], exec
	s_orn2_b64 s[60:61], s[24:25], exec
.LBB35_2342:                            ;   in Loop: Header=BB35_2344 Depth=3
	s_or_b64 exec, exec, s[54:55]
	s_andn2_b64 s[24:25], s[56:57], exec
	s_and_b64 s[56:57], s[62:63], exec
	s_or_b64 s[56:57], s[24:25], s[56:57]
	s_andn2_b64 s[24:25], s[46:47], exec
	s_and_b64 s[46:47], s[60:61], exec
	s_or_b64 s[46:47], s[24:25], s[46:47]
.LBB35_2343:                            ;   in Loop: Header=BB35_2344 Depth=3
	s_or_b64 exec, exec, s[58:59]
	s_and_b64 s[24:25], exec, s[46:47]
	s_or_b64 s[42:43], s[24:25], s[42:43]
	s_andn2_b64 s[24:25], s[44:45], exec
	s_and_b64 s[44:45], s[56:57], exec
	s_or_b64 s[44:45], s[24:25], s[44:45]
	s_andn2_b64 exec, exec, s[42:43]
	s_cbranch_execz .LBB35_2381
.LBB35_2344:                            ;   Parent Loop BB35_47 Depth=1
                                        ;     Parent Loop BB35_2324 Depth=2
                                        ; =>    This Inner Loop Header: Depth=3
	s_sleep 1
	s_waitcnt vmcnt(0) lgkmcnt(0)
	flat_load_dwordx2 v[46:47], v[40:41] sc0 sc1
	s_or_b64 s[56:57], s[56:57], exec
	s_or_b64 s[46:47], s[46:47], exec
                                        ; implicit-def: $vgpr1
	s_and_saveexec_b64 s[58:59], vcc
	s_cbranch_execz .LBB35_2343
; %bb.2345:                             ;   in Loop: Header=BB35_2344 Depth=3
	s_cmpk_lt_i32 s12, 0x270f
	s_cselect_b64 s[52:53], -1, 0
	s_cmpk_gt_i32 s12, 0x270e
	s_mov_b64 s[60:61], -1
	s_cbranch_scc0 .LBB35_2347
; %bb.2346:                             ;   in Loop: Header=BB35_2344 Depth=3
	s_trap 2
	ds_read_b64 v[6:7], v0
	s_andn2_b64 s[52:53], s[52:53], exec
	s_mov_b32 s12, 0
	s_mov_b64 s[62:63], 0
	s_waitcnt vmcnt(0) lgkmcnt(0)
	flat_load_dword v1, v[6:7] sc0 sc1
	s_waitcnt vmcnt(0) lgkmcnt(0)
	buffer_inv sc0 sc1
	v_cmp_eq_u32_e64 s[24:25], 0, v1
	s_and_b64 s[24:25], s[24:25], exec
	s_or_b64 s[52:53], s[52:53], s[24:25]
	s_and_saveexec_b64 s[54:55], s[52:53]
	s_cbranch_execz .LBB35_2342
	s_branch .LBB35_2341
.LBB35_2347:                            ;   in Loop: Header=BB35_2344 Depth=3
	s_add_i32 s12, s12, 1
	s_mov_b64 s[62:63], -1
                                        ; implicit-def: $vgpr1
	s_and_saveexec_b64 s[54:55], s[52:53]
	s_cbranch_execz .LBB35_2342
	s_branch .LBB35_2341
.LBB35_2348:                            ;   in Loop: Header=BB35_2324 Depth=2
	s_or_b64 exec, exec, s[28:29]
	s_and_saveexec_b64 s[24:25], s[6:7]
	s_cbranch_execnz .LBB35_2397
.LBB35_2349:                            ;   in Loop: Header=BB35_2324 Depth=2
	s_or_b64 exec, exec, s[24:25]
                                        ; implicit-def: $vgpr1
	s_and_saveexec_b64 s[12:13], s[22:23]
	s_xor_b64 s[24:25], exec, s[12:13]
	s_cbranch_execz .LBB35_2434
.LBB35_2350:                            ;   in Loop: Header=BB35_2324 Depth=2
	s_trap 2
	ds_read_b32 v2, v0
	v_cmp_lt_i32_e32 vcc, 0, v0
	v_and_b32_e32 v0, 16, v106
	v_and_b32_e32 v1, 16, v106
	s_waitcnt lgkmcnt(0)
	v_readfirstlane_b32 s12, v2
	s_cmp_eq_u32 s12, 0
	s_cselect_b64 s[12:13], -1, 0
	s_and_b64 s[12:13], vcc, s[12:13]
	v_cmp_ne_u32_e32 vcc, 0, v0
	s_and_b64 s[12:13], vcc, s[12:13]
	s_and_saveexec_b64 s[28:29], s[12:13]
	s_cbranch_execz .LBB35_2352
; %bb.2351:                             ;   in Loop: Header=BB35_2324 Depth=2
	v_mov_b32_e32 v1, 1
	buffer_wbl2 sc1
	s_waitcnt vmcnt(0)
	buffer_inv sc1
.LBB35_2352:                            ;   in Loop: Header=BB35_2324 Depth=2
	s_or_b64 exec, exec, s[28:29]
	s_andn2_saveexec_b64 s[24:25], s[24:25]
	s_cbranch_execz .LBB35_2608
	s_branch .LBB35_2435
.LBB35_2353:                            ;   in Loop: Header=BB35_2324 Depth=2
	s_or_b64 exec, exec, s[40:41]
	s_xor_b64 s[12:13], s[42:43], -1
	s_and_saveexec_b64 s[24:25], s[12:13]
	s_xor_b64 s[24:25], exec, s[24:25]
	s_cbranch_execz .LBB35_2355
; %bb.2354:                             ;   in Loop: Header=BB35_2324 Depth=2
	v_or_b32_e32 v106, 64, v106
	s_waitcnt lgkmcnt(0)
	ds_write_b32 v0, v5
	s_trap 2
.LBB35_2355:                            ;   in Loop: Header=BB35_2324 Depth=2
	s_or_b64 exec, exec, s[24:25]
.LBB35_2356:                            ;   in Loop: Header=BB35_2324 Depth=2
	s_or_b64 exec, exec, s[28:29]
	v_and_b32_e32 v5, 0x108, v106
	v_cmp_ne_u32_e32 vcc, s50, v5
	;;#ASMSTART
	s_wakeup
	;;#ASMEND
                                        ; implicit-def: $vgpr8_vgpr9
	s_and_saveexec_b64 s[12:13], vcc
	s_xor_b64 s[24:25], exec, s[12:13]
; %bb.2357:                             ;   in Loop: Header=BB35_2324 Depth=2
	v_and_b32_e32 v8, 7, v4
	v_mov_b32_e32 v9, v3
                                        ; implicit-def: $vgpr4_vgpr5
; %bb.2358:                             ;   in Loop: Header=BB35_2324 Depth=2
	s_andn2_saveexec_b64 s[24:25], s[24:25]
	s_cbranch_execz .LBB35_2360
; %bb.2359:                             ;   in Loop: Header=BB35_2324 Depth=2
	v_and_b32_e32 v8, 7, v4
	scratch_load_dwordx4 v[4:7], off, s33 offset:288 ; 16-byte Folded Reload
	v_ashrrev_i32_e32 v29, 31, v28
	v_mov_b32_e32 v9, v3
	s_waitcnt vmcnt(0)
	v_lshlrev_b64 v[6:7], 1, v[28:29]
	v_mad_u64_u32 v[4:5], s[12:13], v8, 24, v[4:5]
	flat_store_dwordx2 v[4:5], v[6:7] offset:8
.LBB35_2360:                            ;   in Loop: Header=BB35_2324 Depth=2
	s_or_b64 exec, exec, s[24:25]
	v_and_b32_e32 v4, 0x100, v106
	v_cmp_ne_u32_e32 vcc, 0, v4
	s_mov_b64 s[24:25], -1
                                        ; implicit-def: $vgpr4_vgpr5
	s_and_saveexec_b64 s[28:29], vcc
	s_cbranch_execz .LBB35_2364
; %bb.2361:                             ;   in Loop: Header=BB35_2324 Depth=2
	scratch_load_dwordx4 v[4:7], off, s33 offset:288 ; 16-byte Folded Reload
	s_waitcnt vmcnt(0)
	v_mad_u64_u32 v[10:11], s[12:13], v8, 24, v[4:5]
	v_mov_b32_e32 v4, v11
	v_mad_u64_u32 v[4:5], s[12:13], v9, 24, v[4:5]
	v_mov_b32_e32 v11, v4
	flat_load_dword v4, v[10:11]
	s_waitcnt vmcnt(0) lgkmcnt(0)
	v_cmp_ne_u32_e32 vcc, 1, v4
	v_cmp_eq_u32_e64 s[24:25], 1, v4
                                        ; implicit-def: $vgpr4_vgpr5
	s_and_saveexec_b64 s[40:41], s[24:25]
	s_cbranch_execz .LBB35_2363
; %bb.2362:                             ;   in Loop: Header=BB35_2324 Depth=2
	flat_load_dword v4, v[10:11] offset:4 sc0 sc1
	s_waitcnt vmcnt(0) lgkmcnt(0)
	v_ashrrev_i32_e32 v5, 31, v4
	v_lshrrev_b64 v[4:5], 1, v[4:5]
.LBB35_2363:                            ;   in Loop: Header=BB35_2324 Depth=2
	s_or_b64 exec, exec, s[40:41]
	s_orn2_b64 s[24:25], vcc, exec
.LBB35_2364:                            ;   in Loop: Header=BB35_2324 Depth=2
	s_or_b64 exec, exec, s[28:29]
	s_and_saveexec_b64 s[28:29], s[24:25]
	s_cbranch_execz .LBB35_2366
; %bb.2365:                             ;   in Loop: Header=BB35_2324 Depth=2
	scratch_load_dwordx2 v[4:5], off, s33 offset:360 ; 8-byte Folded Reload
	scratch_load_dwordx2 v[10:11], off, s33 offset:384 ; 8-byte Folded Reload
	s_waitcnt vmcnt(0)
	v_mul_lo_u32 v6, v9, v4
	v_mul_lo_u32 v7, v8, v11
	v_mad_u64_u32 v[4:5], s[12:13], v8, v4, 0
	v_add3_u32 v5, v5, v7, v6
.LBB35_2366:                            ;   in Loop: Header=BB35_2324 Depth=2
	s_or_b64 exec, exec, s[28:29]
	v_cmp_eq_u32_e32 vcc, 0, v2
	v_mov_b32_e32 v2, 0xd0
	v_mov_b32_e32 v6, 0x88
	v_cndmask_b32_e32 v2, v2, v6, vcc
	scratch_load_dwordx2 v[6:7], off, s33 offset:272 ; 8-byte Folded Reload
	v_add_u32_e32 v2, v0, v2
	s_waitcnt vmcnt(0)
	v_lshl_add_u64 v[4:5], v[4:5], 1, v[6:7]
	ds_write_b64 v2, v[4:5] offset:584
	v_and_b32_e32 v2, 0x2000, v106
	v_cmp_ne_u32_e32 vcc, 0, v2
	s_and_saveexec_b64 s[24:25], vcc
	s_cbranch_execz .LBB35_2368
; %bb.2367:                             ;   in Loop: Header=BB35_2324 Depth=2
	ds_read_b64 v[4:5], v0 offset:872
	s_waitcnt lgkmcnt(0)
	v_lshl_add_u64 v[4:5], v[4:5], 0, 1
	ds_write_b64 v0, v[4:5] offset:872
.LBB35_2368:                            ;   in Loop: Header=BB35_2324 Depth=2
	s_or_b64 exec, exec, s[24:25]
	v_mov_b64_e32 v[4:5], v[0:1]
.LBB35_2369:                            ;   in Loop: Header=BB35_2324 Depth=2
	s_or_b64 exec, exec, s[26:27]
	s_and_saveexec_b64 s[24:25], s[6:7]
	s_cbranch_execz .LBB35_2415
; %bb.2370:                             ;   in Loop: Header=BB35_2324 Depth=2
	s_and_saveexec_b64 s[12:13], s[78:79]
	s_xor_b64 s[26:27], exec, s[12:13]
	s_cbranch_execz .LBB35_2412
; %bb.2371:                             ;   in Loop: Header=BB35_2324 Depth=2
	s_and_saveexec_b64 s[28:29], s[14:15]
	s_cbranch_execz .LBB35_2411
; %bb.2372:                             ;   in Loop: Header=BB35_2324 Depth=2
	s_mov_b64 s[42:43], exec
	v_mbcnt_lo_u32_b32 v0, s42, 0
	v_mbcnt_hi_u32_b32 v0, s43, v0
	v_cmp_eq_u32_e32 vcc, 0, v0
	s_waitcnt lgkmcnt(0)
	s_and_saveexec_b64 s[40:41], vcc
	s_cbranch_execz .LBB35_2374
; %bb.2373:                             ;   in Loop: Header=BB35_2324 Depth=2
	s_bcnt1_i32_b64 s12, s[42:43]
	v_mov_b32_e32 v2, s12
	ds_add_u64 v0, v[2:3]
	s_trap 2
.LBB35_2374:                            ;   in Loop: Header=BB35_2324 Depth=2
	s_or_b64 exec, exec, s[40:41]
	s_trap 2
	ds_read_b64 v[0:1], v0
	s_waitcnt lgkmcnt(0)
	v_lshl_add_u64 v[56:57], v[56:57], 0, v[60:61]
	v_cmp_lt_u64_e32 vcc, v[0:1], v[56:57]
	s_and_saveexec_b64 s[40:41], vcc
	s_cbranch_execz .LBB35_2410
; %bb.2375:                             ;   in Loop: Header=BB35_2324 Depth=2
	s_mov_b32 s12, 0
	s_mov_b64 s[42:43], 0
                                        ; implicit-def: $sgpr44_sgpr45
                                        ; implicit-def: $sgpr46_sgpr47
	s_branch .LBB35_2377
.LBB35_2376:                            ;   in Loop: Header=BB35_2377 Depth=3
	s_or_b64 exec, exec, s[58:59]
	s_and_b64 s[56:57], exec, s[60:61]
	s_or_b64 s[42:43], s[56:57], s[42:43]
	s_andn2_b64 s[44:45], s[44:45], exec
	s_and_b64 s[56:57], s[46:47], exec
	s_or_b64 s[44:45], s[44:45], s[56:57]
	s_andn2_b64 exec, exec, s[42:43]
	s_cbranch_execz .LBB35_2408
.LBB35_2377:                            ;   Parent Loop BB35_47 Depth=1
                                        ;     Parent Loop BB35_2324 Depth=2
                                        ; =>    This Inner Loop Header: Depth=3
	s_add_i32 s12, s12, 1
	s_cmpk_lg_i32 s12, 0x2710
	s_cselect_b64 s[56:57], -1, 0
	s_and_b64 vcc, exec, s[56:57]
	s_cbranch_vccz .LBB35_2379
; %bb.2378:                             ;   in Loop: Header=BB35_2377 Depth=3
	s_mov_b64 s[60:61], -1
	s_or_b64 s[46:47], s[46:47], exec
	s_and_saveexec_b64 s[58:59], s[56:57]
	s_cbranch_execz .LBB35_2376
	s_branch .LBB35_2380
.LBB35_2379:                            ;   in Loop: Header=BB35_2377 Depth=3
	s_trap 2
	ds_read_b64 v[0:1], v0
	s_andn2_b64 s[56:57], s[56:57], exec
	s_mov_b32 s12, 0
	s_waitcnt vmcnt(0) lgkmcnt(0)
	flat_load_dword v0, v[0:1] sc0 sc1
	s_waitcnt vmcnt(0) lgkmcnt(0)
	buffer_inv sc0 sc1
	v_cmp_eq_u32_e32 vcc, 0, v0
	s_and_b64 s[58:59], vcc, exec
	s_or_b64 s[56:57], s[56:57], s[58:59]
	s_mov_b64 s[60:61], -1
	s_or_b64 s[46:47], s[46:47], exec
	s_and_saveexec_b64 s[58:59], s[56:57]
	s_cbranch_execz .LBB35_2376
.LBB35_2380:                            ;   in Loop: Header=BB35_2377 Depth=3
	s_sleep 1
	s_trap 2
	ds_read_b64 v[0:1], v0
	s_waitcnt lgkmcnt(0)
	s_andn2_b64 s[46:47], s[46:47], exec
	v_cmp_ge_u64_e32 vcc, v[0:1], v[56:57]
	s_orn2_b64 s[60:61], vcc, exec
	s_branch .LBB35_2376
.LBB35_2381:                            ;   in Loop: Header=BB35_2324 Depth=2
	s_or_b64 exec, exec, s[42:43]
	s_xor_b64 s[12:13], s[44:45], -1
	s_and_saveexec_b64 s[24:25], s[12:13]
	s_xor_b64 s[24:25], exec, s[24:25]
	s_cbranch_execz .LBB35_2383
; %bb.2382:                             ;   in Loop: Header=BB35_2324 Depth=2
	v_or_b32_e32 v106, 64, v106
	s_waitcnt lgkmcnt(0)
	ds_write_b32 v0, v1
	s_trap 2
.LBB35_2383:                            ;   in Loop: Header=BB35_2324 Depth=2
	s_or_b64 exec, exec, s[24:25]
.LBB35_2384:                            ;   in Loop: Header=BB35_2324 Depth=2
	s_or_b64 exec, exec, s[40:41]
	v_and_b32_e32 v1, 0x108, v106
	v_cmp_ne_u32_e32 vcc, s50, v1
	;;#ASMSTART
	s_wakeup
	;;#ASMEND
                                        ; implicit-def: $vgpr10_vgpr11
	s_and_saveexec_b64 s[12:13], vcc
	s_xor_b64 s[24:25], exec, s[12:13]
; %bb.2385:                             ;   in Loop: Header=BB35_2324 Depth=2
	v_and_b32_e32 v10, 7, v4
	v_mov_b32_e32 v11, v3
                                        ; implicit-def: $vgpr4_vgpr5
; %bb.2386:                             ;   in Loop: Header=BB35_2324 Depth=2
	s_andn2_saveexec_b64 s[24:25], s[24:25]
	s_cbranch_execz .LBB35_2388
; %bb.2387:                             ;   in Loop: Header=BB35_2324 Depth=2
	v_and_b32_e32 v10, 7, v4
	scratch_load_dwordx4 v[4:7], off, s33 offset:288 ; 16-byte Folded Reload
	v_ashrrev_i32_e32 v1, 31, v0
	v_mov_b32_e32 v11, v3
	s_waitcnt vmcnt(0)
	v_lshlrev_b64 v[6:7], 1, v[0:1]
	v_mad_u64_u32 v[4:5], s[12:13], v10, 24, v[4:5]
	flat_store_dwordx2 v[4:5], v[6:7] offset:8
.LBB35_2388:                            ;   in Loop: Header=BB35_2324 Depth=2
	s_or_b64 exec, exec, s[24:25]
	v_and_b32_e32 v1, 0x100, v106
	v_cmp_ne_u32_e32 vcc, 0, v1
	s_mov_b64 s[24:25], -1
                                        ; implicit-def: $vgpr4_vgpr5
	s_and_saveexec_b64 s[40:41], vcc
	s_cbranch_execz .LBB35_2392
; %bb.2389:                             ;   in Loop: Header=BB35_2324 Depth=2
	scratch_load_dwordx4 v[4:7], off, s33 offset:288 ; 16-byte Folded Reload
	s_waitcnt vmcnt(0)
	v_mad_u64_u32 v[12:13], s[12:13], v10, 24, v[4:5]
	v_mov_b32_e32 v4, v13
	v_mad_u64_u32 v[4:5], s[12:13], v11, 24, v[4:5]
	v_mov_b32_e32 v13, v4
	flat_load_dword v1, v[12:13]
                                        ; implicit-def: $vgpr4_vgpr5
	s_waitcnt vmcnt(0) lgkmcnt(0)
	v_cmp_ne_u32_e32 vcc, 1, v1
	v_cmp_eq_u32_e64 s[24:25], 1, v1
	s_and_saveexec_b64 s[42:43], s[24:25]
	s_cbranch_execz .LBB35_2391
; %bb.2390:                             ;   in Loop: Header=BB35_2324 Depth=2
	flat_load_dword v4, v[12:13] offset:4 sc0 sc1
	s_waitcnt vmcnt(0) lgkmcnt(0)
	v_ashrrev_i32_e32 v5, 31, v4
	v_lshrrev_b64 v[4:5], 1, v[4:5]
.LBB35_2391:                            ;   in Loop: Header=BB35_2324 Depth=2
	s_or_b64 exec, exec, s[42:43]
	s_orn2_b64 s[24:25], vcc, exec
.LBB35_2392:                            ;   in Loop: Header=BB35_2324 Depth=2
	s_or_b64 exec, exec, s[40:41]
	s_and_saveexec_b64 s[40:41], s[24:25]
	s_cbranch_execz .LBB35_2394
; %bb.2393:                             ;   in Loop: Header=BB35_2324 Depth=2
	scratch_load_dwordx2 v[4:5], off, s33 offset:360 ; 8-byte Folded Reload
	scratch_load_dwordx2 v[6:7], off, s33 offset:384 ; 8-byte Folded Reload
	s_waitcnt vmcnt(0)
	v_mul_lo_u32 v1, v11, v4
	v_mul_lo_u32 v6, v10, v7
	v_mad_u64_u32 v[4:5], s[12:13], v10, v4, 0
	v_add3_u32 v5, v5, v6, v1
.LBB35_2394:                            ;   in Loop: Header=BB35_2324 Depth=2
	s_or_b64 exec, exec, s[40:41]
	scratch_load_dwordx2 v[6:7], off, s33 offset:272 ; 8-byte Folded Reload
	v_cmp_eq_u32_e32 vcc, 0, v2
	v_mov_b32_e32 v1, 0xd0
	v_mov_b32_e32 v2, 0x88
	v_cndmask_b32_e32 v1, v1, v2, vcc
	v_add_u32_e32 v1, v0, v1
	s_waitcnt vmcnt(0)
	v_lshl_add_u64 v[4:5], v[4:5], 1, v[6:7]
	ds_write_b64 v1, v[4:5] offset:584
	v_and_b32_e32 v1, 0x2000, v106
	v_cmp_ne_u32_e32 vcc, 0, v1
	s_and_saveexec_b64 s[24:25], vcc
	s_cbranch_execz .LBB35_2396
; %bb.2395:                             ;   in Loop: Header=BB35_2324 Depth=2
	ds_read_b64 v[4:5], v0 offset:872
	s_waitcnt lgkmcnt(0)
	v_lshl_add_u64 v[4:5], v[4:5], 0, 1
	ds_write_b64 v0, v[4:5] offset:872
.LBB35_2396:                            ;   in Loop: Header=BB35_2324 Depth=2
	s_or_b64 exec, exec, s[24:25]
	v_mov_b64_e32 v[4:5], v[8:9]
	s_or_b64 exec, exec, s[28:29]
	s_and_saveexec_b64 s[24:25], s[6:7]
	s_cbranch_execz .LBB35_2349
.LBB35_2397:                            ;   in Loop: Header=BB35_2324 Depth=2
	s_and_saveexec_b64 s[12:13], s[78:79]
	s_xor_b64 s[28:29], exec, s[12:13]
	s_cbranch_execz .LBB35_2431
; %bb.2398:                             ;   in Loop: Header=BB35_2324 Depth=2
	s_and_saveexec_b64 s[40:41], s[14:15]
	s_cbranch_execz .LBB35_2430
; %bb.2399:                             ;   in Loop: Header=BB35_2324 Depth=2
	s_mov_b64 s[44:45], exec
	v_mbcnt_lo_u32_b32 v1, s44, 0
	v_mbcnt_hi_u32_b32 v1, s45, v1
	v_cmp_eq_u32_e32 vcc, 0, v1
	s_waitcnt lgkmcnt(0)
	s_and_saveexec_b64 s[42:43], vcc
	s_cbranch_execz .LBB35_2401
; %bb.2400:                             ;   in Loop: Header=BB35_2324 Depth=2
	s_bcnt1_i32_b64 s12, s[44:45]
	v_mov_b32_e32 v2, s12
	ds_add_u64 v0, v[2:3]
	s_trap 2
.LBB35_2401:                            ;   in Loop: Header=BB35_2324 Depth=2
	s_or_b64 exec, exec, s[42:43]
	s_trap 2
	ds_read_b64 v[6:7], v0
	s_waitcnt lgkmcnt(0)
	v_lshl_add_u64 v[56:57], v[56:57], 0, v[60:61]
	v_cmp_lt_u64_e32 vcc, v[6:7], v[56:57]
	s_and_saveexec_b64 s[42:43], vcc
	s_cbranch_execz .LBB35_2429
; %bb.2402:                             ;   in Loop: Header=BB35_2324 Depth=2
	s_mov_b32 s12, 0
	s_mov_b64 s[44:45], 0
                                        ; implicit-def: $sgpr46_sgpr47
                                        ; implicit-def: $sgpr56_sgpr57
	s_branch .LBB35_2404
.LBB35_2403:                            ;   in Loop: Header=BB35_2404 Depth=3
	s_or_b64 exec, exec, s[60:61]
	s_and_b64 s[58:59], exec, s[62:63]
	s_or_b64 s[44:45], s[58:59], s[44:45]
	s_andn2_b64 s[46:47], s[46:47], exec
	s_and_b64 s[58:59], s[56:57], exec
	s_or_b64 s[46:47], s[46:47], s[58:59]
	s_andn2_b64 exec, exec, s[44:45]
	s_cbranch_execz .LBB35_2427
.LBB35_2404:                            ;   Parent Loop BB35_47 Depth=1
                                        ;     Parent Loop BB35_2324 Depth=2
                                        ; =>    This Inner Loop Header: Depth=3
	s_add_i32 s12, s12, 1
	s_cmpk_lg_i32 s12, 0x2710
	s_cselect_b64 s[58:59], -1, 0
	s_and_b64 vcc, exec, s[58:59]
	s_cbranch_vccz .LBB35_2406
; %bb.2405:                             ;   in Loop: Header=BB35_2404 Depth=3
	s_mov_b64 s[62:63], -1
	s_or_b64 s[56:57], s[56:57], exec
	s_and_saveexec_b64 s[60:61], s[58:59]
	s_cbranch_execz .LBB35_2403
	s_branch .LBB35_2407
.LBB35_2406:                            ;   in Loop: Header=BB35_2404 Depth=3
	s_trap 2
	ds_read_b64 v[6:7], v0
	s_andn2_b64 s[58:59], s[58:59], exec
	s_mov_b32 s12, 0
	s_waitcnt vmcnt(0) lgkmcnt(0)
	flat_load_dword v1, v[6:7] sc0 sc1
	s_waitcnt vmcnt(0) lgkmcnt(0)
	buffer_inv sc0 sc1
	v_cmp_eq_u32_e32 vcc, 0, v1
	s_and_b64 s[60:61], vcc, exec
	s_or_b64 s[58:59], s[58:59], s[60:61]
	s_mov_b64 s[62:63], -1
	s_or_b64 s[56:57], s[56:57], exec
	s_and_saveexec_b64 s[60:61], s[58:59]
	s_cbranch_execz .LBB35_2403
.LBB35_2407:                            ;   in Loop: Header=BB35_2404 Depth=3
	s_sleep 1
	s_trap 2
	ds_read_b64 v[6:7], v0
	s_waitcnt lgkmcnt(0)
	s_andn2_b64 s[56:57], s[56:57], exec
	v_cmp_ge_u64_e32 vcc, v[6:7], v[56:57]
	s_orn2_b64 s[62:63], vcc, exec
	s_branch .LBB35_2403
.LBB35_2408:                            ;   in Loop: Header=BB35_2324 Depth=2
	s_or_b64 exec, exec, s[42:43]
	s_and_saveexec_b64 s[12:13], s[44:45]
	s_xor_b64 s[12:13], exec, s[12:13]
	s_cbranch_execz .LBB35_2410
; %bb.2409:                             ;   in Loop: Header=BB35_2324 Depth=2
	v_mov_b32_e32 v0, 1
	ds_write_b32 v0, v0
	s_trap 2
.LBB35_2410:                            ;   in Loop: Header=BB35_2324 Depth=2
	s_or_b64 exec, exec, s[40:41]
	;;#ASMSTART
	s_wakeup
	;;#ASMEND
.LBB35_2411:                            ;   in Loop: Header=BB35_2324 Depth=2
	s_or_b64 exec, exec, s[28:29]
.LBB35_2412:                            ;   in Loop: Header=BB35_2324 Depth=2
	s_andn2_saveexec_b64 s[26:27], s[26:27]
	s_cbranch_execz .LBB35_2414
; %bb.2413:                             ;   in Loop: Header=BB35_2324 Depth=2
	s_waitcnt lgkmcnt(0)
	s_barrier
.LBB35_2414:                            ;   in Loop: Header=BB35_2324 Depth=2
	s_or_b64 exec, exec, s[26:27]
.LBB35_2415:                            ;   in Loop: Header=BB35_2324 Depth=2
	s_or_b64 exec, exec, s[24:25]
	s_trap 2
	ds_read_b32 v6, v0
	v_and_b32_e32 v0, 0x4000, v106
	v_cmp_ne_u32_e32 vcc, 0, v0
	s_xor_b64 s[12:13], s[4:5], -1
	s_and_b64 s[12:13], s[12:13], vcc
	s_and_saveexec_b64 s[24:25], s[12:13]
	s_cbranch_execz .LBB35_2453
; %bb.2416:                             ;   in Loop: Header=BB35_2324 Depth=2
	s_and_saveexec_b64 s[12:13], s[78:79]
	s_xor_b64 s[26:27], exec, s[12:13]
	s_cbranch_execz .LBB35_2450
; %bb.2417:                             ;   in Loop: Header=BB35_2324 Depth=2
	s_and_saveexec_b64 s[28:29], s[14:15]
	s_cbranch_execz .LBB35_2449
; %bb.2418:                             ;   in Loop: Header=BB35_2324 Depth=2
	s_mov_b64 s[42:43], exec
	v_mbcnt_lo_u32_b32 v0, s42, 0
	v_mbcnt_hi_u32_b32 v0, s43, v0
	v_cmp_eq_u32_e32 vcc, 0, v0
	s_waitcnt lgkmcnt(0)
	s_and_saveexec_b64 s[40:41], vcc
	s_cbranch_execz .LBB35_2420
; %bb.2419:                             ;   in Loop: Header=BB35_2324 Depth=2
	s_bcnt1_i32_b64 s12, s[42:43]
	v_mov_b32_e32 v2, s12
	ds_add_u64 v0, v[2:3]
	s_trap 2
.LBB35_2420:                            ;   in Loop: Header=BB35_2324 Depth=2
	s_or_b64 exec, exec, s[40:41]
	s_trap 2
	ds_read_b64 v[0:1], v0
	s_waitcnt lgkmcnt(0)
	v_lshl_add_u64 v[56:57], v[56:57], 0, v[60:61]
	v_cmp_lt_u64_e32 vcc, v[0:1], v[56:57]
	s_and_saveexec_b64 s[40:41], vcc
	s_cbranch_execz .LBB35_2448
; %bb.2421:                             ;   in Loop: Header=BB35_2324 Depth=2
	s_mov_b32 s12, 0
	s_mov_b64 s[42:43], 0
                                        ; implicit-def: $sgpr44_sgpr45
                                        ; implicit-def: $sgpr46_sgpr47
	s_branch .LBB35_2423
.LBB35_2422:                            ;   in Loop: Header=BB35_2423 Depth=3
	s_or_b64 exec, exec, s[58:59]
	s_and_b64 s[56:57], exec, s[60:61]
	s_or_b64 s[42:43], s[56:57], s[42:43]
	s_andn2_b64 s[44:45], s[44:45], exec
	s_and_b64 s[56:57], s[46:47], exec
	s_or_b64 s[44:45], s[44:45], s[56:57]
	s_andn2_b64 exec, exec, s[42:43]
	s_cbranch_execz .LBB35_2446
.LBB35_2423:                            ;   Parent Loop BB35_47 Depth=1
                                        ;     Parent Loop BB35_2324 Depth=2
                                        ; =>    This Inner Loop Header: Depth=3
	s_add_i32 s12, s12, 1
	s_cmpk_lg_i32 s12, 0x2710
	s_cselect_b64 s[56:57], -1, 0
	s_and_b64 vcc, exec, s[56:57]
	s_cbranch_vccz .LBB35_2425
; %bb.2424:                             ;   in Loop: Header=BB35_2423 Depth=3
	s_mov_b64 s[60:61], -1
	s_or_b64 s[46:47], s[46:47], exec
	s_and_saveexec_b64 s[58:59], s[56:57]
	s_cbranch_execz .LBB35_2422
	s_branch .LBB35_2426
.LBB35_2425:                            ;   in Loop: Header=BB35_2423 Depth=3
	s_trap 2
	ds_read_b64 v[0:1], v0
	s_andn2_b64 s[56:57], s[56:57], exec
	s_mov_b32 s12, 0
	s_waitcnt vmcnt(0) lgkmcnt(0)
	flat_load_dword v0, v[0:1] sc0 sc1
	s_waitcnt vmcnt(0) lgkmcnt(0)
	buffer_inv sc0 sc1
	v_cmp_eq_u32_e32 vcc, 0, v0
	s_and_b64 s[58:59], vcc, exec
	s_or_b64 s[56:57], s[56:57], s[58:59]
	s_mov_b64 s[60:61], -1
	s_or_b64 s[46:47], s[46:47], exec
	s_and_saveexec_b64 s[58:59], s[56:57]
	s_cbranch_execz .LBB35_2422
.LBB35_2426:                            ;   in Loop: Header=BB35_2423 Depth=3
	s_sleep 1
	s_trap 2
	ds_read_b64 v[0:1], v0
	s_waitcnt lgkmcnt(0)
	s_andn2_b64 s[46:47], s[46:47], exec
	v_cmp_ge_u64_e32 vcc, v[0:1], v[56:57]
	s_orn2_b64 s[60:61], vcc, exec
	s_branch .LBB35_2422
.LBB35_2427:                            ;   in Loop: Header=BB35_2324 Depth=2
	s_or_b64 exec, exec, s[44:45]
	s_and_saveexec_b64 s[12:13], s[46:47]
	s_xor_b64 s[12:13], exec, s[12:13]
	s_cbranch_execz .LBB35_2429
; %bb.2428:                             ;   in Loop: Header=BB35_2324 Depth=2
	v_mov_b32_e32 v1, 1
	ds_write_b32 v0, v1
	s_trap 2
.LBB35_2429:                            ;   in Loop: Header=BB35_2324 Depth=2
	s_or_b64 exec, exec, s[42:43]
	;;#ASMSTART
	s_wakeup
	;;#ASMEND
.LBB35_2430:                            ;   in Loop: Header=BB35_2324 Depth=2
	s_or_b64 exec, exec, s[40:41]
.LBB35_2431:                            ;   in Loop: Header=BB35_2324 Depth=2
	s_andn2_saveexec_b64 s[28:29], s[28:29]
	s_cbranch_execz .LBB35_2433
; %bb.2432:                             ;   in Loop: Header=BB35_2324 Depth=2
	s_waitcnt lgkmcnt(0)
	s_barrier
.LBB35_2433:                            ;   in Loop: Header=BB35_2324 Depth=2
	s_or_b64 exec, exec, s[28:29]
	s_or_b64 exec, exec, s[24:25]
                                        ; implicit-def: $vgpr1
	s_and_saveexec_b64 s[12:13], s[22:23]
	s_xor_b64 s[24:25], exec, s[12:13]
	s_cbranch_execnz .LBB35_2350
.LBB35_2434:                            ;   in Loop: Header=BB35_2324 Depth=2
	s_andn2_saveexec_b64 s[24:25], s[24:25]
	s_cbranch_execz .LBB35_2608
.LBB35_2435:                            ;   in Loop: Header=BB35_2324 Depth=2
	s_and_saveexec_b64 s[12:13], s[78:79]
	s_xor_b64 s[28:29], exec, s[12:13]
	s_cbranch_execz .LBB35_2605
; %bb.2436:                             ;   in Loop: Header=BB35_2324 Depth=2
	s_and_saveexec_b64 s[40:41], s[14:15]
	s_cbranch_execz .LBB35_2604
; %bb.2437:                             ;   in Loop: Header=BB35_2324 Depth=2
	s_mov_b64 s[44:45], exec
	v_mbcnt_lo_u32_b32 v0, s44, 0
	v_mbcnt_hi_u32_b32 v0, s45, v0
	v_cmp_eq_u32_e32 vcc, 0, v0
	;;#ASMSTART
	s_waitcnt lgkmcnt(0) vmcnt(0)
	;;#ASMEND
	s_and_saveexec_b64 s[42:43], vcc
	s_cbranch_execz .LBB35_2439
; %bb.2438:                             ;   in Loop: Header=BB35_2324 Depth=2
	s_bcnt1_i32_b64 s12, s[44:45]
	v_mov_b32_e32 v2, s12
	s_waitcnt lgkmcnt(0)
	ds_add_u64 v0, v[2:3]
	s_trap 2
.LBB35_2439:                            ;   in Loop: Header=BB35_2324 Depth=2
	s_or_b64 exec, exec, s[42:43]
	s_trap 2
	ds_read_b64 v[0:1], v0
	s_waitcnt lgkmcnt(0)
	v_lshl_add_u64 v[56:57], v[56:57], 0, v[60:61]
	v_cmp_lt_u64_e32 vcc, v[0:1], v[56:57]
	s_and_saveexec_b64 s[42:43], vcc
	s_cbranch_execz .LBB35_2603
; %bb.2440:                             ;   in Loop: Header=BB35_2324 Depth=2
	s_mov_b32 s12, 0
	s_mov_b64 s[44:45], 0
                                        ; implicit-def: $sgpr46_sgpr47
                                        ; implicit-def: $sgpr56_sgpr57
	s_branch .LBB35_2442
.LBB35_2441:                            ;   in Loop: Header=BB35_2442 Depth=3
	s_or_b64 exec, exec, s[60:61]
	s_and_b64 s[58:59], exec, s[62:63]
	s_or_b64 s[44:45], s[58:59], s[44:45]
	s_andn2_b64 s[46:47], s[46:47], exec
	s_and_b64 s[58:59], s[56:57], exec
	s_or_b64 s[46:47], s[46:47], s[58:59]
	s_andn2_b64 exec, exec, s[44:45]
	s_cbranch_execz .LBB35_2601
.LBB35_2442:                            ;   Parent Loop BB35_47 Depth=1
                                        ;     Parent Loop BB35_2324 Depth=2
                                        ; =>    This Inner Loop Header: Depth=3
	s_add_i32 s12, s12, 1
	s_cmpk_lg_i32 s12, 0x2710
	s_cselect_b64 s[58:59], -1, 0
	s_and_b64 vcc, exec, s[58:59]
	s_cbranch_vccz .LBB35_2444
; %bb.2443:                             ;   in Loop: Header=BB35_2442 Depth=3
	s_mov_b64 s[62:63], -1
	s_or_b64 s[56:57], s[56:57], exec
	s_and_saveexec_b64 s[60:61], s[58:59]
	s_cbranch_execz .LBB35_2441
	s_branch .LBB35_2445
.LBB35_2444:                            ;   in Loop: Header=BB35_2442 Depth=3
	s_trap 2
	ds_read_b64 v[0:1], v0
	s_andn2_b64 s[58:59], s[58:59], exec
	s_mov_b32 s12, 0
	s_waitcnt vmcnt(0) lgkmcnt(0)
	flat_load_dword v0, v[0:1] sc0 sc1
	s_waitcnt vmcnt(0) lgkmcnt(0)
	buffer_inv sc0 sc1
	v_cmp_eq_u32_e32 vcc, 0, v0
	s_and_b64 s[60:61], vcc, exec
	s_or_b64 s[58:59], s[58:59], s[60:61]
	s_mov_b64 s[62:63], -1
	s_or_b64 s[56:57], s[56:57], exec
	s_and_saveexec_b64 s[60:61], s[58:59]
	s_cbranch_execz .LBB35_2441
.LBB35_2445:                            ;   in Loop: Header=BB35_2442 Depth=3
	s_sleep 1
	s_trap 2
	ds_read_b64 v[0:1], v0
	s_waitcnt lgkmcnt(0)
	s_andn2_b64 s[56:57], s[56:57], exec
	v_cmp_ge_u64_e32 vcc, v[0:1], v[56:57]
	s_orn2_b64 s[62:63], vcc, exec
	s_branch .LBB35_2441
.LBB35_2446:                            ;   in Loop: Header=BB35_2324 Depth=2
	s_or_b64 exec, exec, s[42:43]
	s_and_saveexec_b64 s[12:13], s[44:45]
	s_xor_b64 s[12:13], exec, s[12:13]
	s_cbranch_execz .LBB35_2448
; %bb.2447:                             ;   in Loop: Header=BB35_2324 Depth=2
	v_mov_b32_e32 v0, 1
	ds_write_b32 v0, v0
	s_trap 2
.LBB35_2448:                            ;   in Loop: Header=BB35_2324 Depth=2
	s_or_b64 exec, exec, s[40:41]
	;;#ASMSTART
	s_wakeup
	;;#ASMEND
.LBB35_2449:                            ;   in Loop: Header=BB35_2324 Depth=2
	s_or_b64 exec, exec, s[28:29]
.LBB35_2450:                            ;   in Loop: Header=BB35_2324 Depth=2
	s_andn2_saveexec_b64 s[26:27], s[26:27]
	s_cbranch_execz .LBB35_2452
; %bb.2451:                             ;   in Loop: Header=BB35_2324 Depth=2
	s_waitcnt lgkmcnt(0)
	s_barrier
.LBB35_2452:                            ;   in Loop: Header=BB35_2324 Depth=2
	s_or_b64 exec, exec, s[26:27]
.LBB35_2453:                            ;   in Loop: Header=BB35_2324 Depth=2
	s_or_b64 exec, exec, s[24:25]
	s_trap 2
	ds_read_b64 v[0:1], v0
	s_waitcnt lgkmcnt(0)
	v_cmp_eq_u64_e32 vcc, 0, v[0:1]
	s_cbranch_vccnz .LBB35_2462
; %bb.2454:                             ;   in Loop: Header=BB35_2324 Depth=2
	s_trap 2
	ds_read_b64 v[58:59], v0
	s_waitcnt lgkmcnt(0)
	v_cmp_eq_u64_e32 vcc, 0, v[58:59]
	s_cbranch_vccnz .LBB35_2467
; %bb.2455:                             ;   in Loop: Header=BB35_2324 Depth=2
	s_trap 2
	ds_read_b64 v[52:53], v0
	v_cmp_eq_u32_e32 vcc, 0, v6
	s_waitcnt lgkmcnt(0)
	v_readfirstlane_b32 s12, v52
	v_cndmask_b32_e32 v29, 0, v28, vcc
	v_cmp_ne_u64_e32 vcc, 0, v[52:53]
	s_cbranch_vccz .LBB35_2468
; %bb.2456:                             ;   in Loop: Header=BB35_2324 Depth=2
	s_trap 2
	ds_read_b64 v[54:55], v0
	s_mov_b64 s[26:27], -1
	s_and_saveexec_b64 s[24:25], s[18:19]
	s_cbranch_execz .LBB35_2458
; %bb.2457:                             ;   in Loop: Header=BB35_2324 Depth=2
	ds_read_b32 v2, v0 offset:720
	s_waitcnt lgkmcnt(0)
	v_and_b32_e32 v2, 15, v2
	v_cmp_eq_u32_e32 vcc, 0, v2
	s_orn2_b64 s[26:27], vcc, exec
.LBB35_2458:                            ;   in Loop: Header=BB35_2324 Depth=2
	s_or_b64 exec, exec, s[24:25]
	s_and_saveexec_b64 s[24:25], s[20:21]
	s_cbranch_execz .LBB35_2460
; %bb.2459:                             ;   in Loop: Header=BB35_2324 Depth=2
	ds_read_b32 v2, v0 offset:784
	s_waitcnt lgkmcnt(0)
	v_and_b32_e32 v2, 15, v2
	v_cmp_eq_u32_e32 vcc, 0, v2
	s_and_b64 s[28:29], s[26:27], vcc
	s_andn2_b64 s[26:27], s[26:27], exec
	s_and_b64 s[28:29], s[28:29], exec
	s_or_b64 s[26:27], s[26:27], s[28:29]
.LBB35_2460:                            ;   in Loop: Header=BB35_2324 Depth=2
	s_or_b64 exec, exec, s[24:25]
	s_xor_b64 s[26:27], s[26:27], -1
	v_cndmask_b32_e64 v2, 0, 1, s[26:27]
	v_lshlrev_b32_e32 v6, 1, v29
	s_mov_b64 s[24:25], -1
	v_mov_b32_e32 v18, 0
	v_cmp_ne_u32_e32 vcc, 0, v2
	s_cbranch_vccz .LBB35_2470
; %bb.2461:                             ;   in Loop: Header=BB35_2324 Depth=2
	v_mov_b32_e32 v19, v31
	s_and_saveexec_b64 s[42:43], s[24:25]
	s_cbranch_execnz .LBB35_2623
	s_branch .LBB35_2697
.LBB35_2462:                            ;   in Loop: Header=BB35_2324 Depth=2
	s_mov_b64 s[24:25], 0
	s_and_saveexec_b64 s[26:27], s[6:7]
	s_cbranch_execnz .LBB35_3044
.LBB35_2463:                            ;   in Loop: Header=BB35_2324 Depth=2
	s_or_b64 exec, exec, s[26:27]
                                        ; implicit-def: $vgpr0
	s_and_saveexec_b64 s[12:13], s[22:23]
	s_xor_b64 s[26:27], exec, s[12:13]
	s_cbranch_execz .LBB35_3062
.LBB35_2464:                            ;   in Loop: Header=BB35_2324 Depth=2
	v_and_b32_e32 v1, 16, v106
	v_cmp_ne_u32_e32 vcc, 0, v1
	v_and_b32_e32 v0, 16, v106
	s_and_b64 s[12:13], vcc, s[24:25]
	s_and_saveexec_b64 s[24:25], s[12:13]
	s_cbranch_execz .LBB35_2466
; %bb.2465:                             ;   in Loop: Header=BB35_2324 Depth=2
	v_mov_b32_e32 v0, 1
	buffer_wbl2 sc1
	s_waitcnt vmcnt(0) lgkmcnt(0)
	buffer_inv sc1
.LBB35_2466:                            ;   in Loop: Header=BB35_2324 Depth=2
	s_or_b64 exec, exec, s[24:25]
	s_andn2_saveexec_b64 s[24:25], s[26:27]
	s_cbranch_execz .LBB35_3081
	s_branch .LBB35_3063
.LBB35_2467:                            ;   in Loop: Header=BB35_2324 Depth=2
	s_mov_b64 s[24:25], 0
	v_mov_b32_e32 v58, v107
	s_and_saveexec_b64 s[26:27], s[6:7]
	s_cbranch_execnz .LBB35_3044
	s_branch .LBB35_2463
.LBB35_2468:                            ;   in Loop: Header=BB35_2324 Depth=2
	s_cbranch_execnz .LBB35_2698
.LBB35_2469:                            ;   in Loop: Header=BB35_2324 Depth=2
	v_cmp_lt_i32_e64 s[24:25], 0, v29
	v_mov_b32_e32 v58, v107
	s_and_saveexec_b64 s[26:27], s[6:7]
	s_cbranch_execnz .LBB35_3044
	s_branch .LBB35_2463
.LBB35_2470:                            ;   in Loop: Header=BB35_2324 Depth=2
	v_ashrrev_i32_e32 v2, 31, v6
	v_lshrrev_b32_e32 v2, 20, v2
	v_add_u32_e32 v2, v6, v2
	v_ashrrev_i32_e32 v7, 12, v2
	v_lshrrev_b32_e32 v2, 6, v31
	v_sub_u32_e32 v2, v7, v2
	v_cmp_lt_i32_e32 vcc, 0, v2
	s_and_saveexec_b64 s[26:27], vcc
	s_cbranch_execz .LBB35_2614
; %bb.2471:                             ;   in Loop: Header=BB35_2324 Depth=2
	scratch_load_dwordx2 v[8:9], off, s33 offset:320 ; 8-byte Folded Reload
	s_and_b32 s76, s12, 1
	s_cmp_eq_u64 s[76:77], 0
	s_mov_b64 s[28:29], 0
	s_cselect_b64 vcc, -1, 0
	v_mov_b64_e32 v[68:69], v[0:1]
	s_waitcnt lgkmcnt(0)
	v_mov_b64_e32 v[70:71], v[54:55]
	s_waitcnt vmcnt(0)
	v_lshl_add_u64 v[64:65], v[58:59], 0, v[8:9]
	v_lshl_add_u64 v[66:67], v[52:53], 0, v[8:9]
	s_branch .LBB35_2473
.LBB35_2472:                            ;   in Loop: Header=BB35_2473 Depth=3
	s_or_b64 exec, exec, s[40:41]
	v_lshrrev_b32_e32 v32, 16, v32
	v_and_or_b32 v24, v24, s73, v32
	v_lshrrev_b32_e32 v32, 16, v34
	v_lshrrev_b32_e32 v33, 16, v33
	v_and_or_b32 v26, v26, s73, v32
	v_lshrrev_b32_e32 v32, 16, v35
	v_and_or_b32 v25, v25, s73, v33
	v_and_or_b32 v27, v27, s73, v32
	global_store_dwordx4 v[64:65], v[24:27], off offset:3072
	global_store_dwordx4 v[66:67], v[20:23], off
	global_store_dwordx4 v[66:67], v[16:19], off offset:1024
	global_store_dwordx4 v[66:67], v[12:15], off offset:2048
	;; [unrolled: 1-line block ×3, first 2 shown]
	scratch_load_dwordx2 v[8:9], off, s33 offset:328 ; 8-byte Folded Reload
	v_sub_u32_e32 v2, v2, v60
	v_cmp_gt_i32_e64 s[24:25], 1, v2
	v_lshl_add_u64 v[70:71], v[70:71], 0, v[116:117]
	s_or_b64 s[28:29], s[24:25], s[28:29]
	v_lshl_add_u64 v[68:69], v[68:69], 0, v[116:117]
	s_waitcnt vmcnt(0)
	v_lshl_add_u64 v[64:65], v[64:65], 0, v[8:9]
	v_lshl_add_u64 v[66:67], v[66:67], 0, v[8:9]
	s_andn2_b64 exec, exec, s[28:29]
	s_cbranch_execz .LBB35_2613
.LBB35_2473:                            ;   Parent Loop BB35_47 Depth=1
                                        ;     Parent Loop BB35_2324 Depth=2
                                        ; =>    This Inner Loop Header: Depth=3
	scratch_load_dwordx2 v[8:9], off, s33 offset:320 ; 8-byte Folded Reload
	s_waitcnt vmcnt(0)
	v_lshl_add_u64 v[24:25], v[8:9], 0, v[70:71]
	v_lshl_add_u64 v[8:9], v[8:9], 0, v[68:69]
	global_load_dwordx4 v[20:23], v[8:9], off nt
	global_load_dwordx4 v[48:51], v[24:25], off nt
	global_load_dwordx4 v[16:19], v[8:9], off offset:1024 nt
	global_load_dwordx4 v[36:39], v[24:25], off offset:1024 nt
	;; [unrolled: 1-line block ×3, first 2 shown]
	s_nop 0
	global_load_dwordx4 v[8:11], v[8:9], off offset:3072 nt
	s_nop 0
	global_load_dwordx4 v[32:35], v[24:25], off offset:2048 nt
	;; [unrolled: 2-line block ×3, first 2 shown]
	s_waitcnt vmcnt(7)
	v_lshlrev_b32_e32 v80, 16, v20
	s_waitcnt vmcnt(6)
	v_lshlrev_b32_e32 v81, 16, v48
	v_max_f32_e32 v81, v81, v81
	v_max_f32_e32 v80, v80, v80
	v_min_f32_e32 v82, v80, v81
	v_max_f32_e32 v80, v80, v81
	v_cndmask_b32_e32 v81, v80, v82, vcc
	v_and_b32_e32 v80, 0x7f800000, v81
	v_cmp_ne_u32_e64 s[24:25], s51, v80
                                        ; implicit-def: $vgpr80
	s_and_saveexec_b64 s[40:41], s[24:25]
	s_xor_b64 s[24:25], exec, s[40:41]
; %bb.2474:                             ;   in Loop: Header=BB35_2473 Depth=3
	v_bfe_u32 v80, v81, 16, 1
	v_add3_u32 v80, v81, v80, s72
                                        ; implicit-def: $vgpr81
; %bb.2475:                             ;   in Loop: Header=BB35_2473 Depth=3
	s_andn2_saveexec_b64 s[40:41], s[24:25]
; %bb.2476:                             ;   in Loop: Header=BB35_2473 Depth=3
	v_or_b32_e32 v80, 0x10000, v81
	v_cmp_eq_u32_sdwa s[24:25], v81, v3 src0_sel:WORD_0 src1_sel:DWORD
	s_nop 1
	v_cndmask_b32_e64 v80, v80, v81, s[24:25]
; %bb.2477:                             ;   in Loop: Header=BB35_2473 Depth=3
	s_or_b64 exec, exec, s[40:41]
	v_and_b32_e32 v81, 0xffff0000, v20
	v_and_b32_e32 v48, 0xffff0000, v48
	v_max_f32_e32 v48, v48, v48
	v_max_f32_e32 v81, v81, v81
	v_min_f32_e32 v82, v81, v48
	v_max_f32_e32 v48, v81, v48
	v_cndmask_b32_e32 v81, v48, v82, vcc
	v_and_b32_e32 v48, 0x7f800000, v81
	v_cmp_ne_u32_e64 s[24:25], s51, v48
                                        ; implicit-def: $vgpr48
	s_and_saveexec_b64 s[40:41], s[24:25]
	s_xor_b64 s[24:25], exec, s[40:41]
; %bb.2478:                             ;   in Loop: Header=BB35_2473 Depth=3
	v_bfe_u32 v48, v81, 16, 1
	v_add3_u32 v48, v81, v48, s72
                                        ; implicit-def: $vgpr81
; %bb.2479:                             ;   in Loop: Header=BB35_2473 Depth=3
	s_andn2_saveexec_b64 s[40:41], s[24:25]
; %bb.2480:                             ;   in Loop: Header=BB35_2473 Depth=3
	v_or_b32_e32 v48, 0x10000, v81
	v_cmp_eq_u32_sdwa s[24:25], v81, v3 src0_sel:WORD_0 src1_sel:DWORD
	s_nop 1
	v_cndmask_b32_e64 v48, v48, v81, s[24:25]
; %bb.2481:                             ;   in Loop: Header=BB35_2473 Depth=3
	s_or_b64 exec, exec, s[40:41]
	v_lshlrev_b32_e32 v81, 16, v21
	v_lshlrev_b32_e32 v82, 16, v49
	v_max_f32_e32 v82, v82, v82
	v_max_f32_e32 v81, v81, v81
	v_min_f32_e32 v83, v81, v82
	v_max_f32_e32 v81, v81, v82
	v_cndmask_b32_e32 v82, v81, v83, vcc
	v_and_b32_e32 v81, 0x7f800000, v82
	v_cmp_ne_u32_e64 s[24:25], s51, v81
                                        ; implicit-def: $vgpr81
	s_and_saveexec_b64 s[40:41], s[24:25]
	s_xor_b64 s[24:25], exec, s[40:41]
; %bb.2482:                             ;   in Loop: Header=BB35_2473 Depth=3
	v_bfe_u32 v81, v82, 16, 1
	v_add3_u32 v81, v82, v81, s72
                                        ; implicit-def: $vgpr82
; %bb.2483:                             ;   in Loop: Header=BB35_2473 Depth=3
	s_andn2_saveexec_b64 s[40:41], s[24:25]
; %bb.2484:                             ;   in Loop: Header=BB35_2473 Depth=3
	v_or_b32_e32 v81, 0x10000, v82
	v_cmp_eq_u32_sdwa s[24:25], v82, v3 src0_sel:WORD_0 src1_sel:DWORD
	s_nop 1
	v_cndmask_b32_e64 v81, v81, v82, s[24:25]
; %bb.2485:                             ;   in Loop: Header=BB35_2473 Depth=3
	s_or_b64 exec, exec, s[40:41]
	v_and_b32_e32 v82, 0xffff0000, v21
	v_and_b32_e32 v49, 0xffff0000, v49
	v_max_f32_e32 v49, v49, v49
	v_max_f32_e32 v82, v82, v82
	v_min_f32_e32 v83, v82, v49
	v_max_f32_e32 v49, v82, v49
	v_cndmask_b32_e32 v82, v49, v83, vcc
	v_and_b32_e32 v49, 0x7f800000, v82
	v_cmp_ne_u32_e64 s[24:25], s51, v49
                                        ; implicit-def: $vgpr49
	s_and_saveexec_b64 s[40:41], s[24:25]
	s_xor_b64 s[24:25], exec, s[40:41]
; %bb.2486:                             ;   in Loop: Header=BB35_2473 Depth=3
	v_bfe_u32 v49, v82, 16, 1
	v_add3_u32 v49, v82, v49, s72
                                        ; implicit-def: $vgpr82
; %bb.2487:                             ;   in Loop: Header=BB35_2473 Depth=3
	s_andn2_saveexec_b64 s[40:41], s[24:25]
; %bb.2488:                             ;   in Loop: Header=BB35_2473 Depth=3
	v_or_b32_e32 v49, 0x10000, v82
	v_cmp_eq_u32_sdwa s[24:25], v82, v3 src0_sel:WORD_0 src1_sel:DWORD
	s_nop 1
	v_cndmask_b32_e64 v49, v49, v82, s[24:25]
; %bb.2489:                             ;   in Loop: Header=BB35_2473 Depth=3
	s_or_b64 exec, exec, s[40:41]
	v_lshlrev_b32_e32 v82, 16, v22
	v_lshlrev_b32_e32 v83, 16, v50
	v_max_f32_e32 v83, v83, v83
	v_max_f32_e32 v82, v82, v82
	v_min_f32_e32 v84, v82, v83
	v_max_f32_e32 v82, v82, v83
	v_cndmask_b32_e32 v83, v82, v84, vcc
	v_and_b32_e32 v82, 0x7f800000, v83
	v_cmp_ne_u32_e64 s[24:25], s51, v82
                                        ; implicit-def: $vgpr82
	s_and_saveexec_b64 s[40:41], s[24:25]
	s_xor_b64 s[24:25], exec, s[40:41]
; %bb.2490:                             ;   in Loop: Header=BB35_2473 Depth=3
	v_bfe_u32 v82, v83, 16, 1
	v_add3_u32 v82, v83, v82, s72
                                        ; implicit-def: $vgpr83
; %bb.2491:                             ;   in Loop: Header=BB35_2473 Depth=3
	s_andn2_saveexec_b64 s[40:41], s[24:25]
; %bb.2492:                             ;   in Loop: Header=BB35_2473 Depth=3
	v_or_b32_e32 v82, 0x10000, v83
	v_cmp_eq_u32_sdwa s[24:25], v83, v3 src0_sel:WORD_0 src1_sel:DWORD
	s_nop 1
	v_cndmask_b32_e64 v82, v82, v83, s[24:25]
; %bb.2493:                             ;   in Loop: Header=BB35_2473 Depth=3
	s_or_b64 exec, exec, s[40:41]
	v_and_b32_e32 v83, 0xffff0000, v22
	v_and_b32_e32 v50, 0xffff0000, v50
	v_max_f32_e32 v50, v50, v50
	v_max_f32_e32 v83, v83, v83
	v_min_f32_e32 v84, v83, v50
	v_max_f32_e32 v50, v83, v50
	v_cndmask_b32_e32 v83, v50, v84, vcc
	v_and_b32_e32 v50, 0x7f800000, v83
	v_cmp_ne_u32_e64 s[24:25], s51, v50
                                        ; implicit-def: $vgpr50
	s_and_saveexec_b64 s[40:41], s[24:25]
	s_xor_b64 s[24:25], exec, s[40:41]
; %bb.2494:                             ;   in Loop: Header=BB35_2473 Depth=3
	v_bfe_u32 v50, v83, 16, 1
	v_add3_u32 v50, v83, v50, s72
                                        ; implicit-def: $vgpr83
; %bb.2495:                             ;   in Loop: Header=BB35_2473 Depth=3
	s_andn2_saveexec_b64 s[40:41], s[24:25]
; %bb.2496:                             ;   in Loop: Header=BB35_2473 Depth=3
	v_or_b32_e32 v50, 0x10000, v83
	v_cmp_eq_u32_sdwa s[24:25], v83, v3 src0_sel:WORD_0 src1_sel:DWORD
	s_nop 1
	v_cndmask_b32_e64 v50, v50, v83, s[24:25]
; %bb.2497:                             ;   in Loop: Header=BB35_2473 Depth=3
	s_or_b64 exec, exec, s[40:41]
	v_lshlrev_b32_e32 v83, 16, v23
	v_lshlrev_b32_e32 v84, 16, v51
	v_max_f32_e32 v84, v84, v84
	v_max_f32_e32 v83, v83, v83
	v_min_f32_e32 v85, v83, v84
	v_max_f32_e32 v83, v83, v84
	v_cndmask_b32_e32 v84, v83, v85, vcc
	v_and_b32_e32 v83, 0x7f800000, v84
	v_cmp_ne_u32_e64 s[24:25], s51, v83
                                        ; implicit-def: $vgpr83
	s_and_saveexec_b64 s[40:41], s[24:25]
	s_xor_b64 s[24:25], exec, s[40:41]
; %bb.2498:                             ;   in Loop: Header=BB35_2473 Depth=3
	v_bfe_u32 v83, v84, 16, 1
	v_add3_u32 v83, v84, v83, s72
                                        ; implicit-def: $vgpr84
; %bb.2499:                             ;   in Loop: Header=BB35_2473 Depth=3
	s_andn2_saveexec_b64 s[40:41], s[24:25]
; %bb.2500:                             ;   in Loop: Header=BB35_2473 Depth=3
	v_or_b32_e32 v83, 0x10000, v84
	v_cmp_eq_u32_sdwa s[24:25], v84, v3 src0_sel:WORD_0 src1_sel:DWORD
	s_nop 1
	v_cndmask_b32_e64 v83, v83, v84, s[24:25]
; %bb.2501:                             ;   in Loop: Header=BB35_2473 Depth=3
	s_or_b64 exec, exec, s[40:41]
	v_and_b32_e32 v84, 0xffff0000, v23
	v_and_b32_e32 v51, 0xffff0000, v51
	v_max_f32_e32 v51, v51, v51
	v_max_f32_e32 v84, v84, v84
	v_min_f32_e32 v85, v84, v51
	v_max_f32_e32 v51, v84, v51
	v_cndmask_b32_e32 v84, v51, v85, vcc
	v_and_b32_e32 v51, 0x7f800000, v84
	v_cmp_ne_u32_e64 s[24:25], s51, v51
                                        ; implicit-def: $vgpr51
	s_and_saveexec_b64 s[40:41], s[24:25]
	s_xor_b64 s[24:25], exec, s[40:41]
; %bb.2502:                             ;   in Loop: Header=BB35_2473 Depth=3
	v_bfe_u32 v51, v84, 16, 1
	v_add3_u32 v51, v84, v51, s72
                                        ; implicit-def: $vgpr84
; %bb.2503:                             ;   in Loop: Header=BB35_2473 Depth=3
	s_andn2_saveexec_b64 s[40:41], s[24:25]
; %bb.2504:                             ;   in Loop: Header=BB35_2473 Depth=3
	v_or_b32_e32 v51, 0x10000, v84
	v_cmp_eq_u32_sdwa s[24:25], v84, v3 src0_sel:WORD_0 src1_sel:DWORD
	s_nop 1
	v_cndmask_b32_e64 v51, v51, v84, s[24:25]
; %bb.2505:                             ;   in Loop: Header=BB35_2473 Depth=3
	s_or_b64 exec, exec, s[40:41]
	v_lshrrev_b32_e32 v80, 16, v80
	v_and_or_b32 v48, v48, s73, v80
	v_lshrrev_b32_e32 v80, 16, v82
	v_lshrrev_b32_e32 v81, 16, v81
	v_and_or_b32 v50, v50, s73, v80
	v_lshrrev_b32_e32 v80, 16, v83
	v_and_or_b32 v49, v49, s73, v81
	v_and_or_b32 v51, v51, s73, v80
	global_store_dwordx4 v[64:65], v[48:51], off
	s_waitcnt vmcnt(6)
	s_nop 0
	v_lshlrev_b32_e32 v48, 16, v16
	s_waitcnt vmcnt(5)
	v_lshlrev_b32_e32 v49, 16, v36
	v_max_f32_e32 v49, v49, v49
	v_max_f32_e32 v48, v48, v48
	v_min_f32_e32 v50, v48, v49
	v_max_f32_e32 v48, v48, v49
	v_cndmask_b32_e32 v49, v48, v50, vcc
	v_and_b32_e32 v48, 0x7f800000, v49
	v_cmp_ne_u32_e64 s[24:25], s51, v48
                                        ; implicit-def: $vgpr48
	s_and_saveexec_b64 s[40:41], s[24:25]
	s_xor_b64 s[24:25], exec, s[40:41]
; %bb.2506:                             ;   in Loop: Header=BB35_2473 Depth=3
	v_bfe_u32 v48, v49, 16, 1
	v_add3_u32 v48, v49, v48, s72
                                        ; implicit-def: $vgpr49
; %bb.2507:                             ;   in Loop: Header=BB35_2473 Depth=3
	s_andn2_saveexec_b64 s[40:41], s[24:25]
; %bb.2508:                             ;   in Loop: Header=BB35_2473 Depth=3
	v_or_b32_e32 v48, 0x10000, v49
	v_cmp_eq_u32_sdwa s[24:25], v49, v3 src0_sel:WORD_0 src1_sel:DWORD
	s_nop 1
	v_cndmask_b32_e64 v48, v48, v49, s[24:25]
; %bb.2509:                             ;   in Loop: Header=BB35_2473 Depth=3
	s_or_b64 exec, exec, s[40:41]
	v_and_b32_e32 v49, 0xffff0000, v16
	v_and_b32_e32 v36, 0xffff0000, v36
	v_max_f32_e32 v36, v36, v36
	v_max_f32_e32 v49, v49, v49
	v_min_f32_e32 v50, v49, v36
	v_max_f32_e32 v36, v49, v36
	v_cndmask_b32_e32 v49, v36, v50, vcc
	v_and_b32_e32 v36, 0x7f800000, v49
	v_cmp_ne_u32_e64 s[24:25], s51, v36
                                        ; implicit-def: $vgpr36
	s_and_saveexec_b64 s[40:41], s[24:25]
	s_xor_b64 s[24:25], exec, s[40:41]
; %bb.2510:                             ;   in Loop: Header=BB35_2473 Depth=3
	v_bfe_u32 v36, v49, 16, 1
	v_add3_u32 v36, v49, v36, s72
                                        ; implicit-def: $vgpr49
; %bb.2511:                             ;   in Loop: Header=BB35_2473 Depth=3
	s_andn2_saveexec_b64 s[40:41], s[24:25]
; %bb.2512:                             ;   in Loop: Header=BB35_2473 Depth=3
	v_or_b32_e32 v36, 0x10000, v49
	v_cmp_eq_u32_sdwa s[24:25], v49, v3 src0_sel:WORD_0 src1_sel:DWORD
	s_nop 1
	v_cndmask_b32_e64 v36, v36, v49, s[24:25]
; %bb.2513:                             ;   in Loop: Header=BB35_2473 Depth=3
	s_or_b64 exec, exec, s[40:41]
	v_lshlrev_b32_e32 v49, 16, v17
	v_lshlrev_b32_e32 v50, 16, v37
	v_max_f32_e32 v50, v50, v50
	v_max_f32_e32 v49, v49, v49
	v_min_f32_e32 v51, v49, v50
	v_max_f32_e32 v49, v49, v50
	v_cndmask_b32_e32 v50, v49, v51, vcc
	v_and_b32_e32 v49, 0x7f800000, v50
	v_cmp_ne_u32_e64 s[24:25], s51, v49
                                        ; implicit-def: $vgpr49
	s_and_saveexec_b64 s[40:41], s[24:25]
	s_xor_b64 s[24:25], exec, s[40:41]
; %bb.2514:                             ;   in Loop: Header=BB35_2473 Depth=3
	v_bfe_u32 v49, v50, 16, 1
	v_add3_u32 v49, v50, v49, s72
                                        ; implicit-def: $vgpr50
; %bb.2515:                             ;   in Loop: Header=BB35_2473 Depth=3
	s_andn2_saveexec_b64 s[40:41], s[24:25]
; %bb.2516:                             ;   in Loop: Header=BB35_2473 Depth=3
	v_or_b32_e32 v49, 0x10000, v50
	v_cmp_eq_u32_sdwa s[24:25], v50, v3 src0_sel:WORD_0 src1_sel:DWORD
	s_nop 1
	v_cndmask_b32_e64 v49, v49, v50, s[24:25]
; %bb.2517:                             ;   in Loop: Header=BB35_2473 Depth=3
	s_or_b64 exec, exec, s[40:41]
	v_and_b32_e32 v50, 0xffff0000, v17
	v_and_b32_e32 v37, 0xffff0000, v37
	v_max_f32_e32 v37, v37, v37
	v_max_f32_e32 v50, v50, v50
	v_min_f32_e32 v51, v50, v37
	v_max_f32_e32 v37, v50, v37
	v_cndmask_b32_e32 v50, v37, v51, vcc
	v_and_b32_e32 v37, 0x7f800000, v50
	v_cmp_ne_u32_e64 s[24:25], s51, v37
                                        ; implicit-def: $vgpr37
	s_and_saveexec_b64 s[40:41], s[24:25]
	s_xor_b64 s[24:25], exec, s[40:41]
; %bb.2518:                             ;   in Loop: Header=BB35_2473 Depth=3
	v_bfe_u32 v37, v50, 16, 1
	v_add3_u32 v37, v50, v37, s72
                                        ; implicit-def: $vgpr50
; %bb.2519:                             ;   in Loop: Header=BB35_2473 Depth=3
	s_andn2_saveexec_b64 s[40:41], s[24:25]
; %bb.2520:                             ;   in Loop: Header=BB35_2473 Depth=3
	v_or_b32_e32 v37, 0x10000, v50
	v_cmp_eq_u32_sdwa s[24:25], v50, v3 src0_sel:WORD_0 src1_sel:DWORD
	s_nop 1
	v_cndmask_b32_e64 v37, v37, v50, s[24:25]
; %bb.2521:                             ;   in Loop: Header=BB35_2473 Depth=3
	s_or_b64 exec, exec, s[40:41]
	v_lshlrev_b32_e32 v50, 16, v18
	v_lshlrev_b32_e32 v51, 16, v38
	v_max_f32_e32 v51, v51, v51
	v_max_f32_e32 v50, v50, v50
	v_min_f32_e32 v80, v50, v51
	v_max_f32_e32 v50, v50, v51
	v_cndmask_b32_e32 v51, v50, v80, vcc
	v_and_b32_e32 v50, 0x7f800000, v51
	v_cmp_ne_u32_e64 s[24:25], s51, v50
                                        ; implicit-def: $vgpr50
	s_and_saveexec_b64 s[40:41], s[24:25]
	s_xor_b64 s[24:25], exec, s[40:41]
; %bb.2522:                             ;   in Loop: Header=BB35_2473 Depth=3
	v_bfe_u32 v50, v51, 16, 1
	v_add3_u32 v50, v51, v50, s72
                                        ; implicit-def: $vgpr51
; %bb.2523:                             ;   in Loop: Header=BB35_2473 Depth=3
	s_andn2_saveexec_b64 s[40:41], s[24:25]
; %bb.2524:                             ;   in Loop: Header=BB35_2473 Depth=3
	v_or_b32_e32 v50, 0x10000, v51
	v_cmp_eq_u32_sdwa s[24:25], v51, v3 src0_sel:WORD_0 src1_sel:DWORD
	s_nop 1
	v_cndmask_b32_e64 v50, v50, v51, s[24:25]
; %bb.2525:                             ;   in Loop: Header=BB35_2473 Depth=3
	s_or_b64 exec, exec, s[40:41]
	v_and_b32_e32 v51, 0xffff0000, v18
	v_and_b32_e32 v38, 0xffff0000, v38
	v_max_f32_e32 v38, v38, v38
	v_max_f32_e32 v51, v51, v51
	v_min_f32_e32 v80, v51, v38
	v_max_f32_e32 v38, v51, v38
	v_cndmask_b32_e32 v51, v38, v80, vcc
	v_and_b32_e32 v38, 0x7f800000, v51
	v_cmp_ne_u32_e64 s[24:25], s51, v38
                                        ; implicit-def: $vgpr38
	s_and_saveexec_b64 s[40:41], s[24:25]
	s_xor_b64 s[24:25], exec, s[40:41]
; %bb.2526:                             ;   in Loop: Header=BB35_2473 Depth=3
	v_bfe_u32 v38, v51, 16, 1
	v_add3_u32 v38, v51, v38, s72
                                        ; implicit-def: $vgpr51
; %bb.2527:                             ;   in Loop: Header=BB35_2473 Depth=3
	s_andn2_saveexec_b64 s[40:41], s[24:25]
; %bb.2528:                             ;   in Loop: Header=BB35_2473 Depth=3
	v_or_b32_e32 v38, 0x10000, v51
	v_cmp_eq_u32_sdwa s[24:25], v51, v3 src0_sel:WORD_0 src1_sel:DWORD
	s_nop 1
	v_cndmask_b32_e64 v38, v38, v51, s[24:25]
; %bb.2529:                             ;   in Loop: Header=BB35_2473 Depth=3
	s_or_b64 exec, exec, s[40:41]
	v_lshlrev_b32_e32 v51, 16, v19
	v_lshlrev_b32_e32 v80, 16, v39
	v_max_f32_e32 v80, v80, v80
	v_max_f32_e32 v51, v51, v51
	v_min_f32_e32 v81, v51, v80
	v_max_f32_e32 v51, v51, v80
	v_cndmask_b32_e32 v80, v51, v81, vcc
	v_and_b32_e32 v51, 0x7f800000, v80
	v_cmp_ne_u32_e64 s[24:25], s51, v51
                                        ; implicit-def: $vgpr51
	s_and_saveexec_b64 s[40:41], s[24:25]
	s_xor_b64 s[24:25], exec, s[40:41]
; %bb.2530:                             ;   in Loop: Header=BB35_2473 Depth=3
	v_bfe_u32 v51, v80, 16, 1
	v_add3_u32 v51, v80, v51, s72
                                        ; implicit-def: $vgpr80
; %bb.2531:                             ;   in Loop: Header=BB35_2473 Depth=3
	s_andn2_saveexec_b64 s[40:41], s[24:25]
; %bb.2532:                             ;   in Loop: Header=BB35_2473 Depth=3
	v_or_b32_e32 v51, 0x10000, v80
	v_cmp_eq_u32_sdwa s[24:25], v80, v3 src0_sel:WORD_0 src1_sel:DWORD
	s_nop 1
	v_cndmask_b32_e64 v51, v51, v80, s[24:25]
; %bb.2533:                             ;   in Loop: Header=BB35_2473 Depth=3
	s_or_b64 exec, exec, s[40:41]
	v_and_b32_e32 v80, 0xffff0000, v19
	v_and_b32_e32 v39, 0xffff0000, v39
	v_max_f32_e32 v39, v39, v39
	v_max_f32_e32 v80, v80, v80
	v_min_f32_e32 v81, v80, v39
	v_max_f32_e32 v39, v80, v39
	v_cndmask_b32_e32 v80, v39, v81, vcc
	v_and_b32_e32 v39, 0x7f800000, v80
	v_cmp_ne_u32_e64 s[24:25], s51, v39
                                        ; implicit-def: $vgpr39
	s_and_saveexec_b64 s[40:41], s[24:25]
	s_xor_b64 s[24:25], exec, s[40:41]
; %bb.2534:                             ;   in Loop: Header=BB35_2473 Depth=3
	v_bfe_u32 v39, v80, 16, 1
	v_add3_u32 v39, v80, v39, s72
                                        ; implicit-def: $vgpr80
; %bb.2535:                             ;   in Loop: Header=BB35_2473 Depth=3
	s_andn2_saveexec_b64 s[40:41], s[24:25]
; %bb.2536:                             ;   in Loop: Header=BB35_2473 Depth=3
	v_or_b32_e32 v39, 0x10000, v80
	v_cmp_eq_u32_sdwa s[24:25], v80, v3 src0_sel:WORD_0 src1_sel:DWORD
	s_nop 1
	v_cndmask_b32_e64 v39, v39, v80, s[24:25]
; %bb.2537:                             ;   in Loop: Header=BB35_2473 Depth=3
	s_or_b64 exec, exec, s[40:41]
	v_lshrrev_b32_e32 v48, 16, v48
	v_and_or_b32 v36, v36, s73, v48
	v_lshrrev_b32_e32 v48, 16, v50
	v_lshrrev_b32_e32 v49, 16, v49
	v_and_or_b32 v38, v38, s73, v48
	v_lshrrev_b32_e32 v48, 16, v51
	v_and_or_b32 v37, v37, s73, v49
	v_and_or_b32 v39, v39, s73, v48
	global_store_dwordx4 v[64:65], v[36:39], off offset:1024
	s_waitcnt vmcnt(5)
	s_nop 0
	v_lshlrev_b32_e32 v36, 16, v12
	s_waitcnt vmcnt(3)
	v_lshlrev_b32_e32 v37, 16, v32
	v_max_f32_e32 v37, v37, v37
	v_max_f32_e32 v36, v36, v36
	v_min_f32_e32 v38, v36, v37
	v_max_f32_e32 v36, v36, v37
	v_cndmask_b32_e32 v37, v36, v38, vcc
	v_and_b32_e32 v36, 0x7f800000, v37
	v_cmp_ne_u32_e64 s[24:25], s51, v36
                                        ; implicit-def: $vgpr36
	s_and_saveexec_b64 s[40:41], s[24:25]
	s_xor_b64 s[24:25], exec, s[40:41]
; %bb.2538:                             ;   in Loop: Header=BB35_2473 Depth=3
	v_bfe_u32 v36, v37, 16, 1
	v_add3_u32 v36, v37, v36, s72
                                        ; implicit-def: $vgpr37
; %bb.2539:                             ;   in Loop: Header=BB35_2473 Depth=3
	s_andn2_saveexec_b64 s[40:41], s[24:25]
; %bb.2540:                             ;   in Loop: Header=BB35_2473 Depth=3
	v_or_b32_e32 v36, 0x10000, v37
	v_cmp_eq_u32_sdwa s[24:25], v37, v3 src0_sel:WORD_0 src1_sel:DWORD
	s_nop 1
	v_cndmask_b32_e64 v36, v36, v37, s[24:25]
; %bb.2541:                             ;   in Loop: Header=BB35_2473 Depth=3
	s_or_b64 exec, exec, s[40:41]
	v_and_b32_e32 v37, 0xffff0000, v12
	v_and_b32_e32 v32, 0xffff0000, v32
	v_max_f32_e32 v32, v32, v32
	v_max_f32_e32 v37, v37, v37
	v_min_f32_e32 v38, v37, v32
	v_max_f32_e32 v32, v37, v32
	v_cndmask_b32_e32 v37, v32, v38, vcc
	v_and_b32_e32 v32, 0x7f800000, v37
	v_cmp_ne_u32_e64 s[24:25], s51, v32
                                        ; implicit-def: $vgpr32
	s_and_saveexec_b64 s[40:41], s[24:25]
	s_xor_b64 s[24:25], exec, s[40:41]
; %bb.2542:                             ;   in Loop: Header=BB35_2473 Depth=3
	v_bfe_u32 v32, v37, 16, 1
	v_add3_u32 v32, v37, v32, s72
                                        ; implicit-def: $vgpr37
; %bb.2543:                             ;   in Loop: Header=BB35_2473 Depth=3
	s_andn2_saveexec_b64 s[40:41], s[24:25]
; %bb.2544:                             ;   in Loop: Header=BB35_2473 Depth=3
	v_or_b32_e32 v32, 0x10000, v37
	v_cmp_eq_u32_sdwa s[24:25], v37, v3 src0_sel:WORD_0 src1_sel:DWORD
	s_nop 1
	v_cndmask_b32_e64 v32, v32, v37, s[24:25]
; %bb.2545:                             ;   in Loop: Header=BB35_2473 Depth=3
	s_or_b64 exec, exec, s[40:41]
	v_lshlrev_b32_e32 v37, 16, v13
	v_lshlrev_b32_e32 v38, 16, v33
	v_max_f32_e32 v38, v38, v38
	v_max_f32_e32 v37, v37, v37
	v_min_f32_e32 v39, v37, v38
	v_max_f32_e32 v37, v37, v38
	v_cndmask_b32_e32 v38, v37, v39, vcc
	v_and_b32_e32 v37, 0x7f800000, v38
	v_cmp_ne_u32_e64 s[24:25], s51, v37
                                        ; implicit-def: $vgpr37
	s_and_saveexec_b64 s[40:41], s[24:25]
	s_xor_b64 s[24:25], exec, s[40:41]
; %bb.2546:                             ;   in Loop: Header=BB35_2473 Depth=3
	v_bfe_u32 v37, v38, 16, 1
	v_add3_u32 v37, v38, v37, s72
                                        ; implicit-def: $vgpr38
; %bb.2547:                             ;   in Loop: Header=BB35_2473 Depth=3
	s_andn2_saveexec_b64 s[40:41], s[24:25]
; %bb.2548:                             ;   in Loop: Header=BB35_2473 Depth=3
	v_or_b32_e32 v37, 0x10000, v38
	v_cmp_eq_u32_sdwa s[24:25], v38, v3 src0_sel:WORD_0 src1_sel:DWORD
	s_nop 1
	v_cndmask_b32_e64 v37, v37, v38, s[24:25]
; %bb.2549:                             ;   in Loop: Header=BB35_2473 Depth=3
	s_or_b64 exec, exec, s[40:41]
	v_and_b32_e32 v38, 0xffff0000, v13
	v_and_b32_e32 v33, 0xffff0000, v33
	v_max_f32_e32 v33, v33, v33
	v_max_f32_e32 v38, v38, v38
	v_min_f32_e32 v39, v38, v33
	v_max_f32_e32 v33, v38, v33
	v_cndmask_b32_e32 v38, v33, v39, vcc
	v_and_b32_e32 v33, 0x7f800000, v38
	v_cmp_ne_u32_e64 s[24:25], s51, v33
                                        ; implicit-def: $vgpr33
	s_and_saveexec_b64 s[40:41], s[24:25]
	s_xor_b64 s[24:25], exec, s[40:41]
; %bb.2550:                             ;   in Loop: Header=BB35_2473 Depth=3
	v_bfe_u32 v33, v38, 16, 1
	v_add3_u32 v33, v38, v33, s72
                                        ; implicit-def: $vgpr38
; %bb.2551:                             ;   in Loop: Header=BB35_2473 Depth=3
	s_andn2_saveexec_b64 s[40:41], s[24:25]
; %bb.2552:                             ;   in Loop: Header=BB35_2473 Depth=3
	v_or_b32_e32 v33, 0x10000, v38
	v_cmp_eq_u32_sdwa s[24:25], v38, v3 src0_sel:WORD_0 src1_sel:DWORD
	s_nop 1
	v_cndmask_b32_e64 v33, v33, v38, s[24:25]
; %bb.2553:                             ;   in Loop: Header=BB35_2473 Depth=3
	s_or_b64 exec, exec, s[40:41]
	v_lshlrev_b32_e32 v38, 16, v14
	v_lshlrev_b32_e32 v39, 16, v34
	v_max_f32_e32 v39, v39, v39
	v_max_f32_e32 v38, v38, v38
	v_min_f32_e32 v48, v38, v39
	v_max_f32_e32 v38, v38, v39
	v_cndmask_b32_e32 v39, v38, v48, vcc
	v_and_b32_e32 v38, 0x7f800000, v39
	v_cmp_ne_u32_e64 s[24:25], s51, v38
                                        ; implicit-def: $vgpr38
	s_and_saveexec_b64 s[40:41], s[24:25]
	s_xor_b64 s[24:25], exec, s[40:41]
; %bb.2554:                             ;   in Loop: Header=BB35_2473 Depth=3
	v_bfe_u32 v38, v39, 16, 1
	v_add3_u32 v38, v39, v38, s72
                                        ; implicit-def: $vgpr39
; %bb.2555:                             ;   in Loop: Header=BB35_2473 Depth=3
	s_andn2_saveexec_b64 s[40:41], s[24:25]
; %bb.2556:                             ;   in Loop: Header=BB35_2473 Depth=3
	v_or_b32_e32 v38, 0x10000, v39
	v_cmp_eq_u32_sdwa s[24:25], v39, v3 src0_sel:WORD_0 src1_sel:DWORD
	s_nop 1
	v_cndmask_b32_e64 v38, v38, v39, s[24:25]
; %bb.2557:                             ;   in Loop: Header=BB35_2473 Depth=3
	s_or_b64 exec, exec, s[40:41]
	v_and_b32_e32 v39, 0xffff0000, v14
	v_and_b32_e32 v34, 0xffff0000, v34
	v_max_f32_e32 v34, v34, v34
	v_max_f32_e32 v39, v39, v39
	v_min_f32_e32 v48, v39, v34
	v_max_f32_e32 v34, v39, v34
	v_cndmask_b32_e32 v39, v34, v48, vcc
	v_and_b32_e32 v34, 0x7f800000, v39
	v_cmp_ne_u32_e64 s[24:25], s51, v34
                                        ; implicit-def: $vgpr34
	s_and_saveexec_b64 s[40:41], s[24:25]
	s_xor_b64 s[24:25], exec, s[40:41]
; %bb.2558:                             ;   in Loop: Header=BB35_2473 Depth=3
	v_bfe_u32 v34, v39, 16, 1
	v_add3_u32 v34, v39, v34, s72
                                        ; implicit-def: $vgpr39
; %bb.2559:                             ;   in Loop: Header=BB35_2473 Depth=3
	s_andn2_saveexec_b64 s[40:41], s[24:25]
; %bb.2560:                             ;   in Loop: Header=BB35_2473 Depth=3
	v_or_b32_e32 v34, 0x10000, v39
	v_cmp_eq_u32_sdwa s[24:25], v39, v3 src0_sel:WORD_0 src1_sel:DWORD
	s_nop 1
	v_cndmask_b32_e64 v34, v34, v39, s[24:25]
; %bb.2561:                             ;   in Loop: Header=BB35_2473 Depth=3
	s_or_b64 exec, exec, s[40:41]
	v_lshlrev_b32_e32 v39, 16, v15
	v_lshlrev_b32_e32 v48, 16, v35
	v_max_f32_e32 v48, v48, v48
	v_max_f32_e32 v39, v39, v39
	v_min_f32_e32 v49, v39, v48
	v_max_f32_e32 v39, v39, v48
	v_cndmask_b32_e32 v48, v39, v49, vcc
	v_and_b32_e32 v39, 0x7f800000, v48
	v_cmp_ne_u32_e64 s[24:25], s51, v39
                                        ; implicit-def: $vgpr39
	s_and_saveexec_b64 s[40:41], s[24:25]
	s_xor_b64 s[24:25], exec, s[40:41]
; %bb.2562:                             ;   in Loop: Header=BB35_2473 Depth=3
	v_bfe_u32 v39, v48, 16, 1
	v_add3_u32 v39, v48, v39, s72
                                        ; implicit-def: $vgpr48
; %bb.2563:                             ;   in Loop: Header=BB35_2473 Depth=3
	s_andn2_saveexec_b64 s[40:41], s[24:25]
; %bb.2564:                             ;   in Loop: Header=BB35_2473 Depth=3
	v_or_b32_e32 v39, 0x10000, v48
	v_cmp_eq_u32_sdwa s[24:25], v48, v3 src0_sel:WORD_0 src1_sel:DWORD
	s_nop 1
	v_cndmask_b32_e64 v39, v39, v48, s[24:25]
; %bb.2565:                             ;   in Loop: Header=BB35_2473 Depth=3
	s_or_b64 exec, exec, s[40:41]
	v_and_b32_e32 v48, 0xffff0000, v15
	v_and_b32_e32 v35, 0xffff0000, v35
	v_max_f32_e32 v35, v35, v35
	v_max_f32_e32 v48, v48, v48
	v_min_f32_e32 v49, v48, v35
	v_max_f32_e32 v35, v48, v35
	v_cndmask_b32_e32 v48, v35, v49, vcc
	v_and_b32_e32 v35, 0x7f800000, v48
	v_cmp_ne_u32_e64 s[24:25], s51, v35
                                        ; implicit-def: $vgpr35
	s_and_saveexec_b64 s[40:41], s[24:25]
	s_xor_b64 s[24:25], exec, s[40:41]
; %bb.2566:                             ;   in Loop: Header=BB35_2473 Depth=3
	v_bfe_u32 v35, v48, 16, 1
	v_add3_u32 v35, v48, v35, s72
                                        ; implicit-def: $vgpr48
; %bb.2567:                             ;   in Loop: Header=BB35_2473 Depth=3
	s_andn2_saveexec_b64 s[40:41], s[24:25]
; %bb.2568:                             ;   in Loop: Header=BB35_2473 Depth=3
	v_or_b32_e32 v35, 0x10000, v48
	v_cmp_eq_u32_sdwa s[24:25], v48, v3 src0_sel:WORD_0 src1_sel:DWORD
	s_nop 1
	v_cndmask_b32_e64 v35, v35, v48, s[24:25]
; %bb.2569:                             ;   in Loop: Header=BB35_2473 Depth=3
	s_or_b64 exec, exec, s[40:41]
	v_lshrrev_b32_e32 v36, 16, v36
	v_and_or_b32 v32, v32, s73, v36
	v_lshrrev_b32_e32 v36, 16, v38
	v_lshrrev_b32_e32 v37, 16, v37
	v_and_or_b32 v34, v34, s73, v36
	v_lshrrev_b32_e32 v36, 16, v39
	v_and_or_b32 v33, v33, s73, v37
	v_and_or_b32 v35, v35, s73, v36
	global_store_dwordx4 v[64:65], v[32:35], off offset:2048
	s_nop 1
	v_lshlrev_b32_e32 v32, 16, v8
	s_waitcnt vmcnt(3)
	v_lshlrev_b32_e32 v33, 16, v24
	v_max_f32_e32 v33, v33, v33
	v_max_f32_e32 v32, v32, v32
	v_min_f32_e32 v34, v32, v33
	v_max_f32_e32 v32, v32, v33
	v_cndmask_b32_e32 v33, v32, v34, vcc
	v_and_b32_e32 v32, 0x7f800000, v33
	v_cmp_ne_u32_e64 s[24:25], s51, v32
                                        ; implicit-def: $vgpr32
	s_and_saveexec_b64 s[40:41], s[24:25]
	s_xor_b64 s[24:25], exec, s[40:41]
; %bb.2570:                             ;   in Loop: Header=BB35_2473 Depth=3
	v_bfe_u32 v32, v33, 16, 1
	v_add3_u32 v32, v33, v32, s72
                                        ; implicit-def: $vgpr33
; %bb.2571:                             ;   in Loop: Header=BB35_2473 Depth=3
	s_andn2_saveexec_b64 s[40:41], s[24:25]
; %bb.2572:                             ;   in Loop: Header=BB35_2473 Depth=3
	v_or_b32_e32 v32, 0x10000, v33
	v_cmp_eq_u32_sdwa s[24:25], v33, v3 src0_sel:WORD_0 src1_sel:DWORD
	s_nop 1
	v_cndmask_b32_e64 v32, v32, v33, s[24:25]
; %bb.2573:                             ;   in Loop: Header=BB35_2473 Depth=3
	s_or_b64 exec, exec, s[40:41]
	v_and_b32_e32 v33, 0xffff0000, v8
	v_and_b32_e32 v24, 0xffff0000, v24
	v_max_f32_e32 v24, v24, v24
	v_max_f32_e32 v33, v33, v33
	v_min_f32_e32 v34, v33, v24
	v_max_f32_e32 v24, v33, v24
	v_cndmask_b32_e32 v33, v24, v34, vcc
	v_and_b32_e32 v24, 0x7f800000, v33
	v_cmp_ne_u32_e64 s[24:25], s51, v24
                                        ; implicit-def: $vgpr24
	s_and_saveexec_b64 s[40:41], s[24:25]
	s_xor_b64 s[24:25], exec, s[40:41]
; %bb.2574:                             ;   in Loop: Header=BB35_2473 Depth=3
	v_bfe_u32 v24, v33, 16, 1
	v_add3_u32 v24, v33, v24, s72
                                        ; implicit-def: $vgpr33
; %bb.2575:                             ;   in Loop: Header=BB35_2473 Depth=3
	s_andn2_saveexec_b64 s[40:41], s[24:25]
; %bb.2576:                             ;   in Loop: Header=BB35_2473 Depth=3
	v_or_b32_e32 v24, 0x10000, v33
	v_cmp_eq_u32_sdwa s[24:25], v33, v3 src0_sel:WORD_0 src1_sel:DWORD
	s_nop 1
	v_cndmask_b32_e64 v24, v24, v33, s[24:25]
; %bb.2577:                             ;   in Loop: Header=BB35_2473 Depth=3
	s_or_b64 exec, exec, s[40:41]
	v_lshlrev_b32_e32 v33, 16, v9
	v_lshlrev_b32_e32 v34, 16, v25
	v_max_f32_e32 v34, v34, v34
	v_max_f32_e32 v33, v33, v33
	v_min_f32_e32 v35, v33, v34
	v_max_f32_e32 v33, v33, v34
	v_cndmask_b32_e32 v34, v33, v35, vcc
	v_and_b32_e32 v33, 0x7f800000, v34
	v_cmp_ne_u32_e64 s[24:25], s51, v33
                                        ; implicit-def: $vgpr33
	s_and_saveexec_b64 s[40:41], s[24:25]
	s_xor_b64 s[24:25], exec, s[40:41]
; %bb.2578:                             ;   in Loop: Header=BB35_2473 Depth=3
	v_bfe_u32 v33, v34, 16, 1
	v_add3_u32 v33, v34, v33, s72
                                        ; implicit-def: $vgpr34
; %bb.2579:                             ;   in Loop: Header=BB35_2473 Depth=3
	s_andn2_saveexec_b64 s[40:41], s[24:25]
; %bb.2580:                             ;   in Loop: Header=BB35_2473 Depth=3
	v_or_b32_e32 v33, 0x10000, v34
	v_cmp_eq_u32_sdwa s[24:25], v34, v3 src0_sel:WORD_0 src1_sel:DWORD
	s_nop 1
	v_cndmask_b32_e64 v33, v33, v34, s[24:25]
; %bb.2581:                             ;   in Loop: Header=BB35_2473 Depth=3
	s_or_b64 exec, exec, s[40:41]
	v_and_b32_e32 v34, 0xffff0000, v9
	v_and_b32_e32 v25, 0xffff0000, v25
	v_max_f32_e32 v25, v25, v25
	v_max_f32_e32 v34, v34, v34
	v_min_f32_e32 v35, v34, v25
	v_max_f32_e32 v25, v34, v25
	v_cndmask_b32_e32 v34, v25, v35, vcc
	v_and_b32_e32 v25, 0x7f800000, v34
	v_cmp_ne_u32_e64 s[24:25], s51, v25
                                        ; implicit-def: $vgpr25
	s_and_saveexec_b64 s[40:41], s[24:25]
	s_xor_b64 s[24:25], exec, s[40:41]
; %bb.2582:                             ;   in Loop: Header=BB35_2473 Depth=3
	v_bfe_u32 v25, v34, 16, 1
	v_add3_u32 v25, v34, v25, s72
                                        ; implicit-def: $vgpr34
; %bb.2583:                             ;   in Loop: Header=BB35_2473 Depth=3
	s_andn2_saveexec_b64 s[40:41], s[24:25]
; %bb.2584:                             ;   in Loop: Header=BB35_2473 Depth=3
	v_or_b32_e32 v25, 0x10000, v34
	v_cmp_eq_u32_sdwa s[24:25], v34, v3 src0_sel:WORD_0 src1_sel:DWORD
	s_nop 1
	v_cndmask_b32_e64 v25, v25, v34, s[24:25]
; %bb.2585:                             ;   in Loop: Header=BB35_2473 Depth=3
	s_or_b64 exec, exec, s[40:41]
	v_lshlrev_b32_e32 v34, 16, v10
	v_lshlrev_b32_e32 v35, 16, v26
	v_max_f32_e32 v35, v35, v35
	v_max_f32_e32 v34, v34, v34
	v_min_f32_e32 v36, v34, v35
	v_max_f32_e32 v34, v34, v35
	v_cndmask_b32_e32 v35, v34, v36, vcc
	v_and_b32_e32 v34, 0x7f800000, v35
	v_cmp_ne_u32_e64 s[24:25], s51, v34
                                        ; implicit-def: $vgpr34
	s_and_saveexec_b64 s[40:41], s[24:25]
	s_xor_b64 s[24:25], exec, s[40:41]
; %bb.2586:                             ;   in Loop: Header=BB35_2473 Depth=3
	v_bfe_u32 v34, v35, 16, 1
	v_add3_u32 v34, v35, v34, s72
                                        ; implicit-def: $vgpr35
; %bb.2587:                             ;   in Loop: Header=BB35_2473 Depth=3
	s_andn2_saveexec_b64 s[40:41], s[24:25]
; %bb.2588:                             ;   in Loop: Header=BB35_2473 Depth=3
	v_or_b32_e32 v34, 0x10000, v35
	v_cmp_eq_u32_sdwa s[24:25], v35, v3 src0_sel:WORD_0 src1_sel:DWORD
	s_nop 1
	v_cndmask_b32_e64 v34, v34, v35, s[24:25]
; %bb.2589:                             ;   in Loop: Header=BB35_2473 Depth=3
	s_or_b64 exec, exec, s[40:41]
	v_and_b32_e32 v35, 0xffff0000, v10
	v_and_b32_e32 v26, 0xffff0000, v26
	v_max_f32_e32 v26, v26, v26
	v_max_f32_e32 v35, v35, v35
	v_min_f32_e32 v36, v35, v26
	v_max_f32_e32 v26, v35, v26
	v_cndmask_b32_e32 v35, v26, v36, vcc
	v_and_b32_e32 v26, 0x7f800000, v35
	v_cmp_ne_u32_e64 s[24:25], s51, v26
                                        ; implicit-def: $vgpr26
	s_and_saveexec_b64 s[40:41], s[24:25]
	s_xor_b64 s[24:25], exec, s[40:41]
; %bb.2590:                             ;   in Loop: Header=BB35_2473 Depth=3
	v_bfe_u32 v26, v35, 16, 1
	v_add3_u32 v26, v35, v26, s72
                                        ; implicit-def: $vgpr35
; %bb.2591:                             ;   in Loop: Header=BB35_2473 Depth=3
	s_andn2_saveexec_b64 s[40:41], s[24:25]
; %bb.2592:                             ;   in Loop: Header=BB35_2473 Depth=3
	v_or_b32_e32 v26, 0x10000, v35
	v_cmp_eq_u32_sdwa s[24:25], v35, v3 src0_sel:WORD_0 src1_sel:DWORD
	s_nop 1
	v_cndmask_b32_e64 v26, v26, v35, s[24:25]
; %bb.2593:                             ;   in Loop: Header=BB35_2473 Depth=3
	s_or_b64 exec, exec, s[40:41]
	v_lshlrev_b32_e32 v35, 16, v11
	v_lshlrev_b32_e32 v36, 16, v27
	v_max_f32_e32 v36, v36, v36
	v_max_f32_e32 v35, v35, v35
	v_min_f32_e32 v37, v35, v36
	v_max_f32_e32 v35, v35, v36
	v_cndmask_b32_e32 v36, v35, v37, vcc
	v_and_b32_e32 v35, 0x7f800000, v36
	v_cmp_ne_u32_e64 s[24:25], s51, v35
                                        ; implicit-def: $vgpr35
	s_and_saveexec_b64 s[40:41], s[24:25]
	s_xor_b64 s[24:25], exec, s[40:41]
; %bb.2594:                             ;   in Loop: Header=BB35_2473 Depth=3
	v_bfe_u32 v35, v36, 16, 1
	v_add3_u32 v35, v36, v35, s72
                                        ; implicit-def: $vgpr36
; %bb.2595:                             ;   in Loop: Header=BB35_2473 Depth=3
	s_andn2_saveexec_b64 s[40:41], s[24:25]
; %bb.2596:                             ;   in Loop: Header=BB35_2473 Depth=3
	v_or_b32_e32 v35, 0x10000, v36
	v_cmp_eq_u32_sdwa s[24:25], v36, v3 src0_sel:WORD_0 src1_sel:DWORD
	s_nop 1
	v_cndmask_b32_e64 v35, v35, v36, s[24:25]
; %bb.2597:                             ;   in Loop: Header=BB35_2473 Depth=3
	s_or_b64 exec, exec, s[40:41]
	v_and_b32_e32 v36, 0xffff0000, v11
	v_and_b32_e32 v27, 0xffff0000, v27
	v_max_f32_e32 v27, v27, v27
	v_max_f32_e32 v36, v36, v36
	v_min_f32_e32 v37, v36, v27
	v_max_f32_e32 v27, v36, v27
	v_cndmask_b32_e32 v36, v27, v37, vcc
	v_and_b32_e32 v27, 0x7f800000, v36
	v_cmp_ne_u32_e64 s[24:25], s51, v27
                                        ; implicit-def: $vgpr27
	s_and_saveexec_b64 s[40:41], s[24:25]
	s_xor_b64 s[24:25], exec, s[40:41]
; %bb.2598:                             ;   in Loop: Header=BB35_2473 Depth=3
	v_bfe_u32 v27, v36, 16, 1
	v_add3_u32 v27, v36, v27, s72
                                        ; implicit-def: $vgpr36
; %bb.2599:                             ;   in Loop: Header=BB35_2473 Depth=3
	s_andn2_saveexec_b64 s[40:41], s[24:25]
	s_cbranch_execz .LBB35_2472
; %bb.2600:                             ;   in Loop: Header=BB35_2473 Depth=3
	v_or_b32_e32 v27, 0x10000, v36
	v_cmp_eq_u32_sdwa s[24:25], v36, v3 src0_sel:WORD_0 src1_sel:DWORD
	s_nop 1
	v_cndmask_b32_e64 v27, v27, v36, s[24:25]
	s_branch .LBB35_2472
.LBB35_2601:                            ;   in Loop: Header=BB35_2324 Depth=2
	s_or_b64 exec, exec, s[44:45]
	s_and_saveexec_b64 s[12:13], s[46:47]
	s_xor_b64 s[12:13], exec, s[12:13]
	s_cbranch_execz .LBB35_2603
; %bb.2602:                             ;   in Loop: Header=BB35_2324 Depth=2
	v_mov_b32_e32 v0, 1
	ds_write_b32 v0, v0
	s_trap 2
.LBB35_2603:                            ;   in Loop: Header=BB35_2324 Depth=2
	s_or_b64 exec, exec, s[42:43]
	;;#ASMSTART
	s_wakeup
	;;#ASMEND
.LBB35_2604:                            ;   in Loop: Header=BB35_2324 Depth=2
	s_or_b64 exec, exec, s[40:41]
.LBB35_2605:                            ;   in Loop: Header=BB35_2324 Depth=2
	s_andn2_saveexec_b64 s[28:29], s[28:29]
	s_cbranch_execz .LBB35_2607
; %bb.2606:                             ;   in Loop: Header=BB35_2324 Depth=2
	;;#ASMSTART
	s_waitcnt lgkmcnt(0) vmcnt(0)
	;;#ASMEND
	s_barrier
.LBB35_2607:                            ;   in Loop: Header=BB35_2324 Depth=2
	s_or_b64 exec, exec, s[28:29]
	v_and_b32_e32 v1, 16, v106
.LBB35_2608:                            ;   in Loop: Header=BB35_2324 Depth=2
	s_or_b64 exec, exec, s[24:25]
	v_cmp_ne_u32_e32 vcc, 0, v1
	s_xor_b64 s[12:13], s[10:11], -1
	s_and_b64 s[12:13], vcc, s[12:13]
	s_and_saveexec_b64 s[24:25], s[12:13]
	s_cbranch_execz .LBB35_2610
; %bb.2609:                             ;   in Loop: Header=BB35_2324 Depth=2
	scratch_load_dwordx2 v[0:1], off, s33 offset:304 ; 8-byte Folded Reload
	v_mov_b32_e32 v2, 1
	s_waitcnt vmcnt(0)
	flat_store_dword v[0:1], v2 sc0 sc1
.LBB35_2610:                            ;   in Loop: Header=BB35_2324 Depth=2
	s_or_b64 exec, exec, s[24:25]
	v_and_b32_e32 v0, 48, v106
	v_cmp_ne_u32_e32 vcc, 0, v0
	s_and_saveexec_b64 s[24:25], vcc
	s_cbranch_execz .LBB35_2612
; %bb.2611:                             ;   in Loop: Header=BB35_2324 Depth=2
	v_lshl_add_u64 v[4:5], v[4:5], 0, 4
	flat_store_dwordx2 v[40:41], v[4:5] sc0 sc1
.LBB35_2612:                            ;   in Loop: Header=BB35_2324 Depth=2
	s_or_b64 exec, exec, s[24:25]
	s_or_b64 exec, exec, s[26:27]
	s_add_i32 s12, s68, 1
	s_cmp_eq_u32 s68, s74
	s_cbranch_scc0 .LBB35_3087
	s_branch .LBB35_3088
.LBB35_2613:                            ;   in Loop: Header=BB35_2324 Depth=2
	s_or_b64 exec, exec, s[28:29]
.LBB35_2614:                            ;   in Loop: Header=BB35_2324 Depth=2
	s_or_b64 exec, exec, s[26:27]
	v_lshlrev_b32_e32 v7, 12, v7
	v_cmp_ne_u32_e32 vcc, v6, v7
	s_mov_b64 s[24:25], 0
	v_mov_b32_e32 v18, 0
                                        ; implicit-def: $vgpr19
	s_and_saveexec_b64 s[54:55], vcc
	s_cbranch_execz .LBB35_2622
; %bb.2615:                             ;   in Loop: Header=BB35_2324 Depth=2
	v_lshlrev_b32_e32 v2, 6, v2
	v_and_b32_e32 v9, 63, v31
	v_sub_u32_e32 v2, v9, v2
	v_ashrrev_i32_e32 v9, 31, v2
	v_lshrrev_b32_e32 v9, 26, v9
	v_add_u32_e32 v9, v2, v9
	v_sub_u32_e32 v8, v6, v7
	v_ashrrev_i32_e32 v10, 6, v9
	v_and_b32_e32 v9, 0xffffffc0, v9
	v_sub_u32_e32 v24, v2, v9
	v_ashrrev_i32_e32 v9, 31, v8
	v_lshrrev_b32_e32 v9, 22, v9
	v_add_u32_e32 v9, v8, v9
	v_and_b32_e32 v25, 0xfffffc00, v9
	v_lshlrev_b32_e32 v2, 4, v24
	v_sub_u32_e32 v26, v8, v25
	v_lshl_add_u32 v2, v10, 10, v2
	v_ashrrev_i32_e32 v11, 10, v9
	v_cmp_lt_i32_e64 s[24:25], 15, v26
	v_sub_u32_e32 v32, v8, v2
	s_nop 0
	v_addc_co_u32_e64 v8, vcc, 0, v11, s[24:25]
	v_sub_u32_e32 v27, v8, v10
	v_cmp_lt_i32_e32 vcc, 15, v32
	s_and_saveexec_b64 s[64:65], vcc
	s_cbranch_execz .LBB35_2621
; %bb.2616:                             ;   in Loop: Header=BB35_2324 Depth=2
	v_add_u32_e32 v8, v2, v7
	s_and_b32 s76, s12, 1
	v_ashrrev_i32_e32 v9, 31, v8
	s_cmp_eq_u64 s[76:77], 0
	s_waitcnt vmcnt(0)
	v_lshl_add_u64 v[16:17], v[8:9], 0, v[0:1]
	s_waitcnt lgkmcnt(0)
	v_lshl_add_u64 v[18:19], v[8:9], 0, v[54:55]
	v_lshl_add_u64 v[20:21], v[8:9], 0, v[58:59]
	;; [unrolled: 1-line block ×3, first 2 shown]
	s_mov_b64 s[66:67], 0
	s_cselect_b64 s[26:27], -1, 0
.LBB35_2617:                            ;   Parent Loop BB35_47 Depth=1
                                        ;     Parent Loop BB35_2324 Depth=2
                                        ; =>    This Loop Header: Depth=3
                                        ;         Child Loop BB35_2618 Depth 4
	global_load_dwordx4 v[8:11], v[16:17], off nt
	global_load_dwordx4 v[12:15], v[18:19], off nt
	s_waitcnt vmcnt(0)
	v_lshlrev_b32_e32 v2, 16, v8
	v_and_b32_e32 v34, 0xffff0000, v12
	v_lshlrev_b32_e32 v12, 16, v12
	v_max_f32_e32 v12, v12, v12
	v_max_f32_e32 v2, v2, v2
	v_min_f32_e32 v35, v2, v12
	v_max_f32_e32 v2, v2, v12
	v_cndmask_b32_e64 v12, v2, v35, s[26:27]
	v_and_b32_e32 v33, 0xffff0000, v8
	v_and_b32_e32 v2, 0x7f800000, v12
	v_cmp_eq_u32_e32 vcc, s51, v2
	v_bfe_u32 v2, v12, 16, 1
	v_cmp_eq_u32_sdwa s[28:29], v12, v3 src0_sel:WORD_0 src1_sel:DWORD
	v_or_b32_e32 v35, 0x10000, v12
	v_max_f32_e32 v34, v34, v34
	v_max_f32_e32 v33, v33, v33
	v_add3_u32 v2, v12, v2, s72
	v_cndmask_b32_e64 v12, v35, v12, s[28:29]
	v_min_f32_e32 v35, v33, v34
	v_max_f32_e32 v33, v33, v34
	v_cndmask_b32_e64 v34, v33, v35, s[26:27]
	v_and_b32_e32 v33, 0x7f800000, v34
	v_cmp_eq_u32_e64 s[28:29], s51, v33
	v_bfe_u32 v33, v34, 16, 1
	v_cmp_eq_u32_sdwa s[40:41], v34, v3 src0_sel:WORD_0 src1_sel:DWORD
	v_or_b32_e32 v35, 0x10000, v34
	v_add3_u32 v33, v34, v33, s72
	v_cndmask_b32_e64 v34, v35, v34, s[40:41]
	v_and_b32_e32 v37, 0xffff0000, v13
	v_lshlrev_b32_e32 v35, 16, v9
	v_lshlrev_b32_e32 v13, 16, v13
	v_max_f32_e32 v13, v13, v13
	v_max_f32_e32 v35, v35, v35
	v_min_f32_e32 v38, v35, v13
	v_max_f32_e32 v13, v35, v13
	v_cndmask_b32_e64 v35, v13, v38, s[26:27]
	v_and_b32_e32 v36, 0xffff0000, v9
	v_and_b32_e32 v13, 0x7f800000, v35
	v_cmp_eq_u32_e64 s[40:41], s51, v13
	v_bfe_u32 v13, v35, 16, 1
	v_cmp_eq_u32_sdwa s[42:43], v35, v3 src0_sel:WORD_0 src1_sel:DWORD
	v_or_b32_e32 v38, 0x10000, v35
	v_max_f32_e32 v37, v37, v37
	v_max_f32_e32 v36, v36, v36
	v_add3_u32 v13, v35, v13, s72
	v_cndmask_b32_e64 v35, v38, v35, s[42:43]
	v_min_f32_e32 v38, v36, v37
	v_max_f32_e32 v36, v36, v37
	v_cndmask_b32_e64 v37, v36, v38, s[26:27]
	v_and_b32_e32 v36, 0x7f800000, v37
	v_cmp_eq_u32_e64 s[42:43], s51, v36
	v_bfe_u32 v36, v37, 16, 1
	v_cmp_eq_u32_sdwa s[44:45], v37, v3 src0_sel:WORD_0 src1_sel:DWORD
	v_or_b32_e32 v38, 0x10000, v37
	v_add3_u32 v36, v37, v36, s72
	v_cndmask_b32_e64 v37, v38, v37, s[44:45]
	v_and_b32_e32 v48, 0xffff0000, v14
	v_lshlrev_b32_e32 v38, 16, v10
	v_lshlrev_b32_e32 v14, 16, v14
	v_max_f32_e32 v14, v14, v14
	v_max_f32_e32 v38, v38, v38
	v_min_f32_e32 v49, v38, v14
	v_max_f32_e32 v14, v38, v14
	v_cndmask_b32_e64 v38, v14, v49, s[26:27]
	v_and_b32_e32 v39, 0xffff0000, v10
	v_and_b32_e32 v14, 0x7f800000, v38
	v_cmp_eq_u32_e64 s[44:45], s51, v14
	v_bfe_u32 v14, v38, 16, 1
	v_cmp_eq_u32_sdwa s[46:47], v38, v3 src0_sel:WORD_0 src1_sel:DWORD
	v_or_b32_e32 v49, 0x10000, v38
	v_max_f32_e32 v48, v48, v48
	v_max_f32_e32 v39, v39, v39
	v_add3_u32 v14, v38, v14, s72
	v_cndmask_b32_e64 v38, v49, v38, s[46:47]
	v_min_f32_e32 v49, v39, v48
	v_max_f32_e32 v39, v39, v48
	v_and_b32_e32 v50, 0xffff0000, v15
	v_lshlrev_b32_e32 v51, 16, v11
	v_lshlrev_b32_e32 v15, 16, v15
	v_cndmask_b32_e64 v48, v39, v49, s[26:27]
	v_max_f32_e32 v15, v15, v15
	v_max_f32_e32 v51, v51, v51
	v_and_b32_e32 v39, 0x7f800000, v48
	v_min_f32_e32 v64, v51, v15
	v_max_f32_e32 v15, v51, v15
	v_cmp_eq_u32_e64 s[46:47], s51, v39
	v_bfe_u32 v39, v48, 16, 1
	v_cmp_eq_u32_sdwa s[56:57], v48, v3 src0_sel:WORD_0 src1_sel:DWORD
	v_or_b32_e32 v49, 0x10000, v48
	v_cndmask_b32_e64 v15, v15, v64, s[26:27]
	v_add3_u32 v39, v48, v39, s72
	v_cndmask_b32_e64 v48, v49, v48, s[56:57]
	v_and_b32_e32 v49, 0xffff0000, v11
	v_and_b32_e32 v51, 0x7f800000, v15
	v_cmp_eq_u32_e64 s[56:57], s51, v51
	v_bfe_u32 v51, v15, 16, 1
	v_cmp_eq_u32_sdwa s[58:59], v15, v3 src0_sel:WORD_0 src1_sel:DWORD
	v_or_b32_e32 v64, 0x10000, v15
	v_max_f32_e32 v50, v50, v50
	v_max_f32_e32 v49, v49, v49
	v_add3_u32 v51, v15, v51, s72
	v_cndmask_b32_e64 v15, v64, v15, s[58:59]
	v_min_f32_e32 v64, v49, v50
	v_max_f32_e32 v49, v49, v50
	v_cndmask_b32_e64 v49, v49, v64, s[26:27]
	v_and_b32_e32 v50, 0x7f800000, v49
	v_cmp_eq_u32_e64 s[58:59], s51, v50
	v_bfe_u32 v50, v49, 16, 1
	v_cmp_eq_u32_sdwa s[60:61], v49, v3 src0_sel:WORD_0 src1_sel:DWORD
	v_or_b32_e32 v64, 0x10000, v49
	v_cndmask_b32_e32 v2, v2, v12, vcc
	v_add3_u32 v50, v49, v50, s72
	v_cndmask_b32_e64 v49, v64, v49, s[60:61]
	v_cndmask_b32_e64 v12, v33, v34, s[28:29]
	;; [unrolled: 1-line block ×5, first 2 shown]
	v_lshrrev_b32_e32 v2, 16, v2
	v_cndmask_b32_e64 v33, v36, v37, s[42:43]
	v_cndmask_b32_e64 v34, v39, v48, s[46:47]
	;; [unrolled: 1-line block ×3, first 2 shown]
	v_lshrrev_b32_e32 v13, 16, v13
	v_and_or_b32 v2, v12, s73, v2
	v_lshrrev_b32_e32 v12, 16, v14
	v_lshrrev_b32_e32 v14, 16, v15
	v_and_or_b32 v13, v33, s73, v13
	v_and_or_b32 v12, v34, s73, v12
	;; [unrolled: 1-line block ×3, first 2 shown]
	s_mov_b64 s[28:29], -1
	s_mov_b64 s[40:41], 0
.LBB35_2618:                            ;   Parent Loop BB35_47 Depth=1
                                        ;     Parent Loop BB35_2324 Depth=2
                                        ;       Parent Loop BB35_2617 Depth=3
                                        ; =>      This Inner Loop Header: Depth=4
	v_cndmask_b32_e64 v14, 0, 1, s[28:29]
	v_cmp_ne_u32_e32 vcc, 1, v14
	s_cmp_eq_u32 s40, 1
	v_cndmask_b32_e64 v35, v9, v13, s[28:29]
	v_cndmask_b32_e64 v34, v8, v2, s[28:29]
	;; [unrolled: 1-line block ×4, first 2 shown]
	v_cndmask_b32_e32 v39, v21, v23, vcc
	v_cndmask_b32_e32 v38, v20, v22, vcc
	s_cselect_b64 vcc, -1, 0
	global_store_dwordx4 v[38:39], v[34:37], off
	s_cmp_eq_u32 s40, 0
	s_mov_b64 s[40:41], 1
	v_cndmask_b32_e32 v35, v21, v23, vcc
	v_cndmask_b32_e32 v34, v20, v22, vcc
	v_lshl_add_u64 v[34:35], v[34:35], 0, s[90:91]
	v_cndmask_b32_e32 v23, v23, v35, vcc
	v_cndmask_b32_e32 v22, v22, v34, vcc
	s_cselect_b64 vcc, -1, 0
	v_cndmask_b32_e32 v21, v21, v35, vcc
	v_cndmask_b32_e32 v20, v20, v34, vcc
	s_and_b64 vcc, exec, s[28:29]
	s_mov_b64 s[28:29], 0
	s_cbranch_vccnz .LBB35_2618
; %bb.2619:                             ;   in Loop: Header=BB35_2617 Depth=3
	scratch_load_dwordx2 v[8:9], off, s33 offset:312 ; 8-byte Folded Reload
	v_lshl_add_u64 v[20:21], v[20:21], 0, v[92:93]
	v_lshl_add_u64 v[22:23], v[22:23], 0, v[92:93]
	v_sub_u32_e32 v27, v27, v60
	s_waitcnt vmcnt(0)
	v_lshl_add_u64 v[16:17], v[16:17], 0, v[8:9]
	v_lshl_add_u64 v[18:19], v[18:19], 0, v[8:9]
	scratch_load_dwordx2 v[8:9], off, s33 offset:256 ; 8-byte Folded Reload
	s_waitcnt vmcnt(0)
	v_sub_u32_e32 v32, v32, v8
	v_cmp_gt_i32_e32 vcc, 16, v32
	s_or_b64 s[66:67], vcc, s[66:67]
	s_andn2_b64 exec, exec, s[66:67]
	s_cbranch_execnz .LBB35_2617
; %bb.2620:                             ;   in Loop: Header=BB35_2324 Depth=2
	s_or_b64 exec, exec, s[66:67]
.LBB35_2621:                            ;   in Loop: Header=BB35_2324 Depth=2
	s_or_b64 exec, exec, s[64:65]
	v_and_b32_e32 v2, 14, v6
	v_sub_u32_e32 v6, v26, v2
	v_cndmask_b32_e64 v6, 0, v6, s[24:25]
	v_cmp_lt_i32_e32 vcc, 0, v27
	v_add3_u32 v18, v25, v7, v6
	v_cndmask_b32_e64 v6, v26, v2, s[24:25]
	v_cndmask_b32_e32 v2, 0, v60, vcc
	v_sub_u32_e32 v2, v2, v27
	v_cmp_ne_u32_e32 vcc, 0, v6
	v_lshl_add_u32 v19, v2, 6, v24
	s_and_b64 s[24:25], vcc, exec
.LBB35_2622:                            ;   in Loop: Header=BB35_2324 Depth=2
	s_or_b64 exec, exec, s[54:55]
	s_and_saveexec_b64 s[42:43], s[24:25]
	s_cbranch_execz .LBB35_2697
.LBB35_2623:                            ;   in Loop: Header=BB35_2324 Depth=2
	v_ashrrev_i32_e32 v2, 31, v19
	v_ashrrev_i32_e32 v7, 31, v6
	v_lshrrev_b32_e32 v2, 26, v2
	v_lshrrev_b32_e32 v7, 21, v7
	v_add_u32_e32 v8, v19, v2
	v_add_u32_e32 v7, v6, v7
	v_ashrrev_i32_e32 v2, 6, v8
	v_ashrrev_i32_e32 v20, 11, v7
	v_sub_u32_e32 v7, v20, v2
	v_cmp_lt_i32_e32 vcc, 0, v7
	s_and_saveexec_b64 s[26:27], vcc
	s_cbranch_execz .LBB35_2691
; %bb.2624:                             ;   in Loop: Header=BB35_2324 Depth=2
	v_and_b32_e32 v8, 0x7fffffc0, v8
	v_sub_u32_e32 v8, v19, v8
	v_lshlrev_b32_e32 v8, 1, v8
	v_lshlrev_b32_e32 v9, 11, v2
	v_add3_u32 v8, v8, v18, v9
	s_and_b32 s76, s12, 1
	v_ashrrev_i32_e32 v9, 31, v8
	s_cmp_eq_u64 s[76:77], 0
	v_lshl_add_u64 v[10:11], v[8:9], 0, v[58:59]
	v_lshl_add_u64 v[12:13], v[8:9], 0, v[52:53]
	s_mov_b64 s[28:29], 0
	s_cselect_b64 vcc, -1, 0
	v_mov_b64_e32 v[14:15], v[0:1]
	s_waitcnt vmcnt(0) lgkmcnt(0)
	v_mov_b64_e32 v[16:17], v[54:55]
	s_branch .LBB35_2626
.LBB35_2625:                            ;   in Loop: Header=BB35_2626 Depth=3
	s_or_b64 exec, exec, s[40:41]
	flat_store_short_d16_hi v[10:11], v50 offset:1920 nt
	flat_store_short v[12:13], v21 nt
	flat_store_short v[12:13], v22 offset:128 nt
	flat_store_short v[12:13], v23 offset:256 nt
	flat_store_short v[12:13], v24 offset:384 nt
	flat_store_short v[12:13], v25 offset:512 nt
	flat_store_short v[12:13], v26 offset:640 nt
	flat_store_short v[12:13], v27 offset:768 nt
	flat_store_short v[12:13], v32 offset:896 nt
	flat_store_short v[12:13], v33 offset:1024 nt
	flat_store_short v[12:13], v34 offset:1152 nt
	flat_store_short v[12:13], v35 offset:1280 nt
	flat_store_short v[12:13], v36 offset:1408 nt
	flat_store_short v[12:13], v37 offset:1536 nt
	flat_store_short v[12:13], v38 offset:1664 nt
	flat_store_short v[12:13], v39 offset:1792 nt
	flat_store_short v[12:13], v48 offset:1920 nt
	scratch_load_dwordx2 v[22:23], off, s33 offset:280 ; 8-byte Folded Reload
	v_sub_u32_e32 v7, v7, v60
	v_cmp_gt_i32_e64 s[24:25], 1, v7
	v_lshl_add_u64 v[16:17], v[16:17], 0, v[120:121]
	s_or_b64 s[28:29], s[24:25], s[28:29]
	v_lshl_add_u64 v[14:15], v[14:15], 0, v[120:121]
	s_waitcnt vmcnt(0)
	v_lshl_add_u64 v[10:11], v[10:11], 0, v[22:23]
	v_lshl_add_u64 v[12:13], v[12:13], 0, v[22:23]
	s_andn2_b64 exec, exec, s[28:29]
	s_cbranch_execz .LBB35_2690
.LBB35_2626:                            ;   Parent Loop BB35_47 Depth=1
                                        ;     Parent Loop BB35_2324 Depth=2
                                        ; =>    This Inner Loop Header: Depth=3
	v_lshl_add_u64 v[48:49], v[8:9], 0, v[14:15]
	v_lshl_add_u64 v[84:85], v[8:9], 0, v[16:17]
	flat_load_ushort v21, v[48:49] nt
	flat_load_ushort v22, v[48:49] offset:128 nt
	flat_load_ushort v23, v[48:49] offset:256 nt
	;; [unrolled: 1-line block ×14, first 2 shown]
	s_nop 0
	flat_load_ushort v48, v[48:49] offset:1920 nt
	s_nop 0
	flat_load_ushort v83, v[84:85] offset:128 nt
	flat_load_ushort v82, v[84:85] offset:256 nt
	;; [unrolled: 1-line block ×7, first 2 shown]
	flat_load_ushort v86, v[84:85] nt
	flat_load_ushort v68, v[84:85] offset:1024 nt
	flat_load_ushort v67, v[84:85] offset:1152 nt
	;; [unrolled: 1-line block ×8, first 2 shown]
	s_waitcnt vmcnt(0) lgkmcnt(0)
	v_lshlrev_b32_e32 v84, 16, v21
	v_max_f32_e32 v84, v84, v84
	v_lshlrev_b32_e32 v85, 16, v86
	v_max_f32_e32 v85, v85, v85
	v_min_f32_e32 v86, v84, v85
	v_max_f32_e32 v84, v84, v85
	v_cndmask_b32_e32 v84, v84, v86, vcc
	v_and_b32_e32 v85, 0x7f800000, v84
	v_cmp_ne_u32_e64 s[24:25], s51, v85
                                        ; implicit-def: $vgpr85
	s_and_saveexec_b64 s[40:41], s[24:25]
	s_xor_b64 s[24:25], exec, s[40:41]
; %bb.2627:                             ;   in Loop: Header=BB35_2626 Depth=3
	v_bfe_u32 v85, v84, 16, 1
	v_add3_u32 v85, v84, v85, s72
                                        ; implicit-def: $vgpr84
; %bb.2628:                             ;   in Loop: Header=BB35_2626 Depth=3
	s_andn2_saveexec_b64 s[40:41], s[24:25]
; %bb.2629:                             ;   in Loop: Header=BB35_2626 Depth=3
	v_or_b32_e32 v85, 0x10000, v84
	v_cmp_eq_u32_sdwa s[24:25], v84, v3 src0_sel:WORD_0 src1_sel:DWORD
	s_nop 1
	v_cndmask_b32_e64 v85, v85, v84, s[24:25]
; %bb.2630:                             ;   in Loop: Header=BB35_2626 Depth=3
	s_or_b64 exec, exec, s[40:41]
	v_lshlrev_b32_e32 v84, 16, v22
	v_lshlrev_b32_e32 v83, 16, v83
	v_max_f32_e32 v83, v83, v83
	v_max_f32_e32 v84, v84, v84
	flat_store_short_d16_hi v[10:11], v85 nt
	v_min_f32_e32 v85, v84, v83
	v_max_f32_e32 v83, v84, v83
	v_cndmask_b32_e32 v83, v83, v85, vcc
	v_and_b32_e32 v84, 0x7f800000, v83
	v_cmp_ne_u32_e64 s[24:25], s51, v84
                                        ; implicit-def: $vgpr84
	s_and_saveexec_b64 s[40:41], s[24:25]
	s_xor_b64 s[24:25], exec, s[40:41]
; %bb.2631:                             ;   in Loop: Header=BB35_2626 Depth=3
	v_bfe_u32 v84, v83, 16, 1
	v_add3_u32 v84, v83, v84, s72
                                        ; implicit-def: $vgpr83
; %bb.2632:                             ;   in Loop: Header=BB35_2626 Depth=3
	s_andn2_saveexec_b64 s[40:41], s[24:25]
; %bb.2633:                             ;   in Loop: Header=BB35_2626 Depth=3
	v_or_b32_e32 v84, 0x10000, v83
	v_cmp_eq_u32_sdwa s[24:25], v83, v3 src0_sel:WORD_0 src1_sel:DWORD
	s_nop 1
	v_cndmask_b32_e64 v84, v84, v83, s[24:25]
; %bb.2634:                             ;   in Loop: Header=BB35_2626 Depth=3
	s_or_b64 exec, exec, s[40:41]
	v_lshlrev_b32_e32 v83, 16, v23
	v_lshlrev_b32_e32 v82, 16, v82
	v_max_f32_e32 v82, v82, v82
	v_max_f32_e32 v83, v83, v83
	flat_store_short_d16_hi v[10:11], v84 offset:128 nt
	v_min_f32_e32 v84, v83, v82
	v_max_f32_e32 v82, v83, v82
	v_cndmask_b32_e32 v82, v82, v84, vcc
	v_and_b32_e32 v83, 0x7f800000, v82
	v_cmp_ne_u32_e64 s[24:25], s51, v83
                                        ; implicit-def: $vgpr83
	s_and_saveexec_b64 s[40:41], s[24:25]
	s_xor_b64 s[24:25], exec, s[40:41]
; %bb.2635:                             ;   in Loop: Header=BB35_2626 Depth=3
	v_bfe_u32 v83, v82, 16, 1
	v_add3_u32 v83, v82, v83, s72
                                        ; implicit-def: $vgpr82
; %bb.2636:                             ;   in Loop: Header=BB35_2626 Depth=3
	s_andn2_saveexec_b64 s[40:41], s[24:25]
; %bb.2637:                             ;   in Loop: Header=BB35_2626 Depth=3
	v_or_b32_e32 v83, 0x10000, v82
	v_cmp_eq_u32_sdwa s[24:25], v82, v3 src0_sel:WORD_0 src1_sel:DWORD
	s_nop 1
	v_cndmask_b32_e64 v83, v83, v82, s[24:25]
; %bb.2638:                             ;   in Loop: Header=BB35_2626 Depth=3
	s_or_b64 exec, exec, s[40:41]
	v_lshlrev_b32_e32 v82, 16, v24
	v_lshlrev_b32_e32 v81, 16, v81
	v_max_f32_e32 v81, v81, v81
	v_max_f32_e32 v82, v82, v82
	flat_store_short_d16_hi v[10:11], v83 offset:256 nt
	v_min_f32_e32 v83, v82, v81
	v_max_f32_e32 v81, v82, v81
	v_cndmask_b32_e32 v81, v81, v83, vcc
	v_and_b32_e32 v82, 0x7f800000, v81
	v_cmp_ne_u32_e64 s[24:25], s51, v82
                                        ; implicit-def: $vgpr82
	s_and_saveexec_b64 s[40:41], s[24:25]
	s_xor_b64 s[24:25], exec, s[40:41]
; %bb.2639:                             ;   in Loop: Header=BB35_2626 Depth=3
	v_bfe_u32 v82, v81, 16, 1
	v_add3_u32 v82, v81, v82, s72
                                        ; implicit-def: $vgpr81
; %bb.2640:                             ;   in Loop: Header=BB35_2626 Depth=3
	s_andn2_saveexec_b64 s[40:41], s[24:25]
; %bb.2641:                             ;   in Loop: Header=BB35_2626 Depth=3
	v_or_b32_e32 v82, 0x10000, v81
	v_cmp_eq_u32_sdwa s[24:25], v81, v3 src0_sel:WORD_0 src1_sel:DWORD
	s_nop 1
	v_cndmask_b32_e64 v82, v82, v81, s[24:25]
; %bb.2642:                             ;   in Loop: Header=BB35_2626 Depth=3
	s_or_b64 exec, exec, s[40:41]
	v_lshlrev_b32_e32 v81, 16, v25
	v_lshlrev_b32_e32 v80, 16, v80
	v_max_f32_e32 v80, v80, v80
	v_max_f32_e32 v81, v81, v81
	flat_store_short_d16_hi v[10:11], v82 offset:384 nt
	v_min_f32_e32 v82, v81, v80
	v_max_f32_e32 v80, v81, v80
	v_cndmask_b32_e32 v80, v80, v82, vcc
	v_and_b32_e32 v81, 0x7f800000, v80
	v_cmp_ne_u32_e64 s[24:25], s51, v81
                                        ; implicit-def: $vgpr81
	s_and_saveexec_b64 s[40:41], s[24:25]
	s_xor_b64 s[24:25], exec, s[40:41]
; %bb.2643:                             ;   in Loop: Header=BB35_2626 Depth=3
	v_bfe_u32 v81, v80, 16, 1
	v_add3_u32 v81, v80, v81, s72
                                        ; implicit-def: $vgpr80
; %bb.2644:                             ;   in Loop: Header=BB35_2626 Depth=3
	s_andn2_saveexec_b64 s[40:41], s[24:25]
; %bb.2645:                             ;   in Loop: Header=BB35_2626 Depth=3
	v_or_b32_e32 v81, 0x10000, v80
	v_cmp_eq_u32_sdwa s[24:25], v80, v3 src0_sel:WORD_0 src1_sel:DWORD
	s_nop 1
	v_cndmask_b32_e64 v81, v81, v80, s[24:25]
; %bb.2646:                             ;   in Loop: Header=BB35_2626 Depth=3
	s_or_b64 exec, exec, s[40:41]
	v_lshlrev_b32_e32 v80, 16, v26
	v_lshlrev_b32_e32 v71, 16, v71
	v_max_f32_e32 v71, v71, v71
	v_max_f32_e32 v80, v80, v80
	flat_store_short_d16_hi v[10:11], v81 offset:512 nt
	v_min_f32_e32 v81, v80, v71
	v_max_f32_e32 v71, v80, v71
	v_cndmask_b32_e32 v71, v71, v81, vcc
	v_and_b32_e32 v80, 0x7f800000, v71
	v_cmp_ne_u32_e64 s[24:25], s51, v80
                                        ; implicit-def: $vgpr80
	s_and_saveexec_b64 s[40:41], s[24:25]
	s_xor_b64 s[24:25], exec, s[40:41]
; %bb.2647:                             ;   in Loop: Header=BB35_2626 Depth=3
	v_bfe_u32 v80, v71, 16, 1
	v_add3_u32 v80, v71, v80, s72
                                        ; implicit-def: $vgpr71
; %bb.2648:                             ;   in Loop: Header=BB35_2626 Depth=3
	s_andn2_saveexec_b64 s[40:41], s[24:25]
; %bb.2649:                             ;   in Loop: Header=BB35_2626 Depth=3
	v_or_b32_e32 v80, 0x10000, v71
	v_cmp_eq_u32_sdwa s[24:25], v71, v3 src0_sel:WORD_0 src1_sel:DWORD
	s_nop 1
	v_cndmask_b32_e64 v80, v80, v71, s[24:25]
; %bb.2650:                             ;   in Loop: Header=BB35_2626 Depth=3
	s_or_b64 exec, exec, s[40:41]
	v_lshlrev_b32_e32 v71, 16, v27
	v_lshlrev_b32_e32 v70, 16, v70
	v_max_f32_e32 v70, v70, v70
	v_max_f32_e32 v71, v71, v71
	flat_store_short_d16_hi v[10:11], v80 offset:640 nt
	v_min_f32_e32 v80, v71, v70
	v_max_f32_e32 v70, v71, v70
	v_cndmask_b32_e32 v70, v70, v80, vcc
	v_and_b32_e32 v71, 0x7f800000, v70
	v_cmp_ne_u32_e64 s[24:25], s51, v71
                                        ; implicit-def: $vgpr71
	s_and_saveexec_b64 s[40:41], s[24:25]
	s_xor_b64 s[24:25], exec, s[40:41]
; %bb.2651:                             ;   in Loop: Header=BB35_2626 Depth=3
	v_bfe_u32 v71, v70, 16, 1
	v_add3_u32 v71, v70, v71, s72
                                        ; implicit-def: $vgpr70
; %bb.2652:                             ;   in Loop: Header=BB35_2626 Depth=3
	s_andn2_saveexec_b64 s[40:41], s[24:25]
; %bb.2653:                             ;   in Loop: Header=BB35_2626 Depth=3
	v_or_b32_e32 v71, 0x10000, v70
	v_cmp_eq_u32_sdwa s[24:25], v70, v3 src0_sel:WORD_0 src1_sel:DWORD
	s_nop 1
	v_cndmask_b32_e64 v71, v71, v70, s[24:25]
; %bb.2654:                             ;   in Loop: Header=BB35_2626 Depth=3
	s_or_b64 exec, exec, s[40:41]
	v_lshlrev_b32_e32 v70, 16, v32
	v_lshlrev_b32_e32 v69, 16, v69
	v_max_f32_e32 v69, v69, v69
	v_max_f32_e32 v70, v70, v70
	flat_store_short_d16_hi v[10:11], v71 offset:768 nt
	v_min_f32_e32 v71, v70, v69
	v_max_f32_e32 v69, v70, v69
	v_cndmask_b32_e32 v69, v69, v71, vcc
	v_and_b32_e32 v70, 0x7f800000, v69
	v_cmp_ne_u32_e64 s[24:25], s51, v70
                                        ; implicit-def: $vgpr70
	s_and_saveexec_b64 s[40:41], s[24:25]
	s_xor_b64 s[24:25], exec, s[40:41]
; %bb.2655:                             ;   in Loop: Header=BB35_2626 Depth=3
	v_bfe_u32 v70, v69, 16, 1
	v_add3_u32 v70, v69, v70, s72
                                        ; implicit-def: $vgpr69
; %bb.2656:                             ;   in Loop: Header=BB35_2626 Depth=3
	s_andn2_saveexec_b64 s[40:41], s[24:25]
; %bb.2657:                             ;   in Loop: Header=BB35_2626 Depth=3
	v_or_b32_e32 v70, 0x10000, v69
	v_cmp_eq_u32_sdwa s[24:25], v69, v3 src0_sel:WORD_0 src1_sel:DWORD
	s_nop 1
	v_cndmask_b32_e64 v70, v70, v69, s[24:25]
; %bb.2658:                             ;   in Loop: Header=BB35_2626 Depth=3
	s_or_b64 exec, exec, s[40:41]
	v_lshlrev_b32_e32 v69, 16, v33
	v_lshlrev_b32_e32 v68, 16, v68
	v_max_f32_e32 v68, v68, v68
	v_max_f32_e32 v69, v69, v69
	flat_store_short_d16_hi v[10:11], v70 offset:896 nt
	v_min_f32_e32 v70, v69, v68
	v_max_f32_e32 v68, v69, v68
	v_cndmask_b32_e32 v68, v68, v70, vcc
	v_and_b32_e32 v69, 0x7f800000, v68
	v_cmp_ne_u32_e64 s[24:25], s51, v69
                                        ; implicit-def: $vgpr69
	s_and_saveexec_b64 s[40:41], s[24:25]
	s_xor_b64 s[24:25], exec, s[40:41]
; %bb.2659:                             ;   in Loop: Header=BB35_2626 Depth=3
	v_bfe_u32 v69, v68, 16, 1
	v_add3_u32 v69, v68, v69, s72
                                        ; implicit-def: $vgpr68
; %bb.2660:                             ;   in Loop: Header=BB35_2626 Depth=3
	s_andn2_saveexec_b64 s[40:41], s[24:25]
; %bb.2661:                             ;   in Loop: Header=BB35_2626 Depth=3
	v_or_b32_e32 v69, 0x10000, v68
	v_cmp_eq_u32_sdwa s[24:25], v68, v3 src0_sel:WORD_0 src1_sel:DWORD
	s_nop 1
	v_cndmask_b32_e64 v69, v69, v68, s[24:25]
; %bb.2662:                             ;   in Loop: Header=BB35_2626 Depth=3
	s_or_b64 exec, exec, s[40:41]
	v_lshlrev_b32_e32 v68, 16, v34
	v_lshlrev_b32_e32 v67, 16, v67
	v_max_f32_e32 v67, v67, v67
	v_max_f32_e32 v68, v68, v68
	flat_store_short_d16_hi v[10:11], v69 offset:1024 nt
	v_min_f32_e32 v69, v68, v67
	v_max_f32_e32 v67, v68, v67
	v_cndmask_b32_e32 v67, v67, v69, vcc
	v_and_b32_e32 v68, 0x7f800000, v67
	v_cmp_ne_u32_e64 s[24:25], s51, v68
                                        ; implicit-def: $vgpr68
	s_and_saveexec_b64 s[40:41], s[24:25]
	s_xor_b64 s[24:25], exec, s[40:41]
; %bb.2663:                             ;   in Loop: Header=BB35_2626 Depth=3
	v_bfe_u32 v68, v67, 16, 1
	v_add3_u32 v68, v67, v68, s72
                                        ; implicit-def: $vgpr67
; %bb.2664:                             ;   in Loop: Header=BB35_2626 Depth=3
	s_andn2_saveexec_b64 s[40:41], s[24:25]
; %bb.2665:                             ;   in Loop: Header=BB35_2626 Depth=3
	v_or_b32_e32 v68, 0x10000, v67
	v_cmp_eq_u32_sdwa s[24:25], v67, v3 src0_sel:WORD_0 src1_sel:DWORD
	s_nop 1
	v_cndmask_b32_e64 v68, v68, v67, s[24:25]
; %bb.2666:                             ;   in Loop: Header=BB35_2626 Depth=3
	s_or_b64 exec, exec, s[40:41]
	v_lshlrev_b32_e32 v67, 16, v35
	v_lshlrev_b32_e32 v66, 16, v66
	v_max_f32_e32 v66, v66, v66
	v_max_f32_e32 v67, v67, v67
	flat_store_short_d16_hi v[10:11], v68 offset:1152 nt
	v_min_f32_e32 v68, v67, v66
	v_max_f32_e32 v66, v67, v66
	v_cndmask_b32_e32 v66, v66, v68, vcc
	v_and_b32_e32 v67, 0x7f800000, v66
	v_cmp_ne_u32_e64 s[24:25], s51, v67
                                        ; implicit-def: $vgpr67
	s_and_saveexec_b64 s[40:41], s[24:25]
	s_xor_b64 s[24:25], exec, s[40:41]
; %bb.2667:                             ;   in Loop: Header=BB35_2626 Depth=3
	v_bfe_u32 v67, v66, 16, 1
	v_add3_u32 v67, v66, v67, s72
                                        ; implicit-def: $vgpr66
; %bb.2668:                             ;   in Loop: Header=BB35_2626 Depth=3
	s_andn2_saveexec_b64 s[40:41], s[24:25]
; %bb.2669:                             ;   in Loop: Header=BB35_2626 Depth=3
	v_or_b32_e32 v67, 0x10000, v66
	v_cmp_eq_u32_sdwa s[24:25], v66, v3 src0_sel:WORD_0 src1_sel:DWORD
	s_nop 1
	v_cndmask_b32_e64 v67, v67, v66, s[24:25]
; %bb.2670:                             ;   in Loop: Header=BB35_2626 Depth=3
	s_or_b64 exec, exec, s[40:41]
	v_lshlrev_b32_e32 v66, 16, v36
	v_lshlrev_b32_e32 v65, 16, v65
	v_max_f32_e32 v65, v65, v65
	v_max_f32_e32 v66, v66, v66
	flat_store_short_d16_hi v[10:11], v67 offset:1280 nt
	v_min_f32_e32 v67, v66, v65
	v_max_f32_e32 v65, v66, v65
	v_cndmask_b32_e32 v65, v65, v67, vcc
	v_and_b32_e32 v66, 0x7f800000, v65
	v_cmp_ne_u32_e64 s[24:25], s51, v66
                                        ; implicit-def: $vgpr66
	s_and_saveexec_b64 s[40:41], s[24:25]
	s_xor_b64 s[24:25], exec, s[40:41]
; %bb.2671:                             ;   in Loop: Header=BB35_2626 Depth=3
	v_bfe_u32 v66, v65, 16, 1
	v_add3_u32 v66, v65, v66, s72
                                        ; implicit-def: $vgpr65
; %bb.2672:                             ;   in Loop: Header=BB35_2626 Depth=3
	s_andn2_saveexec_b64 s[40:41], s[24:25]
; %bb.2673:                             ;   in Loop: Header=BB35_2626 Depth=3
	v_or_b32_e32 v66, 0x10000, v65
	v_cmp_eq_u32_sdwa s[24:25], v65, v3 src0_sel:WORD_0 src1_sel:DWORD
	s_nop 1
	v_cndmask_b32_e64 v66, v66, v65, s[24:25]
; %bb.2674:                             ;   in Loop: Header=BB35_2626 Depth=3
	s_or_b64 exec, exec, s[40:41]
	v_lshlrev_b32_e32 v65, 16, v37
	v_lshlrev_b32_e32 v64, 16, v64
	v_max_f32_e32 v64, v64, v64
	v_max_f32_e32 v65, v65, v65
	flat_store_short_d16_hi v[10:11], v66 offset:1408 nt
	v_min_f32_e32 v66, v65, v64
	v_max_f32_e32 v64, v65, v64
	v_cndmask_b32_e32 v64, v64, v66, vcc
	v_and_b32_e32 v65, 0x7f800000, v64
	v_cmp_ne_u32_e64 s[24:25], s51, v65
                                        ; implicit-def: $vgpr65
	s_and_saveexec_b64 s[40:41], s[24:25]
	s_xor_b64 s[24:25], exec, s[40:41]
; %bb.2675:                             ;   in Loop: Header=BB35_2626 Depth=3
	v_bfe_u32 v65, v64, 16, 1
	v_add3_u32 v65, v64, v65, s72
                                        ; implicit-def: $vgpr64
; %bb.2676:                             ;   in Loop: Header=BB35_2626 Depth=3
	s_andn2_saveexec_b64 s[40:41], s[24:25]
; %bb.2677:                             ;   in Loop: Header=BB35_2626 Depth=3
	v_or_b32_e32 v65, 0x10000, v64
	v_cmp_eq_u32_sdwa s[24:25], v64, v3 src0_sel:WORD_0 src1_sel:DWORD
	s_nop 1
	v_cndmask_b32_e64 v65, v65, v64, s[24:25]
; %bb.2678:                             ;   in Loop: Header=BB35_2626 Depth=3
	s_or_b64 exec, exec, s[40:41]
	v_lshlrev_b32_e32 v64, 16, v38
	v_lshlrev_b32_e32 v51, 16, v51
	v_max_f32_e32 v51, v51, v51
	v_max_f32_e32 v64, v64, v64
	flat_store_short_d16_hi v[10:11], v65 offset:1536 nt
	v_min_f32_e32 v65, v64, v51
	v_max_f32_e32 v51, v64, v51
	v_cndmask_b32_e32 v51, v51, v65, vcc
	v_and_b32_e32 v64, 0x7f800000, v51
	v_cmp_ne_u32_e64 s[24:25], s51, v64
                                        ; implicit-def: $vgpr64
	s_and_saveexec_b64 s[40:41], s[24:25]
	s_xor_b64 s[24:25], exec, s[40:41]
; %bb.2679:                             ;   in Loop: Header=BB35_2626 Depth=3
	v_bfe_u32 v64, v51, 16, 1
	v_add3_u32 v64, v51, v64, s72
                                        ; implicit-def: $vgpr51
; %bb.2680:                             ;   in Loop: Header=BB35_2626 Depth=3
	s_andn2_saveexec_b64 s[40:41], s[24:25]
; %bb.2681:                             ;   in Loop: Header=BB35_2626 Depth=3
	v_or_b32_e32 v64, 0x10000, v51
	v_cmp_eq_u32_sdwa s[24:25], v51, v3 src0_sel:WORD_0 src1_sel:DWORD
	s_nop 1
	v_cndmask_b32_e64 v64, v64, v51, s[24:25]
; %bb.2682:                             ;   in Loop: Header=BB35_2626 Depth=3
	s_or_b64 exec, exec, s[40:41]
	v_lshlrev_b32_e32 v51, 16, v39
	v_lshlrev_b32_e32 v50, 16, v50
	v_max_f32_e32 v50, v50, v50
	v_max_f32_e32 v51, v51, v51
	flat_store_short_d16_hi v[10:11], v64 offset:1664 nt
	v_min_f32_e32 v64, v51, v50
	v_max_f32_e32 v50, v51, v50
	v_cndmask_b32_e32 v50, v50, v64, vcc
	v_and_b32_e32 v51, 0x7f800000, v50
	v_cmp_ne_u32_e64 s[24:25], s51, v51
                                        ; implicit-def: $vgpr51
	s_and_saveexec_b64 s[40:41], s[24:25]
	s_xor_b64 s[24:25], exec, s[40:41]
; %bb.2683:                             ;   in Loop: Header=BB35_2626 Depth=3
	v_bfe_u32 v51, v50, 16, 1
	v_add3_u32 v51, v50, v51, s72
                                        ; implicit-def: $vgpr50
; %bb.2684:                             ;   in Loop: Header=BB35_2626 Depth=3
	s_andn2_saveexec_b64 s[40:41], s[24:25]
; %bb.2685:                             ;   in Loop: Header=BB35_2626 Depth=3
	v_or_b32_e32 v51, 0x10000, v50
	v_cmp_eq_u32_sdwa s[24:25], v50, v3 src0_sel:WORD_0 src1_sel:DWORD
	s_nop 1
	v_cndmask_b32_e64 v51, v51, v50, s[24:25]
; %bb.2686:                             ;   in Loop: Header=BB35_2626 Depth=3
	s_or_b64 exec, exec, s[40:41]
	v_lshlrev_b32_e32 v50, 16, v48
	v_lshlrev_b32_e32 v49, 16, v49
	v_max_f32_e32 v49, v49, v49
	v_max_f32_e32 v50, v50, v50
	flat_store_short_d16_hi v[10:11], v51 offset:1792 nt
	v_min_f32_e32 v51, v50, v49
	v_max_f32_e32 v49, v50, v49
	v_cndmask_b32_e32 v49, v49, v51, vcc
	v_and_b32_e32 v50, 0x7f800000, v49
	v_cmp_ne_u32_e64 s[24:25], s51, v50
                                        ; implicit-def: $vgpr50
	s_and_saveexec_b64 s[40:41], s[24:25]
	s_xor_b64 s[24:25], exec, s[40:41]
; %bb.2687:                             ;   in Loop: Header=BB35_2626 Depth=3
	v_bfe_u32 v50, v49, 16, 1
	v_add3_u32 v50, v49, v50, s72
                                        ; implicit-def: $vgpr49
; %bb.2688:                             ;   in Loop: Header=BB35_2626 Depth=3
	s_andn2_saveexec_b64 s[40:41], s[24:25]
	s_cbranch_execz .LBB35_2625
; %bb.2689:                             ;   in Loop: Header=BB35_2626 Depth=3
	v_or_b32_e32 v50, 0x10000, v49
	v_cmp_eq_u32_sdwa s[24:25], v49, v3 src0_sel:WORD_0 src1_sel:DWORD
	s_nop 1
	v_cndmask_b32_e64 v50, v50, v49, s[24:25]
	s_branch .LBB35_2625
.LBB35_2690:                            ;   in Loop: Header=BB35_2324 Depth=2
	s_or_b64 exec, exec, s[28:29]
.LBB35_2691:                            ;   in Loop: Header=BB35_2324 Depth=2
	s_or_b64 exec, exec, s[26:27]
	v_lshlrev_b32_e32 v8, 11, v20
	v_cmp_ne_u32_e32 vcc, v6, v8
	s_and_b64 exec, exec, vcc
	s_cbranch_execz .LBB35_2697
; %bb.2692:                             ;   in Loop: Header=BB35_2324 Depth=2
	v_lshlrev_b32_e32 v2, 6, v2
	v_sub_u32_e32 v2, v19, v2
	v_lshlrev_b32_e32 v7, 6, v7
	v_sub_u32_e32 v2, v2, v7
	v_ashrrev_i32_e32 v7, 31, v2
	v_lshrrev_b32_e32 v7, 26, v7
	v_add_u32_e32 v7, v2, v7
	v_and_b32_e32 v9, 0x7fffffc0, v7
	v_sub_u32_e32 v2, v2, v9
	v_lshlrev_b32_e32 v7, 1, v7
	v_and_b32_e32 v7, 0xffffff80, v7
	v_lshlrev_b32_e32 v2, 1, v2
	v_add3_u32 v7, v7, v2, v8
	v_sub_u32_e32 v2, v6, v7
	v_cmp_lt_i32_e32 vcc, 1, v2
	s_and_b64 exec, exec, vcc
	s_cbranch_execz .LBB35_2697
; %bb.2693:                             ;   in Loop: Header=BB35_2324 Depth=2
	v_add_u32_e32 v6, v7, v18
	s_and_b32 s76, s12, 1
	v_ashrrev_i32_e32 v7, 31, v6
	s_cmp_eq_u64 s[76:77], 0
	v_lshl_add_u64 v[8:9], v[6:7], 0, v[0:1]
	s_waitcnt lgkmcnt(0)
	v_lshl_add_u64 v[10:11], v[6:7], 0, v[54:55]
	v_lshl_add_u64 v[12:13], v[6:7], 0, v[58:59]
	;; [unrolled: 1-line block ×3, first 2 shown]
	s_mov_b64 s[44:45], 0
	s_cselect_b64 s[24:25], -1, 0
.LBB35_2694:                            ;   Parent Loop BB35_47 Depth=1
                                        ;     Parent Loop BB35_2324 Depth=2
                                        ; =>    This Loop Header: Depth=3
                                        ;         Child Loop BB35_2695 Depth 4
	flat_load_ushort v6, v[8:9] nt
	flat_load_ushort v7, v[10:11] nt
	s_mov_b64 s[26:27], -1
	s_mov_b64 s[46:47], 0
	s_waitcnt vmcnt(0) lgkmcnt(0)
	v_lshlrev_b32_e32 v16, 16, v6
	v_lshlrev_b32_e32 v7, 16, v7
	v_max_f32_e32 v7, v7, v7
	v_max_f32_e32 v16, v16, v16
	v_min_f32_e32 v17, v16, v7
	v_max_f32_e32 v7, v16, v7
	v_cndmask_b32_e64 v7, v7, v17, s[24:25]
	v_and_b32_e32 v16, 0x7f800000, v7
	v_bfe_u32 v17, v7, 16, 1
	v_or_b32_e32 v18, 0x10000, v7
	v_cmp_eq_u32_sdwa vcc, v7, v3 src0_sel:WORD_0 src1_sel:DWORD
	v_add3_u32 v17, v7, v17, s72
	s_nop 0
	v_cndmask_b32_e32 v7, v18, v7, vcc
	v_cmp_eq_u32_e32 vcc, s51, v16
	s_nop 1
	v_cndmask_b32_e32 v7, v17, v7, vcc
.LBB35_2695:                            ;   Parent Loop BB35_47 Depth=1
                                        ;     Parent Loop BB35_2324 Depth=2
                                        ;       Parent Loop BB35_2694 Depth=3
                                        ; =>      This Inner Loop Header: Depth=4
	s_mov_b64 vcc, s[26:27]
	v_cndmask_b32_e64 v16, 0, 1, s[26:27]
	s_cmp_eq_u32 s46, 1
	v_cndmask_b32_sdwa v20, v6, v7, vcc dst_sel:DWORD dst_unused:UNUSED_PAD src0_sel:DWORD src1_sel:WORD_1
	v_cmp_ne_u32_e32 vcc, 1, v16
	s_cselect_b64 s[28:29], -1, 0
	v_cndmask_b32_e64 v19, v13, v15, s[28:29]
	v_cndmask_b32_e32 v17, v13, v15, vcc
	s_cmp_eq_u32 s46, 0
	v_cndmask_b32_e32 v16, v12, v14, vcc
	v_cndmask_b32_e64 v18, v12, v14, s[28:29]
	flat_store_short v[16:17], v20 nt
	v_lshl_add_u64 v[16:17], v[18:19], 0, s[94:95]
	s_cselect_b64 vcc, -1, 0
	s_and_b64 s[40:41], exec, s[26:27]
	s_mov_b64 s[46:47], 1
	s_mov_b64 s[26:27], 0
	v_cndmask_b32_e64 v15, v15, v17, s[28:29]
	v_cndmask_b32_e64 v14, v14, v16, s[28:29]
	v_cndmask_b32_e32 v13, v13, v17, vcc
	v_cndmask_b32_e32 v12, v12, v16, vcc
	s_mov_b64 vcc, s[40:41]
	s_cbranch_vccnz .LBB35_2695
; %bb.2696:                             ;   in Loop: Header=BB35_2694 Depth=3
	scratch_load_dwordx2 v[6:7], off, s33 offset:368 ; 8-byte Folded Reload
	scratch_load_dwordx2 v[16:17], off, s33 offset:376 ; 8-byte Folded Reload
	s_waitcnt vmcnt(0)
	v_lshl_add_u64 v[12:13], v[12:13], 0, v[6:7]
	v_lshl_add_u64 v[14:15], v[14:15], 0, v[6:7]
	scratch_load_dwordx2 v[6:7], off, s33 offset:344 ; 8-byte Folded Reload
	v_lshl_add_u64 v[8:9], v[8:9], 0, v[16:17]
	v_lshl_add_u64 v[10:11], v[10:11], 0, v[16:17]
	s_waitcnt vmcnt(0)
	v_sub_u32_e32 v2, v2, v6
	v_cmp_gt_i32_e32 vcc, 2, v2
	s_or_b64 s[44:45], vcc, s[44:45]
	s_andn2_b64 exec, exec, s[44:45]
	s_cbranch_execnz .LBB35_2694
.LBB35_2697:                            ;   in Loop: Header=BB35_2324 Depth=2
	s_or_b64 exec, exec, s[42:43]
	s_branch .LBB35_2469
.LBB35_2698:                            ;   in Loop: Header=BB35_2324 Depth=2
	s_mov_b64 s[26:27], -1
	s_and_saveexec_b64 s[24:25], s[18:19]
	s_cbranch_execz .LBB35_2700
; %bb.2699:                             ;   in Loop: Header=BB35_2324 Depth=2
	ds_read_b32 v2, v0 offset:720
	s_waitcnt lgkmcnt(0)
	v_and_b32_e32 v2, 15, v2
	v_cmp_eq_u32_e32 vcc, 0, v2
	s_orn2_b64 s[26:27], vcc, exec
.LBB35_2700:                            ;   in Loop: Header=BB35_2324 Depth=2
	s_or_b64 exec, exec, s[24:25]
	s_and_saveexec_b64 s[24:25], s[16:17]
	s_cbranch_execz .LBB35_2702
; %bb.2701:                             ;   in Loop: Header=BB35_2324 Depth=2
	ds_read_b32 v2, v0 offset:784
	s_waitcnt lgkmcnt(0)
	v_and_b32_e32 v2, 15, v2
	v_cmp_eq_u32_e32 vcc, 0, v2
	s_and_b64 s[28:29], s[26:27], vcc
	s_andn2_b64 s[26:27], s[26:27], exec
	s_and_b64 s[28:29], s[28:29], exec
	s_or_b64 s[26:27], s[26:27], s[28:29]
.LBB35_2702:                            ;   in Loop: Header=BB35_2324 Depth=2
	s_or_b64 exec, exec, s[24:25]
	s_xor_b64 s[26:27], s[26:27], -1
	v_cndmask_b32_e64 v6, 0, 1, s[26:27]
	v_lshlrev_b32_e32 v2, 1, v29
	s_mov_b64 s[24:25], -1
	v_mov_b32_e32 v15, 0
	v_cmp_ne_u32_e32 vcc, 0, v6
	s_cbranch_vccz .LBB35_2704
; %bb.2703:                             ;   in Loop: Header=BB35_2324 Depth=2
	v_mov_b32_e32 v14, v31
	s_and_saveexec_b64 s[26:27], s[24:25]
	s_cbranch_execnz .LBB35_2971
	s_branch .LBB35_3043
.LBB35_2704:                            ;   in Loop: Header=BB35_2324 Depth=2
	v_ashrrev_i32_e32 v6, 31, v2
	v_lshrrev_b32_e32 v6, 19, v6
	v_add_u32_e32 v6, v2, v6
	v_ashrrev_i32_e32 v7, 13, v6
	v_lshrrev_b32_e32 v6, 6, v31
	v_sub_u32_e32 v6, v7, v6
	v_cmp_lt_i32_e32 vcc, 0, v6
	s_and_saveexec_b64 s[26:27], vcc
	s_cbranch_execz .LBB35_2964
; %bb.2705:                             ;   in Loop: Header=BB35_2324 Depth=2
	scratch_load_dwordx2 v[108:109], off, s33 offset:464 ; 8-byte Folded Reload
	s_and_b32 s76, s12, 1
	s_cmp_eq_u64 s[76:77], 0
	s_mov_b64 s[28:29], 0
	s_cselect_b64 s[24:25], -1, 0
	s_branch .LBB35_2707
.LBB35_2706:                            ;   in Loop: Header=BB35_2707 Depth=3
	s_or_b64 exec, exec, s[40:41]
	v_lshrrev_b32_e32 v12, 16, v12
	v_and_or_b32 v9, v9, s73, v12
	v_lshrrev_b32_e32 v12, 16, v16
	v_and_or_b32 v8, v8, s73, v12
	;; [unrolled: 2-line block ×4, first 2 shown]
	global_store_dwordx4 v[100:101], v[8:11], off
	scratch_load_dwordx2 v[8:9], off, s33 offset:336 ; 8-byte Folded Reload
	v_sub_u32_e32 v6, v6, v60
	v_cmp_gt_i32_e32 vcc, 1, v6
	s_or_b64 s[28:29], vcc, s[28:29]
	s_waitcnt vmcnt(0)
	v_lshl_add_u64 v[108:109], v[108:109], 0, v[8:9]
	s_andn2_b64 exec, exec, s[28:29]
	s_cbranch_execz .LBB35_2963
.LBB35_2707:                            ;   Parent Loop BB35_47 Depth=1
                                        ;     Parent Loop BB35_2324 Depth=2
                                        ; =>    This Inner Loop Header: Depth=3
	s_waitcnt vmcnt(0)
	v_lshl_add_u64 v[8:9], v[0:1], 0, v[108:109]
	v_add_co_u32_e32 v10, vcc, 0xfffff000, v8
	s_nop 1
	v_addc_co_u32_e32 v11, vcc, -1, v9, vcc
	global_load_dwordx4 v[100:103], v[10:11], off offset:-3072 nt
	v_add_co_u32_e32 v12, vcc, 0xfffff000, v108
	s_waitcnt vmcnt(0)
	v_lshlrev_b32_e32 v118, 16, v100
	v_addc_co_u32_e32 v13, vcc, -1, v109, vcc
	global_load_dwordx4 v[112:115], v[12:13], off offset:-3072 nt
	global_load_dwordx4 v[84:87], v[10:11], off offset:-2048 nt
	;; [unrolled: 1-line block ×5, first 2 shown]
	s_waitcnt lgkmcnt(0)
	global_load_dwordx4 v[52:55], v[8:9], off offset:-4096 nt
	global_load_dwordx4 v[64:67], v[108:109], off offset:-4096 nt
	;; [unrolled: 1-line block ×8, first 2 shown]
	s_nop 0
	global_load_dwordx4 v[8:11], v[8:9], off nt
	s_nop 0
	global_load_dwordx4 v[12:15], v[108:109], off nt
	v_max_f32_e32 v118, v118, v118
	s_waitcnt vmcnt(14)
	v_lshlrev_b32_e32 v119, 16, v112
	v_max_f32_e32 v119, v119, v119
	v_min_f32_e32 v42, v118, v119
	v_max_f32_e32 v118, v118, v119
	v_cndmask_b32_e64 v119, v118, v42, s[24:25]
	v_and_b32_e32 v118, 0x7f800000, v119
	v_cmp_ne_u32_e32 vcc, s51, v118
                                        ; implicit-def: $vgpr118
	s_and_saveexec_b64 s[40:41], vcc
	s_xor_b64 s[40:41], exec, s[40:41]
; %bb.2708:                             ;   in Loop: Header=BB35_2707 Depth=3
	v_bfe_u32 v118, v119, 16, 1
	v_add3_u32 v118, v119, v118, s72
                                        ; implicit-def: $vgpr119
; %bb.2709:                             ;   in Loop: Header=BB35_2707 Depth=3
	s_andn2_saveexec_b64 s[40:41], s[40:41]
; %bb.2710:                             ;   in Loop: Header=BB35_2707 Depth=3
	v_or_b32_e32 v118, 0x10000, v119
	v_cmp_eq_u32_sdwa vcc, v119, v3 src0_sel:WORD_0 src1_sel:DWORD
	s_nop 1
	v_cndmask_b32_e32 v118, v118, v119, vcc
; %bb.2711:                             ;   in Loop: Header=BB35_2707 Depth=3
	s_or_b64 exec, exec, s[40:41]
	v_and_b32_e32 v100, 0xffff0000, v100
	v_and_b32_e32 v112, 0xffff0000, v112
	v_max_f32_e32 v112, v112, v112
	v_max_f32_e32 v100, v100, v100
	v_min_f32_e32 v119, v100, v112
	v_max_f32_e32 v100, v100, v112
	v_cndmask_b32_e64 v100, v100, v119, s[24:25]
	v_and_b32_e32 v112, 0x7f800000, v100
	v_cmp_ne_u32_e32 vcc, s51, v112
                                        ; implicit-def: $vgpr112
	s_and_saveexec_b64 s[40:41], vcc
	s_xor_b64 s[40:41], exec, s[40:41]
; %bb.2712:                             ;   in Loop: Header=BB35_2707 Depth=3
	v_bfe_u32 v112, v100, 16, 1
	v_add3_u32 v112, v100, v112, s72
                                        ; implicit-def: $vgpr100
; %bb.2713:                             ;   in Loop: Header=BB35_2707 Depth=3
	s_andn2_saveexec_b64 s[40:41], s[40:41]
; %bb.2714:                             ;   in Loop: Header=BB35_2707 Depth=3
	v_or_b32_e32 v112, 0x10000, v100
	v_cmp_eq_u32_sdwa vcc, v100, v3 src0_sel:WORD_0 src1_sel:DWORD
	s_nop 1
	v_cndmask_b32_e32 v112, v112, v100, vcc
; %bb.2715:                             ;   in Loop: Header=BB35_2707 Depth=3
	s_or_b64 exec, exec, s[40:41]
	v_lshlrev_b32_e32 v100, 16, v101
	v_lshlrev_b32_e32 v119, 16, v113
	v_max_f32_e32 v119, v119, v119
	v_max_f32_e32 v100, v100, v100
	v_min_f32_e32 v42, v100, v119
	v_max_f32_e32 v100, v100, v119
	v_cndmask_b32_e64 v100, v100, v42, s[24:25]
	v_and_b32_e32 v119, 0x7f800000, v100
	v_cmp_ne_u32_e32 vcc, s51, v119
                                        ; implicit-def: $vgpr119
	s_and_saveexec_b64 s[40:41], vcc
	s_xor_b64 s[40:41], exec, s[40:41]
; %bb.2716:                             ;   in Loop: Header=BB35_2707 Depth=3
	v_bfe_u32 v119, v100, 16, 1
	v_add3_u32 v119, v100, v119, s72
                                        ; implicit-def: $vgpr100
; %bb.2717:                             ;   in Loop: Header=BB35_2707 Depth=3
	s_andn2_saveexec_b64 s[40:41], s[40:41]
; %bb.2718:                             ;   in Loop: Header=BB35_2707 Depth=3
	v_or_b32_e32 v119, 0x10000, v100
	v_cmp_eq_u32_sdwa vcc, v100, v3 src0_sel:WORD_0 src1_sel:DWORD
	s_nop 1
	v_cndmask_b32_e32 v119, v119, v100, vcc
; %bb.2719:                             ;   in Loop: Header=BB35_2707 Depth=3
	s_or_b64 exec, exec, s[40:41]
	v_and_b32_e32 v100, 0xffff0000, v101
	v_and_b32_e32 v101, 0xffff0000, v113
	v_max_f32_e32 v101, v101, v101
	v_max_f32_e32 v100, v100, v100
	v_min_f32_e32 v113, v100, v101
	v_max_f32_e32 v100, v100, v101
	v_cndmask_b32_e64 v100, v100, v113, s[24:25]
	v_and_b32_e32 v101, 0x7f800000, v100
	v_cmp_ne_u32_e32 vcc, s51, v101
                                        ; implicit-def: $vgpr113
	s_and_saveexec_b64 s[40:41], vcc
	s_xor_b64 s[40:41], exec, s[40:41]
; %bb.2720:                             ;   in Loop: Header=BB35_2707 Depth=3
	v_bfe_u32 v101, v100, 16, 1
	v_add3_u32 v113, v100, v101, s72
                                        ; implicit-def: $vgpr100
; %bb.2721:                             ;   in Loop: Header=BB35_2707 Depth=3
	s_andn2_saveexec_b64 s[40:41], s[40:41]
; %bb.2722:                             ;   in Loop: Header=BB35_2707 Depth=3
	v_or_b32_e32 v101, 0x10000, v100
	v_cmp_eq_u32_sdwa vcc, v100, v3 src0_sel:WORD_0 src1_sel:DWORD
	s_nop 1
	v_cndmask_b32_e32 v113, v101, v100, vcc
; %bb.2723:                             ;   in Loop: Header=BB35_2707 Depth=3
	s_or_b64 exec, exec, s[40:41]
	v_lshlrev_b32_e32 v100, 16, v102
	v_lshlrev_b32_e32 v101, 16, v114
	v_max_f32_e32 v101, v101, v101
	v_max_f32_e32 v100, v100, v100
	v_min_f32_e32 v42, v100, v101
	v_max_f32_e32 v100, v100, v101
	v_cndmask_b32_e64 v100, v100, v42, s[24:25]
	v_and_b32_e32 v101, 0x7f800000, v100
	v_cmp_ne_u32_e32 vcc, s51, v101
                                        ; implicit-def: $vgpr42
	s_and_saveexec_b64 s[40:41], vcc
	s_xor_b64 s[40:41], exec, s[40:41]
; %bb.2724:                             ;   in Loop: Header=BB35_2707 Depth=3
	v_bfe_u32 v101, v100, 16, 1
	v_add3_u32 v42, v100, v101, s72
                                        ; implicit-def: $vgpr100
; %bb.2725:                             ;   in Loop: Header=BB35_2707 Depth=3
	s_andn2_saveexec_b64 s[40:41], s[40:41]
; %bb.2726:                             ;   in Loop: Header=BB35_2707 Depth=3
	v_or_b32_e32 v101, 0x10000, v100
	v_cmp_eq_u32_sdwa vcc, v100, v3 src0_sel:WORD_0 src1_sel:DWORD
	s_nop 1
	v_cndmask_b32_e32 v42, v101, v100, vcc
; %bb.2727:                             ;   in Loop: Header=BB35_2707 Depth=3
	s_or_b64 exec, exec, s[40:41]
	v_and_b32_e32 v100, 0xffff0000, v102
	v_and_b32_e32 v101, 0xffff0000, v114
	v_max_f32_e32 v101, v101, v101
	v_max_f32_e32 v100, v100, v100
	v_min_f32_e32 v102, v100, v101
	v_max_f32_e32 v100, v100, v101
	v_cndmask_b32_e64 v100, v100, v102, s[24:25]
	v_and_b32_e32 v101, 0x7f800000, v100
	v_cmp_ne_u32_e32 vcc, s51, v101
                                        ; implicit-def: $vgpr102
	s_and_saveexec_b64 s[40:41], vcc
	s_xor_b64 s[40:41], exec, s[40:41]
; %bb.2728:                             ;   in Loop: Header=BB35_2707 Depth=3
	v_bfe_u32 v101, v100, 16, 1
	v_add3_u32 v102, v100, v101, s72
                                        ; implicit-def: $vgpr100
; %bb.2729:                             ;   in Loop: Header=BB35_2707 Depth=3
	s_andn2_saveexec_b64 s[40:41], s[40:41]
; %bb.2730:                             ;   in Loop: Header=BB35_2707 Depth=3
	v_or_b32_e32 v101, 0x10000, v100
	v_cmp_eq_u32_sdwa vcc, v100, v3 src0_sel:WORD_0 src1_sel:DWORD
	s_nop 1
	v_cndmask_b32_e32 v102, v101, v100, vcc
; %bb.2731:                             ;   in Loop: Header=BB35_2707 Depth=3
	s_or_b64 exec, exec, s[40:41]
	v_lshlrev_b32_e32 v100, 16, v103
	v_lshlrev_b32_e32 v101, 16, v115
	v_max_f32_e32 v101, v101, v101
	v_max_f32_e32 v100, v100, v100
	v_min_f32_e32 v114, v100, v101
	v_max_f32_e32 v100, v100, v101
	v_cndmask_b32_e64 v100, v100, v114, s[24:25]
	v_and_b32_e32 v101, 0x7f800000, v100
	v_cmp_ne_u32_e32 vcc, s51, v101
                                        ; implicit-def: $vgpr114
	s_and_saveexec_b64 s[40:41], vcc
	s_xor_b64 s[40:41], exec, s[40:41]
; %bb.2732:                             ;   in Loop: Header=BB35_2707 Depth=3
	v_bfe_u32 v101, v100, 16, 1
	v_add3_u32 v114, v100, v101, s72
                                        ; implicit-def: $vgpr100
; %bb.2733:                             ;   in Loop: Header=BB35_2707 Depth=3
	s_andn2_saveexec_b64 s[40:41], s[40:41]
; %bb.2734:                             ;   in Loop: Header=BB35_2707 Depth=3
	v_or_b32_e32 v101, 0x10000, v100
	v_cmp_eq_u32_sdwa vcc, v100, v3 src0_sel:WORD_0 src1_sel:DWORD
	s_nop 1
	v_cndmask_b32_e32 v114, v101, v100, vcc
; %bb.2735:                             ;   in Loop: Header=BB35_2707 Depth=3
	s_or_b64 exec, exec, s[40:41]
	v_and_b32_e32 v100, 0xffff0000, v103
	v_and_b32_e32 v101, 0xffff0000, v115
	v_max_f32_e32 v101, v101, v101
	v_max_f32_e32 v100, v100, v100
	v_min_f32_e32 v103, v100, v101
	v_max_f32_e32 v100, v100, v101
	v_cndmask_b32_e64 v100, v100, v103, s[24:25]
	v_and_b32_e32 v101, 0x7f800000, v100
	v_cmp_ne_u32_e32 vcc, s51, v101
                                        ; implicit-def: $vgpr103
	s_and_saveexec_b64 s[40:41], vcc
	s_xor_b64 s[40:41], exec, s[40:41]
; %bb.2736:                             ;   in Loop: Header=BB35_2707 Depth=3
	v_bfe_u32 v101, v100, 16, 1
	v_add3_u32 v103, v100, v101, s72
                                        ; implicit-def: $vgpr100
; %bb.2737:                             ;   in Loop: Header=BB35_2707 Depth=3
	s_andn2_saveexec_b64 s[40:41], s[40:41]
; %bb.2738:                             ;   in Loop: Header=BB35_2707 Depth=3
	v_or_b32_e32 v101, 0x10000, v100
	v_cmp_eq_u32_sdwa vcc, v100, v3 src0_sel:WORD_0 src1_sel:DWORD
	s_nop 1
	v_cndmask_b32_e32 v103, v101, v100, vcc
; %bb.2739:                             ;   in Loop: Header=BB35_2707 Depth=3
	s_or_b64 exec, exec, s[40:41]
	v_lshrrev_b32_e32 v115, 16, v119
	v_and_or_b32 v75, v113, s73, v115
	v_lshrrev_b32_e32 v113, 16, v118
	v_and_or_b32 v74, v112, s73, v113
	v_lshrrev_b32_e32 v112, 16, v42
	v_lshl_add_u64 v[100:101], v[58:59], 0, v[108:109]
	v_and_or_b32 v76, v102, s73, v112
	v_lshrrev_b32_e32 v102, 16, v114
	v_and_or_b32 v77, v103, s73, v102
	v_add_co_u32_e32 v102, vcc, 0xfffff000, v100
	s_nop 1
	v_addc_co_u32_e32 v103, vcc, -1, v101, vcc
	global_store_dwordx4 v[102:103], v[74:77], off offset:-3072
	s_waitcnt vmcnt(14)
	v_lshlrev_b32_e32 v102, 16, v84
	s_waitcnt vmcnt(13)
	v_lshlrev_b32_e32 v103, 16, v96
	v_max_f32_e32 v103, v103, v103
	v_max_f32_e32 v102, v102, v102
	v_min_f32_e32 v112, v102, v103
	v_max_f32_e32 v102, v102, v103
	v_cndmask_b32_e64 v103, v102, v112, s[24:25]
	v_and_b32_e32 v102, 0x7f800000, v103
	v_cmp_ne_u32_e32 vcc, s51, v102
                                        ; implicit-def: $vgpr102
	s_and_saveexec_b64 s[40:41], vcc
	s_xor_b64 s[40:41], exec, s[40:41]
; %bb.2740:                             ;   in Loop: Header=BB35_2707 Depth=3
	v_bfe_u32 v102, v103, 16, 1
	v_add3_u32 v102, v103, v102, s72
                                        ; implicit-def: $vgpr103
; %bb.2741:                             ;   in Loop: Header=BB35_2707 Depth=3
	s_andn2_saveexec_b64 s[40:41], s[40:41]
; %bb.2742:                             ;   in Loop: Header=BB35_2707 Depth=3
	v_or_b32_e32 v102, 0x10000, v103
	v_cmp_eq_u32_sdwa vcc, v103, v3 src0_sel:WORD_0 src1_sel:DWORD
	s_nop 1
	v_cndmask_b32_e32 v102, v102, v103, vcc
; %bb.2743:                             ;   in Loop: Header=BB35_2707 Depth=3
	s_or_b64 exec, exec, s[40:41]
	v_and_b32_e32 v84, 0xffff0000, v84
	v_and_b32_e32 v96, 0xffff0000, v96
	v_max_f32_e32 v96, v96, v96
	v_max_f32_e32 v84, v84, v84
	v_min_f32_e32 v103, v84, v96
	v_max_f32_e32 v84, v84, v96
	v_cndmask_b32_e64 v96, v84, v103, s[24:25]
	v_and_b32_e32 v84, 0x7f800000, v96
	v_cmp_ne_u32_e32 vcc, s51, v84
                                        ; implicit-def: $vgpr84
	s_and_saveexec_b64 s[40:41], vcc
	s_xor_b64 s[40:41], exec, s[40:41]
; %bb.2744:                             ;   in Loop: Header=BB35_2707 Depth=3
	v_bfe_u32 v84, v96, 16, 1
	v_add3_u32 v84, v96, v84, s72
                                        ; implicit-def: $vgpr96
; %bb.2745:                             ;   in Loop: Header=BB35_2707 Depth=3
	s_andn2_saveexec_b64 s[40:41], s[40:41]
; %bb.2746:                             ;   in Loop: Header=BB35_2707 Depth=3
	v_or_b32_e32 v84, 0x10000, v96
	v_cmp_eq_u32_sdwa vcc, v96, v3 src0_sel:WORD_0 src1_sel:DWORD
	s_nop 1
	v_cndmask_b32_e32 v84, v84, v96, vcc
; %bb.2747:                             ;   in Loop: Header=BB35_2707 Depth=3
	s_or_b64 exec, exec, s[40:41]
	v_lshlrev_b32_e32 v96, 16, v85
	v_lshlrev_b32_e32 v103, 16, v97
	v_max_f32_e32 v103, v103, v103
	v_max_f32_e32 v96, v96, v96
	v_min_f32_e32 v112, v96, v103
	v_max_f32_e32 v96, v96, v103
	v_cndmask_b32_e64 v103, v96, v112, s[24:25]
	v_and_b32_e32 v96, 0x7f800000, v103
	v_cmp_ne_u32_e32 vcc, s51, v96
                                        ; implicit-def: $vgpr96
	s_and_saveexec_b64 s[40:41], vcc
	s_xor_b64 s[40:41], exec, s[40:41]
; %bb.2748:                             ;   in Loop: Header=BB35_2707 Depth=3
	v_bfe_u32 v96, v103, 16, 1
	v_add3_u32 v96, v103, v96, s72
                                        ; implicit-def: $vgpr103
; %bb.2749:                             ;   in Loop: Header=BB35_2707 Depth=3
	s_andn2_saveexec_b64 s[40:41], s[40:41]
; %bb.2750:                             ;   in Loop: Header=BB35_2707 Depth=3
	v_or_b32_e32 v96, 0x10000, v103
	v_cmp_eq_u32_sdwa vcc, v103, v3 src0_sel:WORD_0 src1_sel:DWORD
	s_nop 1
	v_cndmask_b32_e32 v96, v96, v103, vcc
; %bb.2751:                             ;   in Loop: Header=BB35_2707 Depth=3
	s_or_b64 exec, exec, s[40:41]
	v_and_b32_e32 v85, 0xffff0000, v85
	v_and_b32_e32 v97, 0xffff0000, v97
	v_max_f32_e32 v97, v97, v97
	v_max_f32_e32 v85, v85, v85
	v_min_f32_e32 v103, v85, v97
	v_max_f32_e32 v85, v85, v97
	v_cndmask_b32_e64 v97, v85, v103, s[24:25]
	v_and_b32_e32 v85, 0x7f800000, v97
	v_cmp_ne_u32_e32 vcc, s51, v85
                                        ; implicit-def: $vgpr85
	s_and_saveexec_b64 s[40:41], vcc
	s_xor_b64 s[40:41], exec, s[40:41]
; %bb.2752:                             ;   in Loop: Header=BB35_2707 Depth=3
	v_bfe_u32 v85, v97, 16, 1
	v_add3_u32 v85, v97, v85, s72
                                        ; implicit-def: $vgpr97
; %bb.2753:                             ;   in Loop: Header=BB35_2707 Depth=3
	s_andn2_saveexec_b64 s[40:41], s[40:41]
; %bb.2754:                             ;   in Loop: Header=BB35_2707 Depth=3
	v_or_b32_e32 v85, 0x10000, v97
	v_cmp_eq_u32_sdwa vcc, v97, v3 src0_sel:WORD_0 src1_sel:DWORD
	s_nop 1
	v_cndmask_b32_e32 v85, v85, v97, vcc
; %bb.2755:                             ;   in Loop: Header=BB35_2707 Depth=3
	s_or_b64 exec, exec, s[40:41]
	v_lshlrev_b32_e32 v97, 16, v86
	v_lshlrev_b32_e32 v103, 16, v98
	v_max_f32_e32 v103, v103, v103
	v_max_f32_e32 v97, v97, v97
	v_min_f32_e32 v112, v97, v103
	v_max_f32_e32 v97, v97, v103
	v_cndmask_b32_e64 v103, v97, v112, s[24:25]
	v_and_b32_e32 v97, 0x7f800000, v103
	v_cmp_ne_u32_e32 vcc, s51, v97
                                        ; implicit-def: $vgpr97
	s_and_saveexec_b64 s[40:41], vcc
	s_xor_b64 s[40:41], exec, s[40:41]
; %bb.2756:                             ;   in Loop: Header=BB35_2707 Depth=3
	v_bfe_u32 v97, v103, 16, 1
	v_add3_u32 v97, v103, v97, s72
                                        ; implicit-def: $vgpr103
; %bb.2757:                             ;   in Loop: Header=BB35_2707 Depth=3
	s_andn2_saveexec_b64 s[40:41], s[40:41]
; %bb.2758:                             ;   in Loop: Header=BB35_2707 Depth=3
	v_or_b32_e32 v97, 0x10000, v103
	v_cmp_eq_u32_sdwa vcc, v103, v3 src0_sel:WORD_0 src1_sel:DWORD
	s_nop 1
	v_cndmask_b32_e32 v97, v97, v103, vcc
; %bb.2759:                             ;   in Loop: Header=BB35_2707 Depth=3
	s_or_b64 exec, exec, s[40:41]
	v_and_b32_e32 v86, 0xffff0000, v86
	v_and_b32_e32 v98, 0xffff0000, v98
	v_max_f32_e32 v98, v98, v98
	v_max_f32_e32 v86, v86, v86
	v_min_f32_e32 v103, v86, v98
	v_max_f32_e32 v86, v86, v98
	v_cndmask_b32_e64 v98, v86, v103, s[24:25]
	v_and_b32_e32 v86, 0x7f800000, v98
	v_cmp_ne_u32_e32 vcc, s51, v86
                                        ; implicit-def: $vgpr86
	s_and_saveexec_b64 s[40:41], vcc
	s_xor_b64 s[40:41], exec, s[40:41]
; %bb.2760:                             ;   in Loop: Header=BB35_2707 Depth=3
	v_bfe_u32 v86, v98, 16, 1
	v_add3_u32 v86, v98, v86, s72
                                        ; implicit-def: $vgpr98
; %bb.2761:                             ;   in Loop: Header=BB35_2707 Depth=3
	s_andn2_saveexec_b64 s[40:41], s[40:41]
; %bb.2762:                             ;   in Loop: Header=BB35_2707 Depth=3
	v_or_b32_e32 v86, 0x10000, v98
	v_cmp_eq_u32_sdwa vcc, v98, v3 src0_sel:WORD_0 src1_sel:DWORD
	s_nop 1
	v_cndmask_b32_e32 v86, v86, v98, vcc
; %bb.2763:                             ;   in Loop: Header=BB35_2707 Depth=3
	s_or_b64 exec, exec, s[40:41]
	v_lshlrev_b32_e32 v98, 16, v87
	v_lshlrev_b32_e32 v103, 16, v99
	v_max_f32_e32 v103, v103, v103
	v_max_f32_e32 v98, v98, v98
	v_min_f32_e32 v112, v98, v103
	v_max_f32_e32 v98, v98, v103
	v_cndmask_b32_e64 v103, v98, v112, s[24:25]
	v_and_b32_e32 v98, 0x7f800000, v103
	v_cmp_ne_u32_e32 vcc, s51, v98
                                        ; implicit-def: $vgpr98
	s_and_saveexec_b64 s[40:41], vcc
	s_xor_b64 s[40:41], exec, s[40:41]
; %bb.2764:                             ;   in Loop: Header=BB35_2707 Depth=3
	v_bfe_u32 v98, v103, 16, 1
	v_add3_u32 v98, v103, v98, s72
                                        ; implicit-def: $vgpr103
; %bb.2765:                             ;   in Loop: Header=BB35_2707 Depth=3
	s_andn2_saveexec_b64 s[40:41], s[40:41]
; %bb.2766:                             ;   in Loop: Header=BB35_2707 Depth=3
	v_or_b32_e32 v98, 0x10000, v103
	v_cmp_eq_u32_sdwa vcc, v103, v3 src0_sel:WORD_0 src1_sel:DWORD
	s_nop 1
	v_cndmask_b32_e32 v98, v98, v103, vcc
; %bb.2767:                             ;   in Loop: Header=BB35_2707 Depth=3
	s_or_b64 exec, exec, s[40:41]
	v_and_b32_e32 v87, 0xffff0000, v87
	v_and_b32_e32 v99, 0xffff0000, v99
	v_max_f32_e32 v99, v99, v99
	v_max_f32_e32 v87, v87, v87
	v_min_f32_e32 v103, v87, v99
	v_max_f32_e32 v87, v87, v99
	v_cndmask_b32_e64 v99, v87, v103, s[24:25]
	v_and_b32_e32 v87, 0x7f800000, v99
	v_cmp_ne_u32_e32 vcc, s51, v87
                                        ; implicit-def: $vgpr87
	s_and_saveexec_b64 s[40:41], vcc
	s_xor_b64 s[40:41], exec, s[40:41]
; %bb.2768:                             ;   in Loop: Header=BB35_2707 Depth=3
	v_bfe_u32 v87, v99, 16, 1
	v_add3_u32 v87, v99, v87, s72
                                        ; implicit-def: $vgpr99
; %bb.2769:                             ;   in Loop: Header=BB35_2707 Depth=3
	s_andn2_saveexec_b64 s[40:41], s[40:41]
; %bb.2770:                             ;   in Loop: Header=BB35_2707 Depth=3
	v_or_b32_e32 v87, 0x10000, v99
	v_cmp_eq_u32_sdwa vcc, v99, v3 src0_sel:WORD_0 src1_sel:DWORD
	s_nop 1
	v_cndmask_b32_e32 v87, v87, v99, vcc
; %bb.2771:                             ;   in Loop: Header=BB35_2707 Depth=3
	s_or_b64 exec, exec, s[40:41]
	v_lshrrev_b32_e32 v96, 16, v96
	v_and_or_b32 v85, v85, s73, v96
	v_lshrrev_b32_e32 v96, 16, v102
	v_and_or_b32 v84, v84, s73, v96
	;; [unrolled: 2-line block ×4, first 2 shown]
	v_add_co_u32_e32 v96, vcc, 0xfffff000, v100
	s_nop 1
	v_addc_co_u32_e32 v97, vcc, -1, v101, vcc
	global_store_dwordx4 v[96:97], v[84:87], off offset:-2048
	s_waitcnt vmcnt(13)
	s_nop 0
	v_lshlrev_b32_e32 v84, 16, v68
	s_waitcnt vmcnt(12)
	v_lshlrev_b32_e32 v85, 16, v80
	v_max_f32_e32 v85, v85, v85
	v_max_f32_e32 v84, v84, v84
	v_min_f32_e32 v86, v84, v85
	v_max_f32_e32 v84, v84, v85
	v_cndmask_b32_e64 v85, v84, v86, s[24:25]
	v_and_b32_e32 v84, 0x7f800000, v85
	v_cmp_ne_u32_e32 vcc, s51, v84
                                        ; implicit-def: $vgpr84
	s_and_saveexec_b64 s[40:41], vcc
	s_xor_b64 s[40:41], exec, s[40:41]
; %bb.2772:                             ;   in Loop: Header=BB35_2707 Depth=3
	v_bfe_u32 v84, v85, 16, 1
	v_add3_u32 v84, v85, v84, s72
                                        ; implicit-def: $vgpr85
; %bb.2773:                             ;   in Loop: Header=BB35_2707 Depth=3
	s_andn2_saveexec_b64 s[40:41], s[40:41]
; %bb.2774:                             ;   in Loop: Header=BB35_2707 Depth=3
	v_or_b32_e32 v84, 0x10000, v85
	v_cmp_eq_u32_sdwa vcc, v85, v3 src0_sel:WORD_0 src1_sel:DWORD
	s_nop 1
	v_cndmask_b32_e32 v84, v84, v85, vcc
; %bb.2775:                             ;   in Loop: Header=BB35_2707 Depth=3
	s_or_b64 exec, exec, s[40:41]
	v_and_b32_e32 v68, 0xffff0000, v68
	v_and_b32_e32 v80, 0xffff0000, v80
	v_max_f32_e32 v80, v80, v80
	v_max_f32_e32 v68, v68, v68
	v_min_f32_e32 v85, v68, v80
	v_max_f32_e32 v68, v68, v80
	v_cndmask_b32_e64 v80, v68, v85, s[24:25]
	v_and_b32_e32 v68, 0x7f800000, v80
	v_cmp_ne_u32_e32 vcc, s51, v68
                                        ; implicit-def: $vgpr68
	s_and_saveexec_b64 s[40:41], vcc
	s_xor_b64 s[40:41], exec, s[40:41]
; %bb.2776:                             ;   in Loop: Header=BB35_2707 Depth=3
	v_bfe_u32 v68, v80, 16, 1
	v_add3_u32 v68, v80, v68, s72
                                        ; implicit-def: $vgpr80
; %bb.2777:                             ;   in Loop: Header=BB35_2707 Depth=3
	s_andn2_saveexec_b64 s[40:41], s[40:41]
; %bb.2778:                             ;   in Loop: Header=BB35_2707 Depth=3
	v_or_b32_e32 v68, 0x10000, v80
	v_cmp_eq_u32_sdwa vcc, v80, v3 src0_sel:WORD_0 src1_sel:DWORD
	s_nop 1
	v_cndmask_b32_e32 v68, v68, v80, vcc
; %bb.2779:                             ;   in Loop: Header=BB35_2707 Depth=3
	s_or_b64 exec, exec, s[40:41]
	v_lshlrev_b32_e32 v80, 16, v69
	v_lshlrev_b32_e32 v85, 16, v81
	v_max_f32_e32 v85, v85, v85
	v_max_f32_e32 v80, v80, v80
	v_min_f32_e32 v86, v80, v85
	v_max_f32_e32 v80, v80, v85
	v_cndmask_b32_e64 v85, v80, v86, s[24:25]
	v_and_b32_e32 v80, 0x7f800000, v85
	v_cmp_ne_u32_e32 vcc, s51, v80
                                        ; implicit-def: $vgpr80
	s_and_saveexec_b64 s[40:41], vcc
	s_xor_b64 s[40:41], exec, s[40:41]
; %bb.2780:                             ;   in Loop: Header=BB35_2707 Depth=3
	v_bfe_u32 v80, v85, 16, 1
	v_add3_u32 v80, v85, v80, s72
                                        ; implicit-def: $vgpr85
; %bb.2781:                             ;   in Loop: Header=BB35_2707 Depth=3
	s_andn2_saveexec_b64 s[40:41], s[40:41]
; %bb.2782:                             ;   in Loop: Header=BB35_2707 Depth=3
	v_or_b32_e32 v80, 0x10000, v85
	v_cmp_eq_u32_sdwa vcc, v85, v3 src0_sel:WORD_0 src1_sel:DWORD
	s_nop 1
	v_cndmask_b32_e32 v80, v80, v85, vcc
; %bb.2783:                             ;   in Loop: Header=BB35_2707 Depth=3
	s_or_b64 exec, exec, s[40:41]
	v_and_b32_e32 v69, 0xffff0000, v69
	v_and_b32_e32 v81, 0xffff0000, v81
	v_max_f32_e32 v81, v81, v81
	v_max_f32_e32 v69, v69, v69
	v_min_f32_e32 v85, v69, v81
	v_max_f32_e32 v69, v69, v81
	v_cndmask_b32_e64 v81, v69, v85, s[24:25]
	v_and_b32_e32 v69, 0x7f800000, v81
	v_cmp_ne_u32_e32 vcc, s51, v69
                                        ; implicit-def: $vgpr69
	s_and_saveexec_b64 s[40:41], vcc
	s_xor_b64 s[40:41], exec, s[40:41]
; %bb.2784:                             ;   in Loop: Header=BB35_2707 Depth=3
	v_bfe_u32 v69, v81, 16, 1
	v_add3_u32 v69, v81, v69, s72
                                        ; implicit-def: $vgpr81
; %bb.2785:                             ;   in Loop: Header=BB35_2707 Depth=3
	s_andn2_saveexec_b64 s[40:41], s[40:41]
; %bb.2786:                             ;   in Loop: Header=BB35_2707 Depth=3
	v_or_b32_e32 v69, 0x10000, v81
	v_cmp_eq_u32_sdwa vcc, v81, v3 src0_sel:WORD_0 src1_sel:DWORD
	s_nop 1
	v_cndmask_b32_e32 v69, v69, v81, vcc
; %bb.2787:                             ;   in Loop: Header=BB35_2707 Depth=3
	s_or_b64 exec, exec, s[40:41]
	v_lshlrev_b32_e32 v81, 16, v70
	v_lshlrev_b32_e32 v85, 16, v82
	v_max_f32_e32 v85, v85, v85
	v_max_f32_e32 v81, v81, v81
	v_min_f32_e32 v86, v81, v85
	v_max_f32_e32 v81, v81, v85
	v_cndmask_b32_e64 v85, v81, v86, s[24:25]
	v_and_b32_e32 v81, 0x7f800000, v85
	v_cmp_ne_u32_e32 vcc, s51, v81
                                        ; implicit-def: $vgpr81
	s_and_saveexec_b64 s[40:41], vcc
	s_xor_b64 s[40:41], exec, s[40:41]
; %bb.2788:                             ;   in Loop: Header=BB35_2707 Depth=3
	v_bfe_u32 v81, v85, 16, 1
	v_add3_u32 v81, v85, v81, s72
                                        ; implicit-def: $vgpr85
; %bb.2789:                             ;   in Loop: Header=BB35_2707 Depth=3
	s_andn2_saveexec_b64 s[40:41], s[40:41]
; %bb.2790:                             ;   in Loop: Header=BB35_2707 Depth=3
	v_or_b32_e32 v81, 0x10000, v85
	v_cmp_eq_u32_sdwa vcc, v85, v3 src0_sel:WORD_0 src1_sel:DWORD
	s_nop 1
	v_cndmask_b32_e32 v81, v81, v85, vcc
; %bb.2791:                             ;   in Loop: Header=BB35_2707 Depth=3
	s_or_b64 exec, exec, s[40:41]
	v_and_b32_e32 v70, 0xffff0000, v70
	v_and_b32_e32 v82, 0xffff0000, v82
	v_max_f32_e32 v82, v82, v82
	v_max_f32_e32 v70, v70, v70
	v_min_f32_e32 v85, v70, v82
	v_max_f32_e32 v70, v70, v82
	v_cndmask_b32_e64 v82, v70, v85, s[24:25]
	v_and_b32_e32 v70, 0x7f800000, v82
	v_cmp_ne_u32_e32 vcc, s51, v70
                                        ; implicit-def: $vgpr70
	s_and_saveexec_b64 s[40:41], vcc
	s_xor_b64 s[40:41], exec, s[40:41]
; %bb.2792:                             ;   in Loop: Header=BB35_2707 Depth=3
	v_bfe_u32 v70, v82, 16, 1
	v_add3_u32 v70, v82, v70, s72
                                        ; implicit-def: $vgpr82
; %bb.2793:                             ;   in Loop: Header=BB35_2707 Depth=3
	s_andn2_saveexec_b64 s[40:41], s[40:41]
; %bb.2794:                             ;   in Loop: Header=BB35_2707 Depth=3
	v_or_b32_e32 v70, 0x10000, v82
	v_cmp_eq_u32_sdwa vcc, v82, v3 src0_sel:WORD_0 src1_sel:DWORD
	s_nop 1
	v_cndmask_b32_e32 v70, v70, v82, vcc
; %bb.2795:                             ;   in Loop: Header=BB35_2707 Depth=3
	s_or_b64 exec, exec, s[40:41]
	v_lshlrev_b32_e32 v82, 16, v71
	v_lshlrev_b32_e32 v85, 16, v83
	v_max_f32_e32 v85, v85, v85
	v_max_f32_e32 v82, v82, v82
	v_min_f32_e32 v86, v82, v85
	v_max_f32_e32 v82, v82, v85
	v_cndmask_b32_e64 v85, v82, v86, s[24:25]
	v_and_b32_e32 v82, 0x7f800000, v85
	v_cmp_ne_u32_e32 vcc, s51, v82
                                        ; implicit-def: $vgpr82
	s_and_saveexec_b64 s[40:41], vcc
	s_xor_b64 s[40:41], exec, s[40:41]
; %bb.2796:                             ;   in Loop: Header=BB35_2707 Depth=3
	v_bfe_u32 v82, v85, 16, 1
	v_add3_u32 v82, v85, v82, s72
                                        ; implicit-def: $vgpr85
; %bb.2797:                             ;   in Loop: Header=BB35_2707 Depth=3
	s_andn2_saveexec_b64 s[40:41], s[40:41]
; %bb.2798:                             ;   in Loop: Header=BB35_2707 Depth=3
	v_or_b32_e32 v82, 0x10000, v85
	v_cmp_eq_u32_sdwa vcc, v85, v3 src0_sel:WORD_0 src1_sel:DWORD
	s_nop 1
	v_cndmask_b32_e32 v82, v82, v85, vcc
; %bb.2799:                             ;   in Loop: Header=BB35_2707 Depth=3
	s_or_b64 exec, exec, s[40:41]
	v_and_b32_e32 v71, 0xffff0000, v71
	v_and_b32_e32 v83, 0xffff0000, v83
	v_max_f32_e32 v83, v83, v83
	v_max_f32_e32 v71, v71, v71
	v_min_f32_e32 v85, v71, v83
	v_max_f32_e32 v71, v71, v83
	v_cndmask_b32_e64 v83, v71, v85, s[24:25]
	v_and_b32_e32 v71, 0x7f800000, v83
	v_cmp_ne_u32_e32 vcc, s51, v71
                                        ; implicit-def: $vgpr71
	s_and_saveexec_b64 s[40:41], vcc
	s_xor_b64 s[40:41], exec, s[40:41]
; %bb.2800:                             ;   in Loop: Header=BB35_2707 Depth=3
	v_bfe_u32 v71, v83, 16, 1
	v_add3_u32 v71, v83, v71, s72
                                        ; implicit-def: $vgpr83
; %bb.2801:                             ;   in Loop: Header=BB35_2707 Depth=3
	s_andn2_saveexec_b64 s[40:41], s[40:41]
; %bb.2802:                             ;   in Loop: Header=BB35_2707 Depth=3
	v_or_b32_e32 v71, 0x10000, v83
	v_cmp_eq_u32_sdwa vcc, v83, v3 src0_sel:WORD_0 src1_sel:DWORD
	s_nop 1
	v_cndmask_b32_e32 v71, v71, v83, vcc
; %bb.2803:                             ;   in Loop: Header=BB35_2707 Depth=3
	s_or_b64 exec, exec, s[40:41]
	v_lshrrev_b32_e32 v80, 16, v80
	v_and_or_b32 v69, v69, s73, v80
	v_lshrrev_b32_e32 v80, 16, v84
	v_and_or_b32 v68, v68, s73, v80
	;; [unrolled: 2-line block ×4, first 2 shown]
	v_add_co_u32_e32 v80, vcc, 0xfffff000, v100
	s_nop 1
	v_addc_co_u32_e32 v81, vcc, -1, v101, vcc
	global_store_dwordx4 v[80:81], v[68:71], off offset:-1024
	s_waitcnt vmcnt(12)
	s_nop 0
	v_lshlrev_b32_e32 v68, 16, v52
	s_waitcnt vmcnt(11)
	v_lshlrev_b32_e32 v69, 16, v64
	v_max_f32_e32 v69, v69, v69
	v_max_f32_e32 v68, v68, v68
	v_min_f32_e32 v70, v68, v69
	v_max_f32_e32 v68, v68, v69
	v_cndmask_b32_e64 v69, v68, v70, s[24:25]
	v_and_b32_e32 v68, 0x7f800000, v69
	v_cmp_ne_u32_e32 vcc, s51, v68
                                        ; implicit-def: $vgpr68
	s_and_saveexec_b64 s[40:41], vcc
	s_xor_b64 s[40:41], exec, s[40:41]
; %bb.2804:                             ;   in Loop: Header=BB35_2707 Depth=3
	v_bfe_u32 v68, v69, 16, 1
	v_add3_u32 v68, v69, v68, s72
                                        ; implicit-def: $vgpr69
; %bb.2805:                             ;   in Loop: Header=BB35_2707 Depth=3
	s_andn2_saveexec_b64 s[40:41], s[40:41]
; %bb.2806:                             ;   in Loop: Header=BB35_2707 Depth=3
	v_or_b32_e32 v68, 0x10000, v69
	v_cmp_eq_u32_sdwa vcc, v69, v3 src0_sel:WORD_0 src1_sel:DWORD
	s_nop 1
	v_cndmask_b32_e32 v68, v68, v69, vcc
; %bb.2807:                             ;   in Loop: Header=BB35_2707 Depth=3
	s_or_b64 exec, exec, s[40:41]
	v_and_b32_e32 v52, 0xffff0000, v52
	v_and_b32_e32 v64, 0xffff0000, v64
	v_max_f32_e32 v64, v64, v64
	v_max_f32_e32 v52, v52, v52
	v_min_f32_e32 v69, v52, v64
	v_max_f32_e32 v52, v52, v64
	v_cndmask_b32_e64 v64, v52, v69, s[24:25]
	v_and_b32_e32 v52, 0x7f800000, v64
	v_cmp_ne_u32_e32 vcc, s51, v52
                                        ; implicit-def: $vgpr52
	s_and_saveexec_b64 s[40:41], vcc
	s_xor_b64 s[40:41], exec, s[40:41]
; %bb.2808:                             ;   in Loop: Header=BB35_2707 Depth=3
	v_bfe_u32 v52, v64, 16, 1
	v_add3_u32 v52, v64, v52, s72
                                        ; implicit-def: $vgpr64
; %bb.2809:                             ;   in Loop: Header=BB35_2707 Depth=3
	s_andn2_saveexec_b64 s[40:41], s[40:41]
; %bb.2810:                             ;   in Loop: Header=BB35_2707 Depth=3
	v_or_b32_e32 v52, 0x10000, v64
	v_cmp_eq_u32_sdwa vcc, v64, v3 src0_sel:WORD_0 src1_sel:DWORD
	s_nop 1
	v_cndmask_b32_e32 v52, v52, v64, vcc
; %bb.2811:                             ;   in Loop: Header=BB35_2707 Depth=3
	s_or_b64 exec, exec, s[40:41]
	v_lshlrev_b32_e32 v64, 16, v53
	v_lshlrev_b32_e32 v69, 16, v65
	v_max_f32_e32 v69, v69, v69
	v_max_f32_e32 v64, v64, v64
	v_min_f32_e32 v70, v64, v69
	v_max_f32_e32 v64, v64, v69
	v_cndmask_b32_e64 v69, v64, v70, s[24:25]
	v_and_b32_e32 v64, 0x7f800000, v69
	v_cmp_ne_u32_e32 vcc, s51, v64
                                        ; implicit-def: $vgpr64
	s_and_saveexec_b64 s[40:41], vcc
	s_xor_b64 s[40:41], exec, s[40:41]
; %bb.2812:                             ;   in Loop: Header=BB35_2707 Depth=3
	v_bfe_u32 v64, v69, 16, 1
	v_add3_u32 v64, v69, v64, s72
                                        ; implicit-def: $vgpr69
; %bb.2813:                             ;   in Loop: Header=BB35_2707 Depth=3
	s_andn2_saveexec_b64 s[40:41], s[40:41]
; %bb.2814:                             ;   in Loop: Header=BB35_2707 Depth=3
	v_or_b32_e32 v64, 0x10000, v69
	v_cmp_eq_u32_sdwa vcc, v69, v3 src0_sel:WORD_0 src1_sel:DWORD
	s_nop 1
	v_cndmask_b32_e32 v64, v64, v69, vcc
; %bb.2815:                             ;   in Loop: Header=BB35_2707 Depth=3
	s_or_b64 exec, exec, s[40:41]
	v_and_b32_e32 v53, 0xffff0000, v53
	v_and_b32_e32 v65, 0xffff0000, v65
	v_max_f32_e32 v65, v65, v65
	v_max_f32_e32 v53, v53, v53
	v_min_f32_e32 v69, v53, v65
	v_max_f32_e32 v53, v53, v65
	v_cndmask_b32_e64 v65, v53, v69, s[24:25]
	v_and_b32_e32 v53, 0x7f800000, v65
	v_cmp_ne_u32_e32 vcc, s51, v53
                                        ; implicit-def: $vgpr53
	s_and_saveexec_b64 s[40:41], vcc
	s_xor_b64 s[40:41], exec, s[40:41]
; %bb.2816:                             ;   in Loop: Header=BB35_2707 Depth=3
	v_bfe_u32 v53, v65, 16, 1
	v_add3_u32 v53, v65, v53, s72
                                        ; implicit-def: $vgpr65
; %bb.2817:                             ;   in Loop: Header=BB35_2707 Depth=3
	s_andn2_saveexec_b64 s[40:41], s[40:41]
; %bb.2818:                             ;   in Loop: Header=BB35_2707 Depth=3
	v_or_b32_e32 v53, 0x10000, v65
	v_cmp_eq_u32_sdwa vcc, v65, v3 src0_sel:WORD_0 src1_sel:DWORD
	s_nop 1
	v_cndmask_b32_e32 v53, v53, v65, vcc
; %bb.2819:                             ;   in Loop: Header=BB35_2707 Depth=3
	s_or_b64 exec, exec, s[40:41]
	v_lshlrev_b32_e32 v65, 16, v54
	v_lshlrev_b32_e32 v69, 16, v66
	v_max_f32_e32 v69, v69, v69
	v_max_f32_e32 v65, v65, v65
	v_min_f32_e32 v70, v65, v69
	v_max_f32_e32 v65, v65, v69
	v_cndmask_b32_e64 v69, v65, v70, s[24:25]
	v_and_b32_e32 v65, 0x7f800000, v69
	v_cmp_ne_u32_e32 vcc, s51, v65
                                        ; implicit-def: $vgpr65
	s_and_saveexec_b64 s[40:41], vcc
	s_xor_b64 s[40:41], exec, s[40:41]
; %bb.2820:                             ;   in Loop: Header=BB35_2707 Depth=3
	v_bfe_u32 v65, v69, 16, 1
	v_add3_u32 v65, v69, v65, s72
                                        ; implicit-def: $vgpr69
; %bb.2821:                             ;   in Loop: Header=BB35_2707 Depth=3
	s_andn2_saveexec_b64 s[40:41], s[40:41]
; %bb.2822:                             ;   in Loop: Header=BB35_2707 Depth=3
	v_or_b32_e32 v65, 0x10000, v69
	v_cmp_eq_u32_sdwa vcc, v69, v3 src0_sel:WORD_0 src1_sel:DWORD
	s_nop 1
	v_cndmask_b32_e32 v65, v65, v69, vcc
; %bb.2823:                             ;   in Loop: Header=BB35_2707 Depth=3
	s_or_b64 exec, exec, s[40:41]
	v_and_b32_e32 v54, 0xffff0000, v54
	v_and_b32_e32 v66, 0xffff0000, v66
	v_max_f32_e32 v66, v66, v66
	v_max_f32_e32 v54, v54, v54
	v_min_f32_e32 v69, v54, v66
	v_max_f32_e32 v54, v54, v66
	v_cndmask_b32_e64 v66, v54, v69, s[24:25]
	v_and_b32_e32 v54, 0x7f800000, v66
	v_cmp_ne_u32_e32 vcc, s51, v54
                                        ; implicit-def: $vgpr54
	s_and_saveexec_b64 s[40:41], vcc
	s_xor_b64 s[40:41], exec, s[40:41]
; %bb.2824:                             ;   in Loop: Header=BB35_2707 Depth=3
	v_bfe_u32 v54, v66, 16, 1
	v_add3_u32 v54, v66, v54, s72
                                        ; implicit-def: $vgpr66
; %bb.2825:                             ;   in Loop: Header=BB35_2707 Depth=3
	s_andn2_saveexec_b64 s[40:41], s[40:41]
; %bb.2826:                             ;   in Loop: Header=BB35_2707 Depth=3
	v_or_b32_e32 v54, 0x10000, v66
	v_cmp_eq_u32_sdwa vcc, v66, v3 src0_sel:WORD_0 src1_sel:DWORD
	s_nop 1
	v_cndmask_b32_e32 v54, v54, v66, vcc
; %bb.2827:                             ;   in Loop: Header=BB35_2707 Depth=3
	s_or_b64 exec, exec, s[40:41]
	v_lshlrev_b32_e32 v66, 16, v55
	v_lshlrev_b32_e32 v69, 16, v67
	v_max_f32_e32 v69, v69, v69
	v_max_f32_e32 v66, v66, v66
	v_min_f32_e32 v70, v66, v69
	v_max_f32_e32 v66, v66, v69
	v_cndmask_b32_e64 v69, v66, v70, s[24:25]
	v_and_b32_e32 v66, 0x7f800000, v69
	v_cmp_ne_u32_e32 vcc, s51, v66
                                        ; implicit-def: $vgpr66
	s_and_saveexec_b64 s[40:41], vcc
	s_xor_b64 s[40:41], exec, s[40:41]
; %bb.2828:                             ;   in Loop: Header=BB35_2707 Depth=3
	v_bfe_u32 v66, v69, 16, 1
	v_add3_u32 v66, v69, v66, s72
                                        ; implicit-def: $vgpr69
; %bb.2829:                             ;   in Loop: Header=BB35_2707 Depth=3
	s_andn2_saveexec_b64 s[40:41], s[40:41]
; %bb.2830:                             ;   in Loop: Header=BB35_2707 Depth=3
	v_or_b32_e32 v66, 0x10000, v69
	v_cmp_eq_u32_sdwa vcc, v69, v3 src0_sel:WORD_0 src1_sel:DWORD
	s_nop 1
	v_cndmask_b32_e32 v66, v66, v69, vcc
; %bb.2831:                             ;   in Loop: Header=BB35_2707 Depth=3
	s_or_b64 exec, exec, s[40:41]
	v_and_b32_e32 v55, 0xffff0000, v55
	v_and_b32_e32 v67, 0xffff0000, v67
	v_max_f32_e32 v67, v67, v67
	v_max_f32_e32 v55, v55, v55
	v_min_f32_e32 v69, v55, v67
	v_max_f32_e32 v55, v55, v67
	v_cndmask_b32_e64 v67, v55, v69, s[24:25]
	v_and_b32_e32 v55, 0x7f800000, v67
	v_cmp_ne_u32_e32 vcc, s51, v55
                                        ; implicit-def: $vgpr55
	s_and_saveexec_b64 s[40:41], vcc
	s_xor_b64 s[40:41], exec, s[40:41]
; %bb.2832:                             ;   in Loop: Header=BB35_2707 Depth=3
	v_bfe_u32 v55, v67, 16, 1
	v_add3_u32 v55, v67, v55, s72
                                        ; implicit-def: $vgpr67
; %bb.2833:                             ;   in Loop: Header=BB35_2707 Depth=3
	s_andn2_saveexec_b64 s[40:41], s[40:41]
; %bb.2834:                             ;   in Loop: Header=BB35_2707 Depth=3
	v_or_b32_e32 v55, 0x10000, v67
	v_cmp_eq_u32_sdwa vcc, v67, v3 src0_sel:WORD_0 src1_sel:DWORD
	s_nop 1
	v_cndmask_b32_e32 v55, v55, v67, vcc
; %bb.2835:                             ;   in Loop: Header=BB35_2707 Depth=3
	s_or_b64 exec, exec, s[40:41]
	v_lshrrev_b32_e32 v64, 16, v64
	v_and_or_b32 v53, v53, s73, v64
	v_lshrrev_b32_e32 v64, 16, v68
	v_and_or_b32 v52, v52, s73, v64
	;; [unrolled: 2-line block ×4, first 2 shown]
	global_store_dwordx4 v[100:101], v[52:55], off offset:-4096
	s_waitcnt vmcnt(11)
	s_nop 0
	v_lshlrev_b32_e32 v52, 16, v36
	s_waitcnt vmcnt(10)
	v_lshlrev_b32_e32 v53, 16, v48
	v_max_f32_e32 v53, v53, v53
	v_max_f32_e32 v52, v52, v52
	v_min_f32_e32 v54, v52, v53
	v_max_f32_e32 v52, v52, v53
	v_cndmask_b32_e64 v53, v52, v54, s[24:25]
	v_and_b32_e32 v52, 0x7f800000, v53
	v_cmp_ne_u32_e32 vcc, s51, v52
                                        ; implicit-def: $vgpr52
	s_and_saveexec_b64 s[40:41], vcc
	s_xor_b64 s[40:41], exec, s[40:41]
; %bb.2836:                             ;   in Loop: Header=BB35_2707 Depth=3
	v_bfe_u32 v52, v53, 16, 1
	v_add3_u32 v52, v53, v52, s72
                                        ; implicit-def: $vgpr53
; %bb.2837:                             ;   in Loop: Header=BB35_2707 Depth=3
	s_andn2_saveexec_b64 s[40:41], s[40:41]
; %bb.2838:                             ;   in Loop: Header=BB35_2707 Depth=3
	v_or_b32_e32 v52, 0x10000, v53
	v_cmp_eq_u32_sdwa vcc, v53, v3 src0_sel:WORD_0 src1_sel:DWORD
	s_nop 1
	v_cndmask_b32_e32 v52, v52, v53, vcc
; %bb.2839:                             ;   in Loop: Header=BB35_2707 Depth=3
	s_or_b64 exec, exec, s[40:41]
	v_and_b32_e32 v36, 0xffff0000, v36
	v_and_b32_e32 v48, 0xffff0000, v48
	v_max_f32_e32 v48, v48, v48
	v_max_f32_e32 v36, v36, v36
	v_min_f32_e32 v53, v36, v48
	v_max_f32_e32 v36, v36, v48
	v_cndmask_b32_e64 v48, v36, v53, s[24:25]
	v_and_b32_e32 v36, 0x7f800000, v48
	v_cmp_ne_u32_e32 vcc, s51, v36
                                        ; implicit-def: $vgpr36
	s_and_saveexec_b64 s[40:41], vcc
	s_xor_b64 s[40:41], exec, s[40:41]
; %bb.2840:                             ;   in Loop: Header=BB35_2707 Depth=3
	v_bfe_u32 v36, v48, 16, 1
	v_add3_u32 v36, v48, v36, s72
                                        ; implicit-def: $vgpr48
; %bb.2841:                             ;   in Loop: Header=BB35_2707 Depth=3
	s_andn2_saveexec_b64 s[40:41], s[40:41]
; %bb.2842:                             ;   in Loop: Header=BB35_2707 Depth=3
	v_or_b32_e32 v36, 0x10000, v48
	v_cmp_eq_u32_sdwa vcc, v48, v3 src0_sel:WORD_0 src1_sel:DWORD
	s_nop 1
	v_cndmask_b32_e32 v36, v36, v48, vcc
; %bb.2843:                             ;   in Loop: Header=BB35_2707 Depth=3
	s_or_b64 exec, exec, s[40:41]
	v_lshlrev_b32_e32 v48, 16, v37
	v_lshlrev_b32_e32 v53, 16, v49
	v_max_f32_e32 v53, v53, v53
	v_max_f32_e32 v48, v48, v48
	v_min_f32_e32 v54, v48, v53
	v_max_f32_e32 v48, v48, v53
	v_cndmask_b32_e64 v53, v48, v54, s[24:25]
	v_and_b32_e32 v48, 0x7f800000, v53
	v_cmp_ne_u32_e32 vcc, s51, v48
                                        ; implicit-def: $vgpr48
	s_and_saveexec_b64 s[40:41], vcc
	s_xor_b64 s[40:41], exec, s[40:41]
; %bb.2844:                             ;   in Loop: Header=BB35_2707 Depth=3
	v_bfe_u32 v48, v53, 16, 1
	v_add3_u32 v48, v53, v48, s72
                                        ; implicit-def: $vgpr53
; %bb.2845:                             ;   in Loop: Header=BB35_2707 Depth=3
	s_andn2_saveexec_b64 s[40:41], s[40:41]
; %bb.2846:                             ;   in Loop: Header=BB35_2707 Depth=3
	v_or_b32_e32 v48, 0x10000, v53
	v_cmp_eq_u32_sdwa vcc, v53, v3 src0_sel:WORD_0 src1_sel:DWORD
	s_nop 1
	v_cndmask_b32_e32 v48, v48, v53, vcc
; %bb.2847:                             ;   in Loop: Header=BB35_2707 Depth=3
	s_or_b64 exec, exec, s[40:41]
	v_and_b32_e32 v37, 0xffff0000, v37
	v_and_b32_e32 v49, 0xffff0000, v49
	v_max_f32_e32 v49, v49, v49
	v_max_f32_e32 v37, v37, v37
	v_min_f32_e32 v53, v37, v49
	v_max_f32_e32 v37, v37, v49
	v_cndmask_b32_e64 v49, v37, v53, s[24:25]
	v_and_b32_e32 v37, 0x7f800000, v49
	v_cmp_ne_u32_e32 vcc, s51, v37
                                        ; implicit-def: $vgpr37
	s_and_saveexec_b64 s[40:41], vcc
	s_xor_b64 s[40:41], exec, s[40:41]
; %bb.2848:                             ;   in Loop: Header=BB35_2707 Depth=3
	v_bfe_u32 v37, v49, 16, 1
	v_add3_u32 v37, v49, v37, s72
                                        ; implicit-def: $vgpr49
; %bb.2849:                             ;   in Loop: Header=BB35_2707 Depth=3
	s_andn2_saveexec_b64 s[40:41], s[40:41]
; %bb.2850:                             ;   in Loop: Header=BB35_2707 Depth=3
	v_or_b32_e32 v37, 0x10000, v49
	v_cmp_eq_u32_sdwa vcc, v49, v3 src0_sel:WORD_0 src1_sel:DWORD
	s_nop 1
	v_cndmask_b32_e32 v37, v37, v49, vcc
; %bb.2851:                             ;   in Loop: Header=BB35_2707 Depth=3
	s_or_b64 exec, exec, s[40:41]
	v_lshlrev_b32_e32 v49, 16, v38
	v_lshlrev_b32_e32 v53, 16, v50
	v_max_f32_e32 v53, v53, v53
	v_max_f32_e32 v49, v49, v49
	v_min_f32_e32 v54, v49, v53
	v_max_f32_e32 v49, v49, v53
	v_cndmask_b32_e64 v53, v49, v54, s[24:25]
	v_and_b32_e32 v49, 0x7f800000, v53
	v_cmp_ne_u32_e32 vcc, s51, v49
                                        ; implicit-def: $vgpr49
	s_and_saveexec_b64 s[40:41], vcc
	s_xor_b64 s[40:41], exec, s[40:41]
; %bb.2852:                             ;   in Loop: Header=BB35_2707 Depth=3
	v_bfe_u32 v49, v53, 16, 1
	v_add3_u32 v49, v53, v49, s72
                                        ; implicit-def: $vgpr53
; %bb.2853:                             ;   in Loop: Header=BB35_2707 Depth=3
	s_andn2_saveexec_b64 s[40:41], s[40:41]
; %bb.2854:                             ;   in Loop: Header=BB35_2707 Depth=3
	v_or_b32_e32 v49, 0x10000, v53
	v_cmp_eq_u32_sdwa vcc, v53, v3 src0_sel:WORD_0 src1_sel:DWORD
	s_nop 1
	v_cndmask_b32_e32 v49, v49, v53, vcc
; %bb.2855:                             ;   in Loop: Header=BB35_2707 Depth=3
	s_or_b64 exec, exec, s[40:41]
	v_and_b32_e32 v38, 0xffff0000, v38
	v_and_b32_e32 v50, 0xffff0000, v50
	v_max_f32_e32 v50, v50, v50
	v_max_f32_e32 v38, v38, v38
	v_min_f32_e32 v53, v38, v50
	v_max_f32_e32 v38, v38, v50
	v_cndmask_b32_e64 v50, v38, v53, s[24:25]
	v_and_b32_e32 v38, 0x7f800000, v50
	v_cmp_ne_u32_e32 vcc, s51, v38
                                        ; implicit-def: $vgpr38
	s_and_saveexec_b64 s[40:41], vcc
	s_xor_b64 s[40:41], exec, s[40:41]
; %bb.2856:                             ;   in Loop: Header=BB35_2707 Depth=3
	v_bfe_u32 v38, v50, 16, 1
	v_add3_u32 v38, v50, v38, s72
                                        ; implicit-def: $vgpr50
; %bb.2857:                             ;   in Loop: Header=BB35_2707 Depth=3
	s_andn2_saveexec_b64 s[40:41], s[40:41]
; %bb.2858:                             ;   in Loop: Header=BB35_2707 Depth=3
	v_or_b32_e32 v38, 0x10000, v50
	v_cmp_eq_u32_sdwa vcc, v50, v3 src0_sel:WORD_0 src1_sel:DWORD
	s_nop 1
	v_cndmask_b32_e32 v38, v38, v50, vcc
; %bb.2859:                             ;   in Loop: Header=BB35_2707 Depth=3
	s_or_b64 exec, exec, s[40:41]
	v_lshlrev_b32_e32 v50, 16, v39
	v_lshlrev_b32_e32 v53, 16, v51
	v_max_f32_e32 v53, v53, v53
	v_max_f32_e32 v50, v50, v50
	v_min_f32_e32 v54, v50, v53
	v_max_f32_e32 v50, v50, v53
	v_cndmask_b32_e64 v53, v50, v54, s[24:25]
	v_and_b32_e32 v50, 0x7f800000, v53
	v_cmp_ne_u32_e32 vcc, s51, v50
                                        ; implicit-def: $vgpr50
	s_and_saveexec_b64 s[40:41], vcc
	s_xor_b64 s[40:41], exec, s[40:41]
; %bb.2860:                             ;   in Loop: Header=BB35_2707 Depth=3
	v_bfe_u32 v50, v53, 16, 1
	v_add3_u32 v50, v53, v50, s72
                                        ; implicit-def: $vgpr53
; %bb.2861:                             ;   in Loop: Header=BB35_2707 Depth=3
	s_andn2_saveexec_b64 s[40:41], s[40:41]
; %bb.2862:                             ;   in Loop: Header=BB35_2707 Depth=3
	v_or_b32_e32 v50, 0x10000, v53
	v_cmp_eq_u32_sdwa vcc, v53, v3 src0_sel:WORD_0 src1_sel:DWORD
	s_nop 1
	v_cndmask_b32_e32 v50, v50, v53, vcc
; %bb.2863:                             ;   in Loop: Header=BB35_2707 Depth=3
	s_or_b64 exec, exec, s[40:41]
	v_and_b32_e32 v39, 0xffff0000, v39
	v_and_b32_e32 v51, 0xffff0000, v51
	v_max_f32_e32 v51, v51, v51
	v_max_f32_e32 v39, v39, v39
	v_min_f32_e32 v53, v39, v51
	v_max_f32_e32 v39, v39, v51
	v_cndmask_b32_e64 v51, v39, v53, s[24:25]
	v_and_b32_e32 v39, 0x7f800000, v51
	v_cmp_ne_u32_e32 vcc, s51, v39
                                        ; implicit-def: $vgpr39
	s_and_saveexec_b64 s[40:41], vcc
	s_xor_b64 s[40:41], exec, s[40:41]
; %bb.2864:                             ;   in Loop: Header=BB35_2707 Depth=3
	v_bfe_u32 v39, v51, 16, 1
	v_add3_u32 v39, v51, v39, s72
                                        ; implicit-def: $vgpr51
; %bb.2865:                             ;   in Loop: Header=BB35_2707 Depth=3
	s_andn2_saveexec_b64 s[40:41], s[40:41]
; %bb.2866:                             ;   in Loop: Header=BB35_2707 Depth=3
	v_or_b32_e32 v39, 0x10000, v51
	v_cmp_eq_u32_sdwa vcc, v51, v3 src0_sel:WORD_0 src1_sel:DWORD
	s_nop 1
	v_cndmask_b32_e32 v39, v39, v51, vcc
; %bb.2867:                             ;   in Loop: Header=BB35_2707 Depth=3
	s_or_b64 exec, exec, s[40:41]
	v_lshrrev_b32_e32 v48, 16, v48
	v_and_or_b32 v37, v37, s73, v48
	v_lshrrev_b32_e32 v48, 16, v52
	v_and_or_b32 v36, v36, s73, v48
	;; [unrolled: 2-line block ×4, first 2 shown]
	global_store_dwordx4 v[100:101], v[36:39], off offset:-3072
	s_waitcnt vmcnt(10)
	s_nop 0
	v_lshlrev_b32_e32 v36, 16, v24
	s_waitcnt vmcnt(9)
	v_lshlrev_b32_e32 v37, 16, v32
	v_max_f32_e32 v37, v37, v37
	v_max_f32_e32 v36, v36, v36
	v_min_f32_e32 v38, v36, v37
	v_max_f32_e32 v36, v36, v37
	v_cndmask_b32_e64 v37, v36, v38, s[24:25]
	v_and_b32_e32 v36, 0x7f800000, v37
	v_cmp_ne_u32_e32 vcc, s51, v36
                                        ; implicit-def: $vgpr36
	s_and_saveexec_b64 s[40:41], vcc
	s_xor_b64 s[40:41], exec, s[40:41]
; %bb.2868:                             ;   in Loop: Header=BB35_2707 Depth=3
	v_bfe_u32 v36, v37, 16, 1
	v_add3_u32 v36, v37, v36, s72
                                        ; implicit-def: $vgpr37
; %bb.2869:                             ;   in Loop: Header=BB35_2707 Depth=3
	s_andn2_saveexec_b64 s[40:41], s[40:41]
; %bb.2870:                             ;   in Loop: Header=BB35_2707 Depth=3
	v_or_b32_e32 v36, 0x10000, v37
	v_cmp_eq_u32_sdwa vcc, v37, v3 src0_sel:WORD_0 src1_sel:DWORD
	s_nop 1
	v_cndmask_b32_e32 v36, v36, v37, vcc
; %bb.2871:                             ;   in Loop: Header=BB35_2707 Depth=3
	s_or_b64 exec, exec, s[40:41]
	v_and_b32_e32 v24, 0xffff0000, v24
	v_and_b32_e32 v32, 0xffff0000, v32
	v_max_f32_e32 v32, v32, v32
	v_max_f32_e32 v24, v24, v24
	v_min_f32_e32 v37, v24, v32
	v_max_f32_e32 v24, v24, v32
	v_cndmask_b32_e64 v32, v24, v37, s[24:25]
	v_and_b32_e32 v24, 0x7f800000, v32
	v_cmp_ne_u32_e32 vcc, s51, v24
                                        ; implicit-def: $vgpr24
	s_and_saveexec_b64 s[40:41], vcc
	s_xor_b64 s[40:41], exec, s[40:41]
; %bb.2872:                             ;   in Loop: Header=BB35_2707 Depth=3
	v_bfe_u32 v24, v32, 16, 1
	v_add3_u32 v24, v32, v24, s72
                                        ; implicit-def: $vgpr32
; %bb.2873:                             ;   in Loop: Header=BB35_2707 Depth=3
	s_andn2_saveexec_b64 s[40:41], s[40:41]
; %bb.2874:                             ;   in Loop: Header=BB35_2707 Depth=3
	v_or_b32_e32 v24, 0x10000, v32
	v_cmp_eq_u32_sdwa vcc, v32, v3 src0_sel:WORD_0 src1_sel:DWORD
	s_nop 1
	v_cndmask_b32_e32 v24, v24, v32, vcc
; %bb.2875:                             ;   in Loop: Header=BB35_2707 Depth=3
	s_or_b64 exec, exec, s[40:41]
	v_lshlrev_b32_e32 v32, 16, v25
	v_lshlrev_b32_e32 v37, 16, v33
	v_max_f32_e32 v37, v37, v37
	v_max_f32_e32 v32, v32, v32
	v_min_f32_e32 v38, v32, v37
	v_max_f32_e32 v32, v32, v37
	v_cndmask_b32_e64 v37, v32, v38, s[24:25]
	v_and_b32_e32 v32, 0x7f800000, v37
	v_cmp_ne_u32_e32 vcc, s51, v32
                                        ; implicit-def: $vgpr32
	s_and_saveexec_b64 s[40:41], vcc
	s_xor_b64 s[40:41], exec, s[40:41]
; %bb.2876:                             ;   in Loop: Header=BB35_2707 Depth=3
	v_bfe_u32 v32, v37, 16, 1
	v_add3_u32 v32, v37, v32, s72
                                        ; implicit-def: $vgpr37
; %bb.2877:                             ;   in Loop: Header=BB35_2707 Depth=3
	s_andn2_saveexec_b64 s[40:41], s[40:41]
; %bb.2878:                             ;   in Loop: Header=BB35_2707 Depth=3
	v_or_b32_e32 v32, 0x10000, v37
	v_cmp_eq_u32_sdwa vcc, v37, v3 src0_sel:WORD_0 src1_sel:DWORD
	s_nop 1
	v_cndmask_b32_e32 v32, v32, v37, vcc
; %bb.2879:                             ;   in Loop: Header=BB35_2707 Depth=3
	s_or_b64 exec, exec, s[40:41]
	v_and_b32_e32 v25, 0xffff0000, v25
	v_and_b32_e32 v33, 0xffff0000, v33
	v_max_f32_e32 v33, v33, v33
	v_max_f32_e32 v25, v25, v25
	v_min_f32_e32 v37, v25, v33
	v_max_f32_e32 v25, v25, v33
	v_cndmask_b32_e64 v33, v25, v37, s[24:25]
	v_and_b32_e32 v25, 0x7f800000, v33
	v_cmp_ne_u32_e32 vcc, s51, v25
                                        ; implicit-def: $vgpr25
	s_and_saveexec_b64 s[40:41], vcc
	s_xor_b64 s[40:41], exec, s[40:41]
; %bb.2880:                             ;   in Loop: Header=BB35_2707 Depth=3
	v_bfe_u32 v25, v33, 16, 1
	v_add3_u32 v25, v33, v25, s72
                                        ; implicit-def: $vgpr33
; %bb.2881:                             ;   in Loop: Header=BB35_2707 Depth=3
	s_andn2_saveexec_b64 s[40:41], s[40:41]
; %bb.2882:                             ;   in Loop: Header=BB35_2707 Depth=3
	v_or_b32_e32 v25, 0x10000, v33
	v_cmp_eq_u32_sdwa vcc, v33, v3 src0_sel:WORD_0 src1_sel:DWORD
	s_nop 1
	v_cndmask_b32_e32 v25, v25, v33, vcc
; %bb.2883:                             ;   in Loop: Header=BB35_2707 Depth=3
	s_or_b64 exec, exec, s[40:41]
	v_lshlrev_b32_e32 v33, 16, v26
	v_lshlrev_b32_e32 v37, 16, v34
	v_max_f32_e32 v37, v37, v37
	v_max_f32_e32 v33, v33, v33
	v_min_f32_e32 v38, v33, v37
	v_max_f32_e32 v33, v33, v37
	v_cndmask_b32_e64 v37, v33, v38, s[24:25]
	v_and_b32_e32 v33, 0x7f800000, v37
	v_cmp_ne_u32_e32 vcc, s51, v33
                                        ; implicit-def: $vgpr33
	s_and_saveexec_b64 s[40:41], vcc
	s_xor_b64 s[40:41], exec, s[40:41]
; %bb.2884:                             ;   in Loop: Header=BB35_2707 Depth=3
	v_bfe_u32 v33, v37, 16, 1
	v_add3_u32 v33, v37, v33, s72
                                        ; implicit-def: $vgpr37
; %bb.2885:                             ;   in Loop: Header=BB35_2707 Depth=3
	s_andn2_saveexec_b64 s[40:41], s[40:41]
; %bb.2886:                             ;   in Loop: Header=BB35_2707 Depth=3
	v_or_b32_e32 v33, 0x10000, v37
	v_cmp_eq_u32_sdwa vcc, v37, v3 src0_sel:WORD_0 src1_sel:DWORD
	s_nop 1
	v_cndmask_b32_e32 v33, v33, v37, vcc
; %bb.2887:                             ;   in Loop: Header=BB35_2707 Depth=3
	s_or_b64 exec, exec, s[40:41]
	v_and_b32_e32 v26, 0xffff0000, v26
	v_and_b32_e32 v34, 0xffff0000, v34
	v_max_f32_e32 v34, v34, v34
	v_max_f32_e32 v26, v26, v26
	v_min_f32_e32 v37, v26, v34
	v_max_f32_e32 v26, v26, v34
	v_cndmask_b32_e64 v34, v26, v37, s[24:25]
	v_and_b32_e32 v26, 0x7f800000, v34
	v_cmp_ne_u32_e32 vcc, s51, v26
                                        ; implicit-def: $vgpr26
	s_and_saveexec_b64 s[40:41], vcc
	s_xor_b64 s[40:41], exec, s[40:41]
; %bb.2888:                             ;   in Loop: Header=BB35_2707 Depth=3
	v_bfe_u32 v26, v34, 16, 1
	v_add3_u32 v26, v34, v26, s72
                                        ; implicit-def: $vgpr34
; %bb.2889:                             ;   in Loop: Header=BB35_2707 Depth=3
	s_andn2_saveexec_b64 s[40:41], s[40:41]
; %bb.2890:                             ;   in Loop: Header=BB35_2707 Depth=3
	v_or_b32_e32 v26, 0x10000, v34
	v_cmp_eq_u32_sdwa vcc, v34, v3 src0_sel:WORD_0 src1_sel:DWORD
	s_nop 1
	v_cndmask_b32_e32 v26, v26, v34, vcc
; %bb.2891:                             ;   in Loop: Header=BB35_2707 Depth=3
	s_or_b64 exec, exec, s[40:41]
	v_lshlrev_b32_e32 v34, 16, v27
	v_lshlrev_b32_e32 v37, 16, v35
	v_max_f32_e32 v37, v37, v37
	v_max_f32_e32 v34, v34, v34
	v_min_f32_e32 v38, v34, v37
	v_max_f32_e32 v34, v34, v37
	v_cndmask_b32_e64 v37, v34, v38, s[24:25]
	v_and_b32_e32 v34, 0x7f800000, v37
	v_cmp_ne_u32_e32 vcc, s51, v34
                                        ; implicit-def: $vgpr34
	s_and_saveexec_b64 s[40:41], vcc
	s_xor_b64 s[40:41], exec, s[40:41]
; %bb.2892:                             ;   in Loop: Header=BB35_2707 Depth=3
	v_bfe_u32 v34, v37, 16, 1
	v_add3_u32 v34, v37, v34, s72
                                        ; implicit-def: $vgpr37
; %bb.2893:                             ;   in Loop: Header=BB35_2707 Depth=3
	s_andn2_saveexec_b64 s[40:41], s[40:41]
; %bb.2894:                             ;   in Loop: Header=BB35_2707 Depth=3
	v_or_b32_e32 v34, 0x10000, v37
	v_cmp_eq_u32_sdwa vcc, v37, v3 src0_sel:WORD_0 src1_sel:DWORD
	s_nop 1
	v_cndmask_b32_e32 v34, v34, v37, vcc
; %bb.2895:                             ;   in Loop: Header=BB35_2707 Depth=3
	s_or_b64 exec, exec, s[40:41]
	v_and_b32_e32 v27, 0xffff0000, v27
	v_and_b32_e32 v35, 0xffff0000, v35
	v_max_f32_e32 v35, v35, v35
	v_max_f32_e32 v27, v27, v27
	v_min_f32_e32 v37, v27, v35
	v_max_f32_e32 v27, v27, v35
	v_cndmask_b32_e64 v35, v27, v37, s[24:25]
	v_and_b32_e32 v27, 0x7f800000, v35
	v_cmp_ne_u32_e32 vcc, s51, v27
                                        ; implicit-def: $vgpr27
	s_and_saveexec_b64 s[40:41], vcc
	s_xor_b64 s[40:41], exec, s[40:41]
; %bb.2896:                             ;   in Loop: Header=BB35_2707 Depth=3
	v_bfe_u32 v27, v35, 16, 1
	v_add3_u32 v27, v35, v27, s72
                                        ; implicit-def: $vgpr35
; %bb.2897:                             ;   in Loop: Header=BB35_2707 Depth=3
	s_andn2_saveexec_b64 s[40:41], s[40:41]
; %bb.2898:                             ;   in Loop: Header=BB35_2707 Depth=3
	v_or_b32_e32 v27, 0x10000, v35
	v_cmp_eq_u32_sdwa vcc, v35, v3 src0_sel:WORD_0 src1_sel:DWORD
	s_nop 1
	v_cndmask_b32_e32 v27, v27, v35, vcc
; %bb.2899:                             ;   in Loop: Header=BB35_2707 Depth=3
	s_or_b64 exec, exec, s[40:41]
	v_lshrrev_b32_e32 v32, 16, v32
	v_and_or_b32 v25, v25, s73, v32
	v_lshrrev_b32_e32 v32, 16, v36
	v_and_or_b32 v24, v24, s73, v32
	v_lshrrev_b32_e32 v32, 16, v33
	v_and_or_b32 v26, v26, s73, v32
	v_lshrrev_b32_e32 v32, 16, v34
	v_and_or_b32 v27, v27, s73, v32
	global_store_dwordx4 v[100:101], v[24:27], off offset:-2048
	s_waitcnt vmcnt(9)
	s_nop 0
	v_lshlrev_b32_e32 v24, 16, v16
	s_waitcnt vmcnt(8)
	v_lshlrev_b32_e32 v25, 16, v20
	v_max_f32_e32 v25, v25, v25
	v_max_f32_e32 v24, v24, v24
	v_min_f32_e32 v26, v24, v25
	v_max_f32_e32 v24, v24, v25
	v_cndmask_b32_e64 v25, v24, v26, s[24:25]
	v_and_b32_e32 v24, 0x7f800000, v25
	v_cmp_ne_u32_e32 vcc, s51, v24
                                        ; implicit-def: $vgpr24
	s_and_saveexec_b64 s[40:41], vcc
	s_xor_b64 s[40:41], exec, s[40:41]
; %bb.2900:                             ;   in Loop: Header=BB35_2707 Depth=3
	v_bfe_u32 v24, v25, 16, 1
	v_add3_u32 v24, v25, v24, s72
                                        ; implicit-def: $vgpr25
; %bb.2901:                             ;   in Loop: Header=BB35_2707 Depth=3
	s_andn2_saveexec_b64 s[40:41], s[40:41]
; %bb.2902:                             ;   in Loop: Header=BB35_2707 Depth=3
	v_or_b32_e32 v24, 0x10000, v25
	v_cmp_eq_u32_sdwa vcc, v25, v3 src0_sel:WORD_0 src1_sel:DWORD
	s_nop 1
	v_cndmask_b32_e32 v24, v24, v25, vcc
; %bb.2903:                             ;   in Loop: Header=BB35_2707 Depth=3
	s_or_b64 exec, exec, s[40:41]
	v_and_b32_e32 v16, 0xffff0000, v16
	v_and_b32_e32 v20, 0xffff0000, v20
	v_max_f32_e32 v20, v20, v20
	v_max_f32_e32 v16, v16, v16
	v_min_f32_e32 v25, v16, v20
	v_max_f32_e32 v16, v16, v20
	v_cndmask_b32_e64 v20, v16, v25, s[24:25]
	v_and_b32_e32 v16, 0x7f800000, v20
	v_cmp_ne_u32_e32 vcc, s51, v16
                                        ; implicit-def: $vgpr16
	s_and_saveexec_b64 s[40:41], vcc
	s_xor_b64 s[40:41], exec, s[40:41]
; %bb.2904:                             ;   in Loop: Header=BB35_2707 Depth=3
	v_bfe_u32 v16, v20, 16, 1
	v_add3_u32 v16, v20, v16, s72
                                        ; implicit-def: $vgpr20
; %bb.2905:                             ;   in Loop: Header=BB35_2707 Depth=3
	s_andn2_saveexec_b64 s[40:41], s[40:41]
; %bb.2906:                             ;   in Loop: Header=BB35_2707 Depth=3
	v_or_b32_e32 v16, 0x10000, v20
	v_cmp_eq_u32_sdwa vcc, v20, v3 src0_sel:WORD_0 src1_sel:DWORD
	s_nop 1
	v_cndmask_b32_e32 v16, v16, v20, vcc
; %bb.2907:                             ;   in Loop: Header=BB35_2707 Depth=3
	s_or_b64 exec, exec, s[40:41]
	v_lshlrev_b32_e32 v20, 16, v17
	v_lshlrev_b32_e32 v25, 16, v21
	v_max_f32_e32 v25, v25, v25
	v_max_f32_e32 v20, v20, v20
	v_min_f32_e32 v26, v20, v25
	v_max_f32_e32 v20, v20, v25
	v_cndmask_b32_e64 v25, v20, v26, s[24:25]
	v_and_b32_e32 v20, 0x7f800000, v25
	v_cmp_ne_u32_e32 vcc, s51, v20
                                        ; implicit-def: $vgpr20
	s_and_saveexec_b64 s[40:41], vcc
	s_xor_b64 s[40:41], exec, s[40:41]
; %bb.2908:                             ;   in Loop: Header=BB35_2707 Depth=3
	v_bfe_u32 v20, v25, 16, 1
	v_add3_u32 v20, v25, v20, s72
                                        ; implicit-def: $vgpr25
; %bb.2909:                             ;   in Loop: Header=BB35_2707 Depth=3
	s_andn2_saveexec_b64 s[40:41], s[40:41]
; %bb.2910:                             ;   in Loop: Header=BB35_2707 Depth=3
	v_or_b32_e32 v20, 0x10000, v25
	v_cmp_eq_u32_sdwa vcc, v25, v3 src0_sel:WORD_0 src1_sel:DWORD
	s_nop 1
	v_cndmask_b32_e32 v20, v20, v25, vcc
; %bb.2911:                             ;   in Loop: Header=BB35_2707 Depth=3
	s_or_b64 exec, exec, s[40:41]
	v_and_b32_e32 v17, 0xffff0000, v17
	v_and_b32_e32 v21, 0xffff0000, v21
	v_max_f32_e32 v21, v21, v21
	v_max_f32_e32 v17, v17, v17
	v_min_f32_e32 v25, v17, v21
	v_max_f32_e32 v17, v17, v21
	v_cndmask_b32_e64 v21, v17, v25, s[24:25]
	v_and_b32_e32 v17, 0x7f800000, v21
	v_cmp_ne_u32_e32 vcc, s51, v17
                                        ; implicit-def: $vgpr17
	s_and_saveexec_b64 s[40:41], vcc
	s_xor_b64 s[40:41], exec, s[40:41]
; %bb.2912:                             ;   in Loop: Header=BB35_2707 Depth=3
	v_bfe_u32 v17, v21, 16, 1
	v_add3_u32 v17, v21, v17, s72
                                        ; implicit-def: $vgpr21
; %bb.2913:                             ;   in Loop: Header=BB35_2707 Depth=3
	s_andn2_saveexec_b64 s[40:41], s[40:41]
; %bb.2914:                             ;   in Loop: Header=BB35_2707 Depth=3
	v_or_b32_e32 v17, 0x10000, v21
	v_cmp_eq_u32_sdwa vcc, v21, v3 src0_sel:WORD_0 src1_sel:DWORD
	s_nop 1
	v_cndmask_b32_e32 v17, v17, v21, vcc
; %bb.2915:                             ;   in Loop: Header=BB35_2707 Depth=3
	s_or_b64 exec, exec, s[40:41]
	v_lshlrev_b32_e32 v21, 16, v18
	v_lshlrev_b32_e32 v25, 16, v22
	v_max_f32_e32 v25, v25, v25
	v_max_f32_e32 v21, v21, v21
	v_min_f32_e32 v26, v21, v25
	v_max_f32_e32 v21, v21, v25
	v_cndmask_b32_e64 v25, v21, v26, s[24:25]
	v_and_b32_e32 v21, 0x7f800000, v25
	v_cmp_ne_u32_e32 vcc, s51, v21
                                        ; implicit-def: $vgpr21
	s_and_saveexec_b64 s[40:41], vcc
	s_xor_b64 s[40:41], exec, s[40:41]
; %bb.2916:                             ;   in Loop: Header=BB35_2707 Depth=3
	v_bfe_u32 v21, v25, 16, 1
	v_add3_u32 v21, v25, v21, s72
                                        ; implicit-def: $vgpr25
; %bb.2917:                             ;   in Loop: Header=BB35_2707 Depth=3
	s_andn2_saveexec_b64 s[40:41], s[40:41]
; %bb.2918:                             ;   in Loop: Header=BB35_2707 Depth=3
	v_or_b32_e32 v21, 0x10000, v25
	v_cmp_eq_u32_sdwa vcc, v25, v3 src0_sel:WORD_0 src1_sel:DWORD
	s_nop 1
	v_cndmask_b32_e32 v21, v21, v25, vcc
; %bb.2919:                             ;   in Loop: Header=BB35_2707 Depth=3
	s_or_b64 exec, exec, s[40:41]
	v_and_b32_e32 v18, 0xffff0000, v18
	v_and_b32_e32 v22, 0xffff0000, v22
	v_max_f32_e32 v22, v22, v22
	v_max_f32_e32 v18, v18, v18
	v_min_f32_e32 v25, v18, v22
	v_max_f32_e32 v18, v18, v22
	v_cndmask_b32_e64 v22, v18, v25, s[24:25]
	v_and_b32_e32 v18, 0x7f800000, v22
	v_cmp_ne_u32_e32 vcc, s51, v18
                                        ; implicit-def: $vgpr18
	s_and_saveexec_b64 s[40:41], vcc
	s_xor_b64 s[40:41], exec, s[40:41]
; %bb.2920:                             ;   in Loop: Header=BB35_2707 Depth=3
	v_bfe_u32 v18, v22, 16, 1
	v_add3_u32 v18, v22, v18, s72
                                        ; implicit-def: $vgpr22
; %bb.2921:                             ;   in Loop: Header=BB35_2707 Depth=3
	s_andn2_saveexec_b64 s[40:41], s[40:41]
; %bb.2922:                             ;   in Loop: Header=BB35_2707 Depth=3
	v_or_b32_e32 v18, 0x10000, v22
	v_cmp_eq_u32_sdwa vcc, v22, v3 src0_sel:WORD_0 src1_sel:DWORD
	s_nop 1
	v_cndmask_b32_e32 v18, v18, v22, vcc
; %bb.2923:                             ;   in Loop: Header=BB35_2707 Depth=3
	s_or_b64 exec, exec, s[40:41]
	v_lshlrev_b32_e32 v22, 16, v19
	v_lshlrev_b32_e32 v25, 16, v23
	v_max_f32_e32 v25, v25, v25
	v_max_f32_e32 v22, v22, v22
	v_min_f32_e32 v26, v22, v25
	v_max_f32_e32 v22, v22, v25
	v_cndmask_b32_e64 v25, v22, v26, s[24:25]
	v_and_b32_e32 v22, 0x7f800000, v25
	v_cmp_ne_u32_e32 vcc, s51, v22
                                        ; implicit-def: $vgpr22
	s_and_saveexec_b64 s[40:41], vcc
	s_xor_b64 s[40:41], exec, s[40:41]
; %bb.2924:                             ;   in Loop: Header=BB35_2707 Depth=3
	v_bfe_u32 v22, v25, 16, 1
	v_add3_u32 v22, v25, v22, s72
                                        ; implicit-def: $vgpr25
; %bb.2925:                             ;   in Loop: Header=BB35_2707 Depth=3
	s_andn2_saveexec_b64 s[40:41], s[40:41]
; %bb.2926:                             ;   in Loop: Header=BB35_2707 Depth=3
	v_or_b32_e32 v22, 0x10000, v25
	v_cmp_eq_u32_sdwa vcc, v25, v3 src0_sel:WORD_0 src1_sel:DWORD
	s_nop 1
	v_cndmask_b32_e32 v22, v22, v25, vcc
; %bb.2927:                             ;   in Loop: Header=BB35_2707 Depth=3
	s_or_b64 exec, exec, s[40:41]
	v_and_b32_e32 v19, 0xffff0000, v19
	v_and_b32_e32 v23, 0xffff0000, v23
	v_max_f32_e32 v23, v23, v23
	v_max_f32_e32 v19, v19, v19
	v_min_f32_e32 v25, v19, v23
	v_max_f32_e32 v19, v19, v23
	v_cndmask_b32_e64 v23, v19, v25, s[24:25]
	v_and_b32_e32 v19, 0x7f800000, v23
	v_cmp_ne_u32_e32 vcc, s51, v19
                                        ; implicit-def: $vgpr19
	s_and_saveexec_b64 s[40:41], vcc
	s_xor_b64 s[40:41], exec, s[40:41]
; %bb.2928:                             ;   in Loop: Header=BB35_2707 Depth=3
	v_bfe_u32 v19, v23, 16, 1
	v_add3_u32 v19, v23, v19, s72
                                        ; implicit-def: $vgpr23
; %bb.2929:                             ;   in Loop: Header=BB35_2707 Depth=3
	s_andn2_saveexec_b64 s[40:41], s[40:41]
; %bb.2930:                             ;   in Loop: Header=BB35_2707 Depth=3
	v_or_b32_e32 v19, 0x10000, v23
	v_cmp_eq_u32_sdwa vcc, v23, v3 src0_sel:WORD_0 src1_sel:DWORD
	s_nop 1
	v_cndmask_b32_e32 v19, v19, v23, vcc
; %bb.2931:                             ;   in Loop: Header=BB35_2707 Depth=3
	s_or_b64 exec, exec, s[40:41]
	v_lshrrev_b32_e32 v20, 16, v20
	v_and_or_b32 v17, v17, s73, v20
	v_lshrrev_b32_e32 v20, 16, v24
	v_and_or_b32 v16, v16, s73, v20
	;; [unrolled: 2-line block ×4, first 2 shown]
	global_store_dwordx4 v[100:101], v[16:19], off offset:-1024
	s_waitcnt vmcnt(8)
	s_nop 0
	v_lshlrev_b32_e32 v16, 16, v8
	s_waitcnt vmcnt(7)
	v_lshlrev_b32_e32 v17, 16, v12
	v_max_f32_e32 v17, v17, v17
	v_max_f32_e32 v16, v16, v16
	v_min_f32_e32 v18, v16, v17
	v_max_f32_e32 v16, v16, v17
	v_cndmask_b32_e64 v17, v16, v18, s[24:25]
	v_and_b32_e32 v16, 0x7f800000, v17
	v_cmp_ne_u32_e32 vcc, s51, v16
                                        ; implicit-def: $vgpr16
	s_and_saveexec_b64 s[40:41], vcc
	s_xor_b64 s[40:41], exec, s[40:41]
; %bb.2932:                             ;   in Loop: Header=BB35_2707 Depth=3
	v_bfe_u32 v16, v17, 16, 1
	v_add3_u32 v16, v17, v16, s72
                                        ; implicit-def: $vgpr17
; %bb.2933:                             ;   in Loop: Header=BB35_2707 Depth=3
	s_andn2_saveexec_b64 s[40:41], s[40:41]
; %bb.2934:                             ;   in Loop: Header=BB35_2707 Depth=3
	v_or_b32_e32 v16, 0x10000, v17
	v_cmp_eq_u32_sdwa vcc, v17, v3 src0_sel:WORD_0 src1_sel:DWORD
	s_nop 1
	v_cndmask_b32_e32 v16, v16, v17, vcc
; %bb.2935:                             ;   in Loop: Header=BB35_2707 Depth=3
	s_or_b64 exec, exec, s[40:41]
	v_and_b32_e32 v8, 0xffff0000, v8
	v_and_b32_e32 v12, 0xffff0000, v12
	v_max_f32_e32 v12, v12, v12
	v_max_f32_e32 v8, v8, v8
	v_min_f32_e32 v17, v8, v12
	v_max_f32_e32 v8, v8, v12
	v_cndmask_b32_e64 v12, v8, v17, s[24:25]
	v_and_b32_e32 v8, 0x7f800000, v12
	v_cmp_ne_u32_e32 vcc, s51, v8
                                        ; implicit-def: $vgpr8
	s_and_saveexec_b64 s[40:41], vcc
	s_xor_b64 s[40:41], exec, s[40:41]
; %bb.2936:                             ;   in Loop: Header=BB35_2707 Depth=3
	v_bfe_u32 v8, v12, 16, 1
	v_add3_u32 v8, v12, v8, s72
                                        ; implicit-def: $vgpr12
; %bb.2937:                             ;   in Loop: Header=BB35_2707 Depth=3
	s_andn2_saveexec_b64 s[40:41], s[40:41]
; %bb.2938:                             ;   in Loop: Header=BB35_2707 Depth=3
	v_or_b32_e32 v8, 0x10000, v12
	v_cmp_eq_u32_sdwa vcc, v12, v3 src0_sel:WORD_0 src1_sel:DWORD
	s_nop 1
	v_cndmask_b32_e32 v8, v8, v12, vcc
; %bb.2939:                             ;   in Loop: Header=BB35_2707 Depth=3
	s_or_b64 exec, exec, s[40:41]
	v_lshlrev_b32_e32 v12, 16, v9
	v_lshlrev_b32_e32 v17, 16, v13
	v_max_f32_e32 v17, v17, v17
	v_max_f32_e32 v12, v12, v12
	v_min_f32_e32 v18, v12, v17
	v_max_f32_e32 v12, v12, v17
	v_cndmask_b32_e64 v17, v12, v18, s[24:25]
	v_and_b32_e32 v12, 0x7f800000, v17
	v_cmp_ne_u32_e32 vcc, s51, v12
                                        ; implicit-def: $vgpr12
	s_and_saveexec_b64 s[40:41], vcc
	s_xor_b64 s[40:41], exec, s[40:41]
; %bb.2940:                             ;   in Loop: Header=BB35_2707 Depth=3
	v_bfe_u32 v12, v17, 16, 1
	v_add3_u32 v12, v17, v12, s72
                                        ; implicit-def: $vgpr17
; %bb.2941:                             ;   in Loop: Header=BB35_2707 Depth=3
	s_andn2_saveexec_b64 s[40:41], s[40:41]
; %bb.2942:                             ;   in Loop: Header=BB35_2707 Depth=3
	v_or_b32_e32 v12, 0x10000, v17
	v_cmp_eq_u32_sdwa vcc, v17, v3 src0_sel:WORD_0 src1_sel:DWORD
	s_nop 1
	v_cndmask_b32_e32 v12, v12, v17, vcc
; %bb.2943:                             ;   in Loop: Header=BB35_2707 Depth=3
	s_or_b64 exec, exec, s[40:41]
	v_and_b32_e32 v9, 0xffff0000, v9
	v_and_b32_e32 v13, 0xffff0000, v13
	v_max_f32_e32 v13, v13, v13
	v_max_f32_e32 v9, v9, v9
	v_min_f32_e32 v17, v9, v13
	v_max_f32_e32 v9, v9, v13
	v_cndmask_b32_e64 v13, v9, v17, s[24:25]
	v_and_b32_e32 v9, 0x7f800000, v13
	v_cmp_ne_u32_e32 vcc, s51, v9
                                        ; implicit-def: $vgpr9
	s_and_saveexec_b64 s[40:41], vcc
	s_xor_b64 s[40:41], exec, s[40:41]
; %bb.2944:                             ;   in Loop: Header=BB35_2707 Depth=3
	v_bfe_u32 v9, v13, 16, 1
	v_add3_u32 v9, v13, v9, s72
                                        ; implicit-def: $vgpr13
; %bb.2945:                             ;   in Loop: Header=BB35_2707 Depth=3
	s_andn2_saveexec_b64 s[40:41], s[40:41]
; %bb.2946:                             ;   in Loop: Header=BB35_2707 Depth=3
	v_or_b32_e32 v9, 0x10000, v13
	v_cmp_eq_u32_sdwa vcc, v13, v3 src0_sel:WORD_0 src1_sel:DWORD
	s_nop 1
	v_cndmask_b32_e32 v9, v9, v13, vcc
; %bb.2947:                             ;   in Loop: Header=BB35_2707 Depth=3
	s_or_b64 exec, exec, s[40:41]
	v_lshlrev_b32_e32 v13, 16, v10
	v_lshlrev_b32_e32 v17, 16, v14
	v_max_f32_e32 v17, v17, v17
	v_max_f32_e32 v13, v13, v13
	v_min_f32_e32 v18, v13, v17
	v_max_f32_e32 v13, v13, v17
	v_cndmask_b32_e64 v17, v13, v18, s[24:25]
	v_and_b32_e32 v13, 0x7f800000, v17
	v_cmp_ne_u32_e32 vcc, s51, v13
                                        ; implicit-def: $vgpr13
	s_and_saveexec_b64 s[40:41], vcc
	s_xor_b64 s[40:41], exec, s[40:41]
; %bb.2948:                             ;   in Loop: Header=BB35_2707 Depth=3
	v_bfe_u32 v13, v17, 16, 1
	v_add3_u32 v13, v17, v13, s72
                                        ; implicit-def: $vgpr17
; %bb.2949:                             ;   in Loop: Header=BB35_2707 Depth=3
	s_andn2_saveexec_b64 s[40:41], s[40:41]
; %bb.2950:                             ;   in Loop: Header=BB35_2707 Depth=3
	v_or_b32_e32 v13, 0x10000, v17
	v_cmp_eq_u32_sdwa vcc, v17, v3 src0_sel:WORD_0 src1_sel:DWORD
	s_nop 1
	v_cndmask_b32_e32 v13, v13, v17, vcc
; %bb.2951:                             ;   in Loop: Header=BB35_2707 Depth=3
	s_or_b64 exec, exec, s[40:41]
	v_and_b32_e32 v10, 0xffff0000, v10
	v_and_b32_e32 v14, 0xffff0000, v14
	v_max_f32_e32 v14, v14, v14
	v_max_f32_e32 v10, v10, v10
	v_min_f32_e32 v17, v10, v14
	v_max_f32_e32 v10, v10, v14
	v_cndmask_b32_e64 v14, v10, v17, s[24:25]
	v_and_b32_e32 v10, 0x7f800000, v14
	v_cmp_ne_u32_e32 vcc, s51, v10
                                        ; implicit-def: $vgpr10
	s_and_saveexec_b64 s[40:41], vcc
	s_xor_b64 s[40:41], exec, s[40:41]
; %bb.2952:                             ;   in Loop: Header=BB35_2707 Depth=3
	v_bfe_u32 v10, v14, 16, 1
	v_add3_u32 v10, v14, v10, s72
                                        ; implicit-def: $vgpr14
; %bb.2953:                             ;   in Loop: Header=BB35_2707 Depth=3
	s_andn2_saveexec_b64 s[40:41], s[40:41]
; %bb.2954:                             ;   in Loop: Header=BB35_2707 Depth=3
	v_or_b32_e32 v10, 0x10000, v14
	v_cmp_eq_u32_sdwa vcc, v14, v3 src0_sel:WORD_0 src1_sel:DWORD
	s_nop 1
	v_cndmask_b32_e32 v10, v10, v14, vcc
; %bb.2955:                             ;   in Loop: Header=BB35_2707 Depth=3
	s_or_b64 exec, exec, s[40:41]
	v_lshlrev_b32_e32 v14, 16, v11
	v_lshlrev_b32_e32 v17, 16, v15
	v_max_f32_e32 v17, v17, v17
	v_max_f32_e32 v14, v14, v14
	v_min_f32_e32 v18, v14, v17
	v_max_f32_e32 v14, v14, v17
	v_cndmask_b32_e64 v17, v14, v18, s[24:25]
	v_and_b32_e32 v14, 0x7f800000, v17
	v_cmp_ne_u32_e32 vcc, s51, v14
                                        ; implicit-def: $vgpr14
	s_and_saveexec_b64 s[40:41], vcc
	s_xor_b64 s[40:41], exec, s[40:41]
; %bb.2956:                             ;   in Loop: Header=BB35_2707 Depth=3
	v_bfe_u32 v14, v17, 16, 1
	v_add3_u32 v14, v17, v14, s72
                                        ; implicit-def: $vgpr17
; %bb.2957:                             ;   in Loop: Header=BB35_2707 Depth=3
	s_andn2_saveexec_b64 s[40:41], s[40:41]
; %bb.2958:                             ;   in Loop: Header=BB35_2707 Depth=3
	v_or_b32_e32 v14, 0x10000, v17
	v_cmp_eq_u32_sdwa vcc, v17, v3 src0_sel:WORD_0 src1_sel:DWORD
	s_nop 1
	v_cndmask_b32_e32 v14, v14, v17, vcc
; %bb.2959:                             ;   in Loop: Header=BB35_2707 Depth=3
	s_or_b64 exec, exec, s[40:41]
	v_and_b32_e32 v11, 0xffff0000, v11
	v_and_b32_e32 v15, 0xffff0000, v15
	v_max_f32_e32 v15, v15, v15
	v_max_f32_e32 v11, v11, v11
	v_min_f32_e32 v17, v11, v15
	v_max_f32_e32 v11, v11, v15
	v_cndmask_b32_e64 v15, v11, v17, s[24:25]
	v_and_b32_e32 v11, 0x7f800000, v15
	v_cmp_ne_u32_e32 vcc, s51, v11
                                        ; implicit-def: $vgpr11
	s_and_saveexec_b64 s[40:41], vcc
	s_xor_b64 s[40:41], exec, s[40:41]
; %bb.2960:                             ;   in Loop: Header=BB35_2707 Depth=3
	v_bfe_u32 v11, v15, 16, 1
	v_add3_u32 v11, v15, v11, s72
                                        ; implicit-def: $vgpr15
; %bb.2961:                             ;   in Loop: Header=BB35_2707 Depth=3
	s_andn2_saveexec_b64 s[40:41], s[40:41]
	s_cbranch_execz .LBB35_2706
; %bb.2962:                             ;   in Loop: Header=BB35_2707 Depth=3
	v_or_b32_e32 v11, 0x10000, v15
	v_cmp_eq_u32_sdwa vcc, v15, v3 src0_sel:WORD_0 src1_sel:DWORD
	s_nop 1
	v_cndmask_b32_e32 v11, v11, v15, vcc
	s_branch .LBB35_2706
.LBB35_2963:                            ;   in Loop: Header=BB35_2324 Depth=2
	s_or_b64 exec, exec, s[28:29]
.LBB35_2964:                            ;   in Loop: Header=BB35_2324 Depth=2
	s_or_b64 exec, exec, s[26:27]
	v_lshlrev_b32_e32 v7, 13, v7
	v_cmp_ne_u32_e32 vcc, v2, v7
	s_mov_b64 s[24:25], 0
	v_mov_b32_e32 v15, 0
                                        ; implicit-def: $vgpr14
	s_and_saveexec_b64 s[54:55], vcc
	s_cbranch_execz .LBB35_2970
; %bb.2965:                             ;   in Loop: Header=BB35_2324 Depth=2
	v_lshlrev_b32_e32 v6, 6, v6
	v_and_b32_e32 v8, 63, v31
	v_sub_u32_e32 v6, v8, v6
	v_sub_u32_e32 v9, v2, v7
	v_ashrrev_i32_e32 v8, 31, v6
	v_lshrrev_b32_e32 v8, 26, v8
	v_ashrrev_i32_e32 v11, 31, v9
	v_add_u32_e32 v8, v6, v8
	v_lshrrev_b32_e32 v11, 22, v11
	v_ashrrev_i32_e32 v10, 6, v8
	v_and_b32_e32 v8, 0xffffffc0, v8
	v_add_u32_e32 v11, v9, v11
	v_sub_u32_e32 v6, v6, v8
	v_and_b32_e32 v12, 0xfffffc00, v11
	v_lshlrev_b32_e32 v8, 4, v6
	v_sub_u32_e32 v13, v9, v12
	v_lshl_add_u32 v8, v10, 10, v8
	v_ashrrev_i32_e32 v14, 10, v11
	v_cmp_lt_i32_e32 vcc, 15, v13
	v_sub_u32_e32 v15, v9, v8
	s_nop 0
	v_addc_co_u32_e64 v9, s[24:25], 0, v14, vcc
	v_sub_u32_e32 v14, v9, v10
	v_cmp_lt_i32_e64 s[24:25], 15, v15
	s_and_saveexec_b64 s[64:65], s[24:25]
	s_cbranch_execz .LBB35_2969
; %bb.2966:                             ;   in Loop: Header=BB35_2324 Depth=2
	scratch_load_dwordx2 v[38:39], off, s33 offset:256 ; 8-byte Folded Reload
	s_and_b32 s76, s12, 1
	v_add_u32_e32 v8, v8, v7
	s_cmp_eq_u64 s[76:77], 0
	v_ashrrev_i32_e32 v9, 31, v8
	s_mov_b64 s[66:67], 0
	s_cselect_b64 s[24:25], -1, 0
.LBB35_2967:                            ;   Parent Loop BB35_47 Depth=1
                                        ;     Parent Loop BB35_2324 Depth=2
                                        ; =>    This Inner Loop Header: Depth=3
	s_waitcnt vmcnt(0)
	v_lshl_add_u64 v[16:17], v[0:1], 0, v[8:9]
	global_load_dwordx4 v[16:19], v[16:17], off nt
	s_nop 0
	global_load_dwordx4 v[20:23], v[8:9], off nt
	s_waitcnt vmcnt(0)
	v_sub_u32_e32 v15, v15, v38
	v_lshl_add_u64 v[10:11], v[58:59], 0, v[8:9]
	v_lshl_add_u64 v[8:9], v[8:9], 0, v[38:39]
	v_sub_u32_e32 v14, v14, v60
	v_and_b32_e32 v24, 0xffff0000, v16
	v_and_b32_e32 v25, 0xffff0000, v20
	v_lshlrev_b32_e32 v16, 16, v16
	v_lshlrev_b32_e32 v20, 16, v20
	v_max_f32_e32 v20, v20, v20
	v_max_f32_e32 v16, v16, v16
	v_min_f32_e32 v26, v16, v20
	v_max_f32_e32 v16, v16, v20
	v_cndmask_b32_e64 v16, v16, v26, s[24:25]
	v_and_b32_e32 v20, 0x7f800000, v16
	v_cmp_eq_u32_e64 s[26:27], s51, v20
	v_bfe_u32 v20, v16, 16, 1
	v_cmp_eq_u32_sdwa s[28:29], v16, v3 src0_sel:WORD_0 src1_sel:DWORD
	v_or_b32_e32 v26, 0x10000, v16
	v_max_f32_e32 v25, v25, v25
	v_max_f32_e32 v24, v24, v24
	v_add3_u32 v20, v16, v20, s72
	v_cndmask_b32_e64 v16, v26, v16, s[28:29]
	v_min_f32_e32 v26, v24, v25
	v_max_f32_e32 v24, v24, v25
	v_cndmask_b32_e64 v24, v24, v26, s[24:25]
	v_and_b32_e32 v25, 0x7f800000, v24
	v_cmp_eq_u32_e64 s[28:29], s51, v25
	v_bfe_u32 v25, v24, 16, 1
	v_cmp_eq_u32_sdwa s[40:41], v24, v3 src0_sel:WORD_0 src1_sel:DWORD
	v_or_b32_e32 v26, 0x10000, v24
	v_add3_u32 v25, v24, v25, s72
	v_cndmask_b32_e64 v24, v26, v24, s[40:41]
	v_and_b32_e32 v26, 0xffff0000, v17
	v_and_b32_e32 v27, 0xffff0000, v21
	v_lshlrev_b32_e32 v17, 16, v17
	v_lshlrev_b32_e32 v21, 16, v21
	v_max_f32_e32 v21, v21, v21
	v_max_f32_e32 v17, v17, v17
	v_min_f32_e32 v32, v17, v21
	v_max_f32_e32 v17, v17, v21
	v_cndmask_b32_e64 v17, v17, v32, s[24:25]
	v_and_b32_e32 v21, 0x7f800000, v17
	v_cmp_eq_u32_e64 s[40:41], s51, v21
	v_bfe_u32 v21, v17, 16, 1
	v_cmp_eq_u32_sdwa s[42:43], v17, v3 src0_sel:WORD_0 src1_sel:DWORD
	v_or_b32_e32 v32, 0x10000, v17
	v_max_f32_e32 v27, v27, v27
	v_max_f32_e32 v26, v26, v26
	v_add3_u32 v21, v17, v21, s72
	v_cndmask_b32_e64 v17, v32, v17, s[42:43]
	v_min_f32_e32 v32, v26, v27
	v_max_f32_e32 v26, v26, v27
	v_cndmask_b32_e64 v26, v26, v32, s[24:25]
	v_and_b32_e32 v27, 0x7f800000, v26
	v_cmp_eq_u32_e64 s[42:43], s51, v27
	v_bfe_u32 v27, v26, 16, 1
	v_cmp_eq_u32_sdwa s[44:45], v26, v3 src0_sel:WORD_0 src1_sel:DWORD
	v_or_b32_e32 v32, 0x10000, v26
	v_add3_u32 v27, v26, v27, s72
	v_cndmask_b32_e64 v26, v32, v26, s[44:45]
	;; [unrolled: 28-line block ×4, first 2 shown]
	v_cndmask_b32_e64 v16, v20, v16, s[26:27]
	v_cndmask_b32_e64 v17, v21, v17, s[40:41]
	;; [unrolled: 1-line block ×8, first 2 shown]
	v_lshrrev_b32_e32 v17, 16, v17
	v_lshrrev_b32_e32 v16, 16, v16
	;; [unrolled: 1-line block ×4, first 2 shown]
	v_cmp_gt_i32_e64 s[26:27], 16, v15
	v_and_or_b32 v17, v21, s73, v17
	v_and_or_b32 v16, v20, s73, v16
	;; [unrolled: 1-line block ×4, first 2 shown]
	s_or_b64 s[66:67], s[26:27], s[66:67]
	global_store_dwordx4 v[10:11], v[16:19], off
	s_andn2_b64 exec, exec, s[66:67]
	s_cbranch_execnz .LBB35_2967
; %bb.2968:                             ;   in Loop: Header=BB35_2324 Depth=2
	s_or_b64 exec, exec, s[66:67]
.LBB35_2969:                            ;   in Loop: Header=BB35_2324 Depth=2
	s_or_b64 exec, exec, s[64:65]
	v_and_b32_e32 v2, 14, v2
	v_sub_u32_e32 v8, v13, v2
	v_cndmask_b32_e32 v8, 0, v8, vcc
	v_cndmask_b32_e32 v2, v13, v2, vcc
	v_cmp_lt_i32_e32 vcc, 0, v14
	v_add3_u32 v15, v12, v7, v8
	s_nop 0
	v_cndmask_b32_e32 v7, 0, v60, vcc
	v_sub_u32_e32 v7, v7, v14
	v_cmp_ne_u32_e32 vcc, 0, v2
	v_lshl_add_u32 v14, v7, 6, v6
	s_and_b64 s[24:25], vcc, exec
.LBB35_2970:                            ;   in Loop: Header=BB35_2324 Depth=2
	s_or_b64 exec, exec, s[54:55]
	s_and_saveexec_b64 s[26:27], s[24:25]
	s_cbranch_execz .LBB35_3043
.LBB35_2971:                            ;   in Loop: Header=BB35_2324 Depth=2
	v_ashrrev_i32_e32 v6, 31, v14
	v_ashrrev_i32_e32 v7, 31, v2
	v_lshrrev_b32_e32 v6, 26, v6
	v_lshrrev_b32_e32 v7, 21, v7
	v_add_u32_e32 v8, v14, v6
	v_add_u32_e32 v7, v2, v7
	v_ashrrev_i32_e32 v6, 6, v8
	s_waitcnt vmcnt(0)
	v_ashrrev_i32_e32 v16, 11, v7
	v_sub_u32_e32 v7, v16, v6
	v_cmp_lt_i32_e32 vcc, 0, v7
	s_and_saveexec_b64 s[28:29], vcc
	s_cbranch_execz .LBB35_3039
; %bb.2972:                             ;   in Loop: Header=BB35_2324 Depth=2
	v_and_b32_e32 v8, 0x7fffffc0, v8
	v_sub_u32_e32 v8, v14, v8
	v_lshlrev_b32_e32 v8, 1, v8
	v_lshlrev_b32_e32 v9, 11, v6
	v_add3_u32 v8, v8, v15, v9
	s_and_b32 s76, s12, 1
	v_ashrrev_i32_e32 v9, 31, v8
	s_cmp_eq_u64 s[76:77], 0
	s_mov_b64 s[42:43], 0x780
	s_mov_b64 s[40:41], 0
	s_cselect_b64 s[24:25], -1, 0
	v_lshl_add_u64 v[8:9], v[8:9], 0, s[42:43]
	s_branch .LBB35_2974
.LBB35_2973:                            ;   in Loop: Header=BB35_2974 Depth=3
	s_or_b64 exec, exec, s[42:43]
	v_sub_u32_e32 v7, v7, v60
	v_cmp_gt_i32_e32 vcc, 1, v7
	s_or_b64 s[40:41], vcc, s[40:41]
	v_lshl_add_u64 v[8:9], v[8:9], 0, v[120:121]
	flat_store_short_d16_hi v[10:11], v13 nt
	s_andn2_b64 exec, exec, s[40:41]
	s_cbranch_execz .LBB35_3038
.LBB35_2974:                            ;   Parent Loop BB35_47 Depth=1
                                        ;     Parent Loop BB35_2324 Depth=2
                                        ; =>    This Inner Loop Header: Depth=3
	v_lshl_add_u64 v[10:11], v[0:1], 0, v[8:9]
	v_add_co_u32_e32 v12, vcc, 0xfffff900, v10
	s_movk_i32 s13, 0xf880
	s_nop 0
	v_addc_co_u32_e32 v13, vcc, -1, v11, vcc
	flat_load_ushort v65, v[12:13] nt
	v_add_co_u32_e32 v12, vcc, 0xfffff900, v8
	s_nop 1
	v_addc_co_u32_e32 v13, vcc, -1, v9, vcc
	flat_load_ushort v66, v[12:13] nt
	v_add_co_u32_e32 v12, vcc, 0xfffff980, v10
	s_nop 1
	v_addc_co_u32_e32 v13, vcc, -1, v11, vcc
	s_waitcnt lgkmcnt(0)
	flat_load_ushort v55, v[12:13] nt
	v_add_co_u32_e32 v12, vcc, 0xfffff980, v8
	s_nop 1
	v_addc_co_u32_e32 v13, vcc, -1, v9, vcc
	flat_load_ushort v64, v[12:13] nt
	v_add_co_u32_e32 v12, vcc, 0xfffffa00, v10
	s_nop 1
	v_addc_co_u32_e32 v13, vcc, -1, v11, vcc
	;; [unrolled: 4-line block ×10, first 2 shown]
	v_add_co_u32_e32 v18, vcc, s80, v8
	flat_load_ushort v37, v[12:13] offset:896 nt
	s_nop 0
	v_addc_co_u32_e32 v19, vcc, -1, v9, vcc
	flat_load_ushort v38, v[18:19] nt
	v_add_co_u32_e32 v18, vcc, 0xfffffc80, v10
	s_nop 1
	v_addc_co_u32_e32 v19, vcc, -1, v11, vcc
	flat_load_ushort v35, v[18:19] nt
	v_add_co_u32_e32 v18, vcc, 0xfffffc80, v8
	;; [unrolled: 4-line block ×12, first 2 shown]
	s_nop 1
	v_addc_co_u32_e32 v19, vcc, -1, v9, vcc
	v_add_co_u32_e32 v68, vcc, s81, v8
	flat_load_ushort v22, v[18:19] nt
	s_nop 0
	flat_load_ushort v19, v[12:13] offset:1792 nt
	v_addc_co_u32_e32 v69, vcc, -1, v9, vcc
	flat_load_ushort v20, v[68:69] nt
	flat_load_ushort v17, v[10:11] nt
	;; [unrolled: 1-line block ×3, first 2 shown]
	s_nop 0
	flat_load_ushort v10, v[12:13] nt
	s_waitcnt vmcnt(0) lgkmcnt(0)
	v_lshlrev_b32_e32 v12, 16, v10
	v_add_co_u32_e32 v10, vcc, 0xfffff880, v8
	s_nop 1
	v_addc_co_u32_e32 v11, vcc, -1, v9, vcc
	flat_load_ushort v10, v[10:11] nt
	v_max_f32_e32 v11, v12, v12
	s_waitcnt vmcnt(0) lgkmcnt(0)
	v_lshlrev_b32_e32 v10, 16, v10
	v_max_f32_e32 v10, v10, v10
	v_min_f32_e32 v12, v11, v10
	v_max_f32_e32 v10, v11, v10
	v_cndmask_b32_e64 v10, v10, v12, s[24:25]
	v_and_b32_e32 v11, 0x7f800000, v10
	v_cmp_ne_u32_e32 vcc, s51, v11
                                        ; implicit-def: $vgpr12
	s_and_saveexec_b64 s[42:43], vcc
	s_xor_b64 s[42:43], exec, s[42:43]
; %bb.2975:                             ;   in Loop: Header=BB35_2974 Depth=3
	v_bfe_u32 v11, v10, 16, 1
	v_add3_u32 v12, v10, v11, s72
                                        ; implicit-def: $vgpr10
; %bb.2976:                             ;   in Loop: Header=BB35_2974 Depth=3
	s_andn2_saveexec_b64 s[42:43], s[42:43]
; %bb.2977:                             ;   in Loop: Header=BB35_2974 Depth=3
	v_or_b32_e32 v11, 0x10000, v10
	v_cmp_eq_u32_sdwa vcc, v10, v3 src0_sel:WORD_0 src1_sel:DWORD
	s_nop 1
	v_cndmask_b32_e32 v12, v11, v10, vcc
; %bb.2978:                             ;   in Loop: Header=BB35_2974 Depth=3
	s_or_b64 exec, exec, s[42:43]
	v_lshl_add_u64 v[10:11], v[58:59], 0, v[8:9]
	v_add_co_u32_e32 v68, vcc, 0xfffff880, v10
	v_lshlrev_b32_e32 v13, 16, v66
	s_nop 0
	v_addc_co_u32_e32 v69, vcc, -1, v11, vcc
	flat_store_short_d16_hi v[68:69], v12 nt
	v_lshlrev_b32_e32 v12, 16, v65
	v_max_f32_e32 v13, v13, v13
	v_max_f32_e32 v12, v12, v12
	v_min_f32_e32 v65, v12, v13
	v_max_f32_e32 v12, v12, v13
	v_cndmask_b32_e64 v13, v12, v65, s[24:25]
	v_and_b32_e32 v12, 0x7f800000, v13
	v_cmp_ne_u32_e32 vcc, s51, v12
                                        ; implicit-def: $vgpr12
	s_and_saveexec_b64 s[42:43], vcc
	s_xor_b64 s[42:43], exec, s[42:43]
; %bb.2979:                             ;   in Loop: Header=BB35_2974 Depth=3
	v_bfe_u32 v12, v13, 16, 1
	v_add3_u32 v12, v13, v12, s72
                                        ; implicit-def: $vgpr13
; %bb.2980:                             ;   in Loop: Header=BB35_2974 Depth=3
	s_andn2_saveexec_b64 s[42:43], s[42:43]
; %bb.2981:                             ;   in Loop: Header=BB35_2974 Depth=3
	v_or_b32_e32 v12, 0x10000, v13
	v_cmp_eq_u32_sdwa vcc, v13, v3 src0_sel:WORD_0 src1_sel:DWORD
	s_nop 1
	v_cndmask_b32_e32 v12, v12, v13, vcc
; %bb.2982:                             ;   in Loop: Header=BB35_2974 Depth=3
	s_or_b64 exec, exec, s[42:43]
	v_add_co_u32_e32 v66, vcc, 0xfffff900, v10
	v_lshlrev_b32_e32 v13, 16, v64
	s_nop 0
	v_addc_co_u32_e32 v67, vcc, -1, v11, vcc
	flat_store_short_d16_hi v[66:67], v12 nt
	v_lshlrev_b32_e32 v12, 16, v55
	v_max_f32_e32 v13, v13, v13
	v_max_f32_e32 v12, v12, v12
	v_min_f32_e32 v55, v12, v13
	v_max_f32_e32 v12, v12, v13
	v_cndmask_b32_e64 v13, v12, v55, s[24:25]
	v_and_b32_e32 v12, 0x7f800000, v13
	v_cmp_ne_u32_e32 vcc, s51, v12
                                        ; implicit-def: $vgpr12
	s_and_saveexec_b64 s[42:43], vcc
	s_xor_b64 s[42:43], exec, s[42:43]
; %bb.2983:                             ;   in Loop: Header=BB35_2974 Depth=3
	v_bfe_u32 v12, v13, 16, 1
	v_add3_u32 v12, v13, v12, s72
                                        ; implicit-def: $vgpr13
; %bb.2984:                             ;   in Loop: Header=BB35_2974 Depth=3
	s_andn2_saveexec_b64 s[42:43], s[42:43]
; %bb.2985:                             ;   in Loop: Header=BB35_2974 Depth=3
	v_or_b32_e32 v12, 0x10000, v13
	v_cmp_eq_u32_sdwa vcc, v13, v3 src0_sel:WORD_0 src1_sel:DWORD
	s_nop 1
	v_cndmask_b32_e32 v12, v12, v13, vcc
; %bb.2986:                             ;   in Loop: Header=BB35_2974 Depth=3
	s_or_b64 exec, exec, s[42:43]
	;; [unrolled: 29-line block ×14, first 2 shown]
	v_add_co_u32_e32 v20, vcc, 0xffffff80, v10
	v_lshlrev_b32_e32 v13, 16, v18
	s_nop 0
	v_addc_co_u32_e32 v21, vcc, -1, v11, vcc
	flat_store_short_d16_hi v[20:21], v12 nt
	v_lshlrev_b32_e32 v12, 16, v17
	v_max_f32_e32 v13, v13, v13
	v_max_f32_e32 v12, v12, v12
	v_min_f32_e32 v17, v12, v13
	v_max_f32_e32 v12, v12, v13
	v_cndmask_b32_e64 v12, v12, v17, s[24:25]
	v_and_b32_e32 v13, 0x7f800000, v12
	v_cmp_ne_u32_e32 vcc, s51, v13
                                        ; implicit-def: $vgpr13
	s_and_saveexec_b64 s[42:43], vcc
	s_xor_b64 s[42:43], exec, s[42:43]
; %bb.3035:                             ;   in Loop: Header=BB35_2974 Depth=3
	v_bfe_u32 v13, v12, 16, 1
	v_add3_u32 v13, v12, v13, s72
                                        ; implicit-def: $vgpr12
; %bb.3036:                             ;   in Loop: Header=BB35_2974 Depth=3
	s_andn2_saveexec_b64 s[42:43], s[42:43]
	s_cbranch_execz .LBB35_2973
; %bb.3037:                             ;   in Loop: Header=BB35_2974 Depth=3
	v_or_b32_e32 v13, 0x10000, v12
	v_cmp_eq_u32_sdwa vcc, v12, v3 src0_sel:WORD_0 src1_sel:DWORD
	s_nop 1
	v_cndmask_b32_e32 v13, v13, v12, vcc
	s_branch .LBB35_2973
.LBB35_3038:                            ;   in Loop: Header=BB35_2324 Depth=2
	s_or_b64 exec, exec, s[40:41]
.LBB35_3039:                            ;   in Loop: Header=BB35_2324 Depth=2
	s_or_b64 exec, exec, s[28:29]
	v_lshlrev_b32_e32 v8, 11, v16
	scratch_load_dwordx2 v[16:17], off, s33 offset:344 ; 8-byte Folded Reload
	v_cmp_ne_u32_e32 vcc, v2, v8
	s_and_b64 s[24:25], exec, vcc
	s_mov_b64 exec, s[24:25]
	s_cbranch_execz .LBB35_3043
; %bb.3040:                             ;   in Loop: Header=BB35_2324 Depth=2
	v_lshlrev_b32_e32 v6, 6, v6
	v_sub_u32_e32 v6, v14, v6
	v_lshlrev_b32_e32 v7, 6, v7
	v_sub_u32_e32 v6, v6, v7
	v_ashrrev_i32_e32 v7, 31, v6
	v_lshrrev_b32_e32 v7, 26, v7
	v_add_u32_e32 v7, v6, v7
	v_and_b32_e32 v9, 0x7fffffc0, v7
	v_sub_u32_e32 v6, v6, v9
	v_lshlrev_b32_e32 v7, 1, v7
	v_and_b32_e32 v7, 0xffffff80, v7
	v_lshlrev_b32_e32 v6, 1, v6
	v_add3_u32 v6, v7, v6, v8
	v_sub_u32_e32 v2, v2, v6
	v_cmp_lt_i32_e32 vcc, 1, v2
	s_and_b64 exec, exec, vcc
	s_cbranch_execz .LBB35_3043
; %bb.3041:                             ;   in Loop: Header=BB35_2324 Depth=2
	s_and_b32 s76, s12, 1
	v_add_u32_e32 v8, v6, v15
	s_cmp_eq_u64 s[76:77], 0
	v_ashrrev_i32_e32 v9, 31, v8
	s_mov_b64 s[28:29], 0
	s_cselect_b64 vcc, -1, 0
.LBB35_3042:                            ;   Parent Loop BB35_47 Depth=1
                                        ;     Parent Loop BB35_2324 Depth=2
                                        ; =>    This Inner Loop Header: Depth=3
	v_lshl_add_u64 v[6:7], v[0:1], 0, v[8:9]
	flat_load_ushort v10, v[8:9] nt
	flat_load_ushort v11, v[6:7] nt
	s_waitcnt vmcnt(0)
	v_sub_u32_e32 v2, v2, v16
	v_cmp_gt_i32_e64 s[24:25], 2, v2
	s_or_b64 s[28:29], s[24:25], s[28:29]
	v_lshl_add_u64 v[6:7], v[58:59], 0, v[8:9]
	v_lshl_add_u64 v[8:9], v[8:9], 0, v[16:17]
	s_waitcnt lgkmcnt(0)
	v_lshlrev_b32_e32 v10, 16, v10
	v_lshlrev_b32_e32 v11, 16, v11
	v_max_f32_e32 v10, v10, v10
	v_max_f32_e32 v11, v11, v11
	v_min_f32_e32 v12, v11, v10
	v_max_f32_e32 v10, v11, v10
	v_cndmask_b32_e32 v10, v10, v12, vcc
	v_and_b32_e32 v11, 0x7f800000, v10
	v_bfe_u32 v12, v10, 16, 1
	v_or_b32_e32 v13, 0x10000, v10
	v_cmp_eq_u32_sdwa s[24:25], v10, v3 src0_sel:WORD_0 src1_sel:DWORD
	v_add3_u32 v12, v10, v12, s72
	s_nop 0
	v_cndmask_b32_e64 v10, v13, v10, s[24:25]
	v_cmp_eq_u32_e64 s[24:25], s51, v11
	s_nop 1
	v_cndmask_b32_e64 v10, v12, v10, s[24:25]
	flat_store_short_d16_hi v[6:7], v10 nt
	s_andn2_b64 exec, exec, s[28:29]
	s_cbranch_execnz .LBB35_3042
.LBB35_3043:                            ;   in Loop: Header=BB35_2324 Depth=2
	s_or_b64 exec, exec, s[26:27]
	v_cmp_lt_i32_e64 s[24:25], 0, v29
	v_mov_b32_e32 v58, v107
	s_and_saveexec_b64 s[26:27], s[6:7]
	s_cbranch_execz .LBB35_2463
.LBB35_3044:                            ;   in Loop: Header=BB35_2324 Depth=2
	s_and_saveexec_b64 s[12:13], s[78:79]
	s_xor_b64 s[28:29], exec, s[12:13]
	s_cbranch_execz .LBB35_3059
; %bb.3045:                             ;   in Loop: Header=BB35_2324 Depth=2
	s_and_saveexec_b64 s[40:41], s[14:15]
	s_cbranch_execz .LBB35_3058
; %bb.3046:                             ;   in Loop: Header=BB35_2324 Depth=2
	s_mov_b64 s[44:45], exec
	v_mbcnt_lo_u32_b32 v0, s44, 0
	v_mbcnt_hi_u32_b32 v0, s45, v0
	v_cmp_eq_u32_e32 vcc, 0, v0
	s_waitcnt lgkmcnt(0)
	s_and_saveexec_b64 s[42:43], vcc
	s_cbranch_execz .LBB35_3048
; %bb.3047:                             ;   in Loop: Header=BB35_2324 Depth=2
	s_bcnt1_i32_b64 s12, s[44:45]
	v_mov_b32_e32 v2, s12
	ds_add_u64 v0, v[2:3]
	s_trap 2
.LBB35_3048:                            ;   in Loop: Header=BB35_2324 Depth=2
	s_or_b64 exec, exec, s[42:43]
	s_trap 2
	ds_read_b64 v[0:1], v0
	s_waitcnt lgkmcnt(0)
	v_lshl_add_u64 v[56:57], v[56:57], 0, v[60:61]
	v_cmp_lt_u64_e32 vcc, v[0:1], v[56:57]
	s_and_saveexec_b64 s[42:43], vcc
	s_cbranch_execz .LBB35_3057
; %bb.3049:                             ;   in Loop: Header=BB35_2324 Depth=2
	s_mov_b32 s12, 0
	s_mov_b64 s[44:45], 0
                                        ; implicit-def: $sgpr46_sgpr47
                                        ; implicit-def: $sgpr56_sgpr57
	s_branch .LBB35_3051
.LBB35_3050:                            ;   in Loop: Header=BB35_3051 Depth=3
	s_or_b64 exec, exec, s[60:61]
	s_and_b64 s[58:59], exec, vcc
	s_or_b64 s[44:45], s[58:59], s[44:45]
	s_andn2_b64 s[46:47], s[46:47], exec
	s_and_b64 s[58:59], s[56:57], exec
	s_or_b64 s[46:47], s[46:47], s[58:59]
	s_andn2_b64 exec, exec, s[44:45]
	s_cbranch_execz .LBB35_3055
.LBB35_3051:                            ;   Parent Loop BB35_47 Depth=1
                                        ;     Parent Loop BB35_2324 Depth=2
                                        ; =>    This Inner Loop Header: Depth=3
	s_add_i32 s12, s12, 1
	s_cmpk_lg_i32 s12, 0x2710
	s_cselect_b64 s[58:59], -1, 0
	s_and_b64 vcc, exec, s[58:59]
	s_cbranch_vccz .LBB35_3053
; %bb.3052:                             ;   in Loop: Header=BB35_3051 Depth=3
	s_mov_b64 vcc, -1
	s_or_b64 s[56:57], s[56:57], exec
	s_and_saveexec_b64 s[60:61], s[58:59]
	s_cbranch_execz .LBB35_3050
	s_branch .LBB35_3054
.LBB35_3053:                            ;   in Loop: Header=BB35_3051 Depth=3
	s_trap 2
	ds_read_b64 v[0:1], v0
	s_andn2_b64 s[58:59], s[58:59], exec
	s_mov_b32 s12, 0
	s_waitcnt vmcnt(0) lgkmcnt(0)
	flat_load_dword v0, v[0:1] sc0 sc1
	s_waitcnt vmcnt(0) lgkmcnt(0)
	buffer_inv sc0 sc1
	v_cmp_eq_u32_e32 vcc, 0, v0
	s_and_b64 s[60:61], vcc, exec
	s_or_b64 s[58:59], s[58:59], s[60:61]
	s_mov_b64 vcc, -1
	s_or_b64 s[56:57], s[56:57], exec
	s_and_saveexec_b64 s[60:61], s[58:59]
	s_cbranch_execz .LBB35_3050
.LBB35_3054:                            ;   in Loop: Header=BB35_3051 Depth=3
	s_sleep 1
	s_trap 2
	ds_read_b64 v[0:1], v0
	s_waitcnt lgkmcnt(0)
	s_andn2_b64 s[56:57], s[56:57], exec
	v_cmp_ge_u64_e32 vcc, v[0:1], v[56:57]
	s_orn2_b64 vcc, vcc, exec
	s_branch .LBB35_3050
.LBB35_3055:                            ;   in Loop: Header=BB35_2324 Depth=2
	s_or_b64 exec, exec, s[44:45]
	s_and_saveexec_b64 s[12:13], s[46:47]
	s_xor_b64 s[12:13], exec, s[12:13]
	s_cbranch_execz .LBB35_3057
; %bb.3056:                             ;   in Loop: Header=BB35_2324 Depth=2
	v_mov_b32_e32 v0, 1
	ds_write_b32 v0, v0
	s_trap 2
.LBB35_3057:                            ;   in Loop: Header=BB35_2324 Depth=2
	s_or_b64 exec, exec, s[42:43]
	;;#ASMSTART
	s_wakeup
	;;#ASMEND
.LBB35_3058:                            ;   in Loop: Header=BB35_2324 Depth=2
	s_or_b64 exec, exec, s[40:41]
.LBB35_3059:                            ;   in Loop: Header=BB35_2324 Depth=2
	s_andn2_saveexec_b64 s[28:29], s[28:29]
	s_cbranch_execz .LBB35_3061
; %bb.3060:                             ;   in Loop: Header=BB35_2324 Depth=2
	s_waitcnt lgkmcnt(0)
	s_barrier
.LBB35_3061:                            ;   in Loop: Header=BB35_2324 Depth=2
	s_or_b64 exec, exec, s[28:29]
	s_or_b64 exec, exec, s[26:27]
                                        ; implicit-def: $vgpr0
	s_and_saveexec_b64 s[12:13], s[22:23]
	s_xor_b64 s[26:27], exec, s[12:13]
	s_cbranch_execnz .LBB35_2464
.LBB35_3062:                            ;   in Loop: Header=BB35_2324 Depth=2
	s_andn2_saveexec_b64 s[24:25], s[26:27]
	s_cbranch_execz .LBB35_3081
.LBB35_3063:                            ;   in Loop: Header=BB35_2324 Depth=2
	s_and_saveexec_b64 s[12:13], s[78:79]
	s_xor_b64 s[26:27], exec, s[12:13]
	s_cbranch_execz .LBB35_3078
; %bb.3064:                             ;   in Loop: Header=BB35_2324 Depth=2
	s_and_saveexec_b64 s[28:29], s[14:15]
	s_cbranch_execz .LBB35_3077
; %bb.3065:                             ;   in Loop: Header=BB35_2324 Depth=2
	s_mov_b64 s[42:43], exec
	v_mbcnt_lo_u32_b32 v0, s42, 0
	v_mbcnt_hi_u32_b32 v0, s43, v0
	v_cmp_eq_u32_e32 vcc, 0, v0
	;;#ASMSTART
	s_waitcnt lgkmcnt(0) vmcnt(0)
	;;#ASMEND
	s_and_saveexec_b64 s[40:41], vcc
	s_cbranch_execz .LBB35_3067
; %bb.3066:                             ;   in Loop: Header=BB35_2324 Depth=2
	s_bcnt1_i32_b64 s12, s[42:43]
	v_mov_b32_e32 v2, s12
	s_waitcnt lgkmcnt(0)
	ds_add_u64 v0, v[2:3]
	s_trap 2
.LBB35_3067:                            ;   in Loop: Header=BB35_2324 Depth=2
	s_or_b64 exec, exec, s[40:41]
	s_trap 2
	ds_read_b64 v[0:1], v0
	s_waitcnt lgkmcnt(0)
	v_lshl_add_u64 v[56:57], v[56:57], 0, v[60:61]
	v_cmp_lt_u64_e32 vcc, v[0:1], v[56:57]
	s_and_saveexec_b64 s[40:41], vcc
	s_cbranch_execz .LBB35_3076
; %bb.3068:                             ;   in Loop: Header=BB35_2324 Depth=2
	s_mov_b32 s12, 0
	s_mov_b64 s[42:43], 0
                                        ; implicit-def: $sgpr44_sgpr45
                                        ; implicit-def: $sgpr46_sgpr47
	s_branch .LBB35_3070
.LBB35_3069:                            ;   in Loop: Header=BB35_3070 Depth=3
	s_or_b64 exec, exec, s[58:59]
	s_and_b64 s[56:57], exec, s[60:61]
	s_or_b64 s[42:43], s[56:57], s[42:43]
	s_andn2_b64 s[44:45], s[44:45], exec
	s_and_b64 s[56:57], s[46:47], exec
	s_or_b64 s[44:45], s[44:45], s[56:57]
	s_andn2_b64 exec, exec, s[42:43]
	s_cbranch_execz .LBB35_3074
.LBB35_3070:                            ;   Parent Loop BB35_47 Depth=1
                                        ;     Parent Loop BB35_2324 Depth=2
                                        ; =>    This Inner Loop Header: Depth=3
	s_add_i32 s12, s12, 1
	s_cmpk_lg_i32 s12, 0x2710
	s_cselect_b64 s[56:57], -1, 0
	s_and_b64 vcc, exec, s[56:57]
	s_cbranch_vccz .LBB35_3072
; %bb.3071:                             ;   in Loop: Header=BB35_3070 Depth=3
	s_mov_b64 s[60:61], -1
	s_or_b64 s[46:47], s[46:47], exec
	s_and_saveexec_b64 s[58:59], s[56:57]
	s_cbranch_execz .LBB35_3069
	s_branch .LBB35_3073
.LBB35_3072:                            ;   in Loop: Header=BB35_3070 Depth=3
	s_trap 2
	ds_read_b64 v[0:1], v0
	s_andn2_b64 s[56:57], s[56:57], exec
	s_mov_b32 s12, 0
	s_waitcnt vmcnt(0) lgkmcnt(0)
	flat_load_dword v0, v[0:1] sc0 sc1
	s_waitcnt vmcnt(0) lgkmcnt(0)
	buffer_inv sc0 sc1
	v_cmp_eq_u32_e32 vcc, 0, v0
	s_and_b64 s[58:59], vcc, exec
	s_or_b64 s[56:57], s[56:57], s[58:59]
	s_mov_b64 s[60:61], -1
	s_or_b64 s[46:47], s[46:47], exec
	s_and_saveexec_b64 s[58:59], s[56:57]
	s_cbranch_execz .LBB35_3069
.LBB35_3073:                            ;   in Loop: Header=BB35_3070 Depth=3
	s_sleep 1
	s_trap 2
	ds_read_b64 v[0:1], v0
	s_waitcnt lgkmcnt(0)
	s_andn2_b64 s[46:47], s[46:47], exec
	v_cmp_ge_u64_e32 vcc, v[0:1], v[56:57]
	s_orn2_b64 s[60:61], vcc, exec
	s_branch .LBB35_3069
.LBB35_3074:                            ;   in Loop: Header=BB35_2324 Depth=2
	s_or_b64 exec, exec, s[42:43]
	s_and_saveexec_b64 s[12:13], s[44:45]
	s_xor_b64 s[12:13], exec, s[12:13]
	s_cbranch_execz .LBB35_3076
; %bb.3075:                             ;   in Loop: Header=BB35_2324 Depth=2
	v_mov_b32_e32 v0, 1
	ds_write_b32 v0, v0
	s_trap 2
.LBB35_3076:                            ;   in Loop: Header=BB35_2324 Depth=2
	s_or_b64 exec, exec, s[40:41]
	;;#ASMSTART
	s_wakeup
	;;#ASMEND
.LBB35_3077:                            ;   in Loop: Header=BB35_2324 Depth=2
	s_or_b64 exec, exec, s[28:29]
.LBB35_3078:                            ;   in Loop: Header=BB35_2324 Depth=2
	s_andn2_saveexec_b64 s[26:27], s[26:27]
	s_cbranch_execz .LBB35_3080
; %bb.3079:                             ;   in Loop: Header=BB35_2324 Depth=2
	;;#ASMSTART
	s_waitcnt lgkmcnt(0) vmcnt(0)
	;;#ASMEND
	s_barrier
.LBB35_3080:                            ;   in Loop: Header=BB35_2324 Depth=2
	s_or_b64 exec, exec, s[26:27]
	v_and_b32_e32 v0, 16, v106
.LBB35_3081:                            ;   in Loop: Header=BB35_2324 Depth=2
	s_or_b64 exec, exec, s[24:25]
	v_cmp_ne_u32_e32 vcc, 0, v0
	s_xor_b64 s[12:13], s[10:11], -1
	s_and_b64 s[12:13], vcc, s[12:13]
	s_and_saveexec_b64 s[24:25], s[12:13]
	s_cbranch_execz .LBB35_3083
; %bb.3082:                             ;   in Loop: Header=BB35_2324 Depth=2
	scratch_load_dwordx2 v[0:1], off, s33 offset:304 ; 8-byte Folded Reload
	v_mov_b32_e32 v2, 1
	s_waitcnt vmcnt(0)
	flat_store_dword v[0:1], v2 sc0 sc1
.LBB35_3083:                            ;   in Loop: Header=BB35_2324 Depth=2
	s_or_b64 exec, exec, s[24:25]
	v_and_b32_e32 v0, 48, v106
	v_cmp_ne_u32_e32 vcc, 0, v0
	s_and_saveexec_b64 s[24:25], vcc
	s_cbranch_execz .LBB35_3085
; %bb.3084:                             ;   in Loop: Header=BB35_2324 Depth=2
	v_lshl_add_u64 v[4:5], v[4:5], 0, 4
	flat_store_dwordx2 v[40:41], v[4:5] sc0 sc1
.LBB35_3085:                            ;   in Loop: Header=BB35_2324 Depth=2
	s_or_b64 exec, exec, s[24:25]
	v_mov_b32_e32 v2, v28
	s_or_b64 exec, exec, s[52:53]
	s_and_saveexec_b64 s[26:27], s[62:63]
	s_cbranch_execnz .LBB35_2331
.LBB35_3086:                            ;   in Loop: Header=BB35_2324 Depth=2
	s_or_b64 exec, exec, s[26:27]
	s_add_i32 s12, s68, 1
	s_cmp_eq_u32 s68, s74
	s_cbranch_scc1 .LBB35_3088
.LBB35_3087:                            ;   in Loop: Header=BB35_2324 Depth=2
	s_mov_b32 s68, s12
	s_branch .LBB35_2324
.LBB35_3088:                            ;   in Loop: Header=BB35_47 Depth=1
	v_mul_lo_u32 v2, v63, s96
	v_mul_lo_u32 v6, v62, s97
	v_mad_u64_u32 v[0:1], s[12:13], v62, s96, 0
	v_add3_u32 v1, v1, v6, v2
	v_sub_co_u32_e32 v6, vcc, v72, v0
	s_nop 1
	v_subb_co_u32_e32 v7, vcc, v73, v1, vcc
	v_cmp_lt_i64_e32 vcc, v[62:63], v[6:7]
	s_nop 1
	v_cndmask_b32_e32 v2, v6, v62, vcc
	v_max_i32_e32 v30, 0, v2
	v_add_u32_e32 v7, 15, v30
	v_ashrrev_i32_e32 v8, 31, v7
	v_lshrrev_b32_e32 v8, 28, v8
	v_add_u32_e32 v7, v7, v8
	v_and_b32_e32 v7, -16, v7
	v_cmp_gt_i32_e32 vcc, 1, v2
	v_mov_b32_e32 v6, 0
	v_max_i32_e32 v44, s85, v7
	s_or_b64 s[62:63], s[2:3], vcc
	s_xor_b64 s[12:13], s[62:63], -1
	s_mov_b64 s[52:53], exec
	scratch_load_dwordx4 v[82:85], off, s33 offset:432 ; 16-byte Folded Reload
	scratch_load_dwordx2 v[84:85], off, s33 offset:256 ; 8-byte Folded Reload
	scratch_load_dwordx2 v[86:87], off, s33 offset:312 ; 8-byte Folded Reload
	;; [unrolled: 1-line block ×4, first 2 shown]
	s_and_b64 s[12:13], s[52:53], s[12:13]
	s_mov_b64 exec, s[12:13]
	s_cbranch_execz .LBB35_3544
; %bb.3089:                             ;   in Loop: Header=BB35_47 Depth=1
	s_and_saveexec_b64 s[24:25], s[0:1]
	s_cbranch_execz .LBB35_3091
; %bb.3090:                             ;   in Loop: Header=BB35_47 Depth=1
	s_trap 2
	scratch_load_dwordx2 v[10:11], off, s33 offset:352 ; 8-byte Folded Reload
	ds_read_b128 v[6:9], v0
	s_waitcnt lgkmcnt(0)
	v_cmp_ne_u64_e32 vcc, 0, v[8:9]
	s_waitcnt vmcnt(0)
	v_lshl_add_u64 v[0:1], v[0:1], 0, v[10:11]
	v_lshlrev_b64 v[0:1], 1, v[0:1]
	v_lshl_add_u64 v[6:7], v[6:7], 0, v[0:1]
	v_lshl_add_u64 v[0:1], v[8:9], 0, v[0:1]
	ds_write_b64 v0, v[6:7]
	v_cndmask_b32_e32 v1, 0, v1, vcc
	v_cndmask_b32_e32 v0, 0, v0, vcc
	ds_write_b64 v0, v[0:1]
.LBB35_3091:                            ;   in Loop: Header=BB35_47 Depth=1
	s_or_b64 exec, exec, s[24:25]
	v_and_b32_e32 v0, 4, v106
	v_cmp_ne_u32_e32 vcc, 0, v0
	s_and_saveexec_b64 s[26:27], vcc
	s_cbranch_execz .LBB35_3113
; %bb.3092:                             ;   in Loop: Header=BB35_47 Depth=1
	v_lshl_add_u64 v[0:1], v[4:5], 0, 4
	s_waitcnt lgkmcnt(0)
	v_cmp_lt_u64_e32 vcc, v[46:47], v[0:1]
	s_and_saveexec_b64 s[28:29], vcc
	s_cbranch_execz .LBB35_3104
; %bb.3093:                             ;   in Loop: Header=BB35_47 Depth=1
	v_and_b32_e32 v2, 64, v106
	s_mov_b32 s12, 0
	v_cmp_eq_u32_e32 vcc, 0, v2
	s_mov_b64 s[40:41], 0
                                        ; implicit-def: $sgpr42_sgpr43
                                        ; implicit-def: $sgpr44_sgpr45
                                        ; implicit-def: $sgpr46_sgpr47
	s_branch .LBB35_3097
.LBB35_3094:                            ;   in Loop: Header=BB35_3097 Depth=2
	s_waitcnt vmcnt(0) lgkmcnt(0)
	v_cmp_ge_u64_e64 s[24:25], v[46:47], v[0:1]
	s_or_b64 s[60:61], s[60:61], exec
	s_orn2_b64 s[58:59], s[24:25], exec
.LBB35_3095:                            ;   in Loop: Header=BB35_3097 Depth=2
	s_or_b64 exec, exec, s[64:65]
	s_andn2_b64 s[24:25], s[46:47], exec
	s_and_b64 s[46:47], s[60:61], exec
	s_or_b64 s[46:47], s[24:25], s[46:47]
	s_andn2_b64 s[24:25], s[44:45], exec
	s_and_b64 s[44:45], s[58:59], exec
	s_or_b64 s[44:45], s[24:25], s[44:45]
.LBB35_3096:                            ;   in Loop: Header=BB35_3097 Depth=2
	s_or_b64 exec, exec, s[56:57]
	s_and_b64 s[24:25], exec, s[44:45]
	s_or_b64 s[40:41], s[24:25], s[40:41]
	s_andn2_b64 s[24:25], s[42:43], exec
	s_and_b64 s[42:43], s[46:47], exec
	s_or_b64 s[42:43], s[24:25], s[42:43]
	s_andn2_b64 exec, exec, s[40:41]
	s_cbranch_execz .LBB35_3101
.LBB35_3097:                            ;   Parent Loop BB35_47 Depth=1
                                        ; =>  This Inner Loop Header: Depth=2
	s_sleep 1
	s_waitcnt vmcnt(0) lgkmcnt(0)
	flat_load_dwordx2 v[46:47], v[40:41] sc0 sc1
	s_or_b64 s[46:47], s[46:47], exec
	s_or_b64 s[44:45], s[44:45], exec
                                        ; implicit-def: $vgpr2
	s_and_saveexec_b64 s[56:57], vcc
	s_cbranch_execz .LBB35_3096
; %bb.3098:                             ;   in Loop: Header=BB35_3097 Depth=2
	s_cmpk_lt_i32 s12, 0x270f
	s_cselect_b64 s[54:55], -1, 0
	s_cmpk_gt_i32 s12, 0x270e
	s_mov_b64 s[58:59], -1
	s_cbranch_scc0 .LBB35_3100
; %bb.3099:                             ;   in Loop: Header=BB35_3097 Depth=2
	s_trap 2
	ds_read_b64 v[6:7], v0
	s_andn2_b64 s[54:55], s[54:55], exec
	s_mov_b32 s12, 0
	s_mov_b64 s[60:61], 0
	s_waitcnt vmcnt(0) lgkmcnt(0)
	flat_load_dword v2, v[6:7] sc0 sc1
	s_waitcnt vmcnt(0) lgkmcnt(0)
	buffer_inv sc0 sc1
	v_cmp_eq_u32_e64 s[24:25], 0, v2
	s_and_b64 s[24:25], s[24:25], exec
	s_or_b64 s[54:55], s[54:55], s[24:25]
	s_and_saveexec_b64 s[64:65], s[54:55]
	s_cbranch_execz .LBB35_3095
	s_branch .LBB35_3094
.LBB35_3100:                            ;   in Loop: Header=BB35_3097 Depth=2
	s_add_i32 s12, s12, 1
	s_mov_b64 s[60:61], -1
                                        ; implicit-def: $vgpr2
	s_and_saveexec_b64 s[64:65], s[54:55]
	s_cbranch_execz .LBB35_3095
	s_branch .LBB35_3094
.LBB35_3101:                            ;   in Loop: Header=BB35_47 Depth=1
	s_or_b64 exec, exec, s[40:41]
	s_xor_b64 s[12:13], s[42:43], -1
	s_and_saveexec_b64 s[24:25], s[12:13]
	s_xor_b64 s[24:25], exec, s[24:25]
	s_cbranch_execz .LBB35_3103
; %bb.3102:                             ;   in Loop: Header=BB35_47 Depth=1
	v_or_b32_e32 v106, 64, v106
	s_waitcnt lgkmcnt(0)
	ds_write_b32 v0, v2
	s_trap 2
.LBB35_3103:                            ;   in Loop: Header=BB35_47 Depth=1
	s_or_b64 exec, exec, s[24:25]
.LBB35_3104:                            ;   in Loop: Header=BB35_47 Depth=1
	s_or_b64 exec, exec, s[28:29]
	v_and_b32_e32 v2, 0x100, v106
	v_cmp_ne_u32_e32 vcc, 0, v2
	v_and_b32_e32 v2, 7, v4
	s_mov_b64 s[24:25], -1
	;;#ASMSTART
	s_wakeup
	;;#ASMEND
                                        ; implicit-def: $vgpr4_vgpr5
	s_and_saveexec_b64 s[28:29], vcc
	s_cbranch_execz .LBB35_3108
; %bb.3105:                             ;   in Loop: Header=BB35_47 Depth=1
	scratch_load_dwordx4 v[4:7], off, s33 offset:288 ; 16-byte Folded Reload
	s_waitcnt vmcnt(0)
	v_mad_u64_u32 v[8:9], s[12:13], v2, 24, v[4:5]
	flat_load_dword v4, v[8:9]
	s_waitcnt vmcnt(0) lgkmcnt(0)
	v_cmp_ne_u32_e32 vcc, 1, v4
	v_cmp_eq_u32_e64 s[24:25], 1, v4
                                        ; implicit-def: $vgpr4_vgpr5
	s_and_saveexec_b64 s[40:41], s[24:25]
	s_cbranch_execz .LBB35_3107
; %bb.3106:                             ;   in Loop: Header=BB35_47 Depth=1
	flat_load_dword v4, v[8:9] offset:4 sc0 sc1
	s_waitcnt vmcnt(0) lgkmcnt(0)
	v_ashrrev_i32_e32 v5, 31, v4
	v_lshrrev_b64 v[4:5], 1, v[4:5]
.LBB35_3107:                            ;   in Loop: Header=BB35_47 Depth=1
	s_or_b64 exec, exec, s[40:41]
	s_orn2_b64 s[24:25], vcc, exec
.LBB35_3108:                            ;   in Loop: Header=BB35_47 Depth=1
	s_or_b64 exec, exec, s[28:29]
	s_and_saveexec_b64 s[28:29], s[24:25]
	s_cbranch_execz .LBB35_3110
; %bb.3109:                             ;   in Loop: Header=BB35_47 Depth=1
	scratch_load_dwordx2 v[4:5], off, s33 offset:360 ; 8-byte Folded Reload
	s_waitcnt vmcnt(0)
	v_mad_i64_i32 v[4:5], s[12:13], v2, v4, 0
.LBB35_3110:                            ;   in Loop: Header=BB35_47 Depth=1
	s_or_b64 exec, exec, s[28:29]
	scratch_load_dwordx2 v[6:7], off, s33 offset:272 ; 8-byte Folded Reload
	v_and_b32_e32 v2, 0x2000, v106
	v_cmp_ne_u32_e32 vcc, 0, v2
	s_waitcnt vmcnt(0)
	v_lshl_add_u64 v[4:5], v[4:5], 1, v[6:7]
	ds_write_b64 v0, v[4:5] offset:720
	s_and_saveexec_b64 s[24:25], vcc
	s_cbranch_execz .LBB35_3112
; %bb.3111:                             ;   in Loop: Header=BB35_47 Depth=1
	ds_read_b64 v[4:5], v0 offset:872
	s_waitcnt lgkmcnt(0)
	v_lshl_add_u64 v[4:5], v[4:5], 0, 1
	ds_write_b64 v0, v[4:5] offset:872
.LBB35_3112:                            ;   in Loop: Header=BB35_47 Depth=1
	s_or_b64 exec, exec, s[24:25]
	v_mov_b64_e32 v[4:5], v[0:1]
.LBB35_3113:                            ;   in Loop: Header=BB35_47 Depth=1
	s_or_b64 exec, exec, s[26:27]
	s_and_saveexec_b64 s[24:25], s[6:7]
	s_cbranch_execz .LBB35_3132
; %bb.3114:                             ;   in Loop: Header=BB35_47 Depth=1
	s_and_saveexec_b64 s[12:13], s[78:79]
	s_xor_b64 s[26:27], exec, s[12:13]
	s_cbranch_execz .LBB35_3129
; %bb.3115:                             ;   in Loop: Header=BB35_47 Depth=1
	s_and_saveexec_b64 s[28:29], s[14:15]
	s_cbranch_execz .LBB35_3128
; %bb.3116:                             ;   in Loop: Header=BB35_47 Depth=1
	s_mov_b64 s[42:43], exec
	v_mbcnt_lo_u32_b32 v0, s42, 0
	v_mbcnt_hi_u32_b32 v0, s43, v0
	v_cmp_eq_u32_e32 vcc, 0, v0
	s_waitcnt lgkmcnt(0)
	s_and_saveexec_b64 s[40:41], vcc
	s_cbranch_execz .LBB35_3118
; %bb.3117:                             ;   in Loop: Header=BB35_47 Depth=1
	s_bcnt1_i32_b64 s12, s[42:43]
	v_mov_b32_e32 v2, s12
	ds_add_u64 v0, v[2:3]
	s_trap 2
.LBB35_3118:                            ;   in Loop: Header=BB35_47 Depth=1
	s_or_b64 exec, exec, s[40:41]
	s_trap 2
	ds_read_b64 v[0:1], v0
	s_waitcnt lgkmcnt(0)
	v_lshl_add_u64 v[56:57], v[56:57], 0, v[60:61]
	v_cmp_lt_u64_e32 vcc, v[0:1], v[56:57]
	s_and_saveexec_b64 s[40:41], vcc
	s_cbranch_execz .LBB35_3127
; %bb.3119:                             ;   in Loop: Header=BB35_47 Depth=1
	s_mov_b32 s12, 0
	s_mov_b64 s[42:43], 0
                                        ; implicit-def: $sgpr44_sgpr45
                                        ; implicit-def: $sgpr46_sgpr47
	s_branch .LBB35_3121
.LBB35_3120:                            ;   in Loop: Header=BB35_3121 Depth=2
	s_or_b64 exec, exec, s[58:59]
	s_and_b64 s[56:57], exec, s[60:61]
	s_or_b64 s[42:43], s[56:57], s[42:43]
	s_andn2_b64 s[44:45], s[44:45], exec
	s_and_b64 s[56:57], s[46:47], exec
	s_or_b64 s[44:45], s[44:45], s[56:57]
	s_andn2_b64 exec, exec, s[42:43]
	s_cbranch_execz .LBB35_3125
.LBB35_3121:                            ;   Parent Loop BB35_47 Depth=1
                                        ; =>  This Inner Loop Header: Depth=2
	s_add_i32 s12, s12, 1
	s_cmpk_lg_i32 s12, 0x2710
	s_cselect_b64 s[56:57], -1, 0
	s_and_b64 vcc, exec, s[56:57]
	s_cbranch_vccz .LBB35_3123
; %bb.3122:                             ;   in Loop: Header=BB35_3121 Depth=2
	s_mov_b64 s[60:61], -1
	s_or_b64 s[46:47], s[46:47], exec
	s_and_saveexec_b64 s[58:59], s[56:57]
	s_cbranch_execz .LBB35_3120
	s_branch .LBB35_3124
.LBB35_3123:                            ;   in Loop: Header=BB35_3121 Depth=2
	s_trap 2
	ds_read_b64 v[0:1], v0
	s_andn2_b64 s[56:57], s[56:57], exec
	s_mov_b32 s12, 0
	s_waitcnt vmcnt(0) lgkmcnt(0)
	flat_load_dword v0, v[0:1] sc0 sc1
	s_waitcnt vmcnt(0) lgkmcnt(0)
	buffer_inv sc0 sc1
	v_cmp_eq_u32_e32 vcc, 0, v0
	s_and_b64 s[58:59], vcc, exec
	s_or_b64 s[56:57], s[56:57], s[58:59]
	s_mov_b64 s[60:61], -1
	s_or_b64 s[46:47], s[46:47], exec
	s_and_saveexec_b64 s[58:59], s[56:57]
	s_cbranch_execz .LBB35_3120
.LBB35_3124:                            ;   in Loop: Header=BB35_3121 Depth=2
	s_sleep 1
	s_trap 2
	ds_read_b64 v[0:1], v0
	s_waitcnt lgkmcnt(0)
	s_andn2_b64 s[46:47], s[46:47], exec
	v_cmp_ge_u64_e32 vcc, v[0:1], v[56:57]
	s_orn2_b64 s[60:61], vcc, exec
	s_branch .LBB35_3120
.LBB35_3125:                            ;   in Loop: Header=BB35_47 Depth=1
	s_or_b64 exec, exec, s[42:43]
	s_and_saveexec_b64 s[12:13], s[44:45]
	s_xor_b64 s[12:13], exec, s[12:13]
	s_cbranch_execz .LBB35_3127
; %bb.3126:                             ;   in Loop: Header=BB35_47 Depth=1
	v_mov_b32_e32 v0, 1
	ds_write_b32 v0, v0
	s_trap 2
.LBB35_3127:                            ;   in Loop: Header=BB35_47 Depth=1
	s_or_b64 exec, exec, s[40:41]
	;;#ASMSTART
	s_wakeup
	;;#ASMEND
.LBB35_3128:                            ;   in Loop: Header=BB35_47 Depth=1
	s_or_b64 exec, exec, s[28:29]
.LBB35_3129:                            ;   in Loop: Header=BB35_47 Depth=1
	s_andn2_saveexec_b64 s[26:27], s[26:27]
	s_cbranch_execz .LBB35_3131
; %bb.3130:                             ;   in Loop: Header=BB35_47 Depth=1
	s_waitcnt lgkmcnt(0)
	s_barrier
.LBB35_3131:                            ;   in Loop: Header=BB35_47 Depth=1
	s_or_b64 exec, exec, s[26:27]
.LBB35_3132:                            ;   in Loop: Header=BB35_47 Depth=1
	s_or_b64 exec, exec, s[24:25]
	s_trap 2
	ds_read_b32 v6, v0
	v_and_b32_e32 v0, 0x4000, v106
	v_cmp_ne_u32_e32 vcc, 0, v0
	s_xor_b64 s[12:13], s[4:5], -1
	s_and_b64 s[12:13], s[12:13], vcc
	s_and_saveexec_b64 s[24:25], s[12:13]
	s_cbranch_execz .LBB35_3151
; %bb.3133:                             ;   in Loop: Header=BB35_47 Depth=1
	s_and_saveexec_b64 s[12:13], s[78:79]
	s_xor_b64 s[26:27], exec, s[12:13]
	s_cbranch_execz .LBB35_3148
; %bb.3134:                             ;   in Loop: Header=BB35_47 Depth=1
	s_and_saveexec_b64 s[28:29], s[14:15]
	s_cbranch_execz .LBB35_3147
; %bb.3135:                             ;   in Loop: Header=BB35_47 Depth=1
	s_mov_b64 s[42:43], exec
	v_mbcnt_lo_u32_b32 v0, s42, 0
	v_mbcnt_hi_u32_b32 v0, s43, v0
	v_cmp_eq_u32_e32 vcc, 0, v0
	s_waitcnt lgkmcnt(0)
	s_and_saveexec_b64 s[40:41], vcc
	s_cbranch_execz .LBB35_3137
; %bb.3136:                             ;   in Loop: Header=BB35_47 Depth=1
	s_bcnt1_i32_b64 s12, s[42:43]
	v_mov_b32_e32 v2, s12
	ds_add_u64 v0, v[2:3]
	s_trap 2
.LBB35_3137:                            ;   in Loop: Header=BB35_47 Depth=1
	s_or_b64 exec, exec, s[40:41]
	s_trap 2
	ds_read_b64 v[0:1], v0
	s_waitcnt lgkmcnt(0)
	v_lshl_add_u64 v[56:57], v[56:57], 0, v[60:61]
	v_cmp_lt_u64_e32 vcc, v[0:1], v[56:57]
	s_and_saveexec_b64 s[40:41], vcc
	s_cbranch_execz .LBB35_3146
; %bb.3138:                             ;   in Loop: Header=BB35_47 Depth=1
	s_mov_b32 s12, 0
	s_mov_b64 s[42:43], 0
                                        ; implicit-def: $sgpr44_sgpr45
                                        ; implicit-def: $sgpr46_sgpr47
	s_branch .LBB35_3140
.LBB35_3139:                            ;   in Loop: Header=BB35_3140 Depth=2
	s_or_b64 exec, exec, s[58:59]
	s_and_b64 s[56:57], exec, s[60:61]
	s_or_b64 s[42:43], s[56:57], s[42:43]
	s_andn2_b64 s[44:45], s[44:45], exec
	s_and_b64 s[56:57], s[46:47], exec
	s_or_b64 s[44:45], s[44:45], s[56:57]
	s_andn2_b64 exec, exec, s[42:43]
	s_cbranch_execz .LBB35_3144
.LBB35_3140:                            ;   Parent Loop BB35_47 Depth=1
                                        ; =>  This Inner Loop Header: Depth=2
	s_add_i32 s12, s12, 1
	s_cmpk_lg_i32 s12, 0x2710
	s_cselect_b64 s[56:57], -1, 0
	s_and_b64 vcc, exec, s[56:57]
	s_cbranch_vccz .LBB35_3142
; %bb.3141:                             ;   in Loop: Header=BB35_3140 Depth=2
	s_mov_b64 s[60:61], -1
	s_or_b64 s[46:47], s[46:47], exec
	s_and_saveexec_b64 s[58:59], s[56:57]
	s_cbranch_execz .LBB35_3139
	s_branch .LBB35_3143
.LBB35_3142:                            ;   in Loop: Header=BB35_3140 Depth=2
	s_trap 2
	ds_read_b64 v[0:1], v0
	s_andn2_b64 s[56:57], s[56:57], exec
	s_mov_b32 s12, 0
	s_waitcnt vmcnt(0) lgkmcnt(0)
	flat_load_dword v0, v[0:1] sc0 sc1
	s_waitcnt vmcnt(0) lgkmcnt(0)
	buffer_inv sc0 sc1
	v_cmp_eq_u32_e32 vcc, 0, v0
	s_and_b64 s[58:59], vcc, exec
	s_or_b64 s[56:57], s[56:57], s[58:59]
	s_mov_b64 s[60:61], -1
	s_or_b64 s[46:47], s[46:47], exec
	s_and_saveexec_b64 s[58:59], s[56:57]
	s_cbranch_execz .LBB35_3139
.LBB35_3143:                            ;   in Loop: Header=BB35_3140 Depth=2
	s_sleep 1
	s_trap 2
	ds_read_b64 v[0:1], v0
	s_waitcnt lgkmcnt(0)
	s_andn2_b64 s[46:47], s[46:47], exec
	v_cmp_ge_u64_e32 vcc, v[0:1], v[56:57]
	s_orn2_b64 s[60:61], vcc, exec
	s_branch .LBB35_3139
.LBB35_3144:                            ;   in Loop: Header=BB35_47 Depth=1
	s_or_b64 exec, exec, s[42:43]
	s_and_saveexec_b64 s[12:13], s[44:45]
	s_xor_b64 s[12:13], exec, s[12:13]
	s_cbranch_execz .LBB35_3146
; %bb.3145:                             ;   in Loop: Header=BB35_47 Depth=1
	v_mov_b32_e32 v0, 1
	ds_write_b32 v0, v0
	s_trap 2
.LBB35_3146:                            ;   in Loop: Header=BB35_47 Depth=1
	s_or_b64 exec, exec, s[40:41]
	;;#ASMSTART
	s_wakeup
	;;#ASMEND
.LBB35_3147:                            ;   in Loop: Header=BB35_47 Depth=1
	s_or_b64 exec, exec, s[28:29]
.LBB35_3148:                            ;   in Loop: Header=BB35_47 Depth=1
	s_andn2_saveexec_b64 s[26:27], s[26:27]
	s_cbranch_execz .LBB35_3150
; %bb.3149:                             ;   in Loop: Header=BB35_47 Depth=1
	s_waitcnt lgkmcnt(0)
	s_barrier
.LBB35_3150:                            ;   in Loop: Header=BB35_47 Depth=1
	s_or_b64 exec, exec, s[26:27]
.LBB35_3151:                            ;   in Loop: Header=BB35_47 Depth=1
	s_or_b64 exec, exec, s[24:25]
	s_trap 2
	ds_read_b64 v[0:1], v0
	v_min_i32_e32 v44, v44, v30
	s_waitcnt lgkmcnt(0)
	v_cmp_eq_u64_e32 vcc, 0, v[0:1]
	s_cbranch_vccnz .LBB35_3159
; %bb.3152:                             ;   in Loop: Header=BB35_47 Depth=1
	s_trap 2
	ds_read_b64 v[28:29], v0
	s_waitcnt lgkmcnt(0)
	v_cmp_eq_u64_e32 vcc, 0, v[28:29]
	s_cbranch_vccnz .LBB35_3159
; %bb.3153:                             ;   in Loop: Header=BB35_47 Depth=1
	s_trap 2
	ds_read_b64 v[78:79], v0
	s_mov_b64 s[26:27], -1
	s_waitcnt lgkmcnt(0)
	v_readfirstlane_b32 s12, v78
	s_and_saveexec_b64 s[24:25], s[18:19]
	s_cbranch_execz .LBB35_3155
; %bb.3154:                             ;   in Loop: Header=BB35_47 Depth=1
	ds_read_b32 v2, v0 offset:720
	s_waitcnt lgkmcnt(0)
	v_and_b32_e32 v2, 15, v2
	v_cmp_eq_u32_e32 vcc, 0, v2
	s_orn2_b64 s[26:27], vcc, exec
.LBB35_3155:                            ;   in Loop: Header=BB35_47 Depth=1
	s_or_b64 exec, exec, s[24:25]
	s_and_saveexec_b64 s[24:25], s[16:17]
	s_cbranch_execz .LBB35_3157
; %bb.3156:                             ;   in Loop: Header=BB35_47 Depth=1
	ds_read_b32 v2, v0 offset:784
	s_waitcnt lgkmcnt(0)
	v_and_b32_e32 v2, 15, v2
	v_cmp_eq_u32_e32 vcc, 0, v2
	s_and_b64 s[28:29], s[26:27], vcc
	s_andn2_b64 s[26:27], s[26:27], exec
	s_and_b64 s[28:29], s[28:29], exec
	s_or_b64 s[26:27], s[26:27], s[28:29]
.LBB35_3157:                            ;   in Loop: Header=BB35_47 Depth=1
	s_or_b64 exec, exec, s[24:25]
	v_cmp_eq_u32_e32 vcc, 0, v6
	s_xor_b64 s[26:27], s[26:27], -1
	v_cndmask_b32_e64 v6, 0, 1, s[26:27]
	v_cndmask_b32_e32 v2, 0, v44, vcc
	v_lshlrev_b32_e32 v45, 1, v2
	s_mov_b64 s[24:25], -1
	v_cmp_ne_u32_e32 vcc, 0, v6
	v_mov_b32_e32 v18, 0
	s_cbranch_vccz .LBB35_3164
; %bb.3158:                             ;   in Loop: Header=BB35_47 Depth=1
	v_mov_b32_e32 v19, v31
	s_and_saveexec_b64 s[26:27], s[24:25]
	s_cbranch_execnz .LBB35_3431
	s_branch .LBB35_3503
.LBB35_3159:                            ;   in Loop: Header=BB35_47 Depth=1
	s_mov_b64 s[24:25], 0
	s_and_saveexec_b64 s[26:27], s[6:7]
	s_cbranch_execnz .LBB35_3504
.LBB35_3160:                            ;   in Loop: Header=BB35_47 Depth=1
	s_or_b64 exec, exec, s[26:27]
	s_and_saveexec_b64 s[12:13], s[22:23]
	s_xor_b64 s[26:27], exec, s[12:13]
	s_cbranch_execz .LBB35_3522
.LBB35_3161:                            ;   in Loop: Header=BB35_47 Depth=1
	v_and_b32_e32 v0, 16, v106
	v_cmp_ne_u32_e32 vcc, 0, v0
	s_and_b64 s[12:13], vcc, s[24:25]
	s_and_saveexec_b64 s[24:25], s[12:13]
	s_cbranch_execz .LBB35_3163
; %bb.3162:                             ;   in Loop: Header=BB35_47 Depth=1
	buffer_wbl2 sc1
	s_waitcnt vmcnt(0) lgkmcnt(0)
	buffer_inv sc1
.LBB35_3163:                            ;   in Loop: Header=BB35_47 Depth=1
	s_or_b64 exec, exec, s[24:25]
	s_andn2_saveexec_b64 s[24:25], s[26:27]
	s_cbranch_execz .LBB35_3541
	s_branch .LBB35_3523
.LBB35_3164:                            ;   in Loop: Header=BB35_47 Depth=1
	v_ashrrev_i32_e32 v6, 31, v45
	v_lshrrev_b32_e32 v6, 19, v6
	v_add_u32_e32 v6, v45, v6
	v_ashrrev_i32_e32 v7, 13, v6
	v_lshrrev_b32_e32 v6, 6, v31
	v_sub_u32_e32 v6, v7, v6
	v_cmp_lt_i32_e32 vcc, 0, v6
	s_and_saveexec_b64 s[26:27], vcc
	s_cbranch_execz .LBB35_3424
; %bb.3165:                             ;   in Loop: Header=BB35_47 Depth=1
	s_and_b32 s76, s12, 1
	s_cmp_eq_u64 s[76:77], 0
	s_mov_b64 s[28:29], 0
	s_cselect_b64 s[24:25], -1, 0
	v_mov_b64_e32 v[72:73], v[28:29]
	v_mov_b64_e32 v[108:109], v[0:1]
	;; [unrolled: 1-line block ×3, first 2 shown]
	s_branch .LBB35_3167
.LBB35_3166:                            ;   in Loop: Header=BB35_3167 Depth=2
	s_or_b64 exec, exec, s[40:41]
	v_lshrrev_b32_e32 v12, 16, v12
	v_and_or_b32 v9, v9, s73, v12
	v_lshrrev_b32_e32 v12, 16, v16
	v_and_or_b32 v8, v8, s73, v12
	;; [unrolled: 2-line block ×4, first 2 shown]
	v_add_co_u32_e32 v12, vcc, 0x1000, v100
	v_sub_u32_e32 v6, v6, v60
	s_nop 0
	v_addc_co_u32_e32 v13, vcc, 0, v101, vcc
	global_store_dwordx4 v[12:13], v[8:11], off offset:3072
	scratch_load_dwordx2 v[8:9], off, s33 offset:336 ; 8-byte Folded Reload
	v_cmp_gt_i32_e32 vcc, 1, v6
	s_or_b64 s[28:29], vcc, s[28:29]
	s_waitcnt vmcnt(0)
	v_lshl_add_u64 v[58:59], v[58:59], 0, v[8:9]
	v_lshl_add_u64 v[108:109], v[108:109], 0, v[8:9]
	;; [unrolled: 1-line block ×3, first 2 shown]
	s_andn2_b64 exec, exec, s[28:29]
	s_cbranch_execz .LBB35_3423
.LBB35_3167:                            ;   Parent Loop BB35_47 Depth=1
                                        ; =>  This Inner Loop Header: Depth=2
	scratch_load_dwordx2 v[10:11], off, s33 offset:408 ; 8-byte Folded Reload
	s_waitcnt vmcnt(0)
	v_lshl_add_u64 v[8:9], v[10:11], 0, v[58:59]
	v_lshl_add_u64 v[10:11], v[10:11], 0, v[108:109]
	global_load_dwordx4 v[100:103], v[10:11], off nt
	global_load_dwordx4 v[84:87], v[10:11], off offset:1024 nt
	global_load_dwordx4 v[112:115], v[8:9], off nt
	global_load_dwordx4 v[96:99], v[8:9], off offset:1024 nt
	global_load_dwordx4 v[68:71], v[10:11], off offset:2048 nt
	;; [unrolled: 1-line block ×5, first 2 shown]
	v_add_co_u32_e32 v10, vcc, s75, v10
	s_waitcnt vmcnt(7)
	v_lshlrev_b32_e32 v118, 16, v100
	v_addc_co_u32_e32 v11, vcc, 0, v11, vcc
	v_add_co_u32_e32 v12, vcc, s75, v8
	s_waitcnt vmcnt(5)
	v_lshlrev_b32_e32 v119, 16, v112
	v_addc_co_u32_e32 v13, vcc, 0, v9, vcc
	global_load_dwordx4 v[36:39], v[10:11], off nt
	global_load_dwordx4 v[24:27], v[10:11], off offset:1024 nt
	global_load_dwordx4 v[48:51], v[12:13], off nt
	global_load_dwordx4 v[32:35], v[12:13], off offset:1024 nt
	global_load_dwordx4 v[16:19], v[10:11], off offset:2048 nt
	s_nop 0
	global_load_dwordx4 v[8:11], v[10:11], off offset:3072 nt
	s_nop 0
	;; [unrolled: 2-line block ×3, first 2 shown]
	global_load_dwordx4 v[12:15], v[12:13], off offset:3072 nt
	v_max_f32_e32 v119, v119, v119
	v_max_f32_e32 v118, v118, v118
	v_min_f32_e32 v42, v118, v119
	v_max_f32_e32 v118, v118, v119
	v_cndmask_b32_e64 v119, v118, v42, s[24:25]
	v_and_b32_e32 v118, 0x7f800000, v119
	v_cmp_ne_u32_e32 vcc, s51, v118
                                        ; implicit-def: $vgpr118
	s_and_saveexec_b64 s[40:41], vcc
	s_xor_b64 s[40:41], exec, s[40:41]
; %bb.3168:                             ;   in Loop: Header=BB35_3167 Depth=2
	v_bfe_u32 v118, v119, 16, 1
	v_add3_u32 v118, v119, v118, s72
                                        ; implicit-def: $vgpr119
; %bb.3169:                             ;   in Loop: Header=BB35_3167 Depth=2
	s_andn2_saveexec_b64 s[40:41], s[40:41]
; %bb.3170:                             ;   in Loop: Header=BB35_3167 Depth=2
	v_or_b32_e32 v118, 0x10000, v119
	v_cmp_eq_u32_sdwa vcc, v119, v3 src0_sel:WORD_0 src1_sel:DWORD
	s_nop 1
	v_cndmask_b32_e32 v118, v118, v119, vcc
; %bb.3171:                             ;   in Loop: Header=BB35_3167 Depth=2
	s_or_b64 exec, exec, s[40:41]
	v_and_b32_e32 v100, 0xffff0000, v100
	v_and_b32_e32 v112, 0xffff0000, v112
	v_max_f32_e32 v112, v112, v112
	v_max_f32_e32 v100, v100, v100
	v_min_f32_e32 v119, v100, v112
	v_max_f32_e32 v100, v100, v112
	v_cndmask_b32_e64 v100, v100, v119, s[24:25]
	v_and_b32_e32 v112, 0x7f800000, v100
	v_cmp_ne_u32_e32 vcc, s51, v112
                                        ; implicit-def: $vgpr112
	s_and_saveexec_b64 s[40:41], vcc
	s_xor_b64 s[40:41], exec, s[40:41]
; %bb.3172:                             ;   in Loop: Header=BB35_3167 Depth=2
	v_bfe_u32 v112, v100, 16, 1
	v_add3_u32 v112, v100, v112, s72
                                        ; implicit-def: $vgpr100
; %bb.3173:                             ;   in Loop: Header=BB35_3167 Depth=2
	s_andn2_saveexec_b64 s[40:41], s[40:41]
; %bb.3174:                             ;   in Loop: Header=BB35_3167 Depth=2
	v_or_b32_e32 v112, 0x10000, v100
	v_cmp_eq_u32_sdwa vcc, v100, v3 src0_sel:WORD_0 src1_sel:DWORD
	s_nop 1
	v_cndmask_b32_e32 v112, v112, v100, vcc
; %bb.3175:                             ;   in Loop: Header=BB35_3167 Depth=2
	s_or_b64 exec, exec, s[40:41]
	v_lshlrev_b32_e32 v100, 16, v101
	v_lshlrev_b32_e32 v119, 16, v113
	v_max_f32_e32 v119, v119, v119
	v_max_f32_e32 v100, v100, v100
	v_min_f32_e32 v42, v100, v119
	v_max_f32_e32 v100, v100, v119
	v_cndmask_b32_e64 v100, v100, v42, s[24:25]
	v_and_b32_e32 v119, 0x7f800000, v100
	v_cmp_ne_u32_e32 vcc, s51, v119
                                        ; implicit-def: $vgpr119
	s_and_saveexec_b64 s[40:41], vcc
	s_xor_b64 s[40:41], exec, s[40:41]
; %bb.3176:                             ;   in Loop: Header=BB35_3167 Depth=2
	v_bfe_u32 v119, v100, 16, 1
	v_add3_u32 v119, v100, v119, s72
                                        ; implicit-def: $vgpr100
; %bb.3177:                             ;   in Loop: Header=BB35_3167 Depth=2
	s_andn2_saveexec_b64 s[40:41], s[40:41]
; %bb.3178:                             ;   in Loop: Header=BB35_3167 Depth=2
	v_or_b32_e32 v119, 0x10000, v100
	v_cmp_eq_u32_sdwa vcc, v100, v3 src0_sel:WORD_0 src1_sel:DWORD
	s_nop 1
	v_cndmask_b32_e32 v119, v119, v100, vcc
; %bb.3179:                             ;   in Loop: Header=BB35_3167 Depth=2
	s_or_b64 exec, exec, s[40:41]
	v_and_b32_e32 v100, 0xffff0000, v101
	v_and_b32_e32 v101, 0xffff0000, v113
	v_max_f32_e32 v101, v101, v101
	v_max_f32_e32 v100, v100, v100
	v_min_f32_e32 v113, v100, v101
	v_max_f32_e32 v100, v100, v101
	v_cndmask_b32_e64 v100, v100, v113, s[24:25]
	v_and_b32_e32 v101, 0x7f800000, v100
	v_cmp_ne_u32_e32 vcc, s51, v101
                                        ; implicit-def: $vgpr113
	s_and_saveexec_b64 s[40:41], vcc
	s_xor_b64 s[40:41], exec, s[40:41]
; %bb.3180:                             ;   in Loop: Header=BB35_3167 Depth=2
	v_bfe_u32 v101, v100, 16, 1
	v_add3_u32 v113, v100, v101, s72
                                        ; implicit-def: $vgpr100
; %bb.3181:                             ;   in Loop: Header=BB35_3167 Depth=2
	s_andn2_saveexec_b64 s[40:41], s[40:41]
; %bb.3182:                             ;   in Loop: Header=BB35_3167 Depth=2
	v_or_b32_e32 v101, 0x10000, v100
	v_cmp_eq_u32_sdwa vcc, v100, v3 src0_sel:WORD_0 src1_sel:DWORD
	s_nop 1
	v_cndmask_b32_e32 v113, v101, v100, vcc
; %bb.3183:                             ;   in Loop: Header=BB35_3167 Depth=2
	s_or_b64 exec, exec, s[40:41]
	v_lshlrev_b32_e32 v100, 16, v102
	v_lshlrev_b32_e32 v101, 16, v114
	v_max_f32_e32 v101, v101, v101
	v_max_f32_e32 v100, v100, v100
	v_min_f32_e32 v42, v100, v101
	v_max_f32_e32 v100, v100, v101
	v_cndmask_b32_e64 v100, v100, v42, s[24:25]
	v_and_b32_e32 v101, 0x7f800000, v100
	v_cmp_ne_u32_e32 vcc, s51, v101
                                        ; implicit-def: $vgpr42
	s_and_saveexec_b64 s[40:41], vcc
	s_xor_b64 s[40:41], exec, s[40:41]
; %bb.3184:                             ;   in Loop: Header=BB35_3167 Depth=2
	v_bfe_u32 v101, v100, 16, 1
	v_add3_u32 v42, v100, v101, s72
                                        ; implicit-def: $vgpr100
; %bb.3185:                             ;   in Loop: Header=BB35_3167 Depth=2
	s_andn2_saveexec_b64 s[40:41], s[40:41]
; %bb.3186:                             ;   in Loop: Header=BB35_3167 Depth=2
	v_or_b32_e32 v101, 0x10000, v100
	v_cmp_eq_u32_sdwa vcc, v100, v3 src0_sel:WORD_0 src1_sel:DWORD
	s_nop 1
	v_cndmask_b32_e32 v42, v101, v100, vcc
; %bb.3187:                             ;   in Loop: Header=BB35_3167 Depth=2
	s_or_b64 exec, exec, s[40:41]
	v_and_b32_e32 v100, 0xffff0000, v102
	v_and_b32_e32 v101, 0xffff0000, v114
	v_max_f32_e32 v101, v101, v101
	v_max_f32_e32 v100, v100, v100
	v_min_f32_e32 v102, v100, v101
	v_max_f32_e32 v100, v100, v101
	v_cndmask_b32_e64 v100, v100, v102, s[24:25]
	v_and_b32_e32 v101, 0x7f800000, v100
	v_cmp_ne_u32_e32 vcc, s51, v101
                                        ; implicit-def: $vgpr102
	s_and_saveexec_b64 s[40:41], vcc
	s_xor_b64 s[40:41], exec, s[40:41]
; %bb.3188:                             ;   in Loop: Header=BB35_3167 Depth=2
	v_bfe_u32 v101, v100, 16, 1
	v_add3_u32 v102, v100, v101, s72
                                        ; implicit-def: $vgpr100
; %bb.3189:                             ;   in Loop: Header=BB35_3167 Depth=2
	s_andn2_saveexec_b64 s[40:41], s[40:41]
; %bb.3190:                             ;   in Loop: Header=BB35_3167 Depth=2
	v_or_b32_e32 v101, 0x10000, v100
	v_cmp_eq_u32_sdwa vcc, v100, v3 src0_sel:WORD_0 src1_sel:DWORD
	s_nop 1
	v_cndmask_b32_e32 v102, v101, v100, vcc
; %bb.3191:                             ;   in Loop: Header=BB35_3167 Depth=2
	s_or_b64 exec, exec, s[40:41]
	v_lshlrev_b32_e32 v100, 16, v103
	v_lshlrev_b32_e32 v101, 16, v115
	v_max_f32_e32 v101, v101, v101
	v_max_f32_e32 v100, v100, v100
	v_min_f32_e32 v114, v100, v101
	v_max_f32_e32 v100, v100, v101
	v_cndmask_b32_e64 v100, v100, v114, s[24:25]
	v_and_b32_e32 v101, 0x7f800000, v100
	v_cmp_ne_u32_e32 vcc, s51, v101
                                        ; implicit-def: $vgpr114
	s_and_saveexec_b64 s[40:41], vcc
	s_xor_b64 s[40:41], exec, s[40:41]
; %bb.3192:                             ;   in Loop: Header=BB35_3167 Depth=2
	v_bfe_u32 v101, v100, 16, 1
	v_add3_u32 v114, v100, v101, s72
                                        ; implicit-def: $vgpr100
; %bb.3193:                             ;   in Loop: Header=BB35_3167 Depth=2
	s_andn2_saveexec_b64 s[40:41], s[40:41]
; %bb.3194:                             ;   in Loop: Header=BB35_3167 Depth=2
	v_or_b32_e32 v101, 0x10000, v100
	v_cmp_eq_u32_sdwa vcc, v100, v3 src0_sel:WORD_0 src1_sel:DWORD
	s_nop 1
	v_cndmask_b32_e32 v114, v101, v100, vcc
; %bb.3195:                             ;   in Loop: Header=BB35_3167 Depth=2
	s_or_b64 exec, exec, s[40:41]
	v_and_b32_e32 v100, 0xffff0000, v103
	v_and_b32_e32 v101, 0xffff0000, v115
	v_max_f32_e32 v101, v101, v101
	v_max_f32_e32 v100, v100, v100
	v_min_f32_e32 v103, v100, v101
	v_max_f32_e32 v100, v100, v101
	v_cndmask_b32_e64 v100, v100, v103, s[24:25]
	v_and_b32_e32 v101, 0x7f800000, v100
	v_cmp_ne_u32_e32 vcc, s51, v101
                                        ; implicit-def: $vgpr103
	s_and_saveexec_b64 s[40:41], vcc
	s_xor_b64 s[40:41], exec, s[40:41]
; %bb.3196:                             ;   in Loop: Header=BB35_3167 Depth=2
	v_bfe_u32 v101, v100, 16, 1
	v_add3_u32 v103, v100, v101, s72
                                        ; implicit-def: $vgpr100
; %bb.3197:                             ;   in Loop: Header=BB35_3167 Depth=2
	s_andn2_saveexec_b64 s[40:41], s[40:41]
; %bb.3198:                             ;   in Loop: Header=BB35_3167 Depth=2
	v_or_b32_e32 v101, 0x10000, v100
	v_cmp_eq_u32_sdwa vcc, v100, v3 src0_sel:WORD_0 src1_sel:DWORD
	s_nop 1
	v_cndmask_b32_e32 v103, v101, v100, vcc
; %bb.3199:                             ;   in Loop: Header=BB35_3167 Depth=2
	s_or_b64 exec, exec, s[40:41]
	scratch_load_dwordx2 v[100:101], off, s33 offset:408 ; 8-byte Folded Reload
	v_lshrrev_b32_e32 v115, 16, v119
	v_and_or_b32 v75, v113, s73, v115
	v_lshrrev_b32_e32 v113, 16, v118
	v_and_or_b32 v74, v112, s73, v113
	;; [unrolled: 2-line block ×4, first 2 shown]
	v_lshlrev_b32_e32 v102, 16, v84
	s_waitcnt vmcnt(13)
	v_lshlrev_b32_e32 v103, 16, v96
	v_max_f32_e32 v103, v103, v103
	v_max_f32_e32 v102, v102, v102
	v_min_f32_e32 v112, v102, v103
	v_max_f32_e32 v102, v102, v103
	v_cndmask_b32_e64 v103, v102, v112, s[24:25]
	v_and_b32_e32 v102, 0x7f800000, v103
	v_cmp_ne_u32_e32 vcc, s51, v102
                                        ; implicit-def: $vgpr102
	s_waitcnt vmcnt(0)
	v_lshl_add_u64 v[100:101], v[100:101], 0, v[72:73]
	global_store_dwordx4 v[100:101], v[74:77], off
	s_and_saveexec_b64 s[40:41], vcc
	s_xor_b64 s[40:41], exec, s[40:41]
; %bb.3200:                             ;   in Loop: Header=BB35_3167 Depth=2
	v_bfe_u32 v102, v103, 16, 1
	v_add3_u32 v102, v103, v102, s72
                                        ; implicit-def: $vgpr103
; %bb.3201:                             ;   in Loop: Header=BB35_3167 Depth=2
	s_andn2_saveexec_b64 s[40:41], s[40:41]
; %bb.3202:                             ;   in Loop: Header=BB35_3167 Depth=2
	v_or_b32_e32 v102, 0x10000, v103
	v_cmp_eq_u32_sdwa vcc, v103, v3 src0_sel:WORD_0 src1_sel:DWORD
	s_nop 1
	v_cndmask_b32_e32 v102, v102, v103, vcc
; %bb.3203:                             ;   in Loop: Header=BB35_3167 Depth=2
	s_or_b64 exec, exec, s[40:41]
	v_and_b32_e32 v84, 0xffff0000, v84
	v_and_b32_e32 v96, 0xffff0000, v96
	v_max_f32_e32 v96, v96, v96
	v_max_f32_e32 v84, v84, v84
	v_min_f32_e32 v103, v84, v96
	v_max_f32_e32 v84, v84, v96
	v_cndmask_b32_e64 v96, v84, v103, s[24:25]
	v_and_b32_e32 v84, 0x7f800000, v96
	v_cmp_ne_u32_e32 vcc, s51, v84
                                        ; implicit-def: $vgpr84
	s_and_saveexec_b64 s[40:41], vcc
	s_xor_b64 s[40:41], exec, s[40:41]
; %bb.3204:                             ;   in Loop: Header=BB35_3167 Depth=2
	v_bfe_u32 v84, v96, 16, 1
	v_add3_u32 v84, v96, v84, s72
                                        ; implicit-def: $vgpr96
; %bb.3205:                             ;   in Loop: Header=BB35_3167 Depth=2
	s_andn2_saveexec_b64 s[40:41], s[40:41]
; %bb.3206:                             ;   in Loop: Header=BB35_3167 Depth=2
	v_or_b32_e32 v84, 0x10000, v96
	v_cmp_eq_u32_sdwa vcc, v96, v3 src0_sel:WORD_0 src1_sel:DWORD
	s_nop 1
	v_cndmask_b32_e32 v84, v84, v96, vcc
; %bb.3207:                             ;   in Loop: Header=BB35_3167 Depth=2
	s_or_b64 exec, exec, s[40:41]
	v_lshlrev_b32_e32 v96, 16, v85
	v_lshlrev_b32_e32 v103, 16, v97
	v_max_f32_e32 v103, v103, v103
	v_max_f32_e32 v96, v96, v96
	v_min_f32_e32 v112, v96, v103
	v_max_f32_e32 v96, v96, v103
	v_cndmask_b32_e64 v103, v96, v112, s[24:25]
	v_and_b32_e32 v96, 0x7f800000, v103
	v_cmp_ne_u32_e32 vcc, s51, v96
                                        ; implicit-def: $vgpr96
	s_and_saveexec_b64 s[40:41], vcc
	s_xor_b64 s[40:41], exec, s[40:41]
; %bb.3208:                             ;   in Loop: Header=BB35_3167 Depth=2
	v_bfe_u32 v96, v103, 16, 1
	v_add3_u32 v96, v103, v96, s72
                                        ; implicit-def: $vgpr103
; %bb.3209:                             ;   in Loop: Header=BB35_3167 Depth=2
	s_andn2_saveexec_b64 s[40:41], s[40:41]
; %bb.3210:                             ;   in Loop: Header=BB35_3167 Depth=2
	v_or_b32_e32 v96, 0x10000, v103
	v_cmp_eq_u32_sdwa vcc, v103, v3 src0_sel:WORD_0 src1_sel:DWORD
	s_nop 1
	v_cndmask_b32_e32 v96, v96, v103, vcc
; %bb.3211:                             ;   in Loop: Header=BB35_3167 Depth=2
	s_or_b64 exec, exec, s[40:41]
	v_and_b32_e32 v85, 0xffff0000, v85
	v_and_b32_e32 v97, 0xffff0000, v97
	v_max_f32_e32 v97, v97, v97
	v_max_f32_e32 v85, v85, v85
	v_min_f32_e32 v103, v85, v97
	v_max_f32_e32 v85, v85, v97
	v_cndmask_b32_e64 v97, v85, v103, s[24:25]
	v_and_b32_e32 v85, 0x7f800000, v97
	v_cmp_ne_u32_e32 vcc, s51, v85
                                        ; implicit-def: $vgpr85
	s_and_saveexec_b64 s[40:41], vcc
	s_xor_b64 s[40:41], exec, s[40:41]
; %bb.3212:                             ;   in Loop: Header=BB35_3167 Depth=2
	v_bfe_u32 v85, v97, 16, 1
	v_add3_u32 v85, v97, v85, s72
                                        ; implicit-def: $vgpr97
; %bb.3213:                             ;   in Loop: Header=BB35_3167 Depth=2
	s_andn2_saveexec_b64 s[40:41], s[40:41]
; %bb.3214:                             ;   in Loop: Header=BB35_3167 Depth=2
	v_or_b32_e32 v85, 0x10000, v97
	v_cmp_eq_u32_sdwa vcc, v97, v3 src0_sel:WORD_0 src1_sel:DWORD
	s_nop 1
	v_cndmask_b32_e32 v85, v85, v97, vcc
; %bb.3215:                             ;   in Loop: Header=BB35_3167 Depth=2
	s_or_b64 exec, exec, s[40:41]
	v_lshlrev_b32_e32 v97, 16, v86
	v_lshlrev_b32_e32 v103, 16, v98
	v_max_f32_e32 v103, v103, v103
	v_max_f32_e32 v97, v97, v97
	v_min_f32_e32 v112, v97, v103
	v_max_f32_e32 v97, v97, v103
	v_cndmask_b32_e64 v103, v97, v112, s[24:25]
	v_and_b32_e32 v97, 0x7f800000, v103
	v_cmp_ne_u32_e32 vcc, s51, v97
                                        ; implicit-def: $vgpr97
	s_and_saveexec_b64 s[40:41], vcc
	s_xor_b64 s[40:41], exec, s[40:41]
; %bb.3216:                             ;   in Loop: Header=BB35_3167 Depth=2
	v_bfe_u32 v97, v103, 16, 1
	v_add3_u32 v97, v103, v97, s72
                                        ; implicit-def: $vgpr103
; %bb.3217:                             ;   in Loop: Header=BB35_3167 Depth=2
	s_andn2_saveexec_b64 s[40:41], s[40:41]
; %bb.3218:                             ;   in Loop: Header=BB35_3167 Depth=2
	v_or_b32_e32 v97, 0x10000, v103
	v_cmp_eq_u32_sdwa vcc, v103, v3 src0_sel:WORD_0 src1_sel:DWORD
	s_nop 1
	v_cndmask_b32_e32 v97, v97, v103, vcc
; %bb.3219:                             ;   in Loop: Header=BB35_3167 Depth=2
	s_or_b64 exec, exec, s[40:41]
	v_and_b32_e32 v86, 0xffff0000, v86
	v_and_b32_e32 v98, 0xffff0000, v98
	v_max_f32_e32 v98, v98, v98
	v_max_f32_e32 v86, v86, v86
	v_min_f32_e32 v103, v86, v98
	v_max_f32_e32 v86, v86, v98
	v_cndmask_b32_e64 v98, v86, v103, s[24:25]
	v_and_b32_e32 v86, 0x7f800000, v98
	v_cmp_ne_u32_e32 vcc, s51, v86
                                        ; implicit-def: $vgpr86
	s_and_saveexec_b64 s[40:41], vcc
	s_xor_b64 s[40:41], exec, s[40:41]
; %bb.3220:                             ;   in Loop: Header=BB35_3167 Depth=2
	v_bfe_u32 v86, v98, 16, 1
	v_add3_u32 v86, v98, v86, s72
                                        ; implicit-def: $vgpr98
; %bb.3221:                             ;   in Loop: Header=BB35_3167 Depth=2
	s_andn2_saveexec_b64 s[40:41], s[40:41]
; %bb.3222:                             ;   in Loop: Header=BB35_3167 Depth=2
	v_or_b32_e32 v86, 0x10000, v98
	v_cmp_eq_u32_sdwa vcc, v98, v3 src0_sel:WORD_0 src1_sel:DWORD
	s_nop 1
	v_cndmask_b32_e32 v86, v86, v98, vcc
; %bb.3223:                             ;   in Loop: Header=BB35_3167 Depth=2
	s_or_b64 exec, exec, s[40:41]
	v_lshlrev_b32_e32 v98, 16, v87
	v_lshlrev_b32_e32 v103, 16, v99
	v_max_f32_e32 v103, v103, v103
	v_max_f32_e32 v98, v98, v98
	v_min_f32_e32 v112, v98, v103
	v_max_f32_e32 v98, v98, v103
	v_cndmask_b32_e64 v103, v98, v112, s[24:25]
	v_and_b32_e32 v98, 0x7f800000, v103
	v_cmp_ne_u32_e32 vcc, s51, v98
                                        ; implicit-def: $vgpr98
	s_and_saveexec_b64 s[40:41], vcc
	s_xor_b64 s[40:41], exec, s[40:41]
; %bb.3224:                             ;   in Loop: Header=BB35_3167 Depth=2
	v_bfe_u32 v98, v103, 16, 1
	v_add3_u32 v98, v103, v98, s72
                                        ; implicit-def: $vgpr103
; %bb.3225:                             ;   in Loop: Header=BB35_3167 Depth=2
	s_andn2_saveexec_b64 s[40:41], s[40:41]
; %bb.3226:                             ;   in Loop: Header=BB35_3167 Depth=2
	v_or_b32_e32 v98, 0x10000, v103
	v_cmp_eq_u32_sdwa vcc, v103, v3 src0_sel:WORD_0 src1_sel:DWORD
	s_nop 1
	v_cndmask_b32_e32 v98, v98, v103, vcc
; %bb.3227:                             ;   in Loop: Header=BB35_3167 Depth=2
	s_or_b64 exec, exec, s[40:41]
	v_and_b32_e32 v87, 0xffff0000, v87
	v_and_b32_e32 v99, 0xffff0000, v99
	v_max_f32_e32 v99, v99, v99
	v_max_f32_e32 v87, v87, v87
	v_min_f32_e32 v103, v87, v99
	v_max_f32_e32 v87, v87, v99
	v_cndmask_b32_e64 v99, v87, v103, s[24:25]
	v_and_b32_e32 v87, 0x7f800000, v99
	v_cmp_ne_u32_e32 vcc, s51, v87
                                        ; implicit-def: $vgpr87
	s_and_saveexec_b64 s[40:41], vcc
	s_xor_b64 s[40:41], exec, s[40:41]
; %bb.3228:                             ;   in Loop: Header=BB35_3167 Depth=2
	v_bfe_u32 v87, v99, 16, 1
	v_add3_u32 v87, v99, v87, s72
                                        ; implicit-def: $vgpr99
; %bb.3229:                             ;   in Loop: Header=BB35_3167 Depth=2
	s_andn2_saveexec_b64 s[40:41], s[40:41]
; %bb.3230:                             ;   in Loop: Header=BB35_3167 Depth=2
	v_or_b32_e32 v87, 0x10000, v99
	v_cmp_eq_u32_sdwa vcc, v99, v3 src0_sel:WORD_0 src1_sel:DWORD
	s_nop 1
	v_cndmask_b32_e32 v87, v87, v99, vcc
; %bb.3231:                             ;   in Loop: Header=BB35_3167 Depth=2
	s_or_b64 exec, exec, s[40:41]
	v_lshrrev_b32_e32 v96, 16, v96
	v_and_or_b32 v85, v85, s73, v96
	v_lshrrev_b32_e32 v96, 16, v102
	v_and_or_b32 v84, v84, s73, v96
	;; [unrolled: 2-line block ×4, first 2 shown]
	global_store_dwordx4 v[100:101], v[84:87], off offset:1024
	s_nop 1
	v_lshlrev_b32_e32 v84, 16, v68
	v_lshlrev_b32_e32 v85, 16, v80
	v_max_f32_e32 v85, v85, v85
	v_max_f32_e32 v84, v84, v84
	v_min_f32_e32 v86, v84, v85
	v_max_f32_e32 v84, v84, v85
	v_cndmask_b32_e64 v85, v84, v86, s[24:25]
	v_and_b32_e32 v84, 0x7f800000, v85
	v_cmp_ne_u32_e32 vcc, s51, v84
                                        ; implicit-def: $vgpr84
	s_and_saveexec_b64 s[40:41], vcc
	s_xor_b64 s[40:41], exec, s[40:41]
; %bb.3232:                             ;   in Loop: Header=BB35_3167 Depth=2
	v_bfe_u32 v84, v85, 16, 1
	v_add3_u32 v84, v85, v84, s72
                                        ; implicit-def: $vgpr85
; %bb.3233:                             ;   in Loop: Header=BB35_3167 Depth=2
	s_andn2_saveexec_b64 s[40:41], s[40:41]
; %bb.3234:                             ;   in Loop: Header=BB35_3167 Depth=2
	v_or_b32_e32 v84, 0x10000, v85
	v_cmp_eq_u32_sdwa vcc, v85, v3 src0_sel:WORD_0 src1_sel:DWORD
	s_nop 1
	v_cndmask_b32_e32 v84, v84, v85, vcc
; %bb.3235:                             ;   in Loop: Header=BB35_3167 Depth=2
	s_or_b64 exec, exec, s[40:41]
	v_and_b32_e32 v68, 0xffff0000, v68
	v_and_b32_e32 v80, 0xffff0000, v80
	v_max_f32_e32 v80, v80, v80
	v_max_f32_e32 v68, v68, v68
	v_min_f32_e32 v85, v68, v80
	v_max_f32_e32 v68, v68, v80
	v_cndmask_b32_e64 v80, v68, v85, s[24:25]
	v_and_b32_e32 v68, 0x7f800000, v80
	v_cmp_ne_u32_e32 vcc, s51, v68
                                        ; implicit-def: $vgpr68
	s_and_saveexec_b64 s[40:41], vcc
	s_xor_b64 s[40:41], exec, s[40:41]
; %bb.3236:                             ;   in Loop: Header=BB35_3167 Depth=2
	v_bfe_u32 v68, v80, 16, 1
	v_add3_u32 v68, v80, v68, s72
                                        ; implicit-def: $vgpr80
; %bb.3237:                             ;   in Loop: Header=BB35_3167 Depth=2
	s_andn2_saveexec_b64 s[40:41], s[40:41]
; %bb.3238:                             ;   in Loop: Header=BB35_3167 Depth=2
	v_or_b32_e32 v68, 0x10000, v80
	v_cmp_eq_u32_sdwa vcc, v80, v3 src0_sel:WORD_0 src1_sel:DWORD
	s_nop 1
	v_cndmask_b32_e32 v68, v68, v80, vcc
; %bb.3239:                             ;   in Loop: Header=BB35_3167 Depth=2
	s_or_b64 exec, exec, s[40:41]
	v_lshlrev_b32_e32 v80, 16, v69
	v_lshlrev_b32_e32 v85, 16, v81
	v_max_f32_e32 v85, v85, v85
	v_max_f32_e32 v80, v80, v80
	v_min_f32_e32 v86, v80, v85
	v_max_f32_e32 v80, v80, v85
	v_cndmask_b32_e64 v85, v80, v86, s[24:25]
	v_and_b32_e32 v80, 0x7f800000, v85
	v_cmp_ne_u32_e32 vcc, s51, v80
                                        ; implicit-def: $vgpr80
	s_and_saveexec_b64 s[40:41], vcc
	s_xor_b64 s[40:41], exec, s[40:41]
; %bb.3240:                             ;   in Loop: Header=BB35_3167 Depth=2
	v_bfe_u32 v80, v85, 16, 1
	v_add3_u32 v80, v85, v80, s72
                                        ; implicit-def: $vgpr85
; %bb.3241:                             ;   in Loop: Header=BB35_3167 Depth=2
	s_andn2_saveexec_b64 s[40:41], s[40:41]
; %bb.3242:                             ;   in Loop: Header=BB35_3167 Depth=2
	v_or_b32_e32 v80, 0x10000, v85
	v_cmp_eq_u32_sdwa vcc, v85, v3 src0_sel:WORD_0 src1_sel:DWORD
	s_nop 1
	v_cndmask_b32_e32 v80, v80, v85, vcc
; %bb.3243:                             ;   in Loop: Header=BB35_3167 Depth=2
	s_or_b64 exec, exec, s[40:41]
	v_and_b32_e32 v69, 0xffff0000, v69
	v_and_b32_e32 v81, 0xffff0000, v81
	v_max_f32_e32 v81, v81, v81
	v_max_f32_e32 v69, v69, v69
	v_min_f32_e32 v85, v69, v81
	v_max_f32_e32 v69, v69, v81
	v_cndmask_b32_e64 v81, v69, v85, s[24:25]
	v_and_b32_e32 v69, 0x7f800000, v81
	v_cmp_ne_u32_e32 vcc, s51, v69
                                        ; implicit-def: $vgpr69
	s_and_saveexec_b64 s[40:41], vcc
	s_xor_b64 s[40:41], exec, s[40:41]
; %bb.3244:                             ;   in Loop: Header=BB35_3167 Depth=2
	v_bfe_u32 v69, v81, 16, 1
	v_add3_u32 v69, v81, v69, s72
                                        ; implicit-def: $vgpr81
; %bb.3245:                             ;   in Loop: Header=BB35_3167 Depth=2
	s_andn2_saveexec_b64 s[40:41], s[40:41]
; %bb.3246:                             ;   in Loop: Header=BB35_3167 Depth=2
	v_or_b32_e32 v69, 0x10000, v81
	v_cmp_eq_u32_sdwa vcc, v81, v3 src0_sel:WORD_0 src1_sel:DWORD
	s_nop 1
	v_cndmask_b32_e32 v69, v69, v81, vcc
; %bb.3247:                             ;   in Loop: Header=BB35_3167 Depth=2
	s_or_b64 exec, exec, s[40:41]
	v_lshlrev_b32_e32 v81, 16, v70
	v_lshlrev_b32_e32 v85, 16, v82
	v_max_f32_e32 v85, v85, v85
	v_max_f32_e32 v81, v81, v81
	v_min_f32_e32 v86, v81, v85
	v_max_f32_e32 v81, v81, v85
	v_cndmask_b32_e64 v85, v81, v86, s[24:25]
	v_and_b32_e32 v81, 0x7f800000, v85
	v_cmp_ne_u32_e32 vcc, s51, v81
                                        ; implicit-def: $vgpr81
	s_and_saveexec_b64 s[40:41], vcc
	s_xor_b64 s[40:41], exec, s[40:41]
; %bb.3248:                             ;   in Loop: Header=BB35_3167 Depth=2
	v_bfe_u32 v81, v85, 16, 1
	v_add3_u32 v81, v85, v81, s72
                                        ; implicit-def: $vgpr85
; %bb.3249:                             ;   in Loop: Header=BB35_3167 Depth=2
	s_andn2_saveexec_b64 s[40:41], s[40:41]
; %bb.3250:                             ;   in Loop: Header=BB35_3167 Depth=2
	v_or_b32_e32 v81, 0x10000, v85
	v_cmp_eq_u32_sdwa vcc, v85, v3 src0_sel:WORD_0 src1_sel:DWORD
	s_nop 1
	v_cndmask_b32_e32 v81, v81, v85, vcc
; %bb.3251:                             ;   in Loop: Header=BB35_3167 Depth=2
	s_or_b64 exec, exec, s[40:41]
	v_and_b32_e32 v70, 0xffff0000, v70
	v_and_b32_e32 v82, 0xffff0000, v82
	v_max_f32_e32 v82, v82, v82
	v_max_f32_e32 v70, v70, v70
	v_min_f32_e32 v85, v70, v82
	v_max_f32_e32 v70, v70, v82
	v_cndmask_b32_e64 v82, v70, v85, s[24:25]
	v_and_b32_e32 v70, 0x7f800000, v82
	v_cmp_ne_u32_e32 vcc, s51, v70
                                        ; implicit-def: $vgpr70
	s_and_saveexec_b64 s[40:41], vcc
	s_xor_b64 s[40:41], exec, s[40:41]
; %bb.3252:                             ;   in Loop: Header=BB35_3167 Depth=2
	v_bfe_u32 v70, v82, 16, 1
	v_add3_u32 v70, v82, v70, s72
                                        ; implicit-def: $vgpr82
; %bb.3253:                             ;   in Loop: Header=BB35_3167 Depth=2
	s_andn2_saveexec_b64 s[40:41], s[40:41]
; %bb.3254:                             ;   in Loop: Header=BB35_3167 Depth=2
	v_or_b32_e32 v70, 0x10000, v82
	v_cmp_eq_u32_sdwa vcc, v82, v3 src0_sel:WORD_0 src1_sel:DWORD
	s_nop 1
	v_cndmask_b32_e32 v70, v70, v82, vcc
; %bb.3255:                             ;   in Loop: Header=BB35_3167 Depth=2
	s_or_b64 exec, exec, s[40:41]
	v_lshlrev_b32_e32 v82, 16, v71
	v_lshlrev_b32_e32 v85, 16, v83
	v_max_f32_e32 v85, v85, v85
	v_max_f32_e32 v82, v82, v82
	v_min_f32_e32 v86, v82, v85
	v_max_f32_e32 v82, v82, v85
	v_cndmask_b32_e64 v85, v82, v86, s[24:25]
	v_and_b32_e32 v82, 0x7f800000, v85
	v_cmp_ne_u32_e32 vcc, s51, v82
                                        ; implicit-def: $vgpr82
	s_and_saveexec_b64 s[40:41], vcc
	s_xor_b64 s[40:41], exec, s[40:41]
; %bb.3256:                             ;   in Loop: Header=BB35_3167 Depth=2
	v_bfe_u32 v82, v85, 16, 1
	v_add3_u32 v82, v85, v82, s72
                                        ; implicit-def: $vgpr85
; %bb.3257:                             ;   in Loop: Header=BB35_3167 Depth=2
	s_andn2_saveexec_b64 s[40:41], s[40:41]
; %bb.3258:                             ;   in Loop: Header=BB35_3167 Depth=2
	v_or_b32_e32 v82, 0x10000, v85
	v_cmp_eq_u32_sdwa vcc, v85, v3 src0_sel:WORD_0 src1_sel:DWORD
	s_nop 1
	v_cndmask_b32_e32 v82, v82, v85, vcc
; %bb.3259:                             ;   in Loop: Header=BB35_3167 Depth=2
	s_or_b64 exec, exec, s[40:41]
	v_and_b32_e32 v71, 0xffff0000, v71
	v_and_b32_e32 v83, 0xffff0000, v83
	v_max_f32_e32 v83, v83, v83
	v_max_f32_e32 v71, v71, v71
	v_min_f32_e32 v85, v71, v83
	v_max_f32_e32 v71, v71, v83
	v_cndmask_b32_e64 v83, v71, v85, s[24:25]
	v_and_b32_e32 v71, 0x7f800000, v83
	v_cmp_ne_u32_e32 vcc, s51, v71
                                        ; implicit-def: $vgpr71
	s_and_saveexec_b64 s[40:41], vcc
	s_xor_b64 s[40:41], exec, s[40:41]
; %bb.3260:                             ;   in Loop: Header=BB35_3167 Depth=2
	v_bfe_u32 v71, v83, 16, 1
	v_add3_u32 v71, v83, v71, s72
                                        ; implicit-def: $vgpr83
; %bb.3261:                             ;   in Loop: Header=BB35_3167 Depth=2
	s_andn2_saveexec_b64 s[40:41], s[40:41]
; %bb.3262:                             ;   in Loop: Header=BB35_3167 Depth=2
	v_or_b32_e32 v71, 0x10000, v83
	v_cmp_eq_u32_sdwa vcc, v83, v3 src0_sel:WORD_0 src1_sel:DWORD
	s_nop 1
	v_cndmask_b32_e32 v71, v71, v83, vcc
; %bb.3263:                             ;   in Loop: Header=BB35_3167 Depth=2
	s_or_b64 exec, exec, s[40:41]
	v_lshrrev_b32_e32 v80, 16, v80
	v_and_or_b32 v69, v69, s73, v80
	v_lshrrev_b32_e32 v80, 16, v84
	v_and_or_b32 v68, v68, s73, v80
	;; [unrolled: 2-line block ×4, first 2 shown]
	global_store_dwordx4 v[100:101], v[68:71], off offset:2048
	s_nop 1
	v_lshlrev_b32_e32 v68, 16, v52
	v_lshlrev_b32_e32 v69, 16, v64
	v_max_f32_e32 v69, v69, v69
	v_max_f32_e32 v68, v68, v68
	v_min_f32_e32 v70, v68, v69
	v_max_f32_e32 v68, v68, v69
	v_cndmask_b32_e64 v69, v68, v70, s[24:25]
	v_and_b32_e32 v68, 0x7f800000, v69
	v_cmp_ne_u32_e32 vcc, s51, v68
                                        ; implicit-def: $vgpr68
	s_and_saveexec_b64 s[40:41], vcc
	s_xor_b64 s[40:41], exec, s[40:41]
; %bb.3264:                             ;   in Loop: Header=BB35_3167 Depth=2
	v_bfe_u32 v68, v69, 16, 1
	v_add3_u32 v68, v69, v68, s72
                                        ; implicit-def: $vgpr69
; %bb.3265:                             ;   in Loop: Header=BB35_3167 Depth=2
	s_andn2_saveexec_b64 s[40:41], s[40:41]
; %bb.3266:                             ;   in Loop: Header=BB35_3167 Depth=2
	v_or_b32_e32 v68, 0x10000, v69
	v_cmp_eq_u32_sdwa vcc, v69, v3 src0_sel:WORD_0 src1_sel:DWORD
	s_nop 1
	v_cndmask_b32_e32 v68, v68, v69, vcc
; %bb.3267:                             ;   in Loop: Header=BB35_3167 Depth=2
	s_or_b64 exec, exec, s[40:41]
	v_and_b32_e32 v52, 0xffff0000, v52
	v_and_b32_e32 v64, 0xffff0000, v64
	v_max_f32_e32 v64, v64, v64
	v_max_f32_e32 v52, v52, v52
	v_min_f32_e32 v69, v52, v64
	v_max_f32_e32 v52, v52, v64
	v_cndmask_b32_e64 v64, v52, v69, s[24:25]
	v_and_b32_e32 v52, 0x7f800000, v64
	v_cmp_ne_u32_e32 vcc, s51, v52
                                        ; implicit-def: $vgpr52
	s_and_saveexec_b64 s[40:41], vcc
	s_xor_b64 s[40:41], exec, s[40:41]
; %bb.3268:                             ;   in Loop: Header=BB35_3167 Depth=2
	v_bfe_u32 v52, v64, 16, 1
	v_add3_u32 v52, v64, v52, s72
                                        ; implicit-def: $vgpr64
; %bb.3269:                             ;   in Loop: Header=BB35_3167 Depth=2
	s_andn2_saveexec_b64 s[40:41], s[40:41]
; %bb.3270:                             ;   in Loop: Header=BB35_3167 Depth=2
	v_or_b32_e32 v52, 0x10000, v64
	v_cmp_eq_u32_sdwa vcc, v64, v3 src0_sel:WORD_0 src1_sel:DWORD
	s_nop 1
	v_cndmask_b32_e32 v52, v52, v64, vcc
; %bb.3271:                             ;   in Loop: Header=BB35_3167 Depth=2
	s_or_b64 exec, exec, s[40:41]
	v_lshlrev_b32_e32 v64, 16, v53
	v_lshlrev_b32_e32 v69, 16, v65
	v_max_f32_e32 v69, v69, v69
	v_max_f32_e32 v64, v64, v64
	v_min_f32_e32 v70, v64, v69
	v_max_f32_e32 v64, v64, v69
	v_cndmask_b32_e64 v69, v64, v70, s[24:25]
	v_and_b32_e32 v64, 0x7f800000, v69
	v_cmp_ne_u32_e32 vcc, s51, v64
                                        ; implicit-def: $vgpr64
	s_and_saveexec_b64 s[40:41], vcc
	s_xor_b64 s[40:41], exec, s[40:41]
; %bb.3272:                             ;   in Loop: Header=BB35_3167 Depth=2
	v_bfe_u32 v64, v69, 16, 1
	v_add3_u32 v64, v69, v64, s72
                                        ; implicit-def: $vgpr69
; %bb.3273:                             ;   in Loop: Header=BB35_3167 Depth=2
	s_andn2_saveexec_b64 s[40:41], s[40:41]
; %bb.3274:                             ;   in Loop: Header=BB35_3167 Depth=2
	v_or_b32_e32 v64, 0x10000, v69
	v_cmp_eq_u32_sdwa vcc, v69, v3 src0_sel:WORD_0 src1_sel:DWORD
	s_nop 1
	v_cndmask_b32_e32 v64, v64, v69, vcc
; %bb.3275:                             ;   in Loop: Header=BB35_3167 Depth=2
	s_or_b64 exec, exec, s[40:41]
	v_and_b32_e32 v53, 0xffff0000, v53
	v_and_b32_e32 v65, 0xffff0000, v65
	v_max_f32_e32 v65, v65, v65
	v_max_f32_e32 v53, v53, v53
	v_min_f32_e32 v69, v53, v65
	v_max_f32_e32 v53, v53, v65
	v_cndmask_b32_e64 v65, v53, v69, s[24:25]
	v_and_b32_e32 v53, 0x7f800000, v65
	v_cmp_ne_u32_e32 vcc, s51, v53
                                        ; implicit-def: $vgpr53
	s_and_saveexec_b64 s[40:41], vcc
	s_xor_b64 s[40:41], exec, s[40:41]
; %bb.3276:                             ;   in Loop: Header=BB35_3167 Depth=2
	v_bfe_u32 v53, v65, 16, 1
	v_add3_u32 v53, v65, v53, s72
                                        ; implicit-def: $vgpr65
; %bb.3277:                             ;   in Loop: Header=BB35_3167 Depth=2
	s_andn2_saveexec_b64 s[40:41], s[40:41]
; %bb.3278:                             ;   in Loop: Header=BB35_3167 Depth=2
	v_or_b32_e32 v53, 0x10000, v65
	v_cmp_eq_u32_sdwa vcc, v65, v3 src0_sel:WORD_0 src1_sel:DWORD
	s_nop 1
	v_cndmask_b32_e32 v53, v53, v65, vcc
; %bb.3279:                             ;   in Loop: Header=BB35_3167 Depth=2
	s_or_b64 exec, exec, s[40:41]
	v_lshlrev_b32_e32 v65, 16, v54
	v_lshlrev_b32_e32 v69, 16, v66
	v_max_f32_e32 v69, v69, v69
	v_max_f32_e32 v65, v65, v65
	v_min_f32_e32 v70, v65, v69
	v_max_f32_e32 v65, v65, v69
	v_cndmask_b32_e64 v69, v65, v70, s[24:25]
	v_and_b32_e32 v65, 0x7f800000, v69
	v_cmp_ne_u32_e32 vcc, s51, v65
                                        ; implicit-def: $vgpr65
	s_and_saveexec_b64 s[40:41], vcc
	s_xor_b64 s[40:41], exec, s[40:41]
; %bb.3280:                             ;   in Loop: Header=BB35_3167 Depth=2
	v_bfe_u32 v65, v69, 16, 1
	v_add3_u32 v65, v69, v65, s72
                                        ; implicit-def: $vgpr69
; %bb.3281:                             ;   in Loop: Header=BB35_3167 Depth=2
	s_andn2_saveexec_b64 s[40:41], s[40:41]
; %bb.3282:                             ;   in Loop: Header=BB35_3167 Depth=2
	v_or_b32_e32 v65, 0x10000, v69
	v_cmp_eq_u32_sdwa vcc, v69, v3 src0_sel:WORD_0 src1_sel:DWORD
	s_nop 1
	v_cndmask_b32_e32 v65, v65, v69, vcc
; %bb.3283:                             ;   in Loop: Header=BB35_3167 Depth=2
	s_or_b64 exec, exec, s[40:41]
	v_and_b32_e32 v54, 0xffff0000, v54
	v_and_b32_e32 v66, 0xffff0000, v66
	v_max_f32_e32 v66, v66, v66
	v_max_f32_e32 v54, v54, v54
	v_min_f32_e32 v69, v54, v66
	v_max_f32_e32 v54, v54, v66
	v_cndmask_b32_e64 v66, v54, v69, s[24:25]
	v_and_b32_e32 v54, 0x7f800000, v66
	v_cmp_ne_u32_e32 vcc, s51, v54
                                        ; implicit-def: $vgpr54
	s_and_saveexec_b64 s[40:41], vcc
	s_xor_b64 s[40:41], exec, s[40:41]
; %bb.3284:                             ;   in Loop: Header=BB35_3167 Depth=2
	v_bfe_u32 v54, v66, 16, 1
	v_add3_u32 v54, v66, v54, s72
                                        ; implicit-def: $vgpr66
; %bb.3285:                             ;   in Loop: Header=BB35_3167 Depth=2
	s_andn2_saveexec_b64 s[40:41], s[40:41]
; %bb.3286:                             ;   in Loop: Header=BB35_3167 Depth=2
	v_or_b32_e32 v54, 0x10000, v66
	v_cmp_eq_u32_sdwa vcc, v66, v3 src0_sel:WORD_0 src1_sel:DWORD
	s_nop 1
	v_cndmask_b32_e32 v54, v54, v66, vcc
; %bb.3287:                             ;   in Loop: Header=BB35_3167 Depth=2
	s_or_b64 exec, exec, s[40:41]
	v_lshlrev_b32_e32 v66, 16, v55
	v_lshlrev_b32_e32 v69, 16, v67
	v_max_f32_e32 v69, v69, v69
	v_max_f32_e32 v66, v66, v66
	v_min_f32_e32 v70, v66, v69
	v_max_f32_e32 v66, v66, v69
	v_cndmask_b32_e64 v69, v66, v70, s[24:25]
	v_and_b32_e32 v66, 0x7f800000, v69
	v_cmp_ne_u32_e32 vcc, s51, v66
                                        ; implicit-def: $vgpr66
	s_and_saveexec_b64 s[40:41], vcc
	s_xor_b64 s[40:41], exec, s[40:41]
; %bb.3288:                             ;   in Loop: Header=BB35_3167 Depth=2
	v_bfe_u32 v66, v69, 16, 1
	v_add3_u32 v66, v69, v66, s72
                                        ; implicit-def: $vgpr69
; %bb.3289:                             ;   in Loop: Header=BB35_3167 Depth=2
	s_andn2_saveexec_b64 s[40:41], s[40:41]
; %bb.3290:                             ;   in Loop: Header=BB35_3167 Depth=2
	v_or_b32_e32 v66, 0x10000, v69
	v_cmp_eq_u32_sdwa vcc, v69, v3 src0_sel:WORD_0 src1_sel:DWORD
	s_nop 1
	v_cndmask_b32_e32 v66, v66, v69, vcc
; %bb.3291:                             ;   in Loop: Header=BB35_3167 Depth=2
	s_or_b64 exec, exec, s[40:41]
	v_and_b32_e32 v55, 0xffff0000, v55
	v_and_b32_e32 v67, 0xffff0000, v67
	v_max_f32_e32 v67, v67, v67
	v_max_f32_e32 v55, v55, v55
	v_min_f32_e32 v69, v55, v67
	v_max_f32_e32 v55, v55, v67
	v_cndmask_b32_e64 v67, v55, v69, s[24:25]
	v_and_b32_e32 v55, 0x7f800000, v67
	v_cmp_ne_u32_e32 vcc, s51, v55
                                        ; implicit-def: $vgpr55
	s_and_saveexec_b64 s[40:41], vcc
	s_xor_b64 s[40:41], exec, s[40:41]
; %bb.3292:                             ;   in Loop: Header=BB35_3167 Depth=2
	v_bfe_u32 v55, v67, 16, 1
	v_add3_u32 v55, v67, v55, s72
                                        ; implicit-def: $vgpr67
; %bb.3293:                             ;   in Loop: Header=BB35_3167 Depth=2
	s_andn2_saveexec_b64 s[40:41], s[40:41]
; %bb.3294:                             ;   in Loop: Header=BB35_3167 Depth=2
	v_or_b32_e32 v55, 0x10000, v67
	v_cmp_eq_u32_sdwa vcc, v67, v3 src0_sel:WORD_0 src1_sel:DWORD
	s_nop 1
	v_cndmask_b32_e32 v55, v55, v67, vcc
; %bb.3295:                             ;   in Loop: Header=BB35_3167 Depth=2
	s_or_b64 exec, exec, s[40:41]
	v_lshrrev_b32_e32 v64, 16, v64
	v_and_or_b32 v53, v53, s73, v64
	v_lshrrev_b32_e32 v64, 16, v68
	v_and_or_b32 v52, v52, s73, v64
	;; [unrolled: 2-line block ×4, first 2 shown]
	global_store_dwordx4 v[100:101], v[52:55], off offset:3072
	s_nop 1
	v_lshlrev_b32_e32 v52, 16, v36
	v_lshlrev_b32_e32 v53, 16, v48
	v_max_f32_e32 v53, v53, v53
	v_max_f32_e32 v52, v52, v52
	v_min_f32_e32 v54, v52, v53
	v_max_f32_e32 v52, v52, v53
	v_cndmask_b32_e64 v53, v52, v54, s[24:25]
	v_and_b32_e32 v52, 0x7f800000, v53
	v_cmp_ne_u32_e32 vcc, s51, v52
                                        ; implicit-def: $vgpr52
	s_and_saveexec_b64 s[40:41], vcc
	s_xor_b64 s[40:41], exec, s[40:41]
; %bb.3296:                             ;   in Loop: Header=BB35_3167 Depth=2
	v_bfe_u32 v52, v53, 16, 1
	v_add3_u32 v52, v53, v52, s72
                                        ; implicit-def: $vgpr53
; %bb.3297:                             ;   in Loop: Header=BB35_3167 Depth=2
	s_andn2_saveexec_b64 s[40:41], s[40:41]
; %bb.3298:                             ;   in Loop: Header=BB35_3167 Depth=2
	v_or_b32_e32 v52, 0x10000, v53
	v_cmp_eq_u32_sdwa vcc, v53, v3 src0_sel:WORD_0 src1_sel:DWORD
	s_nop 1
	v_cndmask_b32_e32 v52, v52, v53, vcc
; %bb.3299:                             ;   in Loop: Header=BB35_3167 Depth=2
	s_or_b64 exec, exec, s[40:41]
	v_and_b32_e32 v36, 0xffff0000, v36
	v_and_b32_e32 v48, 0xffff0000, v48
	v_max_f32_e32 v48, v48, v48
	v_max_f32_e32 v36, v36, v36
	v_min_f32_e32 v53, v36, v48
	v_max_f32_e32 v36, v36, v48
	v_cndmask_b32_e64 v48, v36, v53, s[24:25]
	v_and_b32_e32 v36, 0x7f800000, v48
	v_cmp_ne_u32_e32 vcc, s51, v36
                                        ; implicit-def: $vgpr36
	s_and_saveexec_b64 s[40:41], vcc
	s_xor_b64 s[40:41], exec, s[40:41]
; %bb.3300:                             ;   in Loop: Header=BB35_3167 Depth=2
	v_bfe_u32 v36, v48, 16, 1
	v_add3_u32 v36, v48, v36, s72
                                        ; implicit-def: $vgpr48
; %bb.3301:                             ;   in Loop: Header=BB35_3167 Depth=2
	s_andn2_saveexec_b64 s[40:41], s[40:41]
; %bb.3302:                             ;   in Loop: Header=BB35_3167 Depth=2
	v_or_b32_e32 v36, 0x10000, v48
	v_cmp_eq_u32_sdwa vcc, v48, v3 src0_sel:WORD_0 src1_sel:DWORD
	s_nop 1
	v_cndmask_b32_e32 v36, v36, v48, vcc
; %bb.3303:                             ;   in Loop: Header=BB35_3167 Depth=2
	s_or_b64 exec, exec, s[40:41]
	v_lshlrev_b32_e32 v48, 16, v37
	v_lshlrev_b32_e32 v53, 16, v49
	v_max_f32_e32 v53, v53, v53
	v_max_f32_e32 v48, v48, v48
	v_min_f32_e32 v54, v48, v53
	v_max_f32_e32 v48, v48, v53
	v_cndmask_b32_e64 v53, v48, v54, s[24:25]
	v_and_b32_e32 v48, 0x7f800000, v53
	v_cmp_ne_u32_e32 vcc, s51, v48
                                        ; implicit-def: $vgpr48
	s_and_saveexec_b64 s[40:41], vcc
	s_xor_b64 s[40:41], exec, s[40:41]
; %bb.3304:                             ;   in Loop: Header=BB35_3167 Depth=2
	v_bfe_u32 v48, v53, 16, 1
	v_add3_u32 v48, v53, v48, s72
                                        ; implicit-def: $vgpr53
; %bb.3305:                             ;   in Loop: Header=BB35_3167 Depth=2
	s_andn2_saveexec_b64 s[40:41], s[40:41]
; %bb.3306:                             ;   in Loop: Header=BB35_3167 Depth=2
	v_or_b32_e32 v48, 0x10000, v53
	v_cmp_eq_u32_sdwa vcc, v53, v3 src0_sel:WORD_0 src1_sel:DWORD
	s_nop 1
	v_cndmask_b32_e32 v48, v48, v53, vcc
; %bb.3307:                             ;   in Loop: Header=BB35_3167 Depth=2
	s_or_b64 exec, exec, s[40:41]
	v_and_b32_e32 v37, 0xffff0000, v37
	v_and_b32_e32 v49, 0xffff0000, v49
	v_max_f32_e32 v49, v49, v49
	v_max_f32_e32 v37, v37, v37
	v_min_f32_e32 v53, v37, v49
	v_max_f32_e32 v37, v37, v49
	v_cndmask_b32_e64 v49, v37, v53, s[24:25]
	v_and_b32_e32 v37, 0x7f800000, v49
	v_cmp_ne_u32_e32 vcc, s51, v37
                                        ; implicit-def: $vgpr37
	s_and_saveexec_b64 s[40:41], vcc
	s_xor_b64 s[40:41], exec, s[40:41]
; %bb.3308:                             ;   in Loop: Header=BB35_3167 Depth=2
	v_bfe_u32 v37, v49, 16, 1
	v_add3_u32 v37, v49, v37, s72
                                        ; implicit-def: $vgpr49
; %bb.3309:                             ;   in Loop: Header=BB35_3167 Depth=2
	s_andn2_saveexec_b64 s[40:41], s[40:41]
; %bb.3310:                             ;   in Loop: Header=BB35_3167 Depth=2
	v_or_b32_e32 v37, 0x10000, v49
	v_cmp_eq_u32_sdwa vcc, v49, v3 src0_sel:WORD_0 src1_sel:DWORD
	s_nop 1
	v_cndmask_b32_e32 v37, v37, v49, vcc
; %bb.3311:                             ;   in Loop: Header=BB35_3167 Depth=2
	s_or_b64 exec, exec, s[40:41]
	v_lshlrev_b32_e32 v49, 16, v38
	v_lshlrev_b32_e32 v53, 16, v50
	v_max_f32_e32 v53, v53, v53
	v_max_f32_e32 v49, v49, v49
	v_min_f32_e32 v54, v49, v53
	v_max_f32_e32 v49, v49, v53
	v_cndmask_b32_e64 v53, v49, v54, s[24:25]
	v_and_b32_e32 v49, 0x7f800000, v53
	v_cmp_ne_u32_e32 vcc, s51, v49
                                        ; implicit-def: $vgpr49
	s_and_saveexec_b64 s[40:41], vcc
	s_xor_b64 s[40:41], exec, s[40:41]
; %bb.3312:                             ;   in Loop: Header=BB35_3167 Depth=2
	v_bfe_u32 v49, v53, 16, 1
	v_add3_u32 v49, v53, v49, s72
                                        ; implicit-def: $vgpr53
; %bb.3313:                             ;   in Loop: Header=BB35_3167 Depth=2
	s_andn2_saveexec_b64 s[40:41], s[40:41]
; %bb.3314:                             ;   in Loop: Header=BB35_3167 Depth=2
	v_or_b32_e32 v49, 0x10000, v53
	v_cmp_eq_u32_sdwa vcc, v53, v3 src0_sel:WORD_0 src1_sel:DWORD
	s_nop 1
	v_cndmask_b32_e32 v49, v49, v53, vcc
; %bb.3315:                             ;   in Loop: Header=BB35_3167 Depth=2
	s_or_b64 exec, exec, s[40:41]
	v_and_b32_e32 v38, 0xffff0000, v38
	v_and_b32_e32 v50, 0xffff0000, v50
	v_max_f32_e32 v50, v50, v50
	v_max_f32_e32 v38, v38, v38
	v_min_f32_e32 v53, v38, v50
	v_max_f32_e32 v38, v38, v50
	v_cndmask_b32_e64 v50, v38, v53, s[24:25]
	v_and_b32_e32 v38, 0x7f800000, v50
	v_cmp_ne_u32_e32 vcc, s51, v38
                                        ; implicit-def: $vgpr38
	s_and_saveexec_b64 s[40:41], vcc
	s_xor_b64 s[40:41], exec, s[40:41]
; %bb.3316:                             ;   in Loop: Header=BB35_3167 Depth=2
	v_bfe_u32 v38, v50, 16, 1
	v_add3_u32 v38, v50, v38, s72
                                        ; implicit-def: $vgpr50
; %bb.3317:                             ;   in Loop: Header=BB35_3167 Depth=2
	s_andn2_saveexec_b64 s[40:41], s[40:41]
; %bb.3318:                             ;   in Loop: Header=BB35_3167 Depth=2
	v_or_b32_e32 v38, 0x10000, v50
	v_cmp_eq_u32_sdwa vcc, v50, v3 src0_sel:WORD_0 src1_sel:DWORD
	s_nop 1
	v_cndmask_b32_e32 v38, v38, v50, vcc
; %bb.3319:                             ;   in Loop: Header=BB35_3167 Depth=2
	s_or_b64 exec, exec, s[40:41]
	v_lshlrev_b32_e32 v50, 16, v39
	v_lshlrev_b32_e32 v53, 16, v51
	v_max_f32_e32 v53, v53, v53
	v_max_f32_e32 v50, v50, v50
	v_min_f32_e32 v54, v50, v53
	v_max_f32_e32 v50, v50, v53
	v_cndmask_b32_e64 v53, v50, v54, s[24:25]
	v_and_b32_e32 v50, 0x7f800000, v53
	v_cmp_ne_u32_e32 vcc, s51, v50
                                        ; implicit-def: $vgpr50
	s_and_saveexec_b64 s[40:41], vcc
	s_xor_b64 s[40:41], exec, s[40:41]
; %bb.3320:                             ;   in Loop: Header=BB35_3167 Depth=2
	v_bfe_u32 v50, v53, 16, 1
	v_add3_u32 v50, v53, v50, s72
                                        ; implicit-def: $vgpr53
; %bb.3321:                             ;   in Loop: Header=BB35_3167 Depth=2
	s_andn2_saveexec_b64 s[40:41], s[40:41]
; %bb.3322:                             ;   in Loop: Header=BB35_3167 Depth=2
	v_or_b32_e32 v50, 0x10000, v53
	v_cmp_eq_u32_sdwa vcc, v53, v3 src0_sel:WORD_0 src1_sel:DWORD
	s_nop 1
	v_cndmask_b32_e32 v50, v50, v53, vcc
; %bb.3323:                             ;   in Loop: Header=BB35_3167 Depth=2
	s_or_b64 exec, exec, s[40:41]
	v_and_b32_e32 v39, 0xffff0000, v39
	v_and_b32_e32 v51, 0xffff0000, v51
	v_max_f32_e32 v51, v51, v51
	v_max_f32_e32 v39, v39, v39
	v_min_f32_e32 v53, v39, v51
	v_max_f32_e32 v39, v39, v51
	v_cndmask_b32_e64 v51, v39, v53, s[24:25]
	v_and_b32_e32 v39, 0x7f800000, v51
	v_cmp_ne_u32_e32 vcc, s51, v39
                                        ; implicit-def: $vgpr39
	s_and_saveexec_b64 s[40:41], vcc
	s_xor_b64 s[40:41], exec, s[40:41]
; %bb.3324:                             ;   in Loop: Header=BB35_3167 Depth=2
	v_bfe_u32 v39, v51, 16, 1
	v_add3_u32 v39, v51, v39, s72
                                        ; implicit-def: $vgpr51
; %bb.3325:                             ;   in Loop: Header=BB35_3167 Depth=2
	s_andn2_saveexec_b64 s[40:41], s[40:41]
; %bb.3326:                             ;   in Loop: Header=BB35_3167 Depth=2
	v_or_b32_e32 v39, 0x10000, v51
	v_cmp_eq_u32_sdwa vcc, v51, v3 src0_sel:WORD_0 src1_sel:DWORD
	s_nop 1
	v_cndmask_b32_e32 v39, v39, v51, vcc
; %bb.3327:                             ;   in Loop: Header=BB35_3167 Depth=2
	s_or_b64 exec, exec, s[40:41]
	v_lshrrev_b32_e32 v48, 16, v48
	v_and_or_b32 v37, v37, s73, v48
	v_lshrrev_b32_e32 v48, 16, v52
	v_and_or_b32 v36, v36, s73, v48
	;; [unrolled: 2-line block ×4, first 2 shown]
	v_add_co_u32_e32 v48, vcc, 0x1000, v100
	s_nop 1
	v_addc_co_u32_e32 v49, vcc, 0, v101, vcc
	global_store_dwordx4 v[48:49], v[36:39], off
	s_nop 1
	v_lshlrev_b32_e32 v36, 16, v24
	v_lshlrev_b32_e32 v37, 16, v32
	v_max_f32_e32 v37, v37, v37
	v_max_f32_e32 v36, v36, v36
	v_min_f32_e32 v38, v36, v37
	v_max_f32_e32 v36, v36, v37
	v_cndmask_b32_e64 v37, v36, v38, s[24:25]
	v_and_b32_e32 v36, 0x7f800000, v37
	v_cmp_ne_u32_e32 vcc, s51, v36
                                        ; implicit-def: $vgpr36
	s_and_saveexec_b64 s[40:41], vcc
	s_xor_b64 s[40:41], exec, s[40:41]
; %bb.3328:                             ;   in Loop: Header=BB35_3167 Depth=2
	v_bfe_u32 v36, v37, 16, 1
	v_add3_u32 v36, v37, v36, s72
                                        ; implicit-def: $vgpr37
; %bb.3329:                             ;   in Loop: Header=BB35_3167 Depth=2
	s_andn2_saveexec_b64 s[40:41], s[40:41]
; %bb.3330:                             ;   in Loop: Header=BB35_3167 Depth=2
	v_or_b32_e32 v36, 0x10000, v37
	v_cmp_eq_u32_sdwa vcc, v37, v3 src0_sel:WORD_0 src1_sel:DWORD
	s_nop 1
	v_cndmask_b32_e32 v36, v36, v37, vcc
; %bb.3331:                             ;   in Loop: Header=BB35_3167 Depth=2
	s_or_b64 exec, exec, s[40:41]
	v_and_b32_e32 v24, 0xffff0000, v24
	v_and_b32_e32 v32, 0xffff0000, v32
	v_max_f32_e32 v32, v32, v32
	v_max_f32_e32 v24, v24, v24
	v_min_f32_e32 v37, v24, v32
	v_max_f32_e32 v24, v24, v32
	v_cndmask_b32_e64 v32, v24, v37, s[24:25]
	v_and_b32_e32 v24, 0x7f800000, v32
	v_cmp_ne_u32_e32 vcc, s51, v24
                                        ; implicit-def: $vgpr24
	s_and_saveexec_b64 s[40:41], vcc
	s_xor_b64 s[40:41], exec, s[40:41]
; %bb.3332:                             ;   in Loop: Header=BB35_3167 Depth=2
	v_bfe_u32 v24, v32, 16, 1
	v_add3_u32 v24, v32, v24, s72
                                        ; implicit-def: $vgpr32
; %bb.3333:                             ;   in Loop: Header=BB35_3167 Depth=2
	s_andn2_saveexec_b64 s[40:41], s[40:41]
; %bb.3334:                             ;   in Loop: Header=BB35_3167 Depth=2
	v_or_b32_e32 v24, 0x10000, v32
	v_cmp_eq_u32_sdwa vcc, v32, v3 src0_sel:WORD_0 src1_sel:DWORD
	s_nop 1
	v_cndmask_b32_e32 v24, v24, v32, vcc
; %bb.3335:                             ;   in Loop: Header=BB35_3167 Depth=2
	s_or_b64 exec, exec, s[40:41]
	v_lshlrev_b32_e32 v32, 16, v25
	v_lshlrev_b32_e32 v37, 16, v33
	v_max_f32_e32 v37, v37, v37
	v_max_f32_e32 v32, v32, v32
	v_min_f32_e32 v38, v32, v37
	v_max_f32_e32 v32, v32, v37
	v_cndmask_b32_e64 v37, v32, v38, s[24:25]
	v_and_b32_e32 v32, 0x7f800000, v37
	v_cmp_ne_u32_e32 vcc, s51, v32
                                        ; implicit-def: $vgpr32
	s_and_saveexec_b64 s[40:41], vcc
	s_xor_b64 s[40:41], exec, s[40:41]
; %bb.3336:                             ;   in Loop: Header=BB35_3167 Depth=2
	v_bfe_u32 v32, v37, 16, 1
	v_add3_u32 v32, v37, v32, s72
                                        ; implicit-def: $vgpr37
; %bb.3337:                             ;   in Loop: Header=BB35_3167 Depth=2
	s_andn2_saveexec_b64 s[40:41], s[40:41]
; %bb.3338:                             ;   in Loop: Header=BB35_3167 Depth=2
	v_or_b32_e32 v32, 0x10000, v37
	v_cmp_eq_u32_sdwa vcc, v37, v3 src0_sel:WORD_0 src1_sel:DWORD
	s_nop 1
	v_cndmask_b32_e32 v32, v32, v37, vcc
; %bb.3339:                             ;   in Loop: Header=BB35_3167 Depth=2
	s_or_b64 exec, exec, s[40:41]
	v_and_b32_e32 v25, 0xffff0000, v25
	v_and_b32_e32 v33, 0xffff0000, v33
	v_max_f32_e32 v33, v33, v33
	v_max_f32_e32 v25, v25, v25
	v_min_f32_e32 v37, v25, v33
	v_max_f32_e32 v25, v25, v33
	v_cndmask_b32_e64 v33, v25, v37, s[24:25]
	v_and_b32_e32 v25, 0x7f800000, v33
	v_cmp_ne_u32_e32 vcc, s51, v25
                                        ; implicit-def: $vgpr25
	s_and_saveexec_b64 s[40:41], vcc
	s_xor_b64 s[40:41], exec, s[40:41]
; %bb.3340:                             ;   in Loop: Header=BB35_3167 Depth=2
	v_bfe_u32 v25, v33, 16, 1
	v_add3_u32 v25, v33, v25, s72
                                        ; implicit-def: $vgpr33
; %bb.3341:                             ;   in Loop: Header=BB35_3167 Depth=2
	s_andn2_saveexec_b64 s[40:41], s[40:41]
; %bb.3342:                             ;   in Loop: Header=BB35_3167 Depth=2
	v_or_b32_e32 v25, 0x10000, v33
	v_cmp_eq_u32_sdwa vcc, v33, v3 src0_sel:WORD_0 src1_sel:DWORD
	s_nop 1
	v_cndmask_b32_e32 v25, v25, v33, vcc
; %bb.3343:                             ;   in Loop: Header=BB35_3167 Depth=2
	s_or_b64 exec, exec, s[40:41]
	v_lshlrev_b32_e32 v33, 16, v26
	v_lshlrev_b32_e32 v37, 16, v34
	v_max_f32_e32 v37, v37, v37
	v_max_f32_e32 v33, v33, v33
	v_min_f32_e32 v38, v33, v37
	v_max_f32_e32 v33, v33, v37
	v_cndmask_b32_e64 v37, v33, v38, s[24:25]
	v_and_b32_e32 v33, 0x7f800000, v37
	v_cmp_ne_u32_e32 vcc, s51, v33
                                        ; implicit-def: $vgpr33
	s_and_saveexec_b64 s[40:41], vcc
	s_xor_b64 s[40:41], exec, s[40:41]
; %bb.3344:                             ;   in Loop: Header=BB35_3167 Depth=2
	v_bfe_u32 v33, v37, 16, 1
	v_add3_u32 v33, v37, v33, s72
                                        ; implicit-def: $vgpr37
; %bb.3345:                             ;   in Loop: Header=BB35_3167 Depth=2
	s_andn2_saveexec_b64 s[40:41], s[40:41]
; %bb.3346:                             ;   in Loop: Header=BB35_3167 Depth=2
	v_or_b32_e32 v33, 0x10000, v37
	v_cmp_eq_u32_sdwa vcc, v37, v3 src0_sel:WORD_0 src1_sel:DWORD
	s_nop 1
	v_cndmask_b32_e32 v33, v33, v37, vcc
; %bb.3347:                             ;   in Loop: Header=BB35_3167 Depth=2
	s_or_b64 exec, exec, s[40:41]
	v_and_b32_e32 v26, 0xffff0000, v26
	v_and_b32_e32 v34, 0xffff0000, v34
	v_max_f32_e32 v34, v34, v34
	v_max_f32_e32 v26, v26, v26
	v_min_f32_e32 v37, v26, v34
	v_max_f32_e32 v26, v26, v34
	v_cndmask_b32_e64 v34, v26, v37, s[24:25]
	v_and_b32_e32 v26, 0x7f800000, v34
	v_cmp_ne_u32_e32 vcc, s51, v26
                                        ; implicit-def: $vgpr26
	s_and_saveexec_b64 s[40:41], vcc
	s_xor_b64 s[40:41], exec, s[40:41]
; %bb.3348:                             ;   in Loop: Header=BB35_3167 Depth=2
	v_bfe_u32 v26, v34, 16, 1
	v_add3_u32 v26, v34, v26, s72
                                        ; implicit-def: $vgpr34
; %bb.3349:                             ;   in Loop: Header=BB35_3167 Depth=2
	s_andn2_saveexec_b64 s[40:41], s[40:41]
; %bb.3350:                             ;   in Loop: Header=BB35_3167 Depth=2
	v_or_b32_e32 v26, 0x10000, v34
	v_cmp_eq_u32_sdwa vcc, v34, v3 src0_sel:WORD_0 src1_sel:DWORD
	s_nop 1
	v_cndmask_b32_e32 v26, v26, v34, vcc
; %bb.3351:                             ;   in Loop: Header=BB35_3167 Depth=2
	s_or_b64 exec, exec, s[40:41]
	v_lshlrev_b32_e32 v34, 16, v27
	v_lshlrev_b32_e32 v37, 16, v35
	v_max_f32_e32 v37, v37, v37
	v_max_f32_e32 v34, v34, v34
	v_min_f32_e32 v38, v34, v37
	v_max_f32_e32 v34, v34, v37
	v_cndmask_b32_e64 v37, v34, v38, s[24:25]
	v_and_b32_e32 v34, 0x7f800000, v37
	v_cmp_ne_u32_e32 vcc, s51, v34
                                        ; implicit-def: $vgpr34
	s_and_saveexec_b64 s[40:41], vcc
	s_xor_b64 s[40:41], exec, s[40:41]
; %bb.3352:                             ;   in Loop: Header=BB35_3167 Depth=2
	v_bfe_u32 v34, v37, 16, 1
	v_add3_u32 v34, v37, v34, s72
                                        ; implicit-def: $vgpr37
; %bb.3353:                             ;   in Loop: Header=BB35_3167 Depth=2
	s_andn2_saveexec_b64 s[40:41], s[40:41]
; %bb.3354:                             ;   in Loop: Header=BB35_3167 Depth=2
	v_or_b32_e32 v34, 0x10000, v37
	v_cmp_eq_u32_sdwa vcc, v37, v3 src0_sel:WORD_0 src1_sel:DWORD
	s_nop 1
	v_cndmask_b32_e32 v34, v34, v37, vcc
; %bb.3355:                             ;   in Loop: Header=BB35_3167 Depth=2
	s_or_b64 exec, exec, s[40:41]
	v_and_b32_e32 v27, 0xffff0000, v27
	v_and_b32_e32 v35, 0xffff0000, v35
	v_max_f32_e32 v35, v35, v35
	v_max_f32_e32 v27, v27, v27
	v_min_f32_e32 v37, v27, v35
	v_max_f32_e32 v27, v27, v35
	v_cndmask_b32_e64 v35, v27, v37, s[24:25]
	v_and_b32_e32 v27, 0x7f800000, v35
	v_cmp_ne_u32_e32 vcc, s51, v27
                                        ; implicit-def: $vgpr27
	s_and_saveexec_b64 s[40:41], vcc
	s_xor_b64 s[40:41], exec, s[40:41]
; %bb.3356:                             ;   in Loop: Header=BB35_3167 Depth=2
	v_bfe_u32 v27, v35, 16, 1
	v_add3_u32 v27, v35, v27, s72
                                        ; implicit-def: $vgpr35
; %bb.3357:                             ;   in Loop: Header=BB35_3167 Depth=2
	s_andn2_saveexec_b64 s[40:41], s[40:41]
; %bb.3358:                             ;   in Loop: Header=BB35_3167 Depth=2
	v_or_b32_e32 v27, 0x10000, v35
	v_cmp_eq_u32_sdwa vcc, v35, v3 src0_sel:WORD_0 src1_sel:DWORD
	s_nop 1
	v_cndmask_b32_e32 v27, v27, v35, vcc
; %bb.3359:                             ;   in Loop: Header=BB35_3167 Depth=2
	s_or_b64 exec, exec, s[40:41]
	v_lshrrev_b32_e32 v32, 16, v32
	v_and_or_b32 v25, v25, s73, v32
	v_lshrrev_b32_e32 v32, 16, v36
	v_and_or_b32 v24, v24, s73, v32
	;; [unrolled: 2-line block ×4, first 2 shown]
	v_add_co_u32_e32 v32, vcc, 0x1000, v100
	s_nop 1
	v_addc_co_u32_e32 v33, vcc, 0, v101, vcc
	global_store_dwordx4 v[32:33], v[24:27], off offset:1024
	s_nop 1
	v_lshlrev_b32_e32 v24, 16, v16
	v_lshlrev_b32_e32 v25, 16, v20
	v_max_f32_e32 v25, v25, v25
	v_max_f32_e32 v24, v24, v24
	v_min_f32_e32 v26, v24, v25
	v_max_f32_e32 v24, v24, v25
	v_cndmask_b32_e64 v25, v24, v26, s[24:25]
	v_and_b32_e32 v24, 0x7f800000, v25
	v_cmp_ne_u32_e32 vcc, s51, v24
                                        ; implicit-def: $vgpr24
	s_and_saveexec_b64 s[40:41], vcc
	s_xor_b64 s[40:41], exec, s[40:41]
; %bb.3360:                             ;   in Loop: Header=BB35_3167 Depth=2
	v_bfe_u32 v24, v25, 16, 1
	v_add3_u32 v24, v25, v24, s72
                                        ; implicit-def: $vgpr25
; %bb.3361:                             ;   in Loop: Header=BB35_3167 Depth=2
	s_andn2_saveexec_b64 s[40:41], s[40:41]
; %bb.3362:                             ;   in Loop: Header=BB35_3167 Depth=2
	v_or_b32_e32 v24, 0x10000, v25
	v_cmp_eq_u32_sdwa vcc, v25, v3 src0_sel:WORD_0 src1_sel:DWORD
	s_nop 1
	v_cndmask_b32_e32 v24, v24, v25, vcc
; %bb.3363:                             ;   in Loop: Header=BB35_3167 Depth=2
	s_or_b64 exec, exec, s[40:41]
	v_and_b32_e32 v16, 0xffff0000, v16
	v_and_b32_e32 v20, 0xffff0000, v20
	v_max_f32_e32 v20, v20, v20
	v_max_f32_e32 v16, v16, v16
	v_min_f32_e32 v25, v16, v20
	v_max_f32_e32 v16, v16, v20
	v_cndmask_b32_e64 v20, v16, v25, s[24:25]
	v_and_b32_e32 v16, 0x7f800000, v20
	v_cmp_ne_u32_e32 vcc, s51, v16
                                        ; implicit-def: $vgpr16
	s_and_saveexec_b64 s[40:41], vcc
	s_xor_b64 s[40:41], exec, s[40:41]
; %bb.3364:                             ;   in Loop: Header=BB35_3167 Depth=2
	v_bfe_u32 v16, v20, 16, 1
	v_add3_u32 v16, v20, v16, s72
                                        ; implicit-def: $vgpr20
; %bb.3365:                             ;   in Loop: Header=BB35_3167 Depth=2
	s_andn2_saveexec_b64 s[40:41], s[40:41]
; %bb.3366:                             ;   in Loop: Header=BB35_3167 Depth=2
	v_or_b32_e32 v16, 0x10000, v20
	v_cmp_eq_u32_sdwa vcc, v20, v3 src0_sel:WORD_0 src1_sel:DWORD
	s_nop 1
	v_cndmask_b32_e32 v16, v16, v20, vcc
; %bb.3367:                             ;   in Loop: Header=BB35_3167 Depth=2
	s_or_b64 exec, exec, s[40:41]
	v_lshlrev_b32_e32 v20, 16, v17
	v_lshlrev_b32_e32 v25, 16, v21
	v_max_f32_e32 v25, v25, v25
	v_max_f32_e32 v20, v20, v20
	v_min_f32_e32 v26, v20, v25
	v_max_f32_e32 v20, v20, v25
	v_cndmask_b32_e64 v25, v20, v26, s[24:25]
	v_and_b32_e32 v20, 0x7f800000, v25
	v_cmp_ne_u32_e32 vcc, s51, v20
                                        ; implicit-def: $vgpr20
	s_and_saveexec_b64 s[40:41], vcc
	s_xor_b64 s[40:41], exec, s[40:41]
; %bb.3368:                             ;   in Loop: Header=BB35_3167 Depth=2
	v_bfe_u32 v20, v25, 16, 1
	v_add3_u32 v20, v25, v20, s72
                                        ; implicit-def: $vgpr25
; %bb.3369:                             ;   in Loop: Header=BB35_3167 Depth=2
	s_andn2_saveexec_b64 s[40:41], s[40:41]
; %bb.3370:                             ;   in Loop: Header=BB35_3167 Depth=2
	v_or_b32_e32 v20, 0x10000, v25
	v_cmp_eq_u32_sdwa vcc, v25, v3 src0_sel:WORD_0 src1_sel:DWORD
	s_nop 1
	v_cndmask_b32_e32 v20, v20, v25, vcc
; %bb.3371:                             ;   in Loop: Header=BB35_3167 Depth=2
	s_or_b64 exec, exec, s[40:41]
	v_and_b32_e32 v17, 0xffff0000, v17
	v_and_b32_e32 v21, 0xffff0000, v21
	v_max_f32_e32 v21, v21, v21
	v_max_f32_e32 v17, v17, v17
	v_min_f32_e32 v25, v17, v21
	v_max_f32_e32 v17, v17, v21
	v_cndmask_b32_e64 v21, v17, v25, s[24:25]
	v_and_b32_e32 v17, 0x7f800000, v21
	v_cmp_ne_u32_e32 vcc, s51, v17
                                        ; implicit-def: $vgpr17
	s_and_saveexec_b64 s[40:41], vcc
	s_xor_b64 s[40:41], exec, s[40:41]
; %bb.3372:                             ;   in Loop: Header=BB35_3167 Depth=2
	v_bfe_u32 v17, v21, 16, 1
	v_add3_u32 v17, v21, v17, s72
                                        ; implicit-def: $vgpr21
; %bb.3373:                             ;   in Loop: Header=BB35_3167 Depth=2
	s_andn2_saveexec_b64 s[40:41], s[40:41]
; %bb.3374:                             ;   in Loop: Header=BB35_3167 Depth=2
	v_or_b32_e32 v17, 0x10000, v21
	v_cmp_eq_u32_sdwa vcc, v21, v3 src0_sel:WORD_0 src1_sel:DWORD
	s_nop 1
	v_cndmask_b32_e32 v17, v17, v21, vcc
; %bb.3375:                             ;   in Loop: Header=BB35_3167 Depth=2
	s_or_b64 exec, exec, s[40:41]
	v_lshlrev_b32_e32 v21, 16, v18
	v_lshlrev_b32_e32 v25, 16, v22
	v_max_f32_e32 v25, v25, v25
	v_max_f32_e32 v21, v21, v21
	v_min_f32_e32 v26, v21, v25
	v_max_f32_e32 v21, v21, v25
	v_cndmask_b32_e64 v25, v21, v26, s[24:25]
	v_and_b32_e32 v21, 0x7f800000, v25
	v_cmp_ne_u32_e32 vcc, s51, v21
                                        ; implicit-def: $vgpr21
	s_and_saveexec_b64 s[40:41], vcc
	s_xor_b64 s[40:41], exec, s[40:41]
; %bb.3376:                             ;   in Loop: Header=BB35_3167 Depth=2
	v_bfe_u32 v21, v25, 16, 1
	v_add3_u32 v21, v25, v21, s72
                                        ; implicit-def: $vgpr25
; %bb.3377:                             ;   in Loop: Header=BB35_3167 Depth=2
	s_andn2_saveexec_b64 s[40:41], s[40:41]
; %bb.3378:                             ;   in Loop: Header=BB35_3167 Depth=2
	v_or_b32_e32 v21, 0x10000, v25
	v_cmp_eq_u32_sdwa vcc, v25, v3 src0_sel:WORD_0 src1_sel:DWORD
	s_nop 1
	v_cndmask_b32_e32 v21, v21, v25, vcc
; %bb.3379:                             ;   in Loop: Header=BB35_3167 Depth=2
	s_or_b64 exec, exec, s[40:41]
	v_and_b32_e32 v18, 0xffff0000, v18
	v_and_b32_e32 v22, 0xffff0000, v22
	v_max_f32_e32 v22, v22, v22
	v_max_f32_e32 v18, v18, v18
	v_min_f32_e32 v25, v18, v22
	v_max_f32_e32 v18, v18, v22
	v_cndmask_b32_e64 v22, v18, v25, s[24:25]
	v_and_b32_e32 v18, 0x7f800000, v22
	v_cmp_ne_u32_e32 vcc, s51, v18
                                        ; implicit-def: $vgpr18
	s_and_saveexec_b64 s[40:41], vcc
	s_xor_b64 s[40:41], exec, s[40:41]
; %bb.3380:                             ;   in Loop: Header=BB35_3167 Depth=2
	v_bfe_u32 v18, v22, 16, 1
	v_add3_u32 v18, v22, v18, s72
                                        ; implicit-def: $vgpr22
; %bb.3381:                             ;   in Loop: Header=BB35_3167 Depth=2
	s_andn2_saveexec_b64 s[40:41], s[40:41]
; %bb.3382:                             ;   in Loop: Header=BB35_3167 Depth=2
	v_or_b32_e32 v18, 0x10000, v22
	v_cmp_eq_u32_sdwa vcc, v22, v3 src0_sel:WORD_0 src1_sel:DWORD
	s_nop 1
	v_cndmask_b32_e32 v18, v18, v22, vcc
; %bb.3383:                             ;   in Loop: Header=BB35_3167 Depth=2
	s_or_b64 exec, exec, s[40:41]
	v_lshlrev_b32_e32 v22, 16, v19
	v_lshlrev_b32_e32 v25, 16, v23
	v_max_f32_e32 v25, v25, v25
	v_max_f32_e32 v22, v22, v22
	v_min_f32_e32 v26, v22, v25
	v_max_f32_e32 v22, v22, v25
	v_cndmask_b32_e64 v25, v22, v26, s[24:25]
	v_and_b32_e32 v22, 0x7f800000, v25
	v_cmp_ne_u32_e32 vcc, s51, v22
                                        ; implicit-def: $vgpr22
	s_and_saveexec_b64 s[40:41], vcc
	s_xor_b64 s[40:41], exec, s[40:41]
; %bb.3384:                             ;   in Loop: Header=BB35_3167 Depth=2
	v_bfe_u32 v22, v25, 16, 1
	v_add3_u32 v22, v25, v22, s72
                                        ; implicit-def: $vgpr25
; %bb.3385:                             ;   in Loop: Header=BB35_3167 Depth=2
	s_andn2_saveexec_b64 s[40:41], s[40:41]
; %bb.3386:                             ;   in Loop: Header=BB35_3167 Depth=2
	v_or_b32_e32 v22, 0x10000, v25
	v_cmp_eq_u32_sdwa vcc, v25, v3 src0_sel:WORD_0 src1_sel:DWORD
	s_nop 1
	v_cndmask_b32_e32 v22, v22, v25, vcc
; %bb.3387:                             ;   in Loop: Header=BB35_3167 Depth=2
	s_or_b64 exec, exec, s[40:41]
	v_and_b32_e32 v19, 0xffff0000, v19
	v_and_b32_e32 v23, 0xffff0000, v23
	v_max_f32_e32 v23, v23, v23
	v_max_f32_e32 v19, v19, v19
	v_min_f32_e32 v25, v19, v23
	v_max_f32_e32 v19, v19, v23
	v_cndmask_b32_e64 v23, v19, v25, s[24:25]
	v_and_b32_e32 v19, 0x7f800000, v23
	v_cmp_ne_u32_e32 vcc, s51, v19
                                        ; implicit-def: $vgpr19
	s_and_saveexec_b64 s[40:41], vcc
	s_xor_b64 s[40:41], exec, s[40:41]
; %bb.3388:                             ;   in Loop: Header=BB35_3167 Depth=2
	v_bfe_u32 v19, v23, 16, 1
	v_add3_u32 v19, v23, v19, s72
                                        ; implicit-def: $vgpr23
; %bb.3389:                             ;   in Loop: Header=BB35_3167 Depth=2
	s_andn2_saveexec_b64 s[40:41], s[40:41]
; %bb.3390:                             ;   in Loop: Header=BB35_3167 Depth=2
	v_or_b32_e32 v19, 0x10000, v23
	v_cmp_eq_u32_sdwa vcc, v23, v3 src0_sel:WORD_0 src1_sel:DWORD
	s_nop 1
	v_cndmask_b32_e32 v19, v19, v23, vcc
; %bb.3391:                             ;   in Loop: Header=BB35_3167 Depth=2
	s_or_b64 exec, exec, s[40:41]
	v_lshrrev_b32_e32 v20, 16, v20
	v_and_or_b32 v17, v17, s73, v20
	v_lshrrev_b32_e32 v20, 16, v24
	v_and_or_b32 v16, v16, s73, v20
	;; [unrolled: 2-line block ×4, first 2 shown]
	v_add_co_u32_e32 v20, vcc, 0x1000, v100
	s_nop 1
	v_addc_co_u32_e32 v21, vcc, 0, v101, vcc
	global_store_dwordx4 v[20:21], v[16:19], off offset:2048
	s_nop 1
	v_lshlrev_b32_e32 v16, 16, v8
	v_lshlrev_b32_e32 v17, 16, v12
	v_max_f32_e32 v17, v17, v17
	v_max_f32_e32 v16, v16, v16
	v_min_f32_e32 v18, v16, v17
	v_max_f32_e32 v16, v16, v17
	v_cndmask_b32_e64 v17, v16, v18, s[24:25]
	v_and_b32_e32 v16, 0x7f800000, v17
	v_cmp_ne_u32_e32 vcc, s51, v16
                                        ; implicit-def: $vgpr16
	s_and_saveexec_b64 s[40:41], vcc
	s_xor_b64 s[40:41], exec, s[40:41]
; %bb.3392:                             ;   in Loop: Header=BB35_3167 Depth=2
	v_bfe_u32 v16, v17, 16, 1
	v_add3_u32 v16, v17, v16, s72
                                        ; implicit-def: $vgpr17
; %bb.3393:                             ;   in Loop: Header=BB35_3167 Depth=2
	s_andn2_saveexec_b64 s[40:41], s[40:41]
; %bb.3394:                             ;   in Loop: Header=BB35_3167 Depth=2
	v_or_b32_e32 v16, 0x10000, v17
	v_cmp_eq_u32_sdwa vcc, v17, v3 src0_sel:WORD_0 src1_sel:DWORD
	s_nop 1
	v_cndmask_b32_e32 v16, v16, v17, vcc
; %bb.3395:                             ;   in Loop: Header=BB35_3167 Depth=2
	s_or_b64 exec, exec, s[40:41]
	v_and_b32_e32 v8, 0xffff0000, v8
	v_and_b32_e32 v12, 0xffff0000, v12
	v_max_f32_e32 v12, v12, v12
	v_max_f32_e32 v8, v8, v8
	v_min_f32_e32 v17, v8, v12
	v_max_f32_e32 v8, v8, v12
	v_cndmask_b32_e64 v12, v8, v17, s[24:25]
	v_and_b32_e32 v8, 0x7f800000, v12
	v_cmp_ne_u32_e32 vcc, s51, v8
                                        ; implicit-def: $vgpr8
	s_and_saveexec_b64 s[40:41], vcc
	s_xor_b64 s[40:41], exec, s[40:41]
; %bb.3396:                             ;   in Loop: Header=BB35_3167 Depth=2
	v_bfe_u32 v8, v12, 16, 1
	v_add3_u32 v8, v12, v8, s72
                                        ; implicit-def: $vgpr12
; %bb.3397:                             ;   in Loop: Header=BB35_3167 Depth=2
	s_andn2_saveexec_b64 s[40:41], s[40:41]
; %bb.3398:                             ;   in Loop: Header=BB35_3167 Depth=2
	v_or_b32_e32 v8, 0x10000, v12
	v_cmp_eq_u32_sdwa vcc, v12, v3 src0_sel:WORD_0 src1_sel:DWORD
	s_nop 1
	v_cndmask_b32_e32 v8, v8, v12, vcc
; %bb.3399:                             ;   in Loop: Header=BB35_3167 Depth=2
	s_or_b64 exec, exec, s[40:41]
	v_lshlrev_b32_e32 v12, 16, v9
	v_lshlrev_b32_e32 v17, 16, v13
	v_max_f32_e32 v17, v17, v17
	v_max_f32_e32 v12, v12, v12
	v_min_f32_e32 v18, v12, v17
	v_max_f32_e32 v12, v12, v17
	v_cndmask_b32_e64 v17, v12, v18, s[24:25]
	v_and_b32_e32 v12, 0x7f800000, v17
	v_cmp_ne_u32_e32 vcc, s51, v12
                                        ; implicit-def: $vgpr12
	s_and_saveexec_b64 s[40:41], vcc
	s_xor_b64 s[40:41], exec, s[40:41]
; %bb.3400:                             ;   in Loop: Header=BB35_3167 Depth=2
	v_bfe_u32 v12, v17, 16, 1
	v_add3_u32 v12, v17, v12, s72
                                        ; implicit-def: $vgpr17
; %bb.3401:                             ;   in Loop: Header=BB35_3167 Depth=2
	s_andn2_saveexec_b64 s[40:41], s[40:41]
; %bb.3402:                             ;   in Loop: Header=BB35_3167 Depth=2
	v_or_b32_e32 v12, 0x10000, v17
	v_cmp_eq_u32_sdwa vcc, v17, v3 src0_sel:WORD_0 src1_sel:DWORD
	s_nop 1
	v_cndmask_b32_e32 v12, v12, v17, vcc
; %bb.3403:                             ;   in Loop: Header=BB35_3167 Depth=2
	s_or_b64 exec, exec, s[40:41]
	v_and_b32_e32 v9, 0xffff0000, v9
	v_and_b32_e32 v13, 0xffff0000, v13
	v_max_f32_e32 v13, v13, v13
	v_max_f32_e32 v9, v9, v9
	v_min_f32_e32 v17, v9, v13
	v_max_f32_e32 v9, v9, v13
	v_cndmask_b32_e64 v13, v9, v17, s[24:25]
	v_and_b32_e32 v9, 0x7f800000, v13
	v_cmp_ne_u32_e32 vcc, s51, v9
                                        ; implicit-def: $vgpr9
	s_and_saveexec_b64 s[40:41], vcc
	s_xor_b64 s[40:41], exec, s[40:41]
; %bb.3404:                             ;   in Loop: Header=BB35_3167 Depth=2
	v_bfe_u32 v9, v13, 16, 1
	v_add3_u32 v9, v13, v9, s72
                                        ; implicit-def: $vgpr13
; %bb.3405:                             ;   in Loop: Header=BB35_3167 Depth=2
	s_andn2_saveexec_b64 s[40:41], s[40:41]
; %bb.3406:                             ;   in Loop: Header=BB35_3167 Depth=2
	v_or_b32_e32 v9, 0x10000, v13
	v_cmp_eq_u32_sdwa vcc, v13, v3 src0_sel:WORD_0 src1_sel:DWORD
	s_nop 1
	v_cndmask_b32_e32 v9, v9, v13, vcc
; %bb.3407:                             ;   in Loop: Header=BB35_3167 Depth=2
	s_or_b64 exec, exec, s[40:41]
	v_lshlrev_b32_e32 v13, 16, v10
	v_lshlrev_b32_e32 v17, 16, v14
	v_max_f32_e32 v17, v17, v17
	v_max_f32_e32 v13, v13, v13
	v_min_f32_e32 v18, v13, v17
	v_max_f32_e32 v13, v13, v17
	v_cndmask_b32_e64 v17, v13, v18, s[24:25]
	v_and_b32_e32 v13, 0x7f800000, v17
	v_cmp_ne_u32_e32 vcc, s51, v13
                                        ; implicit-def: $vgpr13
	s_and_saveexec_b64 s[40:41], vcc
	s_xor_b64 s[40:41], exec, s[40:41]
; %bb.3408:                             ;   in Loop: Header=BB35_3167 Depth=2
	v_bfe_u32 v13, v17, 16, 1
	v_add3_u32 v13, v17, v13, s72
                                        ; implicit-def: $vgpr17
; %bb.3409:                             ;   in Loop: Header=BB35_3167 Depth=2
	s_andn2_saveexec_b64 s[40:41], s[40:41]
; %bb.3410:                             ;   in Loop: Header=BB35_3167 Depth=2
	v_or_b32_e32 v13, 0x10000, v17
	v_cmp_eq_u32_sdwa vcc, v17, v3 src0_sel:WORD_0 src1_sel:DWORD
	s_nop 1
	v_cndmask_b32_e32 v13, v13, v17, vcc
; %bb.3411:                             ;   in Loop: Header=BB35_3167 Depth=2
	s_or_b64 exec, exec, s[40:41]
	v_and_b32_e32 v10, 0xffff0000, v10
	v_and_b32_e32 v14, 0xffff0000, v14
	v_max_f32_e32 v14, v14, v14
	v_max_f32_e32 v10, v10, v10
	v_min_f32_e32 v17, v10, v14
	v_max_f32_e32 v10, v10, v14
	v_cndmask_b32_e64 v14, v10, v17, s[24:25]
	v_and_b32_e32 v10, 0x7f800000, v14
	v_cmp_ne_u32_e32 vcc, s51, v10
                                        ; implicit-def: $vgpr10
	s_and_saveexec_b64 s[40:41], vcc
	s_xor_b64 s[40:41], exec, s[40:41]
; %bb.3412:                             ;   in Loop: Header=BB35_3167 Depth=2
	v_bfe_u32 v10, v14, 16, 1
	v_add3_u32 v10, v14, v10, s72
                                        ; implicit-def: $vgpr14
; %bb.3413:                             ;   in Loop: Header=BB35_3167 Depth=2
	s_andn2_saveexec_b64 s[40:41], s[40:41]
; %bb.3414:                             ;   in Loop: Header=BB35_3167 Depth=2
	v_or_b32_e32 v10, 0x10000, v14
	v_cmp_eq_u32_sdwa vcc, v14, v3 src0_sel:WORD_0 src1_sel:DWORD
	s_nop 1
	v_cndmask_b32_e32 v10, v10, v14, vcc
; %bb.3415:                             ;   in Loop: Header=BB35_3167 Depth=2
	s_or_b64 exec, exec, s[40:41]
	v_lshlrev_b32_e32 v14, 16, v11
	v_lshlrev_b32_e32 v17, 16, v15
	v_max_f32_e32 v17, v17, v17
	v_max_f32_e32 v14, v14, v14
	v_min_f32_e32 v18, v14, v17
	v_max_f32_e32 v14, v14, v17
	v_cndmask_b32_e64 v17, v14, v18, s[24:25]
	v_and_b32_e32 v14, 0x7f800000, v17
	v_cmp_ne_u32_e32 vcc, s51, v14
                                        ; implicit-def: $vgpr14
	s_and_saveexec_b64 s[40:41], vcc
	s_xor_b64 s[40:41], exec, s[40:41]
; %bb.3416:                             ;   in Loop: Header=BB35_3167 Depth=2
	v_bfe_u32 v14, v17, 16, 1
	v_add3_u32 v14, v17, v14, s72
                                        ; implicit-def: $vgpr17
; %bb.3417:                             ;   in Loop: Header=BB35_3167 Depth=2
	s_andn2_saveexec_b64 s[40:41], s[40:41]
; %bb.3418:                             ;   in Loop: Header=BB35_3167 Depth=2
	v_or_b32_e32 v14, 0x10000, v17
	v_cmp_eq_u32_sdwa vcc, v17, v3 src0_sel:WORD_0 src1_sel:DWORD
	s_nop 1
	v_cndmask_b32_e32 v14, v14, v17, vcc
; %bb.3419:                             ;   in Loop: Header=BB35_3167 Depth=2
	s_or_b64 exec, exec, s[40:41]
	v_and_b32_e32 v11, 0xffff0000, v11
	v_and_b32_e32 v15, 0xffff0000, v15
	v_max_f32_e32 v15, v15, v15
	v_max_f32_e32 v11, v11, v11
	v_min_f32_e32 v17, v11, v15
	v_max_f32_e32 v11, v11, v15
	v_cndmask_b32_e64 v15, v11, v17, s[24:25]
	v_and_b32_e32 v11, 0x7f800000, v15
	v_cmp_ne_u32_e32 vcc, s51, v11
                                        ; implicit-def: $vgpr11
	s_and_saveexec_b64 s[40:41], vcc
	s_xor_b64 s[40:41], exec, s[40:41]
; %bb.3420:                             ;   in Loop: Header=BB35_3167 Depth=2
	v_bfe_u32 v11, v15, 16, 1
	v_add3_u32 v11, v15, v11, s72
                                        ; implicit-def: $vgpr15
; %bb.3421:                             ;   in Loop: Header=BB35_3167 Depth=2
	s_andn2_saveexec_b64 s[40:41], s[40:41]
	s_cbranch_execz .LBB35_3166
; %bb.3422:                             ;   in Loop: Header=BB35_3167 Depth=2
	v_or_b32_e32 v11, 0x10000, v15
	v_cmp_eq_u32_sdwa vcc, v15, v3 src0_sel:WORD_0 src1_sel:DWORD
	s_nop 1
	v_cndmask_b32_e32 v11, v11, v15, vcc
	s_branch .LBB35_3166
.LBB35_3423:                            ;   in Loop: Header=BB35_47 Depth=1
	s_or_b64 exec, exec, s[28:29]
	scratch_load_dwordx4 v[82:85], off, s33 offset:432 ; 16-byte Folded Reload
	scratch_load_dwordx2 v[84:85], off, s33 offset:256 ; 8-byte Folded Reload
	scratch_load_dwordx2 v[86:87], off, s33 offset:312 ; 8-byte Folded Reload
	;; [unrolled: 1-line block ×4, first 2 shown]
	v_mov_b32_e32 v58, v107
.LBB35_3424:                            ;   in Loop: Header=BB35_47 Depth=1
	s_or_b64 exec, exec, s[26:27]
	v_lshlrev_b32_e32 v7, 13, v7
	v_cmp_ne_u32_e32 vcc, v45, v7
	s_mov_b64 s[24:25], 0
	v_mov_b32_e32 v18, 0
                                        ; implicit-def: $vgpr19
	s_and_saveexec_b64 s[54:55], vcc
	s_cbranch_execz .LBB35_3430
; %bb.3425:                             ;   in Loop: Header=BB35_47 Depth=1
	v_lshlrev_b32_e32 v6, 6, v6
	v_and_b32_e32 v8, 63, v31
	v_sub_u32_e32 v6, v8, v6
	v_sub_u32_e32 v9, v45, v7
	v_ashrrev_i32_e32 v8, 31, v6
	v_lshrrev_b32_e32 v8, 26, v8
	v_ashrrev_i32_e32 v11, 31, v9
	v_add_u32_e32 v8, v6, v8
	v_lshrrev_b32_e32 v11, 22, v11
	v_ashrrev_i32_e32 v10, 6, v8
	v_and_b32_e32 v8, 0xffffffc0, v8
	v_add_u32_e32 v11, v9, v11
	v_sub_u32_e32 v6, v6, v8
	v_and_b32_e32 v12, 0xfffffc00, v11
	v_lshlrev_b32_e32 v8, 4, v6
	v_sub_u32_e32 v13, v9, v12
	v_lshl_add_u32 v8, v10, 10, v8
	v_ashrrev_i32_e32 v14, 10, v11
	v_cmp_lt_i32_e32 vcc, 15, v13
	v_sub_u32_e32 v15, v9, v8
	s_nop 0
	v_addc_co_u32_e64 v9, s[24:25], 0, v14, vcc
	v_sub_u32_e32 v14, v9, v10
	v_cmp_lt_i32_e64 s[24:25], 15, v15
	s_and_saveexec_b64 s[64:65], s[24:25]
	s_cbranch_execz .LBB35_3429
; %bb.3426:                             ;   in Loop: Header=BB35_47 Depth=1
	s_and_b32 s76, s12, 1
	v_add_u32_e32 v8, v8, v7
	s_cmp_eq_u64 s[76:77], 0
	v_ashrrev_i32_e32 v9, 31, v8
	s_mov_b64 s[66:67], 0
	s_cselect_b64 s[24:25], -1, 0
.LBB35_3427:                            ;   Parent Loop BB35_47 Depth=1
                                        ; =>  This Inner Loop Header: Depth=2
	v_lshl_add_u64 v[20:21], v[78:79], 0, v[8:9]
	s_waitcnt vmcnt(0)
	v_lshl_add_u64 v[16:17], v[0:1], 0, v[8:9]
	global_load_dwordx4 v[16:19], v[16:17], off nt
	s_nop 0
	global_load_dwordx4 v[20:23], v[20:21], off nt
	v_sub_u32_e32 v15, v15, v84
	v_lshl_add_u64 v[10:11], v[28:29], 0, v[8:9]
	v_sub_u32_e32 v14, v14, v60
	v_lshl_add_u64 v[8:9], v[8:9], 0, v[86:87]
	s_waitcnt vmcnt(1)
	v_and_b32_e32 v24, 0xffff0000, v16
	s_waitcnt vmcnt(0)
	v_and_b32_e32 v25, 0xffff0000, v20
	v_lshlrev_b32_e32 v16, 16, v16
	v_lshlrev_b32_e32 v20, 16, v20
	v_max_f32_e32 v20, v20, v20
	v_max_f32_e32 v16, v16, v16
	v_min_f32_e32 v26, v16, v20
	v_max_f32_e32 v16, v16, v20
	v_cndmask_b32_e64 v16, v16, v26, s[24:25]
	v_and_b32_e32 v20, 0x7f800000, v16
	v_cmp_eq_u32_e64 s[26:27], s51, v20
	v_bfe_u32 v20, v16, 16, 1
	v_cmp_eq_u32_sdwa s[28:29], v16, v3 src0_sel:WORD_0 src1_sel:DWORD
	v_or_b32_e32 v26, 0x10000, v16
	v_max_f32_e32 v25, v25, v25
	v_max_f32_e32 v24, v24, v24
	v_add3_u32 v20, v16, v20, s72
	v_cndmask_b32_e64 v16, v26, v16, s[28:29]
	v_min_f32_e32 v26, v24, v25
	v_max_f32_e32 v24, v24, v25
	v_cndmask_b32_e64 v24, v24, v26, s[24:25]
	v_and_b32_e32 v25, 0x7f800000, v24
	v_cmp_eq_u32_e64 s[28:29], s51, v25
	v_bfe_u32 v25, v24, 16, 1
	v_cmp_eq_u32_sdwa s[40:41], v24, v3 src0_sel:WORD_0 src1_sel:DWORD
	v_or_b32_e32 v26, 0x10000, v24
	v_add3_u32 v25, v24, v25, s72
	v_cndmask_b32_e64 v24, v26, v24, s[40:41]
	v_and_b32_e32 v26, 0xffff0000, v17
	v_and_b32_e32 v27, 0xffff0000, v21
	v_lshlrev_b32_e32 v17, 16, v17
	v_lshlrev_b32_e32 v21, 16, v21
	v_max_f32_e32 v21, v21, v21
	v_max_f32_e32 v17, v17, v17
	v_min_f32_e32 v32, v17, v21
	v_max_f32_e32 v17, v17, v21
	v_cndmask_b32_e64 v17, v17, v32, s[24:25]
	v_and_b32_e32 v21, 0x7f800000, v17
	v_cmp_eq_u32_e64 s[40:41], s51, v21
	v_bfe_u32 v21, v17, 16, 1
	v_cmp_eq_u32_sdwa s[42:43], v17, v3 src0_sel:WORD_0 src1_sel:DWORD
	v_or_b32_e32 v32, 0x10000, v17
	v_max_f32_e32 v27, v27, v27
	v_max_f32_e32 v26, v26, v26
	v_add3_u32 v21, v17, v21, s72
	v_cndmask_b32_e64 v17, v32, v17, s[42:43]
	v_min_f32_e32 v32, v26, v27
	v_max_f32_e32 v26, v26, v27
	v_cndmask_b32_e64 v26, v26, v32, s[24:25]
	v_and_b32_e32 v27, 0x7f800000, v26
	v_cmp_eq_u32_e64 s[42:43], s51, v27
	v_bfe_u32 v27, v26, 16, 1
	v_cmp_eq_u32_sdwa s[44:45], v26, v3 src0_sel:WORD_0 src1_sel:DWORD
	v_or_b32_e32 v32, 0x10000, v26
	v_add3_u32 v27, v26, v27, s72
	v_cndmask_b32_e64 v26, v32, v26, s[44:45]
	v_and_b32_e32 v32, 0xffff0000, v18
	;; [unrolled: 28-line block ×3, first 2 shown]
	v_and_b32_e32 v35, 0xffff0000, v23
	v_lshlrev_b32_e32 v19, 16, v19
	v_lshlrev_b32_e32 v23, 16, v23
	v_max_f32_e32 v23, v23, v23
	v_max_f32_e32 v19, v19, v19
	v_min_f32_e32 v36, v19, v23
	v_max_f32_e32 v19, v19, v23
	v_cndmask_b32_e64 v19, v19, v36, s[24:25]
	v_and_b32_e32 v23, 0x7f800000, v19
	v_cmp_eq_u32_e64 s[56:57], s51, v23
	v_bfe_u32 v23, v19, 16, 1
	v_cmp_eq_u32_sdwa s[58:59], v19, v3 src0_sel:WORD_0 src1_sel:DWORD
	v_or_b32_e32 v36, 0x10000, v19
	v_max_f32_e32 v35, v35, v35
	v_max_f32_e32 v34, v34, v34
	v_add3_u32 v23, v19, v23, s72
	v_cndmask_b32_e64 v19, v36, v19, s[58:59]
	v_min_f32_e32 v36, v34, v35
	v_max_f32_e32 v34, v34, v35
	v_cndmask_b32_e64 v34, v34, v36, s[24:25]
	v_and_b32_e32 v35, 0x7f800000, v34
	v_cmp_eq_u32_e64 s[58:59], s51, v35
	v_bfe_u32 v35, v34, 16, 1
	v_cmp_eq_u32_sdwa s[60:61], v34, v3 src0_sel:WORD_0 src1_sel:DWORD
	v_or_b32_e32 v36, 0x10000, v34
	v_add3_u32 v35, v34, v35, s72
	v_cndmask_b32_e64 v34, v36, v34, s[60:61]
	v_cndmask_b32_e64 v16, v20, v16, s[26:27]
	;; [unrolled: 1-line block ×9, first 2 shown]
	v_lshrrev_b32_e32 v17, 16, v17
	v_lshrrev_b32_e32 v16, 16, v16
	v_lshrrev_b32_e32 v18, 16, v18
	v_lshrrev_b32_e32 v19, 16, v19
	v_cmp_gt_i32_e64 s[26:27], 16, v15
	v_and_or_b32 v17, v21, s73, v17
	v_and_or_b32 v16, v20, s73, v16
	;; [unrolled: 1-line block ×4, first 2 shown]
	s_or_b64 s[66:67], s[26:27], s[66:67]
	global_store_dwordx4 v[10:11], v[16:19], off
	s_andn2_b64 exec, exec, s[66:67]
	s_cbranch_execnz .LBB35_3427
; %bb.3428:                             ;   in Loop: Header=BB35_47 Depth=1
	s_or_b64 exec, exec, s[66:67]
.LBB35_3429:                            ;   in Loop: Header=BB35_47 Depth=1
	s_or_b64 exec, exec, s[64:65]
	v_and_b32_e32 v8, 14, v45
	v_sub_u32_e32 v9, v13, v8
	v_cndmask_b32_e32 v9, 0, v9, vcc
	v_cndmask_b32_e32 v45, v13, v8, vcc
	v_cmp_lt_i32_e32 vcc, 0, v14
	v_add3_u32 v18, v12, v7, v9
	s_nop 0
	v_cndmask_b32_e32 v7, 0, v60, vcc
	v_sub_u32_e32 v7, v7, v14
	v_cmp_ne_u32_e32 vcc, 0, v45
	v_lshl_add_u32 v19, v7, 6, v6
	s_and_b64 s[24:25], vcc, exec
.LBB35_3430:                            ;   in Loop: Header=BB35_47 Depth=1
	s_or_b64 exec, exec, s[54:55]
	s_and_saveexec_b64 s[26:27], s[24:25]
	s_cbranch_execz .LBB35_3503
.LBB35_3431:                            ;   in Loop: Header=BB35_47 Depth=1
	v_ashrrev_i32_e32 v6, 31, v19
	v_ashrrev_i32_e32 v7, 31, v45
	v_lshrrev_b32_e32 v6, 26, v6
	v_lshrrev_b32_e32 v7, 21, v7
	v_add_u32_e32 v8, v19, v6
	v_add_u32_e32 v7, v45, v7
	v_ashrrev_i32_e32 v6, 6, v8
	v_ashrrev_i32_e32 v20, 11, v7
	v_sub_u32_e32 v7, v20, v6
	v_cmp_lt_i32_e32 vcc, 0, v7
	s_and_saveexec_b64 s[28:29], vcc
	s_cbranch_execz .LBB35_3499
; %bb.3432:                             ;   in Loop: Header=BB35_47 Depth=1
	v_and_b32_e32 v8, 0x7fffffc0, v8
	v_sub_u32_e32 v8, v19, v8
	v_lshlrev_b32_e32 v8, 1, v8
	v_lshlrev_b32_e32 v9, 11, v6
	s_and_b32 s76, s12, 1
	v_add3_u32 v8, v8, v18, v9
	s_cmp_eq_u64 s[76:77], 0
	v_ashrrev_i32_e32 v9, 31, v8
	s_mov_b64 s[40:41], 0
	s_cselect_b64 vcc, -1, 0
	v_mov_b64_e32 v[10:11], v[28:29]
	v_mov_b64_e32 v[12:13], v[0:1]
	;; [unrolled: 1-line block ×3, first 2 shown]
	s_branch .LBB35_3434
.LBB35_3433:                            ;   in Loop: Header=BB35_3434 Depth=2
	s_or_b64 exec, exec, s[42:43]
	v_sub_u32_e32 v7, v7, v60
	v_cmp_gt_i32_e64 s[24:25], 1, v7
	v_lshl_add_u64 v[14:15], v[14:15], 0, v[120:121]
	v_lshl_add_u64 v[12:13], v[12:13], 0, v[120:121]
	s_or_b64 s[40:41], s[24:25], s[40:41]
	v_lshl_add_u64 v[10:11], v[10:11], 0, v[120:121]
	flat_store_short_d16_hi v[16:17], v22 offset:1920 nt
	s_andn2_b64 exec, exec, s[40:41]
	s_cbranch_execz .LBB35_3498
.LBB35_3434:                            ;   Parent Loop BB35_47 Depth=1
                                        ; =>  This Inner Loop Header: Depth=2
	v_lshl_add_u64 v[70:71], v[8:9], 0, v[12:13]
	s_waitcnt vmcnt(0)
	v_lshl_add_u64 v[16:17], v[8:9], 0, v[14:15]
	flat_load_ushort v39, v[70:71] offset:1024 nt
	flat_load_ushort v37, v[70:71] offset:1152 nt
	flat_load_ushort v35, v[70:71] offset:1280 nt
	flat_load_ushort v33, v[70:71] offset:1408 nt
	flat_load_ushort v27, v[70:71] offset:1536 nt
	flat_load_ushort v25, v[70:71] offset:1664 nt
	flat_load_ushort v23, v[70:71] offset:1792 nt
	flat_load_ushort v21, v[70:71] offset:1920 nt
	flat_load_ushort v69, v[70:71] offset:128 nt
	flat_load_ushort v67, v[70:71] offset:256 nt
	flat_load_ushort v65, v[70:71] offset:384 nt
	flat_load_ushort v55, v[70:71] offset:512 nt
	flat_load_ushort v53, v[70:71] offset:640 nt
	flat_load_ushort v51, v[70:71] offset:768 nt
	flat_load_ushort v49, v[70:71] offset:896 nt
	s_nop 0
	flat_load_ushort v71, v[70:71] nt
	s_nop 0
	flat_load_ushort v70, v[16:17] offset:128 nt
	flat_load_ushort v68, v[16:17] offset:256 nt
	;; [unrolled: 1-line block ×7, first 2 shown]
	flat_load_ushort v80, v[16:17] nt
	flat_load_ushort v48, v[16:17] offset:1024 nt
	flat_load_ushort v38, v[16:17] offset:1152 nt
	;; [unrolled: 1-line block ×8, first 2 shown]
	s_waitcnt vmcnt(0) lgkmcnt(0)
	v_lshlrev_b32_e32 v16, 16, v71
	v_max_f32_e32 v16, v16, v16
	v_lshlrev_b32_e32 v17, 16, v80
	v_max_f32_e32 v17, v17, v17
	v_min_f32_e32 v71, v16, v17
	v_max_f32_e32 v16, v16, v17
	v_cndmask_b32_e32 v16, v16, v71, vcc
	v_and_b32_e32 v17, 0x7f800000, v16
	v_cmp_ne_u32_e64 s[24:25], s51, v17
                                        ; implicit-def: $vgpr71
	s_and_saveexec_b64 s[42:43], s[24:25]
	s_xor_b64 s[24:25], exec, s[42:43]
; %bb.3435:                             ;   in Loop: Header=BB35_3434 Depth=2
	v_bfe_u32 v17, v16, 16, 1
	v_add3_u32 v71, v16, v17, s72
                                        ; implicit-def: $vgpr16
; %bb.3436:                             ;   in Loop: Header=BB35_3434 Depth=2
	s_andn2_saveexec_b64 s[42:43], s[24:25]
; %bb.3437:                             ;   in Loop: Header=BB35_3434 Depth=2
	v_or_b32_e32 v17, 0x10000, v16
	v_cmp_eq_u32_sdwa s[24:25], v16, v3 src0_sel:WORD_0 src1_sel:DWORD
	s_nop 1
	v_cndmask_b32_e64 v71, v17, v16, s[24:25]
; %bb.3438:                             ;   in Loop: Header=BB35_3434 Depth=2
	s_or_b64 exec, exec, s[42:43]
	v_lshlrev_b32_e32 v69, 16, v69
	v_lshlrev_b32_e32 v70, 16, v70
	v_lshl_add_u64 v[16:17], v[8:9], 0, v[10:11]
	v_max_f32_e32 v70, v70, v70
	v_max_f32_e32 v69, v69, v69
	flat_store_short_d16_hi v[16:17], v71 nt
	v_min_f32_e32 v71, v69, v70
	v_max_f32_e32 v69, v69, v70
	v_cndmask_b32_e32 v69, v69, v71, vcc
	v_and_b32_e32 v70, 0x7f800000, v69
	v_cmp_ne_u32_e64 s[24:25], s51, v70
                                        ; implicit-def: $vgpr70
	s_and_saveexec_b64 s[42:43], s[24:25]
	s_xor_b64 s[24:25], exec, s[42:43]
; %bb.3439:                             ;   in Loop: Header=BB35_3434 Depth=2
	v_bfe_u32 v70, v69, 16, 1
	v_add3_u32 v70, v69, v70, s72
                                        ; implicit-def: $vgpr69
; %bb.3440:                             ;   in Loop: Header=BB35_3434 Depth=2
	s_andn2_saveexec_b64 s[42:43], s[24:25]
; %bb.3441:                             ;   in Loop: Header=BB35_3434 Depth=2
	v_or_b32_e32 v70, 0x10000, v69
	v_cmp_eq_u32_sdwa s[24:25], v69, v3 src0_sel:WORD_0 src1_sel:DWORD
	s_nop 1
	v_cndmask_b32_e64 v70, v70, v69, s[24:25]
; %bb.3442:                             ;   in Loop: Header=BB35_3434 Depth=2
	s_or_b64 exec, exec, s[42:43]
	v_lshlrev_b32_e32 v67, 16, v67
	v_lshlrev_b32_e32 v68, 16, v68
	v_max_f32_e32 v68, v68, v68
	v_max_f32_e32 v67, v67, v67
	v_min_f32_e32 v69, v67, v68
	v_max_f32_e32 v67, v67, v68
	v_cndmask_b32_e32 v67, v67, v69, vcc
	v_and_b32_e32 v68, 0x7f800000, v67
	v_cmp_ne_u32_e64 s[24:25], s51, v68
	flat_store_short_d16_hi v[16:17], v70 offset:128 nt
                                        ; implicit-def: $vgpr68
	s_and_saveexec_b64 s[42:43], s[24:25]
	s_xor_b64 s[24:25], exec, s[42:43]
; %bb.3443:                             ;   in Loop: Header=BB35_3434 Depth=2
	v_bfe_u32 v68, v67, 16, 1
	v_add3_u32 v68, v67, v68, s72
                                        ; implicit-def: $vgpr67
; %bb.3444:                             ;   in Loop: Header=BB35_3434 Depth=2
	s_andn2_saveexec_b64 s[42:43], s[24:25]
; %bb.3445:                             ;   in Loop: Header=BB35_3434 Depth=2
	v_or_b32_e32 v68, 0x10000, v67
	v_cmp_eq_u32_sdwa s[24:25], v67, v3 src0_sel:WORD_0 src1_sel:DWORD
	s_nop 1
	v_cndmask_b32_e64 v68, v68, v67, s[24:25]
; %bb.3446:                             ;   in Loop: Header=BB35_3434 Depth=2
	s_or_b64 exec, exec, s[42:43]
	v_lshlrev_b32_e32 v65, 16, v65
	v_lshlrev_b32_e32 v66, 16, v66
	v_max_f32_e32 v66, v66, v66
	v_max_f32_e32 v65, v65, v65
	v_min_f32_e32 v67, v65, v66
	v_max_f32_e32 v65, v65, v66
	v_cndmask_b32_e32 v65, v65, v67, vcc
	v_and_b32_e32 v66, 0x7f800000, v65
	v_cmp_ne_u32_e64 s[24:25], s51, v66
	flat_store_short_d16_hi v[16:17], v68 offset:256 nt
                                        ; implicit-def: $vgpr66
	s_and_saveexec_b64 s[42:43], s[24:25]
	s_xor_b64 s[24:25], exec, s[42:43]
; %bb.3447:                             ;   in Loop: Header=BB35_3434 Depth=2
	v_bfe_u32 v66, v65, 16, 1
	v_add3_u32 v66, v65, v66, s72
                                        ; implicit-def: $vgpr65
; %bb.3448:                             ;   in Loop: Header=BB35_3434 Depth=2
	s_andn2_saveexec_b64 s[42:43], s[24:25]
; %bb.3449:                             ;   in Loop: Header=BB35_3434 Depth=2
	v_or_b32_e32 v66, 0x10000, v65
	v_cmp_eq_u32_sdwa s[24:25], v65, v3 src0_sel:WORD_0 src1_sel:DWORD
	s_nop 1
	v_cndmask_b32_e64 v66, v66, v65, s[24:25]
; %bb.3450:                             ;   in Loop: Header=BB35_3434 Depth=2
	s_or_b64 exec, exec, s[42:43]
	v_lshlrev_b32_e32 v55, 16, v55
	v_lshlrev_b32_e32 v64, 16, v64
	v_max_f32_e32 v64, v64, v64
	v_max_f32_e32 v55, v55, v55
	v_min_f32_e32 v65, v55, v64
	v_max_f32_e32 v55, v55, v64
	v_cndmask_b32_e32 v55, v55, v65, vcc
	v_and_b32_e32 v64, 0x7f800000, v55
	v_cmp_ne_u32_e64 s[24:25], s51, v64
	flat_store_short_d16_hi v[16:17], v66 offset:384 nt
                                        ; implicit-def: $vgpr64
	s_and_saveexec_b64 s[42:43], s[24:25]
	s_xor_b64 s[24:25], exec, s[42:43]
; %bb.3451:                             ;   in Loop: Header=BB35_3434 Depth=2
	v_bfe_u32 v64, v55, 16, 1
	v_add3_u32 v64, v55, v64, s72
                                        ; implicit-def: $vgpr55
; %bb.3452:                             ;   in Loop: Header=BB35_3434 Depth=2
	s_andn2_saveexec_b64 s[42:43], s[24:25]
; %bb.3453:                             ;   in Loop: Header=BB35_3434 Depth=2
	v_or_b32_e32 v64, 0x10000, v55
	v_cmp_eq_u32_sdwa s[24:25], v55, v3 src0_sel:WORD_0 src1_sel:DWORD
	s_nop 1
	v_cndmask_b32_e64 v64, v64, v55, s[24:25]
; %bb.3454:                             ;   in Loop: Header=BB35_3434 Depth=2
	s_or_b64 exec, exec, s[42:43]
	v_lshlrev_b32_e32 v53, 16, v53
	v_lshlrev_b32_e32 v54, 16, v54
	v_max_f32_e32 v54, v54, v54
	v_max_f32_e32 v53, v53, v53
	v_min_f32_e32 v55, v53, v54
	v_max_f32_e32 v53, v53, v54
	v_cndmask_b32_e32 v53, v53, v55, vcc
	v_and_b32_e32 v54, 0x7f800000, v53
	v_cmp_ne_u32_e64 s[24:25], s51, v54
	flat_store_short_d16_hi v[16:17], v64 offset:512 nt
                                        ; implicit-def: $vgpr54
	s_and_saveexec_b64 s[42:43], s[24:25]
	s_xor_b64 s[24:25], exec, s[42:43]
; %bb.3455:                             ;   in Loop: Header=BB35_3434 Depth=2
	v_bfe_u32 v54, v53, 16, 1
	v_add3_u32 v54, v53, v54, s72
                                        ; implicit-def: $vgpr53
; %bb.3456:                             ;   in Loop: Header=BB35_3434 Depth=2
	s_andn2_saveexec_b64 s[42:43], s[24:25]
; %bb.3457:                             ;   in Loop: Header=BB35_3434 Depth=2
	v_or_b32_e32 v54, 0x10000, v53
	v_cmp_eq_u32_sdwa s[24:25], v53, v3 src0_sel:WORD_0 src1_sel:DWORD
	s_nop 1
	v_cndmask_b32_e64 v54, v54, v53, s[24:25]
; %bb.3458:                             ;   in Loop: Header=BB35_3434 Depth=2
	s_or_b64 exec, exec, s[42:43]
	v_lshlrev_b32_e32 v51, 16, v51
	v_lshlrev_b32_e32 v52, 16, v52
	v_max_f32_e32 v52, v52, v52
	v_max_f32_e32 v51, v51, v51
	v_min_f32_e32 v53, v51, v52
	v_max_f32_e32 v51, v51, v52
	v_cndmask_b32_e32 v51, v51, v53, vcc
	v_and_b32_e32 v52, 0x7f800000, v51
	v_cmp_ne_u32_e64 s[24:25], s51, v52
	flat_store_short_d16_hi v[16:17], v54 offset:640 nt
                                        ; implicit-def: $vgpr52
	s_and_saveexec_b64 s[42:43], s[24:25]
	s_xor_b64 s[24:25], exec, s[42:43]
; %bb.3459:                             ;   in Loop: Header=BB35_3434 Depth=2
	v_bfe_u32 v52, v51, 16, 1
	v_add3_u32 v52, v51, v52, s72
                                        ; implicit-def: $vgpr51
; %bb.3460:                             ;   in Loop: Header=BB35_3434 Depth=2
	s_andn2_saveexec_b64 s[42:43], s[24:25]
; %bb.3461:                             ;   in Loop: Header=BB35_3434 Depth=2
	v_or_b32_e32 v52, 0x10000, v51
	v_cmp_eq_u32_sdwa s[24:25], v51, v3 src0_sel:WORD_0 src1_sel:DWORD
	s_nop 1
	v_cndmask_b32_e64 v52, v52, v51, s[24:25]
; %bb.3462:                             ;   in Loop: Header=BB35_3434 Depth=2
	s_or_b64 exec, exec, s[42:43]
	v_lshlrev_b32_e32 v49, 16, v49
	v_lshlrev_b32_e32 v50, 16, v50
	v_max_f32_e32 v50, v50, v50
	v_max_f32_e32 v49, v49, v49
	v_min_f32_e32 v51, v49, v50
	v_max_f32_e32 v49, v49, v50
	v_cndmask_b32_e32 v49, v49, v51, vcc
	v_and_b32_e32 v50, 0x7f800000, v49
	v_cmp_ne_u32_e64 s[24:25], s51, v50
	flat_store_short_d16_hi v[16:17], v52 offset:768 nt
                                        ; implicit-def: $vgpr50
	s_and_saveexec_b64 s[42:43], s[24:25]
	s_xor_b64 s[24:25], exec, s[42:43]
; %bb.3463:                             ;   in Loop: Header=BB35_3434 Depth=2
	v_bfe_u32 v50, v49, 16, 1
	v_add3_u32 v50, v49, v50, s72
                                        ; implicit-def: $vgpr49
; %bb.3464:                             ;   in Loop: Header=BB35_3434 Depth=2
	s_andn2_saveexec_b64 s[42:43], s[24:25]
; %bb.3465:                             ;   in Loop: Header=BB35_3434 Depth=2
	v_or_b32_e32 v50, 0x10000, v49
	v_cmp_eq_u32_sdwa s[24:25], v49, v3 src0_sel:WORD_0 src1_sel:DWORD
	s_nop 1
	v_cndmask_b32_e64 v50, v50, v49, s[24:25]
; %bb.3466:                             ;   in Loop: Header=BB35_3434 Depth=2
	s_or_b64 exec, exec, s[42:43]
	v_lshlrev_b32_e32 v39, 16, v39
	v_lshlrev_b32_e32 v48, 16, v48
	v_max_f32_e32 v48, v48, v48
	v_max_f32_e32 v39, v39, v39
	v_min_f32_e32 v49, v39, v48
	v_max_f32_e32 v39, v39, v48
	v_cndmask_b32_e32 v39, v39, v49, vcc
	v_and_b32_e32 v48, 0x7f800000, v39
	v_cmp_ne_u32_e64 s[24:25], s51, v48
	flat_store_short_d16_hi v[16:17], v50 offset:896 nt
                                        ; implicit-def: $vgpr48
	s_and_saveexec_b64 s[42:43], s[24:25]
	s_xor_b64 s[24:25], exec, s[42:43]
; %bb.3467:                             ;   in Loop: Header=BB35_3434 Depth=2
	v_bfe_u32 v48, v39, 16, 1
	v_add3_u32 v48, v39, v48, s72
                                        ; implicit-def: $vgpr39
; %bb.3468:                             ;   in Loop: Header=BB35_3434 Depth=2
	s_andn2_saveexec_b64 s[42:43], s[24:25]
; %bb.3469:                             ;   in Loop: Header=BB35_3434 Depth=2
	v_or_b32_e32 v48, 0x10000, v39
	v_cmp_eq_u32_sdwa s[24:25], v39, v3 src0_sel:WORD_0 src1_sel:DWORD
	s_nop 1
	v_cndmask_b32_e64 v48, v48, v39, s[24:25]
; %bb.3470:                             ;   in Loop: Header=BB35_3434 Depth=2
	s_or_b64 exec, exec, s[42:43]
	v_lshlrev_b32_e32 v37, 16, v37
	v_lshlrev_b32_e32 v38, 16, v38
	v_max_f32_e32 v38, v38, v38
	v_max_f32_e32 v37, v37, v37
	v_min_f32_e32 v39, v37, v38
	v_max_f32_e32 v37, v37, v38
	v_cndmask_b32_e32 v37, v37, v39, vcc
	v_and_b32_e32 v38, 0x7f800000, v37
	v_cmp_ne_u32_e64 s[24:25], s51, v38
	flat_store_short_d16_hi v[16:17], v48 offset:1024 nt
                                        ; implicit-def: $vgpr38
	s_and_saveexec_b64 s[42:43], s[24:25]
	s_xor_b64 s[24:25], exec, s[42:43]
; %bb.3471:                             ;   in Loop: Header=BB35_3434 Depth=2
	v_bfe_u32 v38, v37, 16, 1
	v_add3_u32 v38, v37, v38, s72
                                        ; implicit-def: $vgpr37
; %bb.3472:                             ;   in Loop: Header=BB35_3434 Depth=2
	s_andn2_saveexec_b64 s[42:43], s[24:25]
; %bb.3473:                             ;   in Loop: Header=BB35_3434 Depth=2
	v_or_b32_e32 v38, 0x10000, v37
	v_cmp_eq_u32_sdwa s[24:25], v37, v3 src0_sel:WORD_0 src1_sel:DWORD
	s_nop 1
	v_cndmask_b32_e64 v38, v38, v37, s[24:25]
; %bb.3474:                             ;   in Loop: Header=BB35_3434 Depth=2
	s_or_b64 exec, exec, s[42:43]
	v_lshlrev_b32_e32 v35, 16, v35
	v_lshlrev_b32_e32 v36, 16, v36
	v_max_f32_e32 v36, v36, v36
	v_max_f32_e32 v35, v35, v35
	v_min_f32_e32 v37, v35, v36
	v_max_f32_e32 v35, v35, v36
	v_cndmask_b32_e32 v35, v35, v37, vcc
	v_and_b32_e32 v36, 0x7f800000, v35
	v_cmp_ne_u32_e64 s[24:25], s51, v36
	flat_store_short_d16_hi v[16:17], v38 offset:1152 nt
                                        ; implicit-def: $vgpr36
	s_and_saveexec_b64 s[42:43], s[24:25]
	s_xor_b64 s[24:25], exec, s[42:43]
; %bb.3475:                             ;   in Loop: Header=BB35_3434 Depth=2
	v_bfe_u32 v36, v35, 16, 1
	v_add3_u32 v36, v35, v36, s72
                                        ; implicit-def: $vgpr35
; %bb.3476:                             ;   in Loop: Header=BB35_3434 Depth=2
	s_andn2_saveexec_b64 s[42:43], s[24:25]
; %bb.3477:                             ;   in Loop: Header=BB35_3434 Depth=2
	v_or_b32_e32 v36, 0x10000, v35
	v_cmp_eq_u32_sdwa s[24:25], v35, v3 src0_sel:WORD_0 src1_sel:DWORD
	s_nop 1
	v_cndmask_b32_e64 v36, v36, v35, s[24:25]
; %bb.3478:                             ;   in Loop: Header=BB35_3434 Depth=2
	s_or_b64 exec, exec, s[42:43]
	v_lshlrev_b32_e32 v33, 16, v33
	v_lshlrev_b32_e32 v34, 16, v34
	v_max_f32_e32 v34, v34, v34
	v_max_f32_e32 v33, v33, v33
	v_min_f32_e32 v35, v33, v34
	v_max_f32_e32 v33, v33, v34
	v_cndmask_b32_e32 v33, v33, v35, vcc
	v_and_b32_e32 v34, 0x7f800000, v33
	v_cmp_ne_u32_e64 s[24:25], s51, v34
	flat_store_short_d16_hi v[16:17], v36 offset:1280 nt
                                        ; implicit-def: $vgpr34
	s_and_saveexec_b64 s[42:43], s[24:25]
	s_xor_b64 s[24:25], exec, s[42:43]
; %bb.3479:                             ;   in Loop: Header=BB35_3434 Depth=2
	v_bfe_u32 v34, v33, 16, 1
	v_add3_u32 v34, v33, v34, s72
                                        ; implicit-def: $vgpr33
; %bb.3480:                             ;   in Loop: Header=BB35_3434 Depth=2
	s_andn2_saveexec_b64 s[42:43], s[24:25]
; %bb.3481:                             ;   in Loop: Header=BB35_3434 Depth=2
	v_or_b32_e32 v34, 0x10000, v33
	v_cmp_eq_u32_sdwa s[24:25], v33, v3 src0_sel:WORD_0 src1_sel:DWORD
	s_nop 1
	v_cndmask_b32_e64 v34, v34, v33, s[24:25]
; %bb.3482:                             ;   in Loop: Header=BB35_3434 Depth=2
	s_or_b64 exec, exec, s[42:43]
	v_lshlrev_b32_e32 v27, 16, v27
	v_lshlrev_b32_e32 v32, 16, v32
	v_max_f32_e32 v32, v32, v32
	v_max_f32_e32 v27, v27, v27
	v_min_f32_e32 v33, v27, v32
	v_max_f32_e32 v27, v27, v32
	v_cndmask_b32_e32 v27, v27, v33, vcc
	v_and_b32_e32 v32, 0x7f800000, v27
	v_cmp_ne_u32_e64 s[24:25], s51, v32
	flat_store_short_d16_hi v[16:17], v34 offset:1408 nt
                                        ; implicit-def: $vgpr32
	s_and_saveexec_b64 s[42:43], s[24:25]
	s_xor_b64 s[24:25], exec, s[42:43]
; %bb.3483:                             ;   in Loop: Header=BB35_3434 Depth=2
	v_bfe_u32 v32, v27, 16, 1
	v_add3_u32 v32, v27, v32, s72
                                        ; implicit-def: $vgpr27
; %bb.3484:                             ;   in Loop: Header=BB35_3434 Depth=2
	s_andn2_saveexec_b64 s[42:43], s[24:25]
; %bb.3485:                             ;   in Loop: Header=BB35_3434 Depth=2
	v_or_b32_e32 v32, 0x10000, v27
	v_cmp_eq_u32_sdwa s[24:25], v27, v3 src0_sel:WORD_0 src1_sel:DWORD
	s_nop 1
	v_cndmask_b32_e64 v32, v32, v27, s[24:25]
; %bb.3486:                             ;   in Loop: Header=BB35_3434 Depth=2
	s_or_b64 exec, exec, s[42:43]
	v_lshlrev_b32_e32 v25, 16, v25
	v_lshlrev_b32_e32 v26, 16, v26
	v_max_f32_e32 v26, v26, v26
	v_max_f32_e32 v25, v25, v25
	v_min_f32_e32 v27, v25, v26
	v_max_f32_e32 v25, v25, v26
	v_cndmask_b32_e32 v25, v25, v27, vcc
	v_and_b32_e32 v26, 0x7f800000, v25
	v_cmp_ne_u32_e64 s[24:25], s51, v26
	flat_store_short_d16_hi v[16:17], v32 offset:1536 nt
                                        ; implicit-def: $vgpr26
	s_and_saveexec_b64 s[42:43], s[24:25]
	s_xor_b64 s[24:25], exec, s[42:43]
; %bb.3487:                             ;   in Loop: Header=BB35_3434 Depth=2
	v_bfe_u32 v26, v25, 16, 1
	v_add3_u32 v26, v25, v26, s72
                                        ; implicit-def: $vgpr25
; %bb.3488:                             ;   in Loop: Header=BB35_3434 Depth=2
	s_andn2_saveexec_b64 s[42:43], s[24:25]
; %bb.3489:                             ;   in Loop: Header=BB35_3434 Depth=2
	v_or_b32_e32 v26, 0x10000, v25
	v_cmp_eq_u32_sdwa s[24:25], v25, v3 src0_sel:WORD_0 src1_sel:DWORD
	s_nop 1
	v_cndmask_b32_e64 v26, v26, v25, s[24:25]
; %bb.3490:                             ;   in Loop: Header=BB35_3434 Depth=2
	s_or_b64 exec, exec, s[42:43]
	v_lshlrev_b32_e32 v23, 16, v23
	v_lshlrev_b32_e32 v24, 16, v24
	v_max_f32_e32 v24, v24, v24
	v_max_f32_e32 v23, v23, v23
	v_min_f32_e32 v25, v23, v24
	v_max_f32_e32 v23, v23, v24
	v_cndmask_b32_e32 v23, v23, v25, vcc
	v_and_b32_e32 v24, 0x7f800000, v23
	v_cmp_ne_u32_e64 s[24:25], s51, v24
	flat_store_short_d16_hi v[16:17], v26 offset:1664 nt
                                        ; implicit-def: $vgpr24
	s_and_saveexec_b64 s[42:43], s[24:25]
	s_xor_b64 s[24:25], exec, s[42:43]
; %bb.3491:                             ;   in Loop: Header=BB35_3434 Depth=2
	v_bfe_u32 v24, v23, 16, 1
	v_add3_u32 v24, v23, v24, s72
                                        ; implicit-def: $vgpr23
; %bb.3492:                             ;   in Loop: Header=BB35_3434 Depth=2
	s_andn2_saveexec_b64 s[42:43], s[24:25]
; %bb.3493:                             ;   in Loop: Header=BB35_3434 Depth=2
	v_or_b32_e32 v24, 0x10000, v23
	v_cmp_eq_u32_sdwa s[24:25], v23, v3 src0_sel:WORD_0 src1_sel:DWORD
	s_nop 1
	v_cndmask_b32_e64 v24, v24, v23, s[24:25]
; %bb.3494:                             ;   in Loop: Header=BB35_3434 Depth=2
	s_or_b64 exec, exec, s[42:43]
	v_lshlrev_b32_e32 v21, 16, v21
	v_lshlrev_b32_e32 v22, 16, v22
	v_max_f32_e32 v22, v22, v22
	v_max_f32_e32 v21, v21, v21
	v_min_f32_e32 v23, v21, v22
	v_max_f32_e32 v21, v21, v22
	v_cndmask_b32_e32 v21, v21, v23, vcc
	v_and_b32_e32 v22, 0x7f800000, v21
	v_cmp_ne_u32_e64 s[24:25], s51, v22
	flat_store_short_d16_hi v[16:17], v24 offset:1792 nt
                                        ; implicit-def: $vgpr22
	s_and_saveexec_b64 s[42:43], s[24:25]
	s_xor_b64 s[24:25], exec, s[42:43]
; %bb.3495:                             ;   in Loop: Header=BB35_3434 Depth=2
	v_bfe_u32 v22, v21, 16, 1
	v_add3_u32 v22, v21, v22, s72
                                        ; implicit-def: $vgpr21
; %bb.3496:                             ;   in Loop: Header=BB35_3434 Depth=2
	s_andn2_saveexec_b64 s[42:43], s[24:25]
	s_cbranch_execz .LBB35_3433
; %bb.3497:                             ;   in Loop: Header=BB35_3434 Depth=2
	v_or_b32_e32 v22, 0x10000, v21
	v_cmp_eq_u32_sdwa s[24:25], v21, v3 src0_sel:WORD_0 src1_sel:DWORD
	s_nop 1
	v_cndmask_b32_e64 v22, v22, v21, s[24:25]
	s_branch .LBB35_3433
.LBB35_3498:                            ;   in Loop: Header=BB35_47 Depth=1
	s_or_b64 exec, exec, s[40:41]
.LBB35_3499:                            ;   in Loop: Header=BB35_47 Depth=1
	s_or_b64 exec, exec, s[28:29]
	scratch_load_dwordx2 v[16:17], off, s33 offset:416 ; 8-byte Folded Reload
	v_lshlrev_b32_e32 v8, 11, v20
	v_cmp_ne_u32_e32 vcc, v45, v8
	s_and_b64 s[24:25], exec, vcc
	s_mov_b64 exec, s[24:25]
	s_cbranch_execz .LBB35_3503
; %bb.3500:                             ;   in Loop: Header=BB35_47 Depth=1
	v_lshlrev_b32_e32 v6, 6, v6
	v_sub_u32_e32 v6, v19, v6
	v_lshlrev_b32_e32 v7, 6, v7
	v_sub_u32_e32 v6, v6, v7
	v_ashrrev_i32_e32 v7, 31, v6
	v_lshrrev_b32_e32 v7, 26, v7
	v_add_u32_e32 v7, v6, v7
	v_and_b32_e32 v9, 0x7fffffc0, v7
	v_sub_u32_e32 v6, v6, v9
	v_lshlrev_b32_e32 v7, 1, v7
	v_and_b32_e32 v7, 0xffffff80, v7
	v_lshlrev_b32_e32 v6, 1, v6
	v_add3_u32 v7, v7, v6, v8
	v_sub_u32_e32 v6, v45, v7
	v_cmp_lt_i32_e32 vcc, 1, v6
	s_and_b64 exec, exec, vcc
	s_cbranch_execz .LBB35_3503
; %bb.3501:                             ;   in Loop: Header=BB35_47 Depth=1
	s_and_b32 s76, s12, 1
	v_add_u32_e32 v8, v7, v18
	s_cmp_eq_u64 s[76:77], 0
	v_ashrrev_i32_e32 v9, 31, v8
	s_mov_b64 s[28:29], 0
	s_cselect_b64 vcc, -1, 0
.LBB35_3502:                            ;   Parent Loop BB35_47 Depth=1
                                        ; =>  This Inner Loop Header: Depth=2
	v_lshl_add_u64 v[12:13], v[0:1], 0, v[8:9]
	v_lshl_add_u64 v[10:11], v[78:79], 0, v[8:9]
	flat_load_ushort v7, v[12:13] nt
	s_nop 0
	flat_load_ushort v12, v[10:11] nt
	s_waitcnt vmcnt(0)
	v_sub_u32_e32 v6, v6, v96
	v_cmp_gt_i32_e64 s[24:25], 2, v6
	s_or_b64 s[28:29], s[24:25], s[28:29]
	v_lshl_add_u64 v[10:11], v[28:29], 0, v[8:9]
	v_lshl_add_u64 v[8:9], v[8:9], 0, v[16:17]
	s_waitcnt lgkmcnt(0)
	v_lshlrev_b32_e32 v7, 16, v7
	v_lshlrev_b32_e32 v12, 16, v12
	v_max_f32_e32 v12, v12, v12
	v_max_f32_e32 v7, v7, v7
	v_min_f32_e32 v13, v7, v12
	v_max_f32_e32 v7, v7, v12
	v_cndmask_b32_e32 v7, v7, v13, vcc
	v_and_b32_e32 v12, 0x7f800000, v7
	v_bfe_u32 v13, v7, 16, 1
	v_or_b32_e32 v14, 0x10000, v7
	v_cmp_eq_u32_sdwa s[24:25], v7, v3 src0_sel:WORD_0 src1_sel:DWORD
	v_add3_u32 v13, v7, v13, s72
	s_nop 0
	v_cndmask_b32_e64 v7, v14, v7, s[24:25]
	v_cmp_eq_u32_e64 s[24:25], s51, v12
	s_nop 1
	v_cndmask_b32_e64 v7, v13, v7, s[24:25]
	flat_store_short_d16_hi v[10:11], v7 nt
	s_andn2_b64 exec, exec, s[28:29]
	s_cbranch_execnz .LBB35_3502
.LBB35_3503:                            ;   in Loop: Header=BB35_47 Depth=1
	s_or_b64 exec, exec, s[26:27]
	v_cmp_lt_i32_e64 s[24:25], 0, v2
	s_and_saveexec_b64 s[26:27], s[6:7]
	s_cbranch_execz .LBB35_3160
.LBB35_3504:                            ;   in Loop: Header=BB35_47 Depth=1
	s_and_saveexec_b64 s[12:13], s[78:79]
	s_xor_b64 s[28:29], exec, s[12:13]
	s_cbranch_execz .LBB35_3519
; %bb.3505:                             ;   in Loop: Header=BB35_47 Depth=1
	s_and_saveexec_b64 s[40:41], s[14:15]
	s_cbranch_execz .LBB35_3518
; %bb.3506:                             ;   in Loop: Header=BB35_47 Depth=1
	s_mov_b64 s[44:45], exec
	v_mbcnt_lo_u32_b32 v0, s44, 0
	v_mbcnt_hi_u32_b32 v0, s45, v0
	v_cmp_eq_u32_e32 vcc, 0, v0
	s_waitcnt lgkmcnt(0)
	s_and_saveexec_b64 s[42:43], vcc
	s_cbranch_execz .LBB35_3508
; %bb.3507:                             ;   in Loop: Header=BB35_47 Depth=1
	s_bcnt1_i32_b64 s12, s[44:45]
	v_mov_b32_e32 v2, s12
	ds_add_u64 v0, v[2:3]
	s_trap 2
.LBB35_3508:                            ;   in Loop: Header=BB35_47 Depth=1
	s_or_b64 exec, exec, s[42:43]
	s_trap 2
	ds_read_b64 v[0:1], v0
	s_waitcnt lgkmcnt(0)
	v_lshl_add_u64 v[56:57], v[56:57], 0, v[60:61]
	v_cmp_lt_u64_e32 vcc, v[0:1], v[56:57]
	s_and_saveexec_b64 s[42:43], vcc
	s_cbranch_execz .LBB35_3517
; %bb.3509:                             ;   in Loop: Header=BB35_47 Depth=1
	s_mov_b32 s12, 0
	s_mov_b64 s[44:45], 0
                                        ; implicit-def: $sgpr46_sgpr47
                                        ; implicit-def: $sgpr56_sgpr57
	s_branch .LBB35_3511
.LBB35_3510:                            ;   in Loop: Header=BB35_3511 Depth=2
	s_or_b64 exec, exec, s[60:61]
	s_and_b64 s[58:59], exec, vcc
	s_or_b64 s[44:45], s[58:59], s[44:45]
	s_andn2_b64 s[46:47], s[46:47], exec
	s_and_b64 s[58:59], s[56:57], exec
	s_or_b64 s[46:47], s[46:47], s[58:59]
	s_andn2_b64 exec, exec, s[44:45]
	s_cbranch_execz .LBB35_3515
.LBB35_3511:                            ;   Parent Loop BB35_47 Depth=1
                                        ; =>  This Inner Loop Header: Depth=2
	s_add_i32 s12, s12, 1
	s_cmpk_lg_i32 s12, 0x2710
	s_cselect_b64 s[58:59], -1, 0
	s_and_b64 vcc, exec, s[58:59]
	s_cbranch_vccz .LBB35_3513
; %bb.3512:                             ;   in Loop: Header=BB35_3511 Depth=2
	s_mov_b64 vcc, -1
	s_or_b64 s[56:57], s[56:57], exec
	s_and_saveexec_b64 s[60:61], s[58:59]
	s_cbranch_execz .LBB35_3510
	s_branch .LBB35_3514
.LBB35_3513:                            ;   in Loop: Header=BB35_3511 Depth=2
	s_trap 2
	ds_read_b64 v[0:1], v0
	s_andn2_b64 s[58:59], s[58:59], exec
	s_mov_b32 s12, 0
	s_waitcnt vmcnt(0) lgkmcnt(0)
	flat_load_dword v0, v[0:1] sc0 sc1
	s_waitcnt vmcnt(0) lgkmcnt(0)
	buffer_inv sc0 sc1
	v_cmp_eq_u32_e32 vcc, 0, v0
	s_and_b64 s[60:61], vcc, exec
	s_or_b64 s[58:59], s[58:59], s[60:61]
	s_mov_b64 vcc, -1
	s_or_b64 s[56:57], s[56:57], exec
	s_and_saveexec_b64 s[60:61], s[58:59]
	s_cbranch_execz .LBB35_3510
.LBB35_3514:                            ;   in Loop: Header=BB35_3511 Depth=2
	s_sleep 1
	s_trap 2
	ds_read_b64 v[0:1], v0
	s_waitcnt lgkmcnt(0)
	s_andn2_b64 s[56:57], s[56:57], exec
	v_cmp_ge_u64_e32 vcc, v[0:1], v[56:57]
	s_orn2_b64 vcc, vcc, exec
	s_branch .LBB35_3510
.LBB35_3515:                            ;   in Loop: Header=BB35_47 Depth=1
	s_or_b64 exec, exec, s[44:45]
	s_and_saveexec_b64 s[12:13], s[46:47]
	s_xor_b64 s[12:13], exec, s[12:13]
	s_cbranch_execz .LBB35_3517
; %bb.3516:                             ;   in Loop: Header=BB35_47 Depth=1
	v_mov_b32_e32 v0, 1
	ds_write_b32 v0, v0
	s_trap 2
.LBB35_3517:                            ;   in Loop: Header=BB35_47 Depth=1
	s_or_b64 exec, exec, s[42:43]
	;;#ASMSTART
	s_wakeup
	;;#ASMEND
.LBB35_3518:                            ;   in Loop: Header=BB35_47 Depth=1
	s_or_b64 exec, exec, s[40:41]
.LBB35_3519:                            ;   in Loop: Header=BB35_47 Depth=1
	s_andn2_saveexec_b64 s[28:29], s[28:29]
	s_cbranch_execz .LBB35_3521
; %bb.3520:                             ;   in Loop: Header=BB35_47 Depth=1
	s_waitcnt lgkmcnt(0)
	s_barrier
.LBB35_3521:                            ;   in Loop: Header=BB35_47 Depth=1
	s_or_b64 exec, exec, s[28:29]
	s_or_b64 exec, exec, s[26:27]
	s_and_saveexec_b64 s[12:13], s[22:23]
	s_xor_b64 s[26:27], exec, s[12:13]
	s_cbranch_execnz .LBB35_3161
.LBB35_3522:                            ;   in Loop: Header=BB35_47 Depth=1
	s_andn2_saveexec_b64 s[24:25], s[26:27]
	s_cbranch_execz .LBB35_3541
.LBB35_3523:                            ;   in Loop: Header=BB35_47 Depth=1
	s_and_saveexec_b64 s[12:13], s[78:79]
	s_xor_b64 s[26:27], exec, s[12:13]
	s_cbranch_execz .LBB35_3538
; %bb.3524:                             ;   in Loop: Header=BB35_47 Depth=1
	s_and_saveexec_b64 s[28:29], s[14:15]
	s_cbranch_execz .LBB35_3537
; %bb.3525:                             ;   in Loop: Header=BB35_47 Depth=1
	s_mov_b64 s[42:43], exec
	v_mbcnt_lo_u32_b32 v0, s42, 0
	v_mbcnt_hi_u32_b32 v0, s43, v0
	v_cmp_eq_u32_e32 vcc, 0, v0
	;;#ASMSTART
	s_waitcnt lgkmcnt(0) vmcnt(0)
	;;#ASMEND
	s_and_saveexec_b64 s[40:41], vcc
	s_cbranch_execz .LBB35_3527
; %bb.3526:                             ;   in Loop: Header=BB35_47 Depth=1
	s_bcnt1_i32_b64 s12, s[42:43]
	v_mov_b32_e32 v2, s12
	s_waitcnt lgkmcnt(0)
	ds_add_u64 v0, v[2:3]
	s_trap 2
.LBB35_3527:                            ;   in Loop: Header=BB35_47 Depth=1
	s_or_b64 exec, exec, s[40:41]
	s_trap 2
	ds_read_b64 v[0:1], v0
	s_waitcnt lgkmcnt(0)
	v_lshl_add_u64 v[56:57], v[56:57], 0, v[60:61]
	v_cmp_lt_u64_e32 vcc, v[0:1], v[56:57]
	s_and_saveexec_b64 s[40:41], vcc
	s_cbranch_execz .LBB35_3536
; %bb.3528:                             ;   in Loop: Header=BB35_47 Depth=1
	s_mov_b32 s12, 0
	s_mov_b64 s[42:43], 0
                                        ; implicit-def: $sgpr44_sgpr45
                                        ; implicit-def: $sgpr46_sgpr47
	s_branch .LBB35_3530
.LBB35_3529:                            ;   in Loop: Header=BB35_3530 Depth=2
	s_or_b64 exec, exec, s[58:59]
	s_and_b64 s[56:57], exec, s[60:61]
	s_or_b64 s[42:43], s[56:57], s[42:43]
	s_andn2_b64 s[44:45], s[44:45], exec
	s_and_b64 s[56:57], s[46:47], exec
	s_or_b64 s[44:45], s[44:45], s[56:57]
	s_andn2_b64 exec, exec, s[42:43]
	s_cbranch_execz .LBB35_3534
.LBB35_3530:                            ;   Parent Loop BB35_47 Depth=1
                                        ; =>  This Inner Loop Header: Depth=2
	s_add_i32 s12, s12, 1
	s_cmpk_lg_i32 s12, 0x2710
	s_cselect_b64 s[56:57], -1, 0
	s_and_b64 vcc, exec, s[56:57]
	s_cbranch_vccz .LBB35_3532
; %bb.3531:                             ;   in Loop: Header=BB35_3530 Depth=2
	s_mov_b64 s[60:61], -1
	s_or_b64 s[46:47], s[46:47], exec
	s_and_saveexec_b64 s[58:59], s[56:57]
	s_cbranch_execz .LBB35_3529
	s_branch .LBB35_3533
.LBB35_3532:                            ;   in Loop: Header=BB35_3530 Depth=2
	s_trap 2
	ds_read_b64 v[0:1], v0
	s_andn2_b64 s[56:57], s[56:57], exec
	s_mov_b32 s12, 0
	s_waitcnt vmcnt(0) lgkmcnt(0)
	flat_load_dword v0, v[0:1] sc0 sc1
	s_waitcnt vmcnt(0) lgkmcnt(0)
	buffer_inv sc0 sc1
	v_cmp_eq_u32_e32 vcc, 0, v0
	s_and_b64 s[58:59], vcc, exec
	s_or_b64 s[56:57], s[56:57], s[58:59]
	s_mov_b64 s[60:61], -1
	s_or_b64 s[46:47], s[46:47], exec
	s_and_saveexec_b64 s[58:59], s[56:57]
	s_cbranch_execz .LBB35_3529
.LBB35_3533:                            ;   in Loop: Header=BB35_3530 Depth=2
	s_sleep 1
	s_trap 2
	ds_read_b64 v[0:1], v0
	s_waitcnt lgkmcnt(0)
	s_andn2_b64 s[46:47], s[46:47], exec
	v_cmp_ge_u64_e32 vcc, v[0:1], v[56:57]
	s_orn2_b64 s[60:61], vcc, exec
	s_branch .LBB35_3529
.LBB35_3534:                            ;   in Loop: Header=BB35_47 Depth=1
	s_or_b64 exec, exec, s[42:43]
	s_and_saveexec_b64 s[12:13], s[44:45]
	s_xor_b64 s[12:13], exec, s[12:13]
	s_cbranch_execz .LBB35_3536
; %bb.3535:                             ;   in Loop: Header=BB35_47 Depth=1
	v_mov_b32_e32 v0, 1
	ds_write_b32 v0, v0
	s_trap 2
.LBB35_3536:                            ;   in Loop: Header=BB35_47 Depth=1
	s_or_b64 exec, exec, s[40:41]
	;;#ASMSTART
	s_wakeup
	;;#ASMEND
.LBB35_3537:                            ;   in Loop: Header=BB35_47 Depth=1
	s_or_b64 exec, exec, s[28:29]
.LBB35_3538:                            ;   in Loop: Header=BB35_47 Depth=1
	s_andn2_saveexec_b64 s[26:27], s[26:27]
	s_cbranch_execz .LBB35_3540
; %bb.3539:                             ;   in Loop: Header=BB35_47 Depth=1
	;;#ASMSTART
	s_waitcnt lgkmcnt(0) vmcnt(0)
	;;#ASMEND
	s_barrier
.LBB35_3540:                            ;   in Loop: Header=BB35_47 Depth=1
	s_or_b64 exec, exec, s[26:27]
.LBB35_3541:                            ;   in Loop: Header=BB35_47 Depth=1
	s_or_b64 exec, exec, s[24:25]
	v_and_b32_e32 v0, 32, v106
	v_cmp_ne_u32_e32 vcc, 0, v0
	s_and_saveexec_b64 s[24:25], vcc
	s_cbranch_execz .LBB35_3543
; %bb.3542:                             ;   in Loop: Header=BB35_47 Depth=1
	v_lshl_add_u64 v[4:5], v[4:5], 0, 4
	flat_store_dwordx2 v[40:41], v[4:5] sc0 sc1
.LBB35_3543:                            ;   in Loop: Header=BB35_47 Depth=1
	s_or_b64 exec, exec, s[24:25]
	v_mov_b32_e32 v6, v44
.LBB35_3544:                            ;   in Loop: Header=BB35_47 Depth=1
	s_or_b64 exec, exec, s[52:53]
	s_and_saveexec_b64 s[26:27], s[62:63]
	s_cbranch_execz .LBB35_46
; %bb.3545:                             ;   in Loop: Header=BB35_47 Depth=1
	v_and_b32_e32 v0, 4, v106
	v_cmp_ne_u32_e32 vcc, 0, v0
	s_and_saveexec_b64 s[28:29], vcc
	s_cbranch_execz .LBB35_3555
; %bb.3546:                             ;   in Loop: Header=BB35_47 Depth=1
	v_lshl_add_u64 v[0:1], v[4:5], 0, 4
	s_waitcnt lgkmcnt(0)
	v_cmp_lt_u64_e32 vcc, v[46:47], v[0:1]
	s_and_saveexec_b64 s[40:41], vcc
	s_cbranch_execz .LBB35_3570
; %bb.3547:                             ;   in Loop: Header=BB35_47 Depth=1
	v_and_b32_e32 v2, 64, v106
	s_mov_b32 s12, 0
	v_cmp_eq_u32_e32 vcc, 0, v2
	s_mov_b64 s[42:43], 0
                                        ; implicit-def: $sgpr44_sgpr45
                                        ; implicit-def: $sgpr46_sgpr47
                                        ; implicit-def: $sgpr56_sgpr57
	s_branch .LBB35_3551
.LBB35_3548:                            ;   in Loop: Header=BB35_3551 Depth=2
	s_waitcnt vmcnt(0) lgkmcnt(0)
	v_cmp_ge_u64_e64 s[24:25], v[46:47], v[0:1]
	s_or_b64 s[62:63], s[62:63], exec
	s_orn2_b64 s[60:61], s[24:25], exec
.LBB35_3549:                            ;   in Loop: Header=BB35_3551 Depth=2
	s_or_b64 exec, exec, s[54:55]
	s_andn2_b64 s[24:25], s[56:57], exec
	s_and_b64 s[56:57], s[62:63], exec
	s_or_b64 s[56:57], s[24:25], s[56:57]
	s_andn2_b64 s[24:25], s[46:47], exec
	s_and_b64 s[46:47], s[60:61], exec
	s_or_b64 s[46:47], s[24:25], s[46:47]
.LBB35_3550:                            ;   in Loop: Header=BB35_3551 Depth=2
	s_or_b64 exec, exec, s[58:59]
	s_and_b64 s[24:25], exec, s[46:47]
	s_or_b64 s[42:43], s[24:25], s[42:43]
	s_andn2_b64 s[24:25], s[44:45], exec
	s_and_b64 s[44:45], s[56:57], exec
	s_or_b64 s[44:45], s[24:25], s[44:45]
	s_andn2_b64 exec, exec, s[42:43]
	s_cbranch_execz .LBB35_3567
.LBB35_3551:                            ;   Parent Loop BB35_47 Depth=1
                                        ; =>  This Inner Loop Header: Depth=2
	s_sleep 1
	s_waitcnt vmcnt(0) lgkmcnt(0)
	flat_load_dwordx2 v[46:47], v[40:41] sc0 sc1
	s_or_b64 s[56:57], s[56:57], exec
	s_or_b64 s[46:47], s[46:47], exec
                                        ; implicit-def: $vgpr2
	s_and_saveexec_b64 s[58:59], vcc
	s_cbranch_execz .LBB35_3550
; %bb.3552:                             ;   in Loop: Header=BB35_3551 Depth=2
	s_cmpk_lt_i32 s12, 0x270f
	s_cselect_b64 s[52:53], -1, 0
	s_cmpk_gt_i32 s12, 0x270e
	s_mov_b64 s[60:61], -1
	s_cbranch_scc0 .LBB35_3554
; %bb.3553:                             ;   in Loop: Header=BB35_3551 Depth=2
	s_trap 2
	ds_read_b64 v[8:9], v0
	s_andn2_b64 s[52:53], s[52:53], exec
	s_mov_b32 s12, 0
	s_mov_b64 s[62:63], 0
	s_waitcnt vmcnt(0) lgkmcnt(0)
	flat_load_dword v2, v[8:9] sc0 sc1
	s_waitcnt vmcnt(0) lgkmcnt(0)
	buffer_inv sc0 sc1
	v_cmp_eq_u32_e64 s[24:25], 0, v2
	s_and_b64 s[24:25], s[24:25], exec
	s_or_b64 s[52:53], s[52:53], s[24:25]
	s_and_saveexec_b64 s[54:55], s[52:53]
	s_cbranch_execz .LBB35_3549
	s_branch .LBB35_3548
.LBB35_3554:                            ;   in Loop: Header=BB35_3551 Depth=2
	s_add_i32 s12, s12, 1
	s_mov_b64 s[62:63], -1
                                        ; implicit-def: $vgpr2
	s_and_saveexec_b64 s[54:55], s[52:53]
	s_cbranch_execz .LBB35_3549
	s_branch .LBB35_3548
.LBB35_3555:                            ;   in Loop: Header=BB35_47 Depth=1
	s_or_b64 exec, exec, s[28:29]
	s_and_saveexec_b64 s[24:25], s[6:7]
	s_cbranch_execz .LBB35_3579
.LBB35_3556:                            ;   in Loop: Header=BB35_47 Depth=1
	s_and_saveexec_b64 s[12:13], s[78:79]
	s_xor_b64 s[28:29], exec, s[12:13]
	s_cbranch_execz .LBB35_3587
; %bb.3557:                             ;   in Loop: Header=BB35_47 Depth=1
	s_and_saveexec_b64 s[40:41], s[14:15]
	s_cbranch_execz .LBB35_3586
; %bb.3558:                             ;   in Loop: Header=BB35_47 Depth=1
	s_mov_b64 s[44:45], exec
	v_mbcnt_lo_u32_b32 v0, s44, 0
	v_mbcnt_hi_u32_b32 v0, s45, v0
	v_cmp_eq_u32_e32 vcc, 0, v0
	s_waitcnt lgkmcnt(0)
	s_and_saveexec_b64 s[42:43], vcc
	s_cbranch_execz .LBB35_3560
; %bb.3559:                             ;   in Loop: Header=BB35_47 Depth=1
	s_bcnt1_i32_b64 s12, s[44:45]
	v_mov_b32_e32 v2, s12
	ds_add_u64 v0, v[2:3]
	s_trap 2
.LBB35_3560:                            ;   in Loop: Header=BB35_47 Depth=1
	s_or_b64 exec, exec, s[42:43]
	s_trap 2
	ds_read_b64 v[0:1], v0
	s_waitcnt lgkmcnt(0)
	v_lshl_add_u64 v[56:57], v[56:57], 0, v[60:61]
	v_cmp_lt_u64_e32 vcc, v[0:1], v[56:57]
	s_and_saveexec_b64 s[42:43], vcc
	s_cbranch_execz .LBB35_3585
; %bb.3561:                             ;   in Loop: Header=BB35_47 Depth=1
	s_mov_b32 s12, 0
	s_mov_b64 s[44:45], 0
                                        ; implicit-def: $sgpr46_sgpr47
                                        ; implicit-def: $sgpr56_sgpr57
	s_branch .LBB35_3563
.LBB35_3562:                            ;   in Loop: Header=BB35_3563 Depth=2
	s_or_b64 exec, exec, s[60:61]
	s_and_b64 s[58:59], exec, s[62:63]
	s_or_b64 s[44:45], s[58:59], s[44:45]
	s_andn2_b64 s[46:47], s[46:47], exec
	s_and_b64 s[58:59], s[56:57], exec
	s_or_b64 s[46:47], s[46:47], s[58:59]
	s_andn2_b64 exec, exec, s[44:45]
	s_cbranch_execz .LBB35_3583
.LBB35_3563:                            ;   Parent Loop BB35_47 Depth=1
                                        ; =>  This Inner Loop Header: Depth=2
	s_add_i32 s12, s12, 1
	s_cmpk_lg_i32 s12, 0x2710
	s_cselect_b64 s[58:59], -1, 0
	s_and_b64 vcc, exec, s[58:59]
	s_cbranch_vccz .LBB35_3565
; %bb.3564:                             ;   in Loop: Header=BB35_3563 Depth=2
	s_mov_b64 s[62:63], -1
	s_or_b64 s[56:57], s[56:57], exec
	s_and_saveexec_b64 s[60:61], s[58:59]
	s_cbranch_execz .LBB35_3562
	s_branch .LBB35_3566
.LBB35_3565:                            ;   in Loop: Header=BB35_3563 Depth=2
	s_trap 2
	ds_read_b64 v[0:1], v0
	s_andn2_b64 s[58:59], s[58:59], exec
	s_mov_b32 s12, 0
	s_waitcnt vmcnt(0) lgkmcnt(0)
	flat_load_dword v0, v[0:1] sc0 sc1
	s_waitcnt vmcnt(0) lgkmcnt(0)
	buffer_inv sc0 sc1
	v_cmp_eq_u32_e32 vcc, 0, v0
	s_and_b64 s[60:61], vcc, exec
	s_or_b64 s[58:59], s[58:59], s[60:61]
	s_mov_b64 s[62:63], -1
	s_or_b64 s[56:57], s[56:57], exec
	s_and_saveexec_b64 s[60:61], s[58:59]
	s_cbranch_execz .LBB35_3562
.LBB35_3566:                            ;   in Loop: Header=BB35_3563 Depth=2
	s_sleep 1
	s_trap 2
	ds_read_b64 v[0:1], v0
	s_waitcnt lgkmcnt(0)
	s_andn2_b64 s[56:57], s[56:57], exec
	v_cmp_ge_u64_e32 vcc, v[0:1], v[56:57]
	s_orn2_b64 s[62:63], vcc, exec
	s_branch .LBB35_3562
.LBB35_3567:                            ;   in Loop: Header=BB35_47 Depth=1
	s_or_b64 exec, exec, s[42:43]
	s_xor_b64 s[12:13], s[44:45], -1
	s_and_saveexec_b64 s[24:25], s[12:13]
	s_xor_b64 s[24:25], exec, s[24:25]
	s_cbranch_execz .LBB35_3569
; %bb.3568:                             ;   in Loop: Header=BB35_47 Depth=1
	v_or_b32_e32 v106, 64, v106
	s_waitcnt lgkmcnt(0)
	ds_write_b32 v0, v2
	s_trap 2
.LBB35_3569:                            ;   in Loop: Header=BB35_47 Depth=1
	s_or_b64 exec, exec, s[24:25]
.LBB35_3570:                            ;   in Loop: Header=BB35_47 Depth=1
	s_or_b64 exec, exec, s[40:41]
	v_and_b32_e32 v2, 0x100, v106
	v_cmp_ne_u32_e32 vcc, 0, v2
	v_and_b32_e32 v2, 7, v4
	s_mov_b64 s[24:25], -1
	;;#ASMSTART
	s_wakeup
	;;#ASMEND
                                        ; implicit-def: $vgpr4_vgpr5
	s_and_saveexec_b64 s[40:41], vcc
	s_cbranch_execz .LBB35_3574
; %bb.3571:                             ;   in Loop: Header=BB35_47 Depth=1
	scratch_load_dwordx4 v[8:11], off, s33 offset:288 ; 16-byte Folded Reload
	s_waitcnt vmcnt(0)
	v_mad_u64_u32 v[8:9], s[12:13], v2, 24, v[8:9]
	flat_load_dword v4, v[8:9]
	s_waitcnt vmcnt(0) lgkmcnt(0)
	v_cmp_ne_u32_e32 vcc, 1, v4
	v_cmp_eq_u32_e64 s[24:25], 1, v4
                                        ; implicit-def: $vgpr4_vgpr5
	s_and_saveexec_b64 s[42:43], s[24:25]
	s_cbranch_execz .LBB35_3573
; %bb.3572:                             ;   in Loop: Header=BB35_47 Depth=1
	flat_load_dword v4, v[8:9] offset:4 sc0 sc1
	s_waitcnt vmcnt(0) lgkmcnt(0)
	v_ashrrev_i32_e32 v5, 31, v4
	v_lshrrev_b64 v[4:5], 1, v[4:5]
.LBB35_3573:                            ;   in Loop: Header=BB35_47 Depth=1
	s_or_b64 exec, exec, s[42:43]
	s_orn2_b64 s[24:25], vcc, exec
.LBB35_3574:                            ;   in Loop: Header=BB35_47 Depth=1
	s_or_b64 exec, exec, s[40:41]
	s_and_saveexec_b64 s[40:41], s[24:25]
	s_cbranch_execz .LBB35_3576
; %bb.3575:                             ;   in Loop: Header=BB35_47 Depth=1
	scratch_load_dwordx2 v[4:5], off, s33 offset:360 ; 8-byte Folded Reload
	s_waitcnt vmcnt(0)
	v_mad_i64_i32 v[4:5], s[12:13], v2, v4, 0
.LBB35_3576:                            ;   in Loop: Header=BB35_47 Depth=1
	s_or_b64 exec, exec, s[40:41]
	scratch_load_dwordx2 v[8:9], off, s33 offset:272 ; 8-byte Folded Reload
	v_and_b32_e32 v2, 0x2000, v106
	v_cmp_ne_u32_e32 vcc, 0, v2
	s_waitcnt vmcnt(0)
	v_lshl_add_u64 v[4:5], v[4:5], 1, v[8:9]
	ds_write_b64 v0, v[4:5] offset:720
	s_and_saveexec_b64 s[24:25], vcc
	s_cbranch_execz .LBB35_3578
; %bb.3577:                             ;   in Loop: Header=BB35_47 Depth=1
	ds_read_b64 v[4:5], v0 offset:872
	s_waitcnt lgkmcnt(0)
	v_lshl_add_u64 v[4:5], v[4:5], 0, 1
	ds_write_b64 v0, v[4:5] offset:872
.LBB35_3578:                            ;   in Loop: Header=BB35_47 Depth=1
	s_or_b64 exec, exec, s[24:25]
	v_mov_b64_e32 v[4:5], v[0:1]
	s_or_b64 exec, exec, s[28:29]
	s_and_saveexec_b64 s[24:25], s[6:7]
	s_cbranch_execnz .LBB35_3556
.LBB35_3579:                            ;   in Loop: Header=BB35_47 Depth=1
	s_or_b64 exec, exec, s[24:25]
	s_and_saveexec_b64 s[12:13], s[22:23]
	s_xor_b64 s[24:25], exec, s[12:13]
	s_cbranch_execz .LBB35_3590
.LBB35_3580:                            ;   in Loop: Header=BB35_47 Depth=1
	s_trap 2
	ds_read_b32 v0, v0
	v_sub_u32_e32 v1, v30, v6
	v_min_i32_e32 v1, v44, v1
	v_cmp_lt_i32_e32 vcc, 0, v1
	s_waitcnt lgkmcnt(0)
	v_readfirstlane_b32 s12, v0
	s_cmp_eq_u32 s12, 0
	s_cselect_b64 s[12:13], -1, 0
	v_and_b32_e32 v0, 16, v106
	s_and_b64 s[12:13], vcc, s[12:13]
	v_cmp_ne_u32_e32 vcc, 0, v0
	s_and_b64 s[12:13], vcc, s[12:13]
	s_and_saveexec_b64 s[28:29], s[12:13]
	s_cbranch_execz .LBB35_3582
; %bb.3581:                             ;   in Loop: Header=BB35_47 Depth=1
	buffer_wbl2 sc1
	s_waitcnt vmcnt(0)
	buffer_inv sc1
.LBB35_3582:                            ;   in Loop: Header=BB35_47 Depth=1
	s_or_b64 exec, exec, s[28:29]
	s_andn2_saveexec_b64 s[24:25], s[24:25]
	s_cbranch_execz .LBB35_3609
	s_branch .LBB35_3591
.LBB35_3583:                            ;   in Loop: Header=BB35_47 Depth=1
	s_or_b64 exec, exec, s[44:45]
	s_and_saveexec_b64 s[12:13], s[46:47]
	s_xor_b64 s[12:13], exec, s[12:13]
	s_cbranch_execz .LBB35_3585
; %bb.3584:                             ;   in Loop: Header=BB35_47 Depth=1
	v_mov_b32_e32 v0, 1
	ds_write_b32 v0, v0
	s_trap 2
.LBB35_3585:                            ;   in Loop: Header=BB35_47 Depth=1
	s_or_b64 exec, exec, s[42:43]
	;;#ASMSTART
	s_wakeup
	;;#ASMEND
.LBB35_3586:                            ;   in Loop: Header=BB35_47 Depth=1
	s_or_b64 exec, exec, s[40:41]
.LBB35_3587:                            ;   in Loop: Header=BB35_47 Depth=1
	s_andn2_saveexec_b64 s[28:29], s[28:29]
	s_cbranch_execz .LBB35_3589
; %bb.3588:                             ;   in Loop: Header=BB35_47 Depth=1
	s_waitcnt lgkmcnt(0)
	s_barrier
.LBB35_3589:                            ;   in Loop: Header=BB35_47 Depth=1
	s_or_b64 exec, exec, s[28:29]
	s_or_b64 exec, exec, s[24:25]
	s_and_saveexec_b64 s[12:13], s[22:23]
	s_xor_b64 s[24:25], exec, s[12:13]
	s_cbranch_execnz .LBB35_3580
.LBB35_3590:                            ;   in Loop: Header=BB35_47 Depth=1
	s_andn2_saveexec_b64 s[24:25], s[24:25]
	s_cbranch_execz .LBB35_3609
.LBB35_3591:                            ;   in Loop: Header=BB35_47 Depth=1
	s_and_saveexec_b64 s[12:13], s[78:79]
	s_xor_b64 s[28:29], exec, s[12:13]
	s_cbranch_execz .LBB35_3606
; %bb.3592:                             ;   in Loop: Header=BB35_47 Depth=1
	s_and_saveexec_b64 s[40:41], s[14:15]
	s_cbranch_execz .LBB35_3605
; %bb.3593:                             ;   in Loop: Header=BB35_47 Depth=1
	s_mov_b64 s[44:45], exec
	v_mbcnt_lo_u32_b32 v0, s44, 0
	v_mbcnt_hi_u32_b32 v0, s45, v0
	v_cmp_eq_u32_e32 vcc, 0, v0
	;;#ASMSTART
	s_waitcnt lgkmcnt(0) vmcnt(0)
	;;#ASMEND
	s_and_saveexec_b64 s[42:43], vcc
	s_cbranch_execz .LBB35_3595
; %bb.3594:                             ;   in Loop: Header=BB35_47 Depth=1
	s_bcnt1_i32_b64 s12, s[44:45]
	v_mov_b32_e32 v2, s12
	s_waitcnt lgkmcnt(0)
	ds_add_u64 v0, v[2:3]
	s_trap 2
.LBB35_3595:                            ;   in Loop: Header=BB35_47 Depth=1
	s_or_b64 exec, exec, s[42:43]
	s_trap 2
	ds_read_b64 v[0:1], v0
	s_waitcnt lgkmcnt(0)
	v_lshl_add_u64 v[56:57], v[56:57], 0, v[60:61]
	v_cmp_lt_u64_e32 vcc, v[0:1], v[56:57]
	s_and_saveexec_b64 s[42:43], vcc
	s_cbranch_execz .LBB35_3604
; %bb.3596:                             ;   in Loop: Header=BB35_47 Depth=1
	s_mov_b32 s12, 0
	s_mov_b64 s[44:45], 0
                                        ; implicit-def: $sgpr46_sgpr47
                                        ; implicit-def: $sgpr56_sgpr57
	s_branch .LBB35_3598
.LBB35_3597:                            ;   in Loop: Header=BB35_3598 Depth=2
	s_or_b64 exec, exec, s[60:61]
	s_and_b64 s[58:59], exec, s[62:63]
	s_or_b64 s[44:45], s[58:59], s[44:45]
	s_andn2_b64 s[46:47], s[46:47], exec
	s_and_b64 s[58:59], s[56:57], exec
	s_or_b64 s[46:47], s[46:47], s[58:59]
	s_andn2_b64 exec, exec, s[44:45]
	s_cbranch_execz .LBB35_3602
.LBB35_3598:                            ;   Parent Loop BB35_47 Depth=1
                                        ; =>  This Inner Loop Header: Depth=2
	s_add_i32 s12, s12, 1
	s_cmpk_lg_i32 s12, 0x2710
	s_cselect_b64 s[58:59], -1, 0
	s_and_b64 vcc, exec, s[58:59]
	s_cbranch_vccz .LBB35_3600
; %bb.3599:                             ;   in Loop: Header=BB35_3598 Depth=2
	s_mov_b64 s[62:63], -1
	s_or_b64 s[56:57], s[56:57], exec
	s_and_saveexec_b64 s[60:61], s[58:59]
	s_cbranch_execz .LBB35_3597
	s_branch .LBB35_3601
.LBB35_3600:                            ;   in Loop: Header=BB35_3598 Depth=2
	s_trap 2
	ds_read_b64 v[0:1], v0
	s_andn2_b64 s[58:59], s[58:59], exec
	s_mov_b32 s12, 0
	s_waitcnt vmcnt(0) lgkmcnt(0)
	flat_load_dword v0, v[0:1] sc0 sc1
	s_waitcnt vmcnt(0) lgkmcnt(0)
	buffer_inv sc0 sc1
	v_cmp_eq_u32_e32 vcc, 0, v0
	s_and_b64 s[60:61], vcc, exec
	s_or_b64 s[58:59], s[58:59], s[60:61]
	s_mov_b64 s[62:63], -1
	s_or_b64 s[56:57], s[56:57], exec
	s_and_saveexec_b64 s[60:61], s[58:59]
	s_cbranch_execz .LBB35_3597
.LBB35_3601:                            ;   in Loop: Header=BB35_3598 Depth=2
	s_sleep 1
	s_trap 2
	ds_read_b64 v[0:1], v0
	s_waitcnt lgkmcnt(0)
	s_andn2_b64 s[56:57], s[56:57], exec
	v_cmp_ge_u64_e32 vcc, v[0:1], v[56:57]
	s_orn2_b64 s[62:63], vcc, exec
	s_branch .LBB35_3597
.LBB35_3602:                            ;   in Loop: Header=BB35_47 Depth=1
	s_or_b64 exec, exec, s[44:45]
	s_and_saveexec_b64 s[12:13], s[46:47]
	s_xor_b64 s[12:13], exec, s[12:13]
	s_cbranch_execz .LBB35_3604
; %bb.3603:                             ;   in Loop: Header=BB35_47 Depth=1
	v_mov_b32_e32 v0, 1
	ds_write_b32 v0, v0
	s_trap 2
.LBB35_3604:                            ;   in Loop: Header=BB35_47 Depth=1
	s_or_b64 exec, exec, s[42:43]
	;;#ASMSTART
	s_wakeup
	;;#ASMEND
.LBB35_3605:                            ;   in Loop: Header=BB35_47 Depth=1
	s_or_b64 exec, exec, s[40:41]
.LBB35_3606:                            ;   in Loop: Header=BB35_47 Depth=1
	s_andn2_saveexec_b64 s[28:29], s[28:29]
	s_cbranch_execz .LBB35_3608
; %bb.3607:                             ;   in Loop: Header=BB35_47 Depth=1
	;;#ASMSTART
	s_waitcnt lgkmcnt(0) vmcnt(0)
	;;#ASMEND
	s_barrier
.LBB35_3608:                            ;   in Loop: Header=BB35_47 Depth=1
	s_or_b64 exec, exec, s[28:29]
.LBB35_3609:                            ;   in Loop: Header=BB35_47 Depth=1
	s_or_b64 exec, exec, s[24:25]
	v_and_b32_e32 v0, 32, v106
	v_cmp_ne_u32_e32 vcc, 0, v0
	s_and_saveexec_b64 s[24:25], vcc
	s_cbranch_execz .LBB35_45
; %bb.3610:                             ;   in Loop: Header=BB35_47 Depth=1
	v_lshl_add_u64 v[4:5], v[4:5], 0, 4
	flat_store_dwordx2 v[40:41], v[4:5] sc0 sc1
	s_branch .LBB35_45
.LBB35_3611:
	s_or_b64 exec, exec, s[30:31]
	scratch_load_dword v1, off, s33 offset:480 ; 4-byte Folded Reload
	scratch_load_dword v31, off, s33 offset:488 ; 4-byte Folded Reload
	;; [unrolled: 1-line block ×3, first 2 shown]
	v_readlane_b32 s8, v126, 4
	v_readlane_b32 s9, v126, 5
.LBB35_3612:
	v_readlane_b32 s0, v126, 2
	v_readlane_b32 s1, v126, 3
	s_or_b64 exec, exec, s[0:1]
	v_and_b32_e32 v0, 0x800, v106
	v_cmp_eq_u32_e32 vcc, 0, v0
	s_and_saveexec_b64 s[2:3], vcc
	s_cbranch_execz .LBB35_3645
; %bb.3613:
	v_and_b32_e32 v0, 48, v106
	v_cmp_ne_u32_e32 vcc, 0, v0
	s_and_saveexec_b64 s[0:1], vcc
	s_cbranch_execz .LBB35_3615
; %bb.3614:
	scratch_load_dwordx2 v[2:3], off, s33 offset:472 ; 8-byte Folded Reload
	s_waitcnt vmcnt(0)
	flat_store_dwordx2 v[2:3], v[4:5] offset:104
.LBB35_3615:
	s_or_b64 exec, exec, s[0:1]
	s_movk_i32 s0, 0x88
	v_and_b32_e32 v0, 0x88, v106
	v_cmp_eq_u32_e32 vcc, s0, v0
	s_and_saveexec_b64 s[4:5], vcc
	s_cbranch_execz .LBB35_3625
; %bb.3616:
	v_bitop3_b32 v0, v4, 4, 7 bitop3:0x6c
	scratch_load_dwordx4 v[2:5], off, s33 offset:288 ; 16-byte Folded Reload
	s_waitcnt vmcnt(0)
	v_and_b32_e32 v4, 64, v106
	s_mov_b32 s18, 0
	v_mad_u64_u32 v[6:7], s[0:1], v0, 24, v[2:3]
	flat_load_dwordx2 v[2:3], v[6:7] offset:8 sc0 sc1
	s_waitcnt vmcnt(0)
	v_cmp_eq_u32_e64 s[0:1], 0, v4
	s_waitcnt lgkmcnt(0)
	v_cmp_ne_u64_e32 vcc, -1, v[2:3]
	s_and_b64 s[0:1], vcc, s[0:1]
	s_and_b64 exec, exec, s[0:1]
	s_cbranch_execz .LBB35_3625
; %bb.3617:
	s_mov_b64 s[0:1], 0
                                        ; implicit-def: $sgpr6_sgpr7
                                        ; implicit-def: $sgpr10_sgpr11
	s_branch .LBB35_3620
.LBB35_3618:                            ;   in Loop: Header=BB35_3620 Depth=1
	flat_load_dwordx2 v[4:5], v[6:7] offset:8 sc0 sc1
	s_waitcnt vmcnt(0)
	s_andn2_b64 s[10:11], s[10:11], exec
	s_waitcnt lgkmcnt(0)
	v_cmp_eq_u64_e32 vcc, -1, v[4:5]
	s_orn2_b64 s[14:15], vcc, exec
.LBB35_3619:                            ;   in Loop: Header=BB35_3620 Depth=1
	s_or_b64 exec, exec, s[16:17]
	s_and_b64 s[12:13], exec, s[14:15]
	s_or_b64 s[0:1], s[12:13], s[0:1]
	s_andn2_b64 s[6:7], s[6:7], exec
	s_and_b64 s[12:13], s[10:11], exec
	s_or_b64 s[6:7], s[6:7], s[12:13]
	s_andn2_b64 exec, exec, s[0:1]
	s_cbranch_execz .LBB35_3623
.LBB35_3620:                            ; =>This Inner Loop Header: Depth=1
	s_cmpk_lt_i32 s18, 0x270f
	s_cselect_b64 s[12:13], -1, 0
	s_and_b64 vcc, exec, s[12:13]
	s_cbranch_vccnz .LBB35_3622
; %bb.3621:                             ;   in Loop: Header=BB35_3620 Depth=1
	s_trap 2
	ds_read_b64 v[2:3], v0
	s_andn2_b64 s[12:13], s[12:13], exec
	s_mov_b32 s18, 0
	s_waitcnt lgkmcnt(0)
	flat_load_dword v2, v[2:3] sc0 sc1
	s_waitcnt vmcnt(0) lgkmcnt(0)
	buffer_inv sc0 sc1
	v_cmp_eq_u32_e32 vcc, 0, v2
	s_and_b64 s[14:15], vcc, exec
	s_or_b64 s[12:13], s[12:13], s[14:15]
	s_mov_b64 s[14:15], -1
	s_or_b64 s[10:11], s[10:11], exec
	s_and_saveexec_b64 s[16:17], s[12:13]
	s_cbranch_execz .LBB35_3619
	s_branch .LBB35_3618
.LBB35_3622:                            ;   in Loop: Header=BB35_3620 Depth=1
	s_add_i32 s18, s18, 1
                                        ; implicit-def: $vgpr2
	s_mov_b64 s[14:15], -1
	s_or_b64 s[10:11], s[10:11], exec
	s_and_saveexec_b64 s[16:17], s[12:13]
	s_cbranch_execz .LBB35_3619
	s_branch .LBB35_3618
.LBB35_3623:
	s_or_b64 exec, exec, s[0:1]
	s_and_saveexec_b64 s[0:1], s[6:7]
	s_xor_b64 s[0:1], exec, s[0:1]
	s_cbranch_execz .LBB35_3625
; %bb.3624:
	ds_write_b32 v0, v2
	s_trap 2
.LBB35_3625:
	s_or_b64 exec, exec, s[4:5]
	v_and_b32_e32 v0, 0x2000, v106
	v_cmp_ne_u32_e32 vcc, 0, v0
	s_and_saveexec_b64 s[0:1], vcc
	s_cbranch_execz .LBB35_3627
; %bb.3626:
	scratch_load_dwordx2 v[4:5], off, s33 offset:500 ; 8-byte Folded Reload
	ds_read_b64 v[2:3], v0 offset:872
	s_waitcnt vmcnt(0) lgkmcnt(0)
	flat_store_dwordx2 v[4:5], v[2:3] offset:16
.LBB35_3627:
	s_or_b64 exec, exec, s[0:1]
	s_waitcnt vmcnt(0)
	v_cmp_ne_u32_e32 vcc, 64, v1
	s_and_b64 exec, exec, vcc
	s_cbranch_execz .LBB35_3645
; %bb.3628:
	v_cmp_ne_u32_sdwa s[0:1], v1, v20 src0_sel:DWORD src1_sel:WORD_0
	s_and_saveexec_b64 s[4:5], s[0:1]
	s_xor_b64 s[0:1], exec, s[4:5]
	s_cbranch_execz .LBB35_3643
; %bb.3629:
	v_and_b32_e32 v0, 63, v31
	v_cmp_eq_u32_e32 vcc, 0, v0
	s_and_saveexec_b64 s[4:5], vcc
	s_cbranch_execz .LBB35_3642
; %bb.3630:
	s_mov_b64 s[10:11], exec
	v_mbcnt_lo_u32_b32 v0, s10, 0
	v_mbcnt_hi_u32_b32 v0, s11, v0
	v_cmp_eq_u32_e32 vcc, 0, v0
	s_waitcnt lgkmcnt(0)
	s_and_saveexec_b64 s[6:7], vcc
	s_cbranch_execz .LBB35_3632
; %bb.3631:
	s_bcnt1_i32_b64 s10, s[10:11]
	v_mov_b32_e32 v2, s10
	v_mov_b32_e32 v3, 0
	ds_add_u64 v0, v[2:3]
	s_trap 2
.LBB35_3632:
	s_or_b64 exec, exec, s[6:7]
	s_trap 2
	ds_read_b64 v[2:3], v0
	s_waitcnt lgkmcnt(0)
	v_lshrrev_b32_e32 v0, 6, v1
	v_mov_b32_e32 v1, 0
	v_lshl_add_u64 v[0:1], v[56:57], 0, v[0:1]
	v_cmp_lt_u64_e32 vcc, v[2:3], v[0:1]
	s_and_saveexec_b64 s[6:7], vcc
	s_cbranch_execz .LBB35_3641
; %bb.3633:
	s_mov_b32 s22, 0
	s_mov_b64 s[10:11], 0
                                        ; implicit-def: $sgpr12_sgpr13
                                        ; implicit-def: $sgpr14_sgpr15
	s_branch .LBB35_3635
.LBB35_3634:                            ;   in Loop: Header=BB35_3635 Depth=1
	s_or_b64 exec, exec, s[18:19]
	s_and_b64 s[16:17], exec, s[20:21]
	s_or_b64 s[10:11], s[16:17], s[10:11]
	s_andn2_b64 s[12:13], s[12:13], exec
	s_and_b64 s[16:17], s[14:15], exec
	s_or_b64 s[12:13], s[12:13], s[16:17]
	s_andn2_b64 exec, exec, s[10:11]
	s_cbranch_execz .LBB35_3639
.LBB35_3635:                            ; =>This Inner Loop Header: Depth=1
	s_add_i32 s22, s22, 1
	s_cmpk_lg_i32 s22, 0x2710
	s_cselect_b64 s[16:17], -1, 0
	s_and_b64 vcc, exec, s[16:17]
	s_cbranch_vccz .LBB35_3637
; %bb.3636:                             ;   in Loop: Header=BB35_3635 Depth=1
	s_mov_b64 s[20:21], -1
	s_or_b64 s[14:15], s[14:15], exec
	s_and_saveexec_b64 s[18:19], s[16:17]
	s_cbranch_execz .LBB35_3634
	s_branch .LBB35_3638
.LBB35_3637:                            ;   in Loop: Header=BB35_3635 Depth=1
	s_trap 2
	ds_read_b64 v[2:3], v0
	s_andn2_b64 s[16:17], s[16:17], exec
	s_mov_b32 s22, 0
	s_waitcnt lgkmcnt(0)
	flat_load_dword v2, v[2:3] sc0 sc1
	s_waitcnt vmcnt(0) lgkmcnt(0)
	buffer_inv sc0 sc1
	v_cmp_eq_u32_e32 vcc, 0, v2
	s_and_b64 s[18:19], vcc, exec
	s_or_b64 s[16:17], s[16:17], s[18:19]
	s_mov_b64 s[20:21], -1
	s_or_b64 s[14:15], s[14:15], exec
	s_and_saveexec_b64 s[18:19], s[16:17]
	s_cbranch_execz .LBB35_3634
.LBB35_3638:                            ;   in Loop: Header=BB35_3635 Depth=1
	s_sleep 1
	s_trap 2
	ds_read_b64 v[2:3], v0
	s_waitcnt lgkmcnt(0)
	s_andn2_b64 s[14:15], s[14:15], exec
	v_cmp_ge_u64_e32 vcc, v[2:3], v[0:1]
	s_orn2_b64 s[20:21], vcc, exec
	s_branch .LBB35_3634
.LBB35_3639:
	s_or_b64 exec, exec, s[10:11]
	s_and_saveexec_b64 s[14:15], s[12:13]
	s_xor_b64 s[12:13], exec, s[14:15]
	s_cbranch_execz .LBB35_3641
; %bb.3640:
	v_mov_b32_e32 v0, 1
	ds_write_b32 v0, v0
	s_trap 2
.LBB35_3641:
	s_or_b64 exec, exec, s[6:7]
	;;#ASMSTART
	s_wakeup
	;;#ASMEND
.LBB35_3642:
	s_or_b64 exec, exec, s[4:5]
.LBB35_3643:
	s_andn2_saveexec_b64 s[0:1], s[0:1]
	s_cbranch_execz .LBB35_3645
; %bb.3644:
	s_waitcnt lgkmcnt(0)
	s_barrier
.LBB35_3645:
	s_or_b64 exec, exec, s[2:3]
.LBB35_3646:
	v_readlane_b32 s0, v126, 0
	v_readlane_b32 s1, v126, 1
	s_andn2_saveexec_b64 s[22:23], s[0:1]
	s_cbranch_execz .LBB35_3648
; %bb.3647:
	s_getpc_b64 s[0:1]
	s_add_u32 s0, s0, __PRETTY_FUNCTION__._ZN10PrimitivesI12hip_bfloat1610FuncMinMaxIS0_E12FanSymmetricILi1EELi0E11ProtoSimpleILi1ELi4ELi1ELi4ELi0ELi0EELi0ELb0ELi0ELi1ELi1EEC2EiiPKiS9_PKvPvmhhhP15ncclDevWorkCollP14ncclDevWorkP2pii@rel32@lo+4
	s_addc_u32 s1, s1, __PRETTY_FUNCTION__._ZN10PrimitivesI12hip_bfloat1610FuncMinMaxIS0_E12FanSymmetricILi1EELi0E11ProtoSimpleILi1ELi4ELi1ELi4ELi0ELi0EELi0ELb0ELi0ELi1ELi1EEC2EiiPKiS9_PKvPvmhhhP15ncclDevWorkCollP14ncclDevWorkP2pii@rel32@hi+12
	s_getpc_b64 s[2:3]
	s_add_u32 s2, s2, __assert_fail@rel32@lo+4
	s_addc_u32 s3, s3, __assert_fail@rel32@hi+12
	v_mov_b32_e32 v0, s0
	s_waitcnt vmcnt(0)
	v_mov_b32_e32 v1, s1
	s_swappc_b64 s[30:31], s[2:3]
	; divergent unreachable
.LBB35_3648:
	s_or_b64 exec, exec, s[22:23]
	scratch_load_dword v125, off, s33       ; 4-byte Folded Reload
	scratch_load_dword v124, off, s33 offset:4 ; 4-byte Folded Reload
	scratch_load_dword v123, off, s33 offset:8 ; 4-byte Folded Reload
	;; [unrolled: 1-line block ×37, first 2 shown]
	s_waitcnt lgkmcnt(0)
	scratch_load_dword v47, off, s33 offset:152 ; 4-byte Folded Reload
	scratch_load_dword v46, off, s33 offset:156 ; 4-byte Folded Reload
	scratch_load_dword v45, off, s33 offset:160 ; 4-byte Folded Reload
	scratch_load_dword v44, off, s33 offset:164 ; 4-byte Folded Reload
	scratch_load_dword v43, off, s33 offset:168 ; 4-byte Folded Reload
	scratch_load_dword v42, off, s33 offset:172 ; 4-byte Folded Reload
	scratch_load_dword v41, off, s33 offset:176 ; 4-byte Folded Reload
	scratch_load_dword v40, off, s33 offset:180 ; 4-byte Folded Reload
	v_readlane_b32 s30, v127, 32
	v_readlane_b32 s31, v127, 33
	v_readlane_b32 s97, v127, 31
	v_readlane_b32 s96, v127, 30
	v_readlane_b32 s87, v127, 29
	v_readlane_b32 s86, v127, 28
	v_readlane_b32 s85, v127, 27
	v_readlane_b32 s84, v127, 26
	v_readlane_b32 s83, v127, 25
	v_readlane_b32 s82, v127, 24
	v_readlane_b32 s81, v127, 23
	v_readlane_b32 s80, v127, 22
	v_readlane_b32 s71, v127, 21
	v_readlane_b32 s70, v127, 20
	v_readlane_b32 s69, v127, 19
	v_readlane_b32 s68, v127, 18
	v_readlane_b32 s67, v127, 17
	v_readlane_b32 s66, v127, 16
	v_readlane_b32 s65, v127, 15
	v_readlane_b32 s64, v127, 14
	v_readlane_b32 s55, v127, 13
	v_readlane_b32 s54, v127, 12
	v_readlane_b32 s53, v127, 11
	v_readlane_b32 s52, v127, 10
	v_readlane_b32 s51, v127, 9
	v_readlane_b32 s50, v127, 8
	v_readlane_b32 s49, v127, 7
	v_readlane_b32 s48, v127, 6
	v_readlane_b32 s39, v127, 5
	v_readlane_b32 s38, v127, 4
	v_readlane_b32 s37, v127, 3
	v_readlane_b32 s36, v127, 2
	v_readlane_b32 s35, v127, 1
	v_readlane_b32 s34, v127, 0
	s_mov_b32 s32, s33
	v_readlane_b32 s0, v127, 34
	s_or_saveexec_b64 s[2:3], -1
	scratch_load_dword v127, off, s33 offset:508 ; 4-byte Folded Reload
	scratch_load_dword v126, off, s33 offset:512 ; 4-byte Folded Reload
	s_mov_b64 exec, s[2:3]
	s_mov_b32 s33, s0
	s_waitcnt vmcnt(0)
	s_setpc_b64 s[30:31]
.Lfunc_end35:
	.size	_ZN12_GLOBAL__N_17runRingI12hip_bfloat1610FuncMinMaxIS1_E11ProtoSimpleILi1ELi4ELi1ELi4ELi0ELi0EELi0ELi1ELi4ELi1EEEviiP15ncclDevWorkColl, .Lfunc_end35-_ZN12_GLOBAL__N_17runRingI12hip_bfloat1610FuncMinMaxIS1_E11ProtoSimpleILi1ELi4ELi1ELi4ELi0ELi0EELi0ELi1ELi4ELi1EEEviiP15ncclDevWorkColl
                                        ; -- End function
	.set .L_ZN12_GLOBAL__N_17runRingI12hip_bfloat1610FuncMinMaxIS1_E11ProtoSimpleILi1ELi4ELi1ELi4ELi0ELi0EELi0ELi1ELi4ELi1EEEviiP15ncclDevWorkColl.num_vgpr, max(128, .L__assert_fail.num_vgpr)
	.set .L_ZN12_GLOBAL__N_17runRingI12hip_bfloat1610FuncMinMaxIS1_E11ProtoSimpleILi1ELi4ELi1ELi4ELi0ELi0EELi0ELi1ELi4ELi1EEEviiP15ncclDevWorkColl.num_agpr, max(0, .L__assert_fail.num_agpr)
	.set .L_ZN12_GLOBAL__N_17runRingI12hip_bfloat1610FuncMinMaxIS1_E11ProtoSimpleILi1ELi4ELi1ELi4ELi0ELi0EELi0ELi1ELi4ELi1EEEviiP15ncclDevWorkColl.numbered_sgpr, max(98, .L__assert_fail.numbered_sgpr)
	.set .L_ZN12_GLOBAL__N_17runRingI12hip_bfloat1610FuncMinMaxIS1_E11ProtoSimpleILi1ELi4ELi1ELi4ELi0ELi0EELi0ELi1ELi4ELi1EEEviiP15ncclDevWorkColl.num_named_barrier, max(0, .L__assert_fail.num_named_barrier)
	.set .L_ZN12_GLOBAL__N_17runRingI12hip_bfloat1610FuncMinMaxIS1_E11ProtoSimpleILi1ELi4ELi1ELi4ELi0ELi0EELi0ELi1ELi4ELi1EEEviiP15ncclDevWorkColl.private_seg_size, 528+max(.L__assert_fail.private_seg_size)
	.set .L_ZN12_GLOBAL__N_17runRingI12hip_bfloat1610FuncMinMaxIS1_E11ProtoSimpleILi1ELi4ELi1ELi4ELi0ELi0EELi0ELi1ELi4ELi1EEEviiP15ncclDevWorkColl.uses_vcc, or(1, .L__assert_fail.uses_vcc)
	.set .L_ZN12_GLOBAL__N_17runRingI12hip_bfloat1610FuncMinMaxIS1_E11ProtoSimpleILi1ELi4ELi1ELi4ELi0ELi0EELi0ELi1ELi4ELi1EEEviiP15ncclDevWorkColl.uses_flat_scratch, or(0, .L__assert_fail.uses_flat_scratch)
	.set .L_ZN12_GLOBAL__N_17runRingI12hip_bfloat1610FuncMinMaxIS1_E11ProtoSimpleILi1ELi4ELi1ELi4ELi0ELi0EELi0ELi1ELi4ELi1EEEviiP15ncclDevWorkColl.has_dyn_sized_stack, or(0, .L__assert_fail.has_dyn_sized_stack)
	.set .L_ZN12_GLOBAL__N_17runRingI12hip_bfloat1610FuncMinMaxIS1_E11ProtoSimpleILi1ELi4ELi1ELi4ELi0ELi0EELi0ELi1ELi4ELi1EEEviiP15ncclDevWorkColl.has_recursion, or(1, .L__assert_fail.has_recursion)
	.set .L_ZN12_GLOBAL__N_17runRingI12hip_bfloat1610FuncMinMaxIS1_E11ProtoSimpleILi1ELi4ELi1ELi4ELi0ELi0EELi0ELi1ELi4ELi1EEEviiP15ncclDevWorkColl.has_indirect_call, or(0, .L__assert_fail.has_indirect_call)
	.section	.AMDGPU.csdata,"",@progbits
; Function info:
; codeLenInByte = 116476
; TotalNumSgprs: 104
; NumVgprs: 128
; NumAgprs: 0
; TotalNumVgprs: 128
; ScratchSize: 592
; MemoryBound: 1
	.text
	.p2align	2                               ; -- Begin function _ZN12_GLOBAL__N_17runRingI12hip_bfloat1610FuncMinMaxIS1_E11ProtoSimpleILi2ELi2ELi1ELi4ELi0ELi0EELi0ELi1ELi4ELi1EEEviiP15ncclDevWorkColl
	.type	_ZN12_GLOBAL__N_17runRingI12hip_bfloat1610FuncMinMaxIS1_E11ProtoSimpleILi2ELi2ELi1ELi4ELi0ELi0EELi0ELi1ELi4ELi1EEEviiP15ncclDevWorkColl,@function
_ZN12_GLOBAL__N_17runRingI12hip_bfloat1610FuncMinMaxIS1_E11ProtoSimpleILi2ELi2ELi1ELi4ELi0ELi0EELi0ELi1ELi4ELi1EEEviiP15ncclDevWorkColl: ; @_ZN12_GLOBAL__N_17runRingI12hip_bfloat1610FuncMinMaxIS1_E11ProtoSimpleILi2ELi2ELi1ELi4ELi0ELi0EELi0ELi1ELi4ELi1EEEviiP15ncclDevWorkColl
; %bb.0:
	s_waitcnt vmcnt(0) expcnt(0) lgkmcnt(0)
	s_mov_b32 s0, s33
	s_mov_b32 s33, s32
	s_or_saveexec_b64 s[2:3], -1
	scratch_store_dword off, v127, s33 offset:520 ; 4-byte Folded Spill
	scratch_store_dword off, v126, s33 offset:524 ; 4-byte Folded Spill
	s_mov_b64 exec, s[2:3]
	v_writelane_b32 v127, s0, 34
	s_addk_i32 s32, 0x220
	scratch_store_dword off, v40, s33 offset:180 ; 4-byte Folded Spill
	scratch_store_dword off, v41, s33 offset:176 ; 4-byte Folded Spill
	scratch_store_dword off, v42, s33 offset:172 ; 4-byte Folded Spill
	scratch_store_dword off, v43, s33 offset:168 ; 4-byte Folded Spill
	scratch_store_dword off, v44, s33 offset:164 ; 4-byte Folded Spill
	scratch_store_dword off, v45, s33 offset:160 ; 4-byte Folded Spill
	scratch_store_dword off, v46, s33 offset:156 ; 4-byte Folded Spill
	scratch_store_dword off, v47, s33 offset:152 ; 4-byte Folded Spill
	scratch_store_dword off, v56, s33 offset:148 ; 4-byte Folded Spill
	scratch_store_dword off, v57, s33 offset:144 ; 4-byte Folded Spill
	scratch_store_dword off, v58, s33 offset:140 ; 4-byte Folded Spill
	scratch_store_dword off, v59, s33 offset:136 ; 4-byte Folded Spill
	scratch_store_dword off, v60, s33 offset:132 ; 4-byte Folded Spill
	scratch_store_dword off, v61, s33 offset:128 ; 4-byte Folded Spill
	scratch_store_dword off, v62, s33 offset:124 ; 4-byte Folded Spill
	scratch_store_dword off, v63, s33 offset:120 ; 4-byte Folded Spill
	scratch_store_dword off, v72, s33 offset:116 ; 4-byte Folded Spill
	scratch_store_dword off, v73, s33 offset:112 ; 4-byte Folded Spill
	scratch_store_dword off, v74, s33 offset:108 ; 4-byte Folded Spill
	scratch_store_dword off, v75, s33 offset:104 ; 4-byte Folded Spill
	scratch_store_dword off, v76, s33 offset:100 ; 4-byte Folded Spill
	scratch_store_dword off, v77, s33 offset:96 ; 4-byte Folded Spill
	scratch_store_dword off, v78, s33 offset:92 ; 4-byte Folded Spill
	scratch_store_dword off, v79, s33 offset:88 ; 4-byte Folded Spill
	scratch_store_dword off, v88, s33 offset:84 ; 4-byte Folded Spill
	scratch_store_dword off, v89, s33 offset:80 ; 4-byte Folded Spill
	scratch_store_dword off, v90, s33 offset:76 ; 4-byte Folded Spill
	scratch_store_dword off, v91, s33 offset:72 ; 4-byte Folded Spill
	scratch_store_dword off, v92, s33 offset:68 ; 4-byte Folded Spill
	scratch_store_dword off, v93, s33 offset:64 ; 4-byte Folded Spill
	scratch_store_dword off, v94, s33 offset:60 ; 4-byte Folded Spill
	scratch_store_dword off, v95, s33 offset:56 ; 4-byte Folded Spill
	scratch_store_dword off, v104, s33 offset:52 ; 4-byte Folded Spill
	scratch_store_dword off, v105, s33 offset:48 ; 4-byte Folded Spill
	scratch_store_dword off, v106, s33 offset:44 ; 4-byte Folded Spill
	scratch_store_dword off, v107, s33 offset:40 ; 4-byte Folded Spill
	scratch_store_dword off, v108, s33 offset:36 ; 4-byte Folded Spill
	scratch_store_dword off, v109, s33 offset:32 ; 4-byte Folded Spill
	scratch_store_dword off, v110, s33 offset:28 ; 4-byte Folded Spill
	scratch_store_dword off, v111, s33 offset:24 ; 4-byte Folded Spill
	scratch_store_dword off, v120, s33 offset:20 ; 4-byte Folded Spill
	scratch_store_dword off, v121, s33 offset:16 ; 4-byte Folded Spill
	scratch_store_dword off, v122, s33 offset:12 ; 4-byte Folded Spill
	scratch_store_dword off, v123, s33 offset:8 ; 4-byte Folded Spill
	scratch_store_dword off, v124, s33 offset:4 ; 4-byte Folded Spill
	scratch_store_dword off, v125, s33      ; 4-byte Folded Spill
	v_writelane_b32 v127, s34, 0
	v_writelane_b32 v127, s35, 1
	v_writelane_b32 v127, s36, 2
	v_writelane_b32 v127, s37, 3
	v_writelane_b32 v127, s38, 4
	v_writelane_b32 v127, s39, 5
	v_writelane_b32 v127, s48, 6
	v_writelane_b32 v127, s49, 7
	v_writelane_b32 v127, s50, 8
	v_writelane_b32 v127, s51, 9
	v_writelane_b32 v127, s52, 10
	v_writelane_b32 v127, s53, 11
	v_writelane_b32 v127, s54, 12
	v_writelane_b32 v127, s55, 13
	v_writelane_b32 v127, s64, 14
	v_writelane_b32 v127, s65, 15
	v_writelane_b32 v127, s66, 16
	v_writelane_b32 v127, s67, 17
	v_writelane_b32 v127, s68, 18
	v_writelane_b32 v127, s69, 19
	v_writelane_b32 v127, s70, 20
	v_writelane_b32 v127, s71, 21
	v_writelane_b32 v127, s80, 22
	v_writelane_b32 v127, s81, 23
	v_writelane_b32 v127, s82, 24
	v_writelane_b32 v127, s83, 25
	v_writelane_b32 v127, s84, 26
	v_writelane_b32 v127, s85, 27
	v_writelane_b32 v127, s86, 28
	v_writelane_b32 v127, s87, 29
	v_writelane_b32 v127, s96, 30
	v_writelane_b32 v127, s97, 31
	v_writelane_b32 v127, s30, 32
	s_nop 1
	v_writelane_b32 v127, s31, 33
	s_trap 2
	flat_load_dword v5, v[2:3]
	ds_read_b32 v6, v0
	s_mov_b64 s[24:25], s[8:9]
                                        ; implicit-def: $vgpr18_vgpr19
                                        ; implicit-def: $vgpr8_vgpr9
                                        ; kill: killed $vgpr8_vgpr9
                                        ; implicit-def: $vgpr22_vgpr23
	s_waitcnt lgkmcnt(0)
	v_readfirstlane_b32 s80, v6
	s_waitcnt vmcnt(0)
	v_cmp_ne_u32_sdwa s[0:1], v6, v5 src0_sel:DWORD src1_sel:BYTE_0
	s_and_saveexec_b64 s[2:3], s[0:1]
	s_xor_b64 s[0:1], exec, s[2:3]
	s_cbranch_execz .LBB36_6
; %bb.1:
	v_not_b32_sdwa v4, v5 dst_sel:DWORD dst_unused:UNUSED_PAD src0_sel:BYTE_0
	v_cmp_ne_u32_sdwa s[2:3], v6, v5 src0_sel:DWORD src1_sel:BYTE_1
                                        ; implicit-def: $vgpr18_vgpr19
                                        ; implicit-def: $vgpr8_vgpr9
                                        ; kill: killed $vgpr8_vgpr9
                                        ; implicit-def: $vgpr22_vgpr23
	s_and_saveexec_b64 s[4:5], s[2:3]
	s_xor_b64 s[2:3], exec, s[4:5]
	s_cbranch_execz .LBB36_3
; %bb.2:
	flat_load_dwordx4 v[8:11], v[2:3] offset:72
	flat_load_dwordx2 v[12:13], v[2:3] offset:96
	v_add_u32_e32 v4, v6, v4
	v_ashrrev_i32_e32 v5, 31, v4
	s_waitcnt vmcnt(0) lgkmcnt(0)
	v_mul_lo_u32 v5, v10, v5
	v_mad_u64_u32 v[6:7], s[4:5], v10, v4, v[8:9]
	v_mul_lo_u32 v4, v11, v4
	v_add3_u32 v7, v4, v7, v5
	v_lshrrev_b64 v[18:19], 13, v[12:13]
	scratch_store_dwordx2 off, v[6:7], s33 offset:476 ; 8-byte Folded Spill
	v_mov_b64_e32 v[22:23], v[10:11]
                                        ; implicit-def: $vgpr5
                                        ; implicit-def: $vgpr4
.LBB36_3:
	s_andn2_saveexec_b64 s[2:3], s[2:3]
	s_cbranch_execz .LBB36_5
; %bb.4:
	flat_load_dwordx4 v[6:9], v[2:3] offset:72
	flat_load_dwordx4 v[22:25], v[2:3] offset:88
	v_add_u32_sdwa v5, v5, v4 dst_sel:DWORD dst_unused:UNUSED_PAD src0_sel:BYTE_1 src1_sel:DWORD
	v_ashrrev_i32_e32 v4, 31, v5
	s_waitcnt vmcnt(0) lgkmcnt(0)
	v_mul_lo_u32 v4, v8, v4
	v_mad_u64_u32 v[6:7], s[4:5], v8, v5, v[6:7]
	v_mul_lo_u32 v5, v9, v5
	v_add3_u32 v7, v5, v7, v4
	v_lshrrev_b32_e32 v18, 2, v25
	scratch_store_dwordx2 off, v[6:7], s33 offset:476 ; 8-byte Folded Spill
.LBB36_5:
	s_or_b64 exec, exec, s[2:3]
.LBB36_6:
	s_andn2_saveexec_b64 s[0:1], s[0:1]
	s_cbranch_execz .LBB36_8
; %bb.7:
	flat_load_dwordx2 v[4:5], v[2:3] offset:96
	flat_load_dwordx2 v[22:23], v[2:3] offset:72
	s_waitcnt vmcnt(0) lgkmcnt(0)
	v_lshlrev_b64 v[18:19], 8, v[4:5]
	v_mov_b64_e32 v[4:5], 0
	scratch_store_dwordx2 off, v[4:5], s33 offset:476 ; 8-byte Folded Spill
.LBB36_8:
	s_or_b64 exec, exec, s[0:1]
	s_trap 2
	ds_read_b64 v[4:5], v0
	s_waitcnt lgkmcnt(0)
	v_cmp_ne_u32_e32 vcc, -1, v4
	s_nop 1
	v_cndmask_b32_e64 v19, 0, 1, vcc
	v_cmp_ne_u32_e32 vcc, -1, v5
	s_nop 1
	v_addc_co_u32_e64 v6, s[0:1], 0, v19, vcc
	v_lshlrev_b32_e32 v4, 1, v6
	v_cmp_le_u32_e64 s[0:1], v4, v1
	s_and_saveexec_b64 s[2:3], s[0:1]
	s_xor_b64 s[2:3], exec, s[2:3]
                                        ; implicit-def: $vgpr126 : SGPR spill to VGPR lane
	v_writelane_b32 v126, s2, 0
	s_nop 1
	v_writelane_b32 v126, s3, 1
	s_cbranch_execz .LBB36_3664
; %bb.9:
	flat_load_dwordx4 v[10:13], v[2:3] offset:16
	flat_load_dwordx2 v[14:15], v[2:3] offset:104
	flat_load_ushort v5, v[2:3] offset:8
	flat_load_dword v4, v[2:3] offset:4
	s_trap 2
	s_load_dword s0, s[24:25], 0x0
	v_mov_b32_e32 v7, 0
	v_mov_b32_e32 v79, 4
	s_waitcnt lgkmcnt(0)
	s_cmp_lt_u32 s12, s0
	s_cselect_b32 s0, 12, 18
	s_add_u32 s0, s24, s0
	s_addc_u32 s1, s25, 0
	global_load_ushort v20, v7, s[0:1]
	ds_read_b32 v7, v0
	v_cmp_ge_u32_e64 s[0:1], v0, v19
	s_waitcnt lgkmcnt(0)
	v_readfirstlane_b32 s8, v7
	s_and_saveexec_b64 s[2:3], s[0:1]
	s_cbranch_execz .LBB36_19
; %bb.10:
	v_cmp_ge_u32_e64 s[0:1], v0, v6
                                        ; implicit-def: $vgpr79
	s_and_saveexec_b64 s[4:5], s[0:1]
	s_xor_b64 s[0:1], exec, s[4:5]
	s_cbranch_execz .LBB36_16
; %bb.11:
	v_cndmask_b32_e64 v7, 0, 1, vcc
	v_sub_u32_e32 v7, v1, v7
	v_cmp_ge_u32_e32 vcc, v0, v7
	s_and_saveexec_b64 s[4:5], vcc
	s_xor_b64 s[4:5], exec, s[4:5]
; %bb.12:
                                        ; implicit-def: $vgpr6
; %bb.13:
	s_or_saveexec_b64 s[4:5], s[4:5]
	v_mov_b32_e32 v79, 16
	s_xor_b64 exec, exec, s[4:5]
; %bb.14:
	v_sub_u32_e32 v6, v1, v6
	v_cmp_lt_i32_e32 vcc, v0, v6
	s_nop 1
	v_cndmask_b32_e64 v79, 32, 0, vcc
; %bb.15:
	s_or_b64 exec, exec, s[4:5]
.LBB36_16:
	s_andn2_saveexec_b64 s[0:1], s[0:1]
; %bb.17:
	v_mov_b32_e32 v79, 8
; %bb.18:
	s_or_b64 exec, exec, s[0:1]
.LBB36_19:
	s_or_b64 exec, exec, s[2:3]
	v_and_b32_e32 v6, 36, v79
	v_cmp_ne_u32_e32 vcc, 0, v6
	v_mov_b32_e32 v8, -1
	s_and_saveexec_b64 s[0:1], vcc
	s_cbranch_execz .LBB36_21
; %bb.20:
	s_trap 2
	ds_read_b32 v8, v0
.LBB36_21:
	s_or_b64 exec, exec, s[0:1]
	v_and_b32_e32 v6, 24, v79
	v_cmp_ne_u32_e64 s[0:1], 0, v6
	s_and_saveexec_b64 s[2:3], s[0:1]
	s_cbranch_execz .LBB36_23
; %bb.22:
	s_trap 2
	s_waitcnt lgkmcnt(0)
	ds_read_b32 v8, v0
.LBB36_23:
	s_or_b64 exec, exec, s[2:3]
	s_waitcnt vmcnt(0)
	v_lshrrev_b64 v[4:5], 31, v[4:5]
	v_and_b32_e32 v6, 3, v4
	v_mov_b64_e32 v[4:5], 0
	scratch_store_dwordx2 off, v[4:5], s33 offset:492 ; 8-byte Folded Spill
                                        ; implicit-def: $vgpr4_vgpr5
	s_waitcnt lgkmcnt(0)
	v_ashrrev_i32_e32 v9, 31, v8
                                        ; kill: killed $vgpr4_vgpr5
                                        ; implicit-def: $vgpr4
	v_mov_b64_e32 v[16:17], 0
	scratch_store_dwordx2 off, v[4:5], s33 offset:348 ; 8-byte Folded Spill
                                        ; implicit-def: $vgpr4_vgpr5
	scratch_store_dwordx4 off, v[16:19], s33 offset:280 ; 16-byte Folded Spill
                                        ; implicit-def: $vgpr16_vgpr17
                                        ; kill: killed $vgpr16_vgpr17
                                        ; implicit-def: $vgpr46_vgpr47
                                        ; implicit-def: $vgpr40_vgpr41
	s_and_saveexec_b64 s[0:1], vcc
	s_cbranch_execz .LBB36_33
; %bb.24:
	s_trap 2
	ds_read_b64 v[4:5], v0
	v_and_b32_e32 v7, 0xffff, v6
	s_movk_i32 s2, 0xa8
	s_waitcnt lgkmcnt(0)
	v_lshl_add_u64 v[4:5], v[8:9], 3, v[4:5]
	flat_load_dwordx2 v[4:5], v[4:5]
	s_waitcnt vmcnt(0) lgkmcnt(0)
	v_mad_u64_u32 v[16:17], s[2:3], v7, s2, v[4:5]
	flat_load_dword v4, v[16:17] offset:640
	s_waitcnt vmcnt(0) lgkmcnt(0)
	v_cmp_eq_u32_e32 vcc, 1, v4
                                        ; implicit-def: $vgpr4_vgpr5
                                        ; kill: killed $vgpr4_vgpr5
	s_and_saveexec_b64 s[2:3], vcc
	s_cbranch_execz .LBB36_26
; %bb.25:
	flat_load_dwordx2 v[24:25], v[16:17] offset:648
	v_or_b32_e32 v79, 0x2000, v79
	s_waitcnt vmcnt(0) lgkmcnt(0)
	flat_load_dwordx2 v[4:5], v[24:25]
	s_trap 2
	scratch_store_dwordx2 off, v[24:25], s33 offset:512 ; 8-byte Folded Spill
	s_waitcnt vmcnt(0) lgkmcnt(0)
	ds_write_b64 v0, v[4:5]
	flat_load_dwordx2 v[4:5], v[24:25] offset:8
	s_waitcnt vmcnt(0) lgkmcnt(0)
	ds_write_b64 v0, v[4:5]
	flat_load_dwordx2 v[4:5], v[24:25] offset:16
	s_waitcnt vmcnt(0) lgkmcnt(0)
	ds_write_b64 v0, v[4:5]
.LBB36_26:
	s_or_b64 exec, exec, s[2:3]
	flat_load_dwordx2 v[4:5], v[16:17] offset:608
	v_and_b32_e32 v7, 32, v79
	v_cmp_ne_u32_e32 vcc, 0, v7
                                        ; implicit-def: $vgpr40_vgpr41
	s_waitcnt vmcnt(0) lgkmcnt(0)
	v_lshl_add_u64 v[4:5], v[4:5], 0, 3
	v_and_b32_e32 v4, -4, v4
	s_and_saveexec_b64 s[2:3], vcc
	s_cbranch_execz .LBB36_28
; %bb.27:
	flat_load_dwordx2 v[40:41], v[16:17] offset:560
	s_waitcnt vmcnt(0) lgkmcnt(0)
	flat_store_dwordx2 v[40:41], v[4:5] sc0 sc1
.LBB36_28:
	s_or_b64 exec, exec, s[2:3]
	s_mov_b64 s[2:3], 0x1f8
	v_lshl_add_u64 v[24:25], v[16:17], 0, s[2:3]
	scratch_store_dwordx2 off, v[24:25], s33 offset:492 ; 8-byte Folded Spill
	v_and_b32_e32 v7, 4, v79
	v_mov_b64_e32 v[24:25], 0
	v_cmp_ne_u32_e32 vcc, 0, v7
	scratch_store_dwordx4 off, v[24:27], s33 offset:280 ; 16-byte Folded Spill
                                        ; implicit-def: $vgpr24
	scratch_store_dwordx2 off, v[24:25], s33 offset:348 ; 8-byte Folded Spill
                                        ; implicit-def: $vgpr24_vgpr25
                                        ; kill: killed $vgpr24_vgpr25
                                        ; implicit-def: $vgpr46_vgpr47
	s_and_saveexec_b64 s[2:3], vcc
	s_cbranch_execz .LBB36_32
; %bb.29:
	v_and_b32_e32 v7, 0x800, v79
	v_cmp_eq_u32_e32 vcc, 0, v7
	s_and_saveexec_b64 s[4:5], vcc
	s_cbranch_execz .LBB36_31
; %bb.30:
	s_trap 2
	scratch_load_dwordx2 v[24:25], off, s33 offset:492 ; 8-byte Folded Reload
	s_waitcnt vmcnt(0)
	ds_write_b64 v0, v[24:25]
.LBB36_31:
	s_or_b64 exec, exec, s[4:5]
	flat_load_dwordx2 v[40:41], v[16:17] offset:552
                                        ; kill: killed $vgpr16_vgpr17
	s_waitcnt vmcnt(0) lgkmcnt(0)
	flat_load_dwordx2 v[46:47], v[40:41] sc0 sc1
	flat_load_dword v7, v[16:17] offset:576
	flat_load_dwordx2 v[26:27], v[16:17] offset:600
	flat_load_dwordx2 v[24:25], v[16:17] offset:520
	v_or_b32_e32 v16, 0x100, v79
	s_waitcnt vmcnt(0) lgkmcnt(0)
	v_cmp_eq_u64_e32 vcc, 0, v[26:27]
	scratch_store_dwordx2 off, v[24:25], s33 offset:264 ; 8-byte Folded Spill
	v_ashrrev_i32_e32 v24, 1, v7
	scratch_store_dwordx2 off, v[24:25], s33 offset:348 ; 8-byte Folded Spill
	v_mov_b64_e32 v[24:25], v[26:27]
	v_cndmask_b32_e32 v79, v16, v79, vcc
	scratch_store_dwordx4 off, v[24:27], s33 offset:280 ; 16-byte Folded Spill
.LBB36_32:
	s_or_b64 exec, exec, s[2:3]
.LBB36_33:
	s_or_b64 exec, exec, s[0:1]
	v_and_b32_e32 v7, 24, v79
	v_cmp_ne_u32_e32 vcc, 0, v7
                                        ; implicit-def: $vgpr16_vgpr17
                                        ; kill: killed $vgpr16_vgpr17
	s_and_saveexec_b64 s[0:1], vcc
	s_cbranch_execz .LBB36_41
; %bb.34:
	s_trap 2
	ds_read_b64 v[4:5], v0
	v_and_b32_e32 v6, 0xffff, v6
	s_movk_i32 s2, 0xa8
	s_waitcnt lgkmcnt(0)
	v_lshl_add_u64 v[4:5], v[8:9], 3, v[4:5]
	flat_load_dwordx2 v[4:5], v[4:5]
	s_waitcnt vmcnt(0) lgkmcnt(0)
	v_mad_u64_u32 v[4:5], s[2:3], v6, s2, v[4:5]
	flat_load_dwordx4 v[6:9], v[4:5] offset:96
	s_waitcnt vmcnt(0) lgkmcnt(0)
	v_cmp_eq_u64_e32 vcc, 0, v[6:7]
	scratch_store_dwordx2 off, v[4:5], s33 offset:492 ; 8-byte Folded Spill
	v_or_b32_e32 v4, 0x100, v79
	v_cndmask_b32_e32 v79, v4, v79, vcc
	v_and_b32_e32 v4, 16, v79
	v_cmp_ne_u32_e32 vcc, 0, v4
	scratch_store_dwordx4 off, v[6:9], s33 offset:280 ; 16-byte Folded Spill
                                        ; implicit-def: $vgpr4_vgpr5
                                        ; kill: killed $vgpr4_vgpr5
	s_and_saveexec_b64 s[2:3], vcc
	s_cbranch_execz .LBB36_36
; %bb.35:
	scratch_load_dwordx2 v[4:5], off, s33 offset:492 ; 8-byte Folded Reload
	s_waitcnt vmcnt(0)
	flat_load_dwordx2 v[40:41], v[4:5] offset:48
	flat_load_dwordx2 v[6:7], v[4:5] offset:120
	s_nop 0
	flat_load_dwordx2 v[4:5], v[4:5] offset:16
	s_waitcnt vmcnt(0) lgkmcnt(0)
	scratch_store_dwordx2 off, v[6:7], s33 offset:296 ; 8-byte Folded Spill
	scratch_store_dwordx2 off, v[4:5], s33 offset:264 ; 8-byte Folded Spill
.LBB36_36:
	s_or_b64 exec, exec, s[2:3]
	scratch_load_dwordx4 v[4:7], off, s33 offset:280 ; 16-byte Folded Reload
	s_waitcnt vmcnt(0)
	v_lshl_add_u64 v[4:5], v[6:7], 0, 3
	v_and_b32_e32 v6, 8, v79
	v_and_b32_e32 v4, -4, v4
	v_cmp_ne_u32_e32 vcc, 0, v6
	s_and_saveexec_b64 s[2:3], vcc
	s_cbranch_execz .LBB36_40
; %bb.37:
	v_and_b32_e32 v6, 0x800, v79
	v_cmp_eq_u32_e32 vcc, 0, v6
	s_and_saveexec_b64 s[4:5], vcc
	s_cbranch_execz .LBB36_39
; %bb.38:
	s_trap 2
	scratch_load_dwordx2 v[6:7], off, s33 offset:492 ; 8-byte Folded Reload
	s_waitcnt vmcnt(0)
	ds_write_b64 v0, v[6:7]
.LBB36_39:
	s_or_b64 exec, exec, s[4:5]
	scratch_load_dwordx2 v[8:9], off, s33 offset:492 ; 8-byte Folded Reload
	s_waitcnt vmcnt(0)
	flat_load_dwordx2 v[40:41], v[8:9] offset:56
	s_waitcnt vmcnt(0) lgkmcnt(0)
	flat_load_dwordx2 v[46:47], v[40:41] sc0 sc1
	flat_load_dword v6, v[8:9] offset:72
	s_nop 0
	flat_load_dwordx2 v[8:9], v[8:9] offset:16
	s_waitcnt vmcnt(0) lgkmcnt(0)
	v_ashrrev_i32_e32 v6, 1, v6
	scratch_store_dwordx2 off, v[8:9], s33 offset:264 ; 8-byte Folded Spill
	scratch_store_dwordx2 off, v[6:7], s33 offset:348 ; 8-byte Folded Spill
.LBB36_40:
	s_or_b64 exec, exec, s[2:3]
.LBB36_41:
	s_or_b64 exec, exec, s[0:1]
	v_cmp_eq_u32_e64 s[0:1], 0, v0
	scratch_store_dwordx4 off, v[22:25], s33 offset:460 ; 16-byte Folded Spill
	s_and_saveexec_b64 s[2:3], s[0:1]
	s_cbranch_execz .LBB36_43
; %bb.42:
	flat_load_dwordx2 v[6:7], v[2:3] offset:32
	v_mov_b32_e32 v8, v12
	v_mov_b32_e32 v9, v13
	ds_write2_b64 v0, v[8:9], v[10:11] offset1:1
	s_trap 2
	s_waitcnt vmcnt(0) lgkmcnt(0)
	ds_write_b64 v0, v[6:7]
	ds_write_b64 v0, v[14:15]
.LBB36_43:
	s_or_b64 exec, exec, s[2:3]
	scratch_load_dwordx4 v[6:9], off, s33 offset:460 ; 16-byte Folded Reload
	v_mov_b64_e32 v[56:57], 0
	s_waitcnt vmcnt(0)
	v_cmp_lt_i64_e32 vcc, 0, v[6:7]
	s_mov_b64 s[2:3], exec
	v_writelane_b32 v126, s2, 2
	s_nop 1
	v_writelane_b32 v126, s3, 3
	s_and_b64 s[2:3], s[2:3], vcc
	s_mov_b64 exec, s[2:3]
	s_cbranch_execz .LBB36_3630
; %bb.44:
	scratch_load_dwordx2 v[8:9], off, s33 offset:348 ; 8-byte Folded Reload
	flat_load_dword v6, v[2:3] offset:4
	v_mov_b32_e32 v7, v0
	v_cmp_ge_u32_e32 vcc, v7, v1
	v_mov_b32_e32 v11, v7
	scratch_store_dword off, v31, s33 offset:500 ; 4-byte Folded Spill
	s_ashr_i32 s9, s8, 31
	s_lshr_b32 s9, s9, 29
	s_add_i32 s8, s8, s9
	s_ashr_i32 s81, s80, 31
	s_ashr_i32 s9, s8, 4
	v_writelane_b32 v126, s24, 4
	s_add_u32 s20, s80, -1
	s_addc_u32 s21, s81, -1
	v_writelane_b32 v126, s25, 5
	v_and_b32_e32 v2, 0x1fffff00, v18
	v_lshrrev_b32_e32 v60, 6, v1
	v_writelane_b32 v126, s20, 6
	v_and_b32_e32 v0, 63, v31
	v_and_b32_e32 v10, 63, v11
	v_mad_i64_i32 v[42:43], s[12:13], v2, s80, 0
	v_lshlrev_b32_e32 v76, 10, v60
	v_writelane_b32 v126, s21, 7
	s_add_i32 s84, s80, s80
	s_not_b32 s20, s80
	s_mov_b64 s[78:79], 0x2000
	v_cmp_eq_u32_e64 s[12:13], 0, v0
	v_lshlrev_b32_e32 v0, 4, v10
	v_add_u32_e32 v92, 0xfffffc00, v76
	s_cmp_gt_i32 s80, 0
	v_mov_b32_e32 v3, 0
	s_mov_b64 s[88:89], 0x400
	v_ashrrev_i32_e32 v93, 31, v92
	s_cselect_b32 s20, s20, -1
	v_cmp_eq_u32_e64 s[14:15], 0, v10
	v_cmp_lt_u32_e64 s[16:17], v10, v19
	v_lshlrev_b32_e32 v14, 11, v60
	v_cmp_le_u32_e64 s[18:19], v10, v19
	v_lshlrev_b32_e32 v10, 12, v60
	s_add_i32 s85, s20, s84
	v_mov_b32_e32 v15, v3
	v_cmp_eq_u32_e64 s[2:3], 64, v1
	v_cmp_ne_u32_e64 s[4:5], 64, v1
	v_cmp_ne_u32_sdwa s[76:77], v1, v20 src0_sel:DWORD src1_sel:WORD_0
	v_lshlrev_b32_e32 v59, 7, v60
	v_mov_b32_e32 v17, v3
	v_add_u32_e32 v104, 0xffffff80, v59
	s_mov_b64 s[92:93], 0x80
	v_ashrrev_i32_e32 v105, 31, v104
	s_ashr_i32 s8, s8, 31
	s_lshr_b32 s8, s8, 28
	s_add_i32 s9, s9, s8
	s_ashr_i32 s36, s85, 31
	s_ashr_i32 s87, s9, 4
	s_cmp_gt_i32 s80, 2
	s_cselect_b64 s[8:9], -1, 0
	v_writelane_b32 v126, s8, 8
	s_add_i32 s96, s33, 0xf0
	s_add_i32 s97, s33, 0xd0
	v_writelane_b32 v126, s9, 9
	s_add_i32 s8, s80, 1
	v_add_u32_e32 v94, 0xfffff800, v14
	v_add_u32_e32 v106, 0xfffff000, v10
	s_mov_b64 s[90:91], 0x800
	s_mov_b64 s[30:31], 0x1000
	v_ashrrev_i32_e32 v95, 31, v94
	v_ashrrev_i32_e32 v107, 31, v106
	s_mov_b32 s75, 0
	s_movk_i32 s82, 0xfc00
	s_movk_i32 s83, 0xff80
	s_mov_b64 s[94:95], 0
	v_mov_b32_e32 v61, v3
	v_lshl_add_u64 v[120:121], v[94:95], 0, s[90:91]
	v_mov_b32_e32 v77, v3
	s_movk_i32 s63, 0x1000
	s_movk_i32 s34, 0x108
	s_mov_b32 s35, 0x7f800000
	s_mov_b64 s[50:51], 0x780
	v_lshl_add_u64 v[28:29], v[106:107], 0, s[30:31]
	s_waitcnt vmcnt(0)
	v_ashrrev_i32_e32 v7, 31, v8
	s_waitcnt lgkmcnt(0)
	scratch_store_dwordx2 off, v[6:7], s33 offset:372 ; 8-byte Folded Spill
	s_trap 2
	scratch_load_dwordx2 v[8:9], off, s33 offset:296 ; 8-byte Folded Reload
	v_mov_b32_e32 v7, 0xffffe000
	v_lshl_add_u32 v12, v60, 13, v7
	scratch_store_dword off, v11, s33 offset:344 ; 4-byte Folded Spill
	v_lshrrev_b32_e32 v11, 6, v11
	v_ashrrev_i32_e32 v13, 31, v12
	v_lshl_or_b32 v16, v11, 12, v0
	scratch_store_dwordx2 off, v[12:13], s33 offset:436 ; 8-byte Folded Spill
	v_lshl_add_u64 v[12:13], v[12:13], 0, s[78:79]
	scratch_store_dwordx2 off, v[12:13], s33 offset:328 ; 8-byte Folded Spill
	v_lshl_add_u64 v[12:13], v[92:93], 0, s[88:89]
	scratch_store_dword off, v20, s33 offset:508 ; 4-byte Folded Spill
	scratch_store_dwordx2 off, v[12:13], s33 offset:312 ; 8-byte Folded Spill
	v_mov_b64_e32 v[56:57], 0
	s_waitcnt vmcnt(5)
	v_cmp_eq_u64_e64 s[6:7], 0, v[8:9]
	v_cmp_ne_u64_e64 s[10:11], 0, v[8:9]
	v_lshl_or_b32 v8, v11, 13, v0
	v_and_b32_e32 v0, 1, v6
	v_cmp_eq_u32_e64 s[20:21], 1, v0
	v_mov_b32_e32 v11, v3
	v_lshlrev_b32_e32 v0, 1, v1
	scratch_store_dwordx2 off, v[10:11], s33 offset:320 ; 8-byte Folded Spill
	scratch_store_dwordx2 off, v[14:15], s33 offset:272 ; 8-byte Folded Spill
	scratch_store_dword off, v1, s33 offset:504 ; 4-byte Folded Spill
	v_and_b32_e32 v0, 0x7f80, v0
	v_mov_b32_e32 v1, v3
	v_add_u32_e32 v6, 0xffffff80, v0
	scratch_store_dwordx2 off, v[0:1], s33 offset:336 ; 8-byte Folded Spill
	v_or_b32_e32 v0, 0xc00, v16
	v_mov_b32_e32 v9, v3
	scratch_store_dwordx2 off, v[16:17], s33 offset:304 ; 8-byte Folded Spill
	scratch_store_dwordx2 off, v[0:1], s33 offset:484 ; 8-byte Folded Spill
	scratch_store_dwordx2 off, v[8:9], s33 offset:396 ; 8-byte Folded Spill
	v_or_b32_e32 v0, 0x1c00, v8
	scratch_store_dwordx2 off, v[0:1], s33 offset:444 ; 8-byte Folded Spill
	v_mov_b32_e32 v0, v3
	v_ashrrev_i32_e32 v7, 31, v6
	scratch_store_dwordx2 off, v[0:1], s33 offset:388 ; 8-byte Folded Spill
	v_lshl_add_u64 v[0:1], v[104:105], 0, s[92:93]
	scratch_store_dwordx2 off, v[0:1], s33 offset:256 ; 8-byte Folded Spill
	scratch_store_dwordx2 off, v[6:7], s33 offset:356 ; 8-byte Folded Spill
	v_lshl_add_u64 v[0:1], v[6:7], 0, s[92:93]
	scratch_load_dwordx4 v[6:9], off, s33 offset:460 ; 16-byte Folded Reload
	s_xor_b64 s[38:39], s[20:21], -1
	s_cmp_ge_i32 s8, s80
	s_cselect_b32 s9, s80, 0
	s_sub_i32 s72, s8, s9
	s_ashr_i32 s37, s72, 31
	s_add_i32 s62, s80, -2
	s_xor_b64 s[48:49], vcc, -1
	s_movk_i32 s8, 0x7fff
	s_mov_b32 s9, 0xffff0000
	scratch_store_dwordx2 off, v[0:1], s33 offset:364 ; 8-byte Folded Spill
	v_mov_b64_e32 v[10:11], 0
	scratch_store_dwordx2 off, v[2:3], s33 offset:420 ; 8-byte Folded Spill
	scratch_store_dwordx2 off, v[42:43], s33 offset:412 ; 8-byte Folded Spill
	s_waitcnt vmcnt(3)
	v_mov_b64_e32 v[0:1], v[6:7]
	s_branch .LBB36_47
.LBB36_45:                              ;   in Loop: Header=BB36_47 Depth=1
	s_or_b64 exec, exec, s[26:27]
.LBB36_46:                              ;   in Loop: Header=BB36_47 Depth=1
	s_or_b64 exec, exec, s[24:25]
	scratch_load_dwordx2 v[10:11], off, s33 offset:452 ; 8-byte Folded Reload
	scratch_load_dwordx4 v[6:9], off, s33 offset:460 ; 16-byte Folded Reload
	s_waitcnt vmcnt(0)
	v_lshl_add_u64 v[10:11], v[10:11], 0, v[42:43]
	v_mov_b64_e32 v[0:1], v[6:7]
	v_cmp_ge_i64_e32 vcc, v[10:11], v[0:1]
	s_or_b64 s[94:95], vcc, s[94:95]
	s_andn2_b64 exec, exec, s[94:95]
	s_cbranch_execz .LBB36_3629
.LBB36_47:                              ; =>This Loop Header: Depth=1
                                        ;     Child Loop BB36_57 Depth 2
                                        ;       Child Loop BB36_65 Depth 3
                                        ;       Child Loop BB36_89 Depth 3
                                        ;       Child Loop BB36_108 Depth 3
                                        ;       Child Loop BB36_133 Depth 3
                                        ;       Child Loop BB36_145 Depth 3
                                        ;       Child Loop BB36_161 Depth 3
                                        ;       Child Loop BB36_172 Depth 3
                                        ;       Child Loop BB36_186 Depth 3
                                        ;       Child Loop BB36_210 Depth 3
                                        ;     Child Loop BB36_228 Depth 2
                                        ;       Child Loop BB36_234 Depth 3
                                        ;       Child Loop BB36_258 Depth 3
	;; [unrolled: 1-line block ×3, first 2 shown]
                                        ;     Child Loop BB36_300 Depth 2
                                        ;       Child Loop BB36_303 Depth 3
                                        ;         Child Loop BB36_311 Depth 4
                                        ;         Child Loop BB36_339 Depth 4
	;; [unrolled: 1-line block ×5, first 2 shown]
                                        ;           Child Loop BB36_784 Depth 5
                                        ;           Child Loop BB36_821 Depth 5
                                        ;         Child Loop BB36_898 Depth 4
                                        ;         Child Loop BB36_1101 Depth 4
                                        ;           Child Loop BB36_1102 Depth 5
                                        ;           Child Loop BB36_1111 Depth 5
                                        ;         Child Loop BB36_1130 Depth 4
                                        ;         Child Loop BB36_1149 Depth 4
                                        ;       Child Loop BB36_1168 Depth 3
                                        ;         Child Loop BB36_1174 Depth 4
                                        ;         Child Loop BB36_1202 Depth 4
	;; [unrolled: 1-line block ×3, first 2 shown]
                                        ;     Child Loop BB36_1243 Depth 2
                                        ;       Child Loop BB36_1251 Depth 3
                                        ;       Child Loop BB36_1279 Depth 3
	;; [unrolled: 1-line block ×9, first 2 shown]
                                        ;         Child Loop BB36_1617 Depth 4
                                        ;       Child Loop BB36_1625 Depth 3
                                        ;       Child Loop BB36_1757 Depth 3
                                        ;         Child Loop BB36_1762 Depth 4
                                        ;       Child Loop BB36_2218 Depth 3
                                        ;       Child Loop BB36_2241 Depth 3
                                        ;     Child Loop BB36_2259 Depth 2
                                        ;       Child Loop BB36_2265 Depth 3
                                        ;       Child Loop BB36_2293 Depth 3
                                        ;       Child Loop BB36_2316 Depth 3
                                        ;     Child Loop BB36_2335 Depth 2
                                        ;       Child Loop BB36_2338 Depth 3
                                        ;         Child Loop BB36_2346 Depth 4
                                        ;         Child Loop BB36_2374 Depth 4
	;; [unrolled: 1-line block ×9, first 2 shown]
                                        ;           Child Loop BB36_2556 Depth 5
                                        ;         Child Loop BB36_2564 Depth 4
                                        ;         Child Loop BB36_2632 Depth 4
                                        ;           Child Loop BB36_2633 Depth 5
                                        ;         Child Loop BB36_2989 Depth 4
                                        ;         Child Loop BB36_3008 Depth 4
                                        ;       Child Loop BB36_3027 Depth 3
                                        ;         Child Loop BB36_3033 Depth 4
                                        ;         Child Loop BB36_3061 Depth 4
                                        ;         Child Loop BB36_3084 Depth 4
                                        ;     Child Loop BB36_3105 Depth 2
                                        ;       Child Loop BB36_3113 Depth 3
                                        ;       Child Loop BB36_3137 Depth 3
                                        ;       Child Loop BB36_3156 Depth 3
                                        ;       Child Loop BB36_3183 Depth 3
                                        ;       Child Loop BB36_3443 Depth 3
                                        ;       Child Loop BB36_3450 Depth 3
                                        ;       Child Loop BB36_3518 Depth 3
                                        ;       Child Loop BB36_3527 Depth 3
                                        ;       Child Loop BB36_3546 Depth 3
                                        ;     Child Loop BB36_3563 Depth 2
                                        ;       Child Loop BB36_3569 Depth 3
                                        ;       Child Loop BB36_3593 Depth 3
                                        ;       Child Loop BB36_3616 Depth 3
	v_sub_co_u32_e32 v0, vcc, v0, v10
	scratch_store_dwordx2 off, v[10:11], s33 offset:452 ; 8-byte Folded Spill
	s_nop 0
	v_subb_co_u32_e32 v1, vcc, v1, v11, vcc
	v_cmp_lt_i64_e32 vcc, v[0:1], v[42:43]
	scratch_store_dwordx2 off, v[0:1], s33 offset:404 ; 8-byte Folded Spill
	s_and_saveexec_b64 s[24:25], vcc
	s_cbranch_execz .LBB36_53
; %bb.48:                               ;   in Loop: Header=BB36_47 Depth=1
	scratch_load_dwordx2 v[0:1], off, s33 offset:404 ; 8-byte Folded Reload
	v_readlane_b32 s22, v126, 6
	v_readlane_b32 s23, v126, 7
	v_mov_b32_e32 v6, v3
                                        ; implicit-def: $vgpr8_vgpr9
	s_waitcnt vmcnt(0)
	v_lshl_add_u64 v[0:1], s[22:23], 0, v[0:1]
	v_or_b32_e32 v7, s81, v1
	v_cmp_ne_u64_e32 vcc, 0, v[6:7]
	s_and_saveexec_b64 s[22:23], vcc
	s_xor_b64 s[26:27], exec, s[22:23]
	s_cbranch_execz .LBB36_50
; %bb.49:                               ;   in Loop: Header=BB36_47 Depth=1
	s_ashr_i32 s28, s81, 31
	s_add_u32 s22, s80, s28
	s_mov_b32 s29, s28
	s_addc_u32 s23, s81, s28
	s_xor_b64 s[40:41], s[22:23], s[28:29]
	v_cvt_f32_u32_e32 v2, s40
	v_cvt_f32_u32_e32 v6, s41
	s_sub_u32 s29, 0, s40
	s_subb_u32 s42, 0, s41
	v_fmac_f32_e32 v2, 0x4f800000, v6
	v_rcp_f32_e32 v2, v2
	s_nop 0
	v_mul_f32_e32 v2, 0x5f7ffffc, v2
	v_mul_f32_e32 v6, 0x2f800000, v2
	v_trunc_f32_e32 v6, v6
	v_fmac_f32_e32 v2, 0xcf800000, v6
	v_cvt_u32_f32_e32 v6, v6
	v_cvt_u32_f32_e32 v2, v2
	v_readfirstlane_b32 s43, v6
	v_readfirstlane_b32 s22, v2
	s_mul_i32 s23, s29, s43
	s_mul_hi_u32 s45, s29, s22
	s_mul_i32 s44, s42, s22
	s_add_i32 s23, s45, s23
	s_add_i32 s23, s23, s44
	s_mul_i32 s46, s29, s22
	s_mul_i32 s45, s22, s23
	s_mul_hi_u32 s47, s22, s46
	s_mul_hi_u32 s44, s22, s23
	s_add_u32 s45, s47, s45
	s_addc_u32 s44, 0, s44
	s_mul_hi_u32 s56, s43, s46
	s_mul_i32 s46, s43, s46
	s_add_u32 s45, s45, s46
	s_mul_hi_u32 s47, s43, s23
	s_addc_u32 s44, s44, s56
	s_addc_u32 s45, s47, 0
	s_mul_i32 s23, s43, s23
	s_add_u32 s23, s44, s23
	s_addc_u32 s44, 0, s45
	s_add_u32 s45, s22, s23
	s_cselect_b64 s[22:23], -1, 0
	s_cmp_lg_u64 s[22:23], 0
	s_addc_u32 s43, s43, s44
	s_mul_i32 s22, s29, s43
	s_mul_hi_u32 s23, s29, s45
	s_add_i32 s22, s23, s22
	s_mul_i32 s42, s42, s45
	s_add_i32 s22, s22, s42
	s_mul_i32 s29, s29, s45
	s_mul_hi_u32 s42, s43, s29
	s_mul_i32 s44, s43, s29
	s_mul_i32 s47, s45, s22
	s_mul_hi_u32 s29, s45, s29
	s_mul_hi_u32 s46, s45, s22
	s_add_u32 s29, s29, s47
	s_addc_u32 s46, 0, s46
	s_add_u32 s29, s29, s44
	s_mul_hi_u32 s23, s43, s22
	s_addc_u32 s29, s46, s42
	s_addc_u32 s23, s23, 0
	s_mul_i32 s22, s43, s22
	s_add_u32 s22, s29, s22
	s_addc_u32 s29, 0, s23
	s_add_u32 s42, s45, s22
	v_ashrrev_i32_e32 v6, 31, v1
	s_cselect_b64 s[22:23], -1, 0
	v_mov_b32_e32 v7, v6
	s_cmp_lg_u64 s[22:23], 0
	v_lshl_add_u64 v[0:1], v[0:1], 0, v[6:7]
	s_addc_u32 s29, s43, s29
	v_xor_b32_e32 v12, v0, v6
	v_xor_b32_e32 v7, v1, v6
	v_mad_u64_u32 v[0:1], s[22:23], v12, s29, 0
	v_mul_hi_u32 v2, v12, s42
	v_lshl_add_u64 v[0:1], v[2:3], 0, v[0:1]
	v_mad_u64_u32 v[10:11], s[22:23], v7, s42, 0
	v_add_co_u32_e32 v0, vcc, v0, v10
	v_mad_u64_u32 v[8:9], s[22:23], v7, s29, 0
	s_nop 0
	v_addc_co_u32_e32 v2, vcc, v1, v11, vcc
	s_nop 1
	v_addc_co_u32_e32 v9, vcc, 0, v9, vcc
	v_lshl_add_u64 v[0:1], v[2:3], 0, v[8:9]
	v_mul_lo_u32 v2, s41, v0
	v_mul_lo_u32 v10, s40, v1
	v_mad_u64_u32 v[8:9], s[22:23], s40, v0, 0
	v_add3_u32 v2, v9, v10, v2
	v_sub_u32_e32 v9, v7, v2
	v_mov_b32_e32 v10, s41
	v_sub_co_u32_e32 v12, vcc, v12, v8
	s_nop 1
	v_subb_co_u32_e64 v8, s[22:23], v9, v10, vcc
	v_subrev_co_u32_e64 v9, s[22:23], s40, v12
	v_subb_co_u32_e32 v2, vcc, v7, v2, vcc
	s_nop 0
	v_subbrev_co_u32_e64 v8, s[22:23], 0, v8, s[22:23]
	v_cmp_le_u32_e64 s[22:23], s41, v8
	v_cmp_le_u32_e32 vcc, s41, v2
	s_nop 0
	v_cndmask_b32_e64 v10, 0, -1, s[22:23]
	v_cmp_le_u32_e64 s[22:23], s40, v9
	v_cndmask_b32_e64 v7, 0, -1, vcc
	v_cmp_le_u32_e32 vcc, s40, v12
	v_cndmask_b32_e64 v9, 0, -1, s[22:23]
	v_cmp_eq_u32_e64 s[22:23], s41, v8
	s_nop 1
	v_cndmask_b32_e64 v13, v10, v9, s[22:23]
	v_lshl_add_u64 v[8:9], v[0:1], 0, 2
	v_lshl_add_u64 v[10:11], v[0:1], 0, 1
	v_cmp_ne_u32_e64 s[22:23], 0, v13
	s_nop 1
	v_cndmask_b32_e64 v9, v11, v9, s[22:23]
	v_cndmask_b32_e64 v11, 0, -1, vcc
	v_cmp_eq_u32_e32 vcc, s41, v2
	s_nop 1
	v_cndmask_b32_e32 v2, v7, v11, vcc
	v_cmp_ne_u32_e32 vcc, 0, v2
	v_cndmask_b32_e64 v2, v10, v8, s[22:23]
	s_nop 0
	v_cndmask_b32_e32 v0, v0, v2, vcc
	v_xor_b32_e32 v2, s28, v6
	v_cndmask_b32_e32 v1, v1, v9, vcc
	v_xor_b32_e32 v0, v0, v2
	v_xor_b32_e32 v1, v1, v2
	v_sub_co_u32_e32 v8, vcc, v0, v2
	s_nop 1
	v_subb_co_u32_e32 v9, vcc, v1, v2, vcc
                                        ; implicit-def: $vgpr0_vgpr1
.LBB36_50:                              ;   in Loop: Header=BB36_47 Depth=1
	s_andn2_saveexec_b64 s[22:23], s[26:27]
	s_cbranch_execz .LBB36_52
; %bb.51:                               ;   in Loop: Header=BB36_47 Depth=1
	v_cvt_f32_u32_e32 v1, s80
	s_sub_i32 s26, 0, s80
	v_rcp_iflag_f32_e32 v1, v1
	s_nop 0
	v_mul_f32_e32 v1, 0x4f7ffffe, v1
	v_cvt_u32_f32_e32 v1, v1
	v_mul_lo_u32 v2, s26, v1
	v_mul_hi_u32 v2, v1, v2
	v_add_u32_e32 v1, v1, v2
	v_mul_hi_u32 v1, v0, v1
	v_mul_lo_u32 v2, v1, s80
	v_sub_u32_e32 v0, v0, v2
	v_add_u32_e32 v6, 1, v1
	v_subrev_u32_e32 v2, s80, v0
	v_cmp_le_u32_e32 vcc, s80, v0
	s_nop 1
	v_cndmask_b32_e32 v0, v0, v2, vcc
	v_cndmask_b32_e32 v1, v1, v6, vcc
	v_add_u32_e32 v2, 1, v1
	v_cmp_le_u32_e32 vcc, s80, v0
	s_nop 1
	v_cndmask_b32_e32 v2, v1, v2, vcc
	v_mov_b64_e32 v[8:9], v[2:3]
.LBB36_52:                              ;   in Loop: Header=BB36_47 Depth=1
	s_or_b64 exec, exec, s[22:23]
	v_lshl_add_u64 v[0:1], v[8:9], 0, 7
	v_and_b32_e32 v0, -8, v0
	scratch_store_dwordx2 off, v[0:1], s33 offset:420 ; 8-byte Folded Spill
.LBB36_53:                              ;   in Loop: Header=BB36_47 Depth=1
	s_or_b64 exec, exec, s[24:25]
	scratch_load_dwordx2 v[8:9], off, s33 offset:420 ; 8-byte Folded Reload
	v_mov_b32_e32 v31, v59
	v_mov_b32_e32 v118, 0
	s_waitcnt vmcnt(0)
	v_mul_lo_u32 v0, v9, s85
	v_mul_lo_u32 v1, v8, s36
	v_mad_u64_u32 v[58:59], s[22:23], v8, s85, 0
	v_add3_u32 v59, v59, v1, v0
	scratch_load_dwordx2 v[0:1], off, s33 offset:476 ; 8-byte Folded Reload
	scratch_load_dwordx2 v[6:7], off, s33 offset:452 ; 8-byte Folded Reload
	s_waitcnt vmcnt(0)
	v_lshl_add_u64 v[0:1], v[6:7], 0, v[0:1]
	scratch_store_dwordx2 off, v[0:1], s33 offset:380 ; 8-byte Folded Spill
	scratch_load_dwordx2 v[0:1], off, s33 offset:404 ; 8-byte Folded Reload
	s_waitcnt vmcnt(0)
	v_sub_co_u32_e32 v0, vcc, v0, v58
	s_nop 1
	v_subb_co_u32_e32 v1, vcc, v1, v59, vcc
	v_cmp_lt_i64_e32 vcc, v[8:9], v[0:1]
	v_mov_b32_e32 v1, 0
	s_nop 0
	v_cndmask_b32_e32 v2, v0, v8, vcc
	v_max_i32_e32 v6, 0, v2
	v_add_u32_e32 v0, 31, v6
	v_ashrrev_i32_e32 v7, 31, v0
	v_lshrrev_b32_e32 v7, 27, v7
	v_add_u32_e32 v0, v0, v7
	v_ashrrev_i32_e32 v0, 5, v0
	v_lshlrev_b32_e32 v0, 4, v0
	v_cmp_lt_i32_e32 vcc, 0, v2
	v_max_i32_e32 v0, s87, v0
	s_and_b64 s[22:23], s[48:49], vcc
	s_and_saveexec_b64 s[24:25], s[22:23]
	s_cbranch_execz .LBB36_224
; %bb.54:                               ;   in Loop: Header=BB36_47 Depth=1
	s_mov_b32 s73, 1
	s_mov_b64 s[28:29], -1
	v_mov_b32_e32 v118, 0
	s_mov_b64 s[26:27], 0
	s_branch .LBB36_57
.LBB36_55:                              ;   in Loop: Header=BB36_57 Depth=2
	s_or_b64 exec, exec, s[40:41]
	v_lshl_add_u64 v[4:5], v[4:5], 0, 2
	flat_store_dwordx2 v[40:41], v[4:5] sc0 sc1
.LBB36_56:                              ;   in Loop: Header=BB36_57 Depth=2
	s_or_b64 exec, exec, s[22:23]
	v_add_u32_e32 v118, v0, v118
	v_cmp_ge_i32_e32 vcc, v118, v6
	s_xor_b64 s[22:23], s[28:29], -1
	s_or_b64 s[22:23], s[22:23], vcc
	s_and_b64 s[22:23], exec, s[22:23]
	s_or_b64 s[26:27], s[22:23], s[26:27]
	s_mov_b64 s[28:29], 0
	v_mov_b32_e32 v1, s73
	s_mov_b32 s73, 2
	s_andn2_b64 exec, exec, s[26:27]
	s_cbranch_execz .LBB36_223
.LBB36_57:                              ;   Parent Loop BB36_47 Depth=1
                                        ; =>  This Loop Header: Depth=2
                                        ;       Child Loop BB36_65 Depth 3
                                        ;       Child Loop BB36_89 Depth 3
	;; [unrolled: 1-line block ×9, first 2 shown]
	s_and_saveexec_b64 s[22:23], s[0:1]
	s_cbranch_execz .LBB36_59
; %bb.58:                               ;   in Loop: Header=BB36_57 Depth=2
	s_trap 2
	scratch_load_dwordx2 v[10:11], off, s33 offset:380 ; 8-byte Folded Reload
	ds_read_b64 v[8:9], v0
	v_ashrrev_i32_e32 v119, 31, v118
	s_waitcnt vmcnt(0) lgkmcnt(0)
	v_lshl_add_u64 v[8:9], v[10:11], 1, v[8:9]
	v_lshl_add_u64 v[8:9], v[58:59], 1, v[8:9]
	;; [unrolled: 1-line block ×3, first 2 shown]
	ds_write_b64 v0, v[8:9]
	scratch_load_dwordx2 v[8:9], off, s33 offset:388 ; 8-byte Folded Reload
	s_waitcnt vmcnt(0)
	ds_write_b64 v0, v[8:9]
.LBB36_59:                              ;   in Loop: Header=BB36_57 Depth=2
	s_or_b64 exec, exec, s[22:23]
	v_sub_u32_e32 v1, v6, v118
	v_min_i32_e32 v0, v0, v1
	v_and_b32_e32 v1, 8, v79
	v_cmp_ne_u32_e32 vcc, 0, v1
	s_and_saveexec_b64 s[40:41], vcc
	s_cbranch_execz .LBB36_81
; %bb.60:                               ;   in Loop: Header=BB36_57 Depth=2
	s_waitcnt lgkmcnt(0)
	v_lshl_add_u64 v[10:11], v[46:47], 0, 8
	v_lshl_add_u64 v[8:9], v[4:5], 0, 2
	v_cmp_lt_u64_e32 vcc, v[10:11], v[8:9]
	s_and_saveexec_b64 s[42:43], vcc
	s_cbranch_execz .LBB36_72
; %bb.61:                               ;   in Loop: Header=BB36_57 Depth=2
	v_and_b32_e32 v1, 64, v79
	s_mov_b32 s74, 0
	v_cmp_eq_u32_e32 vcc, 0, v1
	s_mov_b64 s[44:45], 0
                                        ; implicit-def: $sgpr46_sgpr47
                                        ; implicit-def: $sgpr56_sgpr57
                                        ; implicit-def: $sgpr58_sgpr59
	s_branch .LBB36_65
.LBB36_62:                              ;   in Loop: Header=BB36_65 Depth=3
	s_waitcnt vmcnt(0) lgkmcnt(0)
	v_lshl_add_u64 v[10:11], v[46:47], 0, 8
	v_cmp_ge_u64_e64 s[22:23], v[10:11], v[8:9]
	s_or_b64 s[54:55], s[54:55], exec
	s_orn2_b64 s[52:53], s[22:23], exec
.LBB36_63:                              ;   in Loop: Header=BB36_65 Depth=3
	s_or_b64 exec, exec, s[66:67]
	s_andn2_b64 s[22:23], s[58:59], exec
	s_and_b64 s[58:59], s[54:55], exec
	s_or_b64 s[58:59], s[22:23], s[58:59]
	s_andn2_b64 s[22:23], s[56:57], exec
	s_and_b64 s[56:57], s[52:53], exec
	s_or_b64 s[56:57], s[22:23], s[56:57]
.LBB36_64:                              ;   in Loop: Header=BB36_65 Depth=3
	s_or_b64 exec, exec, s[60:61]
	s_and_b64 s[22:23], exec, s[56:57]
	s_or_b64 s[44:45], s[22:23], s[44:45]
	s_andn2_b64 s[22:23], s[46:47], exec
	s_and_b64 s[46:47], s[58:59], exec
	s_or_b64 s[46:47], s[22:23], s[46:47]
	s_andn2_b64 exec, exec, s[44:45]
	s_cbranch_execz .LBB36_69
.LBB36_65:                              ;   Parent Loop BB36_47 Depth=1
                                        ;     Parent Loop BB36_57 Depth=2
                                        ; =>    This Inner Loop Header: Depth=3
	s_sleep 1
	s_waitcnt vmcnt(0) lgkmcnt(0)
	flat_load_dwordx2 v[46:47], v[40:41] sc0 sc1
	s_or_b64 s[58:59], s[58:59], exec
	s_or_b64 s[56:57], s[56:57], exec
                                        ; implicit-def: $vgpr1
	s_and_saveexec_b64 s[60:61], vcc
	s_cbranch_execz .LBB36_64
; %bb.66:                               ;   in Loop: Header=BB36_65 Depth=3
	s_cmpk_lt_i32 s74, 0x270f
	s_cselect_b64 s[64:65], -1, 0
	s_cmpk_gt_i32 s74, 0x270e
	s_mov_b64 s[52:53], -1
	s_cbranch_scc0 .LBB36_68
; %bb.67:                               ;   in Loop: Header=BB36_65 Depth=3
	s_trap 2
	ds_read_b64 v[10:11], v0
	s_andn2_b64 s[64:65], s[64:65], exec
	s_mov_b32 s74, 0
	s_mov_b64 s[54:55], 0
	s_waitcnt vmcnt(0) lgkmcnt(0)
	flat_load_dword v1, v[10:11] sc0 sc1
	s_waitcnt vmcnt(0) lgkmcnt(0)
	buffer_inv sc0 sc1
	v_cmp_eq_u32_e64 s[22:23], 0, v1
	s_and_b64 s[22:23], s[22:23], exec
	s_or_b64 s[64:65], s[64:65], s[22:23]
	s_and_saveexec_b64 s[66:67], s[64:65]
	s_cbranch_execz .LBB36_63
	s_branch .LBB36_62
.LBB36_68:                              ;   in Loop: Header=BB36_65 Depth=3
	s_add_i32 s74, s74, 1
	s_mov_b64 s[54:55], -1
                                        ; implicit-def: $vgpr1
	s_and_saveexec_b64 s[66:67], s[64:65]
	s_cbranch_execz .LBB36_63
	s_branch .LBB36_62
.LBB36_69:                              ;   in Loop: Header=BB36_57 Depth=2
	s_or_b64 exec, exec, s[44:45]
	s_xor_b64 s[22:23], s[46:47], -1
	s_and_saveexec_b64 s[44:45], s[22:23]
	s_xor_b64 s[22:23], exec, s[44:45]
	s_cbranch_execz .LBB36_71
; %bb.70:                               ;   in Loop: Header=BB36_57 Depth=2
	v_or_b32_e32 v79, 64, v79
	s_waitcnt lgkmcnt(0)
	ds_write_b32 v0, v1
	s_trap 2
.LBB36_71:                              ;   in Loop: Header=BB36_57 Depth=2
	s_or_b64 exec, exec, s[22:23]
.LBB36_72:                              ;   in Loop: Header=BB36_57 Depth=2
	s_or_b64 exec, exec, s[42:43]
	v_and_b32_e32 v1, 0x100, v79
	v_cmp_ne_u32_e32 vcc, 0, v1
	s_waitcnt vmcnt(0)
	v_and_b32_e32 v2, 7, v4
	s_mov_b64 s[22:23], -1
	;;#ASMSTART
	s_wakeup
	;;#ASMEND
                                        ; implicit-def: $vgpr4_vgpr5
	s_and_saveexec_b64 s[42:43], vcc
	s_cbranch_execz .LBB36_76
; %bb.73:                               ;   in Loop: Header=BB36_57 Depth=2
	scratch_load_dwordx4 v[10:13], off, s33 offset:280 ; 16-byte Folded Reload
	v_ashrrev_i32_e32 v1, 31, v0
	v_lshlrev_b64 v[4:5], 1, v[0:1]
	s_waitcnt vmcnt(0)
	v_mad_u64_u32 v[10:11], s[22:23], v2, 24, v[10:11]
	flat_load_dword v7, v[10:11]
	s_waitcnt vmcnt(0) lgkmcnt(0)
	v_cmp_ne_u32_e32 vcc, 1, v7
	v_cmp_eq_u32_e64 s[22:23], 1, v7
	flat_store_dwordx2 v[10:11], v[4:5] offset:8
                                        ; implicit-def: $vgpr4_vgpr5
	s_and_saveexec_b64 s[44:45], s[22:23]
	s_cbranch_execz .LBB36_75
; %bb.74:                               ;   in Loop: Header=BB36_57 Depth=2
	flat_load_dword v4, v[10:11] offset:4 sc0 sc1
	s_waitcnt vmcnt(0) lgkmcnt(0)
	v_ashrrev_i32_e32 v5, 31, v4
	v_lshrrev_b64 v[4:5], 1, v[4:5]
.LBB36_75:                              ;   in Loop: Header=BB36_57 Depth=2
	s_or_b64 exec, exec, s[44:45]
	s_orn2_b64 s[22:23], vcc, exec
.LBB36_76:                              ;   in Loop: Header=BB36_57 Depth=2
	s_or_b64 exec, exec, s[42:43]
	s_and_saveexec_b64 s[42:43], s[22:23]
	s_cbranch_execz .LBB36_78
; %bb.77:                               ;   in Loop: Header=BB36_57 Depth=2
	scratch_load_dwordx2 v[4:5], off, s33 offset:348 ; 8-byte Folded Reload
	s_waitcnt vmcnt(0)
	v_mad_i64_i32 v[4:5], s[22:23], v2, v4, 0
.LBB36_78:                              ;   in Loop: Header=BB36_57 Depth=2
	s_or_b64 exec, exec, s[42:43]
	scratch_load_dwordx2 v[10:11], off, s33 offset:264 ; 8-byte Folded Reload
	v_and_b32_e32 v1, 0x2000, v79
	v_cmp_ne_u32_e32 vcc, 0, v1
	s_waitcnt vmcnt(0)
	v_lshl_add_u64 v[4:5], v[4:5], 1, v[10:11]
	ds_write_b64 v0, v[4:5] offset:784
	s_and_saveexec_b64 s[22:23], vcc
	s_cbranch_execz .LBB36_80
; %bb.79:                               ;   in Loop: Header=BB36_57 Depth=2
	ds_read_b64 v[4:5], v0 offset:872
	s_waitcnt lgkmcnt(0)
	v_lshl_add_u64 v[4:5], v[4:5], 0, 1
	ds_write_b64 v0, v[4:5] offset:872
.LBB36_80:                              ;   in Loop: Header=BB36_57 Depth=2
	s_or_b64 exec, exec, s[22:23]
	v_mov_b64_e32 v[4:5], v[8:9]
.LBB36_81:                              ;   in Loop: Header=BB36_57 Depth=2
	s_or_b64 exec, exec, s[40:41]
	s_and_saveexec_b64 s[22:23], s[4:5]
	s_cbranch_execz .LBB36_100
; %bb.82:                               ;   in Loop: Header=BB36_57 Depth=2
	s_and_saveexec_b64 s[40:41], s[76:77]
	s_xor_b64 s[40:41], exec, s[40:41]
	s_cbranch_execz .LBB36_97
; %bb.83:                               ;   in Loop: Header=BB36_57 Depth=2
	s_and_saveexec_b64 s[42:43], s[12:13]
	s_cbranch_execz .LBB36_96
; %bb.84:                               ;   in Loop: Header=BB36_57 Depth=2
	s_mov_b64 s[46:47], exec
	v_mbcnt_lo_u32_b32 v1, s46, 0
	v_mbcnt_hi_u32_b32 v1, s47, v1
	v_cmp_eq_u32_e32 vcc, 0, v1
	s_waitcnt lgkmcnt(0)
	s_and_saveexec_b64 s[44:45], vcc
	s_cbranch_execz .LBB36_86
; %bb.85:                               ;   in Loop: Header=BB36_57 Depth=2
	s_bcnt1_i32_b64 s46, s[46:47]
	s_waitcnt vmcnt(0)
	v_mov_b32_e32 v2, s46
	ds_add_u64 v0, v[2:3]
	s_trap 2
.LBB36_86:                              ;   in Loop: Header=BB36_57 Depth=2
	s_or_b64 exec, exec, s[44:45]
	s_trap 2
	ds_read_b64 v[8:9], v0
	s_waitcnt lgkmcnt(0)
	v_lshl_add_u64 v[56:57], v[56:57], 0, v[60:61]
	v_cmp_lt_u64_e32 vcc, v[8:9], v[56:57]
	s_and_saveexec_b64 s[44:45], vcc
	s_cbranch_execz .LBB36_95
; %bb.87:                               ;   in Loop: Header=BB36_57 Depth=2
	s_mov_b32 s74, 0
	s_mov_b64 s[46:47], 0
                                        ; implicit-def: $sgpr56_sgpr57
                                        ; implicit-def: $sgpr58_sgpr59
	s_branch .LBB36_89
.LBB36_88:                              ;   in Loop: Header=BB36_89 Depth=3
	s_or_b64 exec, exec, s[52:53]
	s_and_b64 s[60:61], exec, vcc
	s_or_b64 s[46:47], s[60:61], s[46:47]
	s_andn2_b64 s[56:57], s[56:57], exec
	s_and_b64 s[60:61], s[58:59], exec
	s_or_b64 s[56:57], s[56:57], s[60:61]
	s_andn2_b64 exec, exec, s[46:47]
	s_cbranch_execz .LBB36_93
.LBB36_89:                              ;   Parent Loop BB36_47 Depth=1
                                        ;     Parent Loop BB36_57 Depth=2
                                        ; =>    This Inner Loop Header: Depth=3
	s_add_i32 s74, s74, 1
	s_cmpk_lg_i32 s74, 0x2710
	s_cselect_b64 s[60:61], -1, 0
	s_and_b64 vcc, exec, s[60:61]
	s_cbranch_vccz .LBB36_91
; %bb.90:                               ;   in Loop: Header=BB36_89 Depth=3
	s_mov_b64 vcc, -1
	s_or_b64 s[58:59], s[58:59], exec
	s_and_saveexec_b64 s[52:53], s[60:61]
	s_cbranch_execz .LBB36_88
	s_branch .LBB36_92
.LBB36_91:                              ;   in Loop: Header=BB36_89 Depth=3
	s_trap 2
	ds_read_b64 v[8:9], v0
	s_andn2_b64 s[60:61], s[60:61], exec
	s_mov_b32 s74, 0
	s_waitcnt lgkmcnt(0)
	flat_load_dword v1, v[8:9] sc0 sc1
	s_waitcnt vmcnt(0) lgkmcnt(0)
	buffer_inv sc0 sc1
	v_cmp_eq_u32_e32 vcc, 0, v1
	s_and_b64 vcc, vcc, exec
	s_or_b64 s[60:61], s[60:61], vcc
	s_mov_b64 vcc, -1
	s_or_b64 s[58:59], s[58:59], exec
	s_and_saveexec_b64 s[52:53], s[60:61]
	s_cbranch_execz .LBB36_88
.LBB36_92:                              ;   in Loop: Header=BB36_89 Depth=3
	s_sleep 1
	s_trap 2
	ds_read_b64 v[8:9], v0
	s_waitcnt lgkmcnt(0)
	s_andn2_b64 s[58:59], s[58:59], exec
	v_cmp_ge_u64_e32 vcc, v[8:9], v[56:57]
	s_orn2_b64 vcc, vcc, exec
	s_branch .LBB36_88
.LBB36_93:                              ;   in Loop: Header=BB36_57 Depth=2
	s_or_b64 exec, exec, s[46:47]
	s_and_saveexec_b64 s[46:47], s[56:57]
	s_xor_b64 s[46:47], exec, s[46:47]
	s_cbranch_execz .LBB36_95
; %bb.94:                               ;   in Loop: Header=BB36_57 Depth=2
	v_mov_b32_e32 v1, 1
	ds_write_b32 v0, v1
	s_trap 2
.LBB36_95:                              ;   in Loop: Header=BB36_57 Depth=2
	s_or_b64 exec, exec, s[44:45]
	;;#ASMSTART
	s_wakeup
	;;#ASMEND
.LBB36_96:                              ;   in Loop: Header=BB36_57 Depth=2
	s_or_b64 exec, exec, s[42:43]
.LBB36_97:                              ;   in Loop: Header=BB36_57 Depth=2
	s_andn2_saveexec_b64 s[40:41], s[40:41]
	s_cbranch_execz .LBB36_99
; %bb.98:                               ;   in Loop: Header=BB36_57 Depth=2
	s_waitcnt lgkmcnt(0)
	s_barrier
.LBB36_99:                              ;   in Loop: Header=BB36_57 Depth=2
	s_or_b64 exec, exec, s[40:41]
.LBB36_100:                             ;   in Loop: Header=BB36_57 Depth=2
	s_or_b64 exec, exec, s[22:23]
	s_trap 2
	ds_read_b32 v1, v0
	s_waitcnt vmcnt(0)
	v_and_b32_e32 v2, 0x4000, v79
	v_cmp_ne_u32_e32 vcc, 0, v2
	s_xor_b64 s[22:23], s[2:3], -1
	s_and_b64 s[40:41], s[22:23], vcc
	s_and_saveexec_b64 s[22:23], s[40:41]
	s_cbranch_execz .LBB36_119
; %bb.101:                              ;   in Loop: Header=BB36_57 Depth=2
	s_and_saveexec_b64 s[40:41], s[76:77]
	s_xor_b64 s[40:41], exec, s[40:41]
	s_cbranch_execz .LBB36_116
; %bb.102:                              ;   in Loop: Header=BB36_57 Depth=2
	s_and_saveexec_b64 s[42:43], s[12:13]
	s_cbranch_execz .LBB36_115
; %bb.103:                              ;   in Loop: Header=BB36_57 Depth=2
	s_mov_b64 s[46:47], exec
	v_mbcnt_lo_u32_b32 v2, s46, 0
	v_mbcnt_hi_u32_b32 v2, s47, v2
	v_cmp_eq_u32_e32 vcc, 0, v2
	s_waitcnt lgkmcnt(0)
	s_and_saveexec_b64 s[44:45], vcc
	s_cbranch_execz .LBB36_105
; %bb.104:                              ;   in Loop: Header=BB36_57 Depth=2
	s_bcnt1_i32_b64 s46, s[46:47]
	v_mov_b32_e32 v2, s46
	ds_add_u64 v0, v[2:3]
	s_trap 2
.LBB36_105:                             ;   in Loop: Header=BB36_57 Depth=2
	s_or_b64 exec, exec, s[44:45]
	s_trap 2
	ds_read_b64 v[8:9], v0
	s_waitcnt lgkmcnt(0)
	v_lshl_add_u64 v[56:57], v[56:57], 0, v[60:61]
	v_cmp_lt_u64_e32 vcc, v[8:9], v[56:57]
	s_and_saveexec_b64 s[44:45], vcc
	s_cbranch_execz .LBB36_114
; %bb.106:                              ;   in Loop: Header=BB36_57 Depth=2
	s_mov_b32 s74, 0
	s_mov_b64 s[46:47], 0
                                        ; implicit-def: $sgpr56_sgpr57
                                        ; implicit-def: $sgpr58_sgpr59
	s_branch .LBB36_108
.LBB36_107:                             ;   in Loop: Header=BB36_108 Depth=3
	s_or_b64 exec, exec, s[52:53]
	s_and_b64 s[60:61], exec, vcc
	s_or_b64 s[46:47], s[60:61], s[46:47]
	s_andn2_b64 s[56:57], s[56:57], exec
	s_and_b64 s[60:61], s[58:59], exec
	s_or_b64 s[56:57], s[56:57], s[60:61]
	s_andn2_b64 exec, exec, s[46:47]
	s_cbranch_execz .LBB36_112
.LBB36_108:                             ;   Parent Loop BB36_47 Depth=1
                                        ;     Parent Loop BB36_57 Depth=2
                                        ; =>    This Inner Loop Header: Depth=3
	s_add_i32 s74, s74, 1
	s_cmpk_lg_i32 s74, 0x2710
	s_cselect_b64 s[60:61], -1, 0
	s_and_b64 vcc, exec, s[60:61]
	s_cbranch_vccz .LBB36_110
; %bb.109:                              ;   in Loop: Header=BB36_108 Depth=3
	s_mov_b64 vcc, -1
	s_or_b64 s[58:59], s[58:59], exec
	s_and_saveexec_b64 s[52:53], s[60:61]
	s_cbranch_execz .LBB36_107
	s_branch .LBB36_111
.LBB36_110:                             ;   in Loop: Header=BB36_108 Depth=3
	s_trap 2
	ds_read_b64 v[8:9], v0
	s_andn2_b64 s[60:61], s[60:61], exec
	s_mov_b32 s74, 0
	s_waitcnt lgkmcnt(0)
	flat_load_dword v2, v[8:9] sc0 sc1
	s_waitcnt vmcnt(0) lgkmcnt(0)
	buffer_inv sc0 sc1
	v_cmp_eq_u32_e32 vcc, 0, v2
	s_and_b64 vcc, vcc, exec
	s_or_b64 s[60:61], s[60:61], vcc
	s_mov_b64 vcc, -1
	s_or_b64 s[58:59], s[58:59], exec
	s_and_saveexec_b64 s[52:53], s[60:61]
	s_cbranch_execz .LBB36_107
.LBB36_111:                             ;   in Loop: Header=BB36_108 Depth=3
	s_sleep 1
	s_trap 2
	ds_read_b64 v[8:9], v0
	s_waitcnt lgkmcnt(0)
	s_andn2_b64 s[58:59], s[58:59], exec
	v_cmp_ge_u64_e32 vcc, v[8:9], v[56:57]
	s_orn2_b64 vcc, vcc, exec
	s_branch .LBB36_107
.LBB36_112:                             ;   in Loop: Header=BB36_57 Depth=2
	s_or_b64 exec, exec, s[46:47]
	s_and_saveexec_b64 s[46:47], s[56:57]
	s_xor_b64 s[46:47], exec, s[46:47]
	s_cbranch_execz .LBB36_114
; %bb.113:                              ;   in Loop: Header=BB36_57 Depth=2
	v_mov_b32_e32 v2, 1
	ds_write_b32 v0, v2
	s_trap 2
.LBB36_114:                             ;   in Loop: Header=BB36_57 Depth=2
	s_or_b64 exec, exec, s[44:45]
	;;#ASMSTART
	s_wakeup
	;;#ASMEND
.LBB36_115:                             ;   in Loop: Header=BB36_57 Depth=2
	s_or_b64 exec, exec, s[42:43]
.LBB36_116:                             ;   in Loop: Header=BB36_57 Depth=2
	s_andn2_saveexec_b64 s[40:41], s[40:41]
	s_cbranch_execz .LBB36_118
; %bb.117:                              ;   in Loop: Header=BB36_57 Depth=2
	s_waitcnt lgkmcnt(0)
	s_barrier
.LBB36_118:                             ;   in Loop: Header=BB36_57 Depth=2
	s_or_b64 exec, exec, s[40:41]
.LBB36_119:                             ;   in Loop: Header=BB36_57 Depth=2
	s_or_b64 exec, exec, s[22:23]
	s_trap 2
	ds_read_b64 v[44:45], v0
	s_waitcnt lgkmcnt(0)
	v_cmp_eq_u64_e32 vcc, 0, v[44:45]
	s_cbranch_vccnz .LBB36_127
; %bb.120:                              ;   in Loop: Header=BB36_57 Depth=2
	s_trap 2
	ds_read_b64 v[72:73], v0
	s_waitcnt lgkmcnt(0)
	v_cmp_eq_u64_e32 vcc, 0, v[72:73]
	s_cbranch_vccnz .LBB36_127
; %bb.121:                              ;   in Loop: Header=BB36_57 Depth=2
	s_mov_b64 s[40:41], -1
	s_and_saveexec_b64 s[22:23], s[14:15]
	s_cbranch_execz .LBB36_123
; %bb.122:                              ;   in Loop: Header=BB36_57 Depth=2
	ds_read_b32 v2, v0 offset:720
	s_waitcnt lgkmcnt(0)
	v_and_b32_e32 v2, 15, v2
	v_cmp_eq_u32_e32 vcc, 0, v2
	s_orn2_b64 s[40:41], vcc, exec
.LBB36_123:                             ;   in Loop: Header=BB36_57 Depth=2
	s_or_b64 exec, exec, s[22:23]
	s_and_saveexec_b64 s[22:23], s[16:17]
	s_cbranch_execz .LBB36_125
; %bb.124:                              ;   in Loop: Header=BB36_57 Depth=2
	ds_read_b32 v2, v0 offset:784
	s_waitcnt lgkmcnt(0)
	v_and_b32_e32 v2, 15, v2
	v_cmp_eq_u32_e32 vcc, 0, v2
	s_and_b64 s[42:43], s[40:41], vcc
	s_andn2_b64 s[40:41], s[40:41], exec
	s_and_b64 s[42:43], s[42:43], exec
	s_or_b64 s[40:41], s[40:41], s[42:43]
.LBB36_125:                             ;   in Loop: Header=BB36_57 Depth=2
	s_or_b64 exec, exec, s[22:23]
	s_xor_b64 s[40:41], s[40:41], -1
	v_cmp_eq_u32_e64 s[22:23], 0, v1
	v_cndmask_b32_e64 v1, 0, 1, s[40:41]
	s_mov_b64 s[42:43], -1
	v_cmp_ne_u32_e32 vcc, 0, v1
	s_cbranch_vccz .LBB36_128
; %bb.126:                              ;   in Loop: Header=BB36_57 Depth=2
	s_mov_b64 s[42:43], 0
	s_mov_b64 s[40:41], -1
	s_branch .LBB36_129
.LBB36_127:                             ;   in Loop: Header=BB36_57 Depth=2
	s_mov_b64 s[22:23], 0
	s_and_saveexec_b64 s[40:41], s[4:5]
	s_cbranch_execnz .LBB36_179
	s_branch .LBB36_197
.LBB36_128:                             ;   in Loop: Header=BB36_57 Depth=2
	s_mov_b64 s[40:41], 0
.LBB36_129:                             ;   in Loop: Header=BB36_57 Depth=2
	v_cndmask_b32_e64 v1, 0, v0, s[22:23]
	v_lshlrev_b32_e32 v2, 1, v1
	s_andn2_b64 vcc, exec, s[42:43]
	v_mov_b32_e32 v7, 0
	s_cbranch_vccnz .LBB36_137
; %bb.130:                              ;   in Loop: Header=BB36_57 Depth=2
	scratch_load_dword v8, off, s33 offset:344 ; 4-byte Folded Reload
	v_ashrrev_i32_e32 v7, 31, v2
	v_lshrrev_b32_e32 v7, 19, v7
	v_add_u32_e32 v7, v2, v7
	v_ashrrev_i32_e32 v7, 13, v7
	s_mov_b64 s[42:43], 0
                                        ; implicit-def: $vgpr12_vgpr13
                                        ; implicit-def: $vgpr16_vgpr17
                                        ; implicit-def: $vgpr20_vgpr21
                                        ; implicit-def: $vgpr24_vgpr25
                                        ; implicit-def: $vgpr32_vgpr33
                                        ; implicit-def: $vgpr36_vgpr37
                                        ; implicit-def: $vgpr48_vgpr49
	s_waitcnt vmcnt(0)
	v_lshrrev_b32_e32 v8, 6, v8
	v_sub_u32_e32 v30, v7, v8
	scratch_load_dwordx2 v[8:9], off, s33 offset:396 ; 8-byte Folded Reload
	v_cmp_lt_i32_e32 vcc, 0, v30
	s_waitcnt vmcnt(0)
	v_lshl_add_u64 v[74:75], v[72:73], 0, v[8:9]
                                        ; implicit-def: $vgpr8_vgpr9
	s_and_saveexec_b64 s[22:23], vcc
	s_cbranch_execz .LBB36_139
; %bb.131:                              ;   in Loop: Header=BB36_57 Depth=2
	scratch_load_dwordx2 v[8:9], off, s33 offset:396 ; 8-byte Folded Reload
	s_mov_b64 s[46:47], 0
                                        ; implicit-def: $sgpr44_sgpr45
                                        ; implicit-def: $vgpr12_vgpr13
                                        ; implicit-def: $vgpr16_vgpr17
                                        ; implicit-def: $vgpr20_vgpr21
                                        ; implicit-def: $vgpr24_vgpr25
                                        ; implicit-def: $vgpr32_vgpr33
                                        ; implicit-def: $vgpr36_vgpr37
                                        ; implicit-def: $vgpr48_vgpr49
	s_waitcnt vmcnt(0)
	v_lshl_add_u64 v[108:109], v[44:45], 0, v[8:9]
                                        ; implicit-def: $vgpr8_vgpr9
	s_branch .LBB36_133
.LBB36_132:                             ;   in Loop: Header=BB36_133 Depth=3
	s_or_b64 exec, exec, s[56:57]
	global_store_dwordx4 v[74:75], v[52:55], off
	global_store_dwordx4 v[74:75], v[64:67], off offset:1024
	global_store_dwordx4 v[74:75], v[68:71], off offset:2048
	;; [unrolled: 1-line block ×3, first 2 shown]
	v_add_co_u32_e32 v52, vcc, s63, v74
	v_sub_u32_e32 v30, v30, v116
	s_nop 0
	v_addc_co_u32_e32 v53, vcc, 0, v75, vcc
	v_cmp_gt_i32_e32 vcc, 1, v30
	s_or_b64 s[42:43], vcc, s[42:43]
	global_store_dwordx4 v[52:53], v[84:87], off
	global_store_dwordx4 v[52:53], v[96:99], off offset:1024
	global_store_dwordx4 v[52:53], v[100:103], off offset:2048
	;; [unrolled: 1-line block ×3, first 2 shown]
	s_waitcnt vmcnt(8)
	v_lshl_add_u64 v[52:53], v[74:75], 0, v[124:125]
	s_andn2_b64 s[44:45], s[44:45], exec
	s_and_b64 s[56:57], s[46:47], exec
	v_lshl_add_u64 v[74:75], v[52:53], 0, s[78:79]
	v_lshl_add_u64 v[108:109], v[108:109], 0, v[124:125]
	s_or_b64 s[44:45], s[44:45], s[56:57]
	s_andn2_b64 exec, exec, s[42:43]
	s_cbranch_execz .LBB36_138
.LBB36_133:                             ;   Parent Loop BB36_47 Depth=1
                                        ;     Parent Loop BB36_57 Depth=2
                                        ; =>    This Inner Loop Header: Depth=3
	v_add_co_u32_e32 v112, vcc, 0x1000, v108
	global_load_dwordx4 v[52:55], v[108:109], off nt
	global_load_dwordx4 v[64:67], v[108:109], off offset:1024 nt
	global_load_dwordx4 v[68:71], v[108:109], off offset:2048 nt
	;; [unrolled: 1-line block ×3, first 2 shown]
	v_addc_co_u32_e32 v113, vcc, 0, v109, vcc
	global_load_dwordx4 v[84:87], v[112:113], off nt
	global_load_dwordx4 v[96:99], v[112:113], off offset:1024 nt
	global_load_dwordx4 v[100:103], v[112:113], off offset:2048 nt
	s_nop 0
	global_load_dwordx4 v[112:115], v[112:113], off offset:3072 nt
	s_and_saveexec_b64 s[56:57], s[46:47]
	s_cbranch_execz .LBB36_135
; %bb.134:                              ;   in Loop: Header=BB36_133 Depth=3
	v_add_co_u32_e32 v116, vcc, 0x1000, v74
	global_store_dwordx4 v[74:75], v[8:11], off
	global_store_dwordx4 v[74:75], v[12:15], off offset:1024
	global_store_dwordx4 v[74:75], v[16:19], off offset:2048
	global_store_dwordx4 v[74:75], v[20:23], off offset:3072
	v_addc_co_u32_e32 v117, vcc, 0, v75, vcc
	global_store_dwordx4 v[116:117], v[24:27], off
	global_store_dwordx4 v[116:117], v[32:35], off offset:1024
	global_store_dwordx4 v[116:117], v[36:39], off offset:2048
	;; [unrolled: 1-line block ×3, first 2 shown]
	scratch_load_dwordx2 v[116:117], off, s33 offset:328 ; 8-byte Folded Reload
	s_waitcnt vmcnt(0)
	v_lshl_add_u64 v[74:75], v[74:75], 0, v[116:117]
.LBB36_135:                             ;   in Loop: Header=BB36_133 Depth=3
	s_or_b64 exec, exec, s[56:57]
	scratch_load_dwordx2 v[116:117], off, s33 offset:328 ; 8-byte Folded Reload
	v_sub_u32_e32 v30, v30, v60
	v_cmp_lt_i32_e64 s[46:47], 0, v30
	v_mov_b64_e32 v[124:125], 0
	s_waitcnt vmcnt(0)
	v_lshl_add_u64 v[108:109], v[108:109], 0, v[116:117]
	v_mov_b32_e32 v116, 0
	s_and_saveexec_b64 s[56:57], s[46:47]
	s_cbranch_execz .LBB36_132
; %bb.136:                              ;   in Loop: Header=BB36_133 Depth=3
	v_add_co_u32_e32 v48, vcc, s63, v108
	global_load_dwordx4 v[8:11], v[108:109], off nt
	global_load_dwordx4 v[12:15], v[108:109], off offset:1024 nt
	global_load_dwordx4 v[16:19], v[108:109], off offset:2048 nt
	;; [unrolled: 1-line block ×3, first 2 shown]
	v_addc_co_u32_e32 v49, vcc, 0, v109, vcc
	global_load_dwordx4 v[24:27], v[48:49], off nt
	global_load_dwordx4 v[32:35], v[48:49], off offset:1024 nt
	global_load_dwordx4 v[36:39], v[48:49], off offset:2048 nt
	s_nop 0
	global_load_dwordx4 v[48:51], v[48:49], off offset:3072 nt
	v_lshl_add_u64 v[108:109], v[108:109], 0, s[78:79]
	scratch_load_dwordx2 v[124:125], off, s33 offset:436 ; 8-byte Folded Reload
	v_mov_b32_e32 v116, v60
	s_branch .LBB36_132
.LBB36_137:                             ;   in Loop: Header=BB36_57 Depth=2
	scratch_load_dword v9, off, s33 offset:344 ; 4-byte Folded Reload
	s_waitcnt vmcnt(0)
	v_mov_b32_e32 v8, v9
	v_and_b32_e32 v14, 63, v9
	s_and_saveexec_b64 s[22:23], s[40:41]
	s_cbranch_execnz .LBB36_158
	s_branch .LBB36_178
.LBB36_138:                             ;   in Loop: Header=BB36_57 Depth=2
	s_or_b64 exec, exec, s[42:43]
	s_and_b64 s[42:43], s[44:45], exec
.LBB36_139:                             ;   in Loop: Header=BB36_57 Depth=2
	s_or_b64 exec, exec, s[22:23]
	s_and_saveexec_b64 s[22:23], s[42:43]
	s_cbranch_execz .LBB36_141
; %bb.140:                              ;   in Loop: Header=BB36_57 Depth=2
	global_store_dwordx4 v[74:75], v[8:11], off
	global_store_dwordx4 v[74:75], v[12:15], off offset:1024
	global_store_dwordx4 v[74:75], v[16:19], off offset:2048
	;; [unrolled: 1-line block ×3, first 2 shown]
	v_add_co_u32_e32 v8, vcc, 0x1000, v74
	s_nop 1
	v_addc_co_u32_e32 v9, vcc, 0, v75, vcc
	global_store_dwordx4 v[8:9], v[24:27], off
	global_store_dwordx4 v[8:9], v[32:35], off offset:1024
	global_store_dwordx4 v[8:9], v[36:39], off offset:2048
	;; [unrolled: 1-line block ×3, first 2 shown]
.LBB36_141:                             ;   in Loop: Header=BB36_57 Depth=2
	s_or_b64 exec, exec, s[22:23]
	v_lshlrev_b32_e32 v20, 13, v7
	v_cmp_ne_u32_e32 vcc, v2, v20
                                        ; implicit-def: $vgpr7
                                        ; implicit-def: $vgpr8
                                        ; implicit-def: $vgpr14
	s_and_saveexec_b64 s[42:43], vcc
	s_cbranch_execz .LBB36_157
; %bb.142:                              ;   in Loop: Header=BB36_57 Depth=2
	scratch_load_dword v9, off, s33 offset:344 ; 4-byte Folded Reload
	v_lshlrev_b32_e32 v7, 6, v30
	v_sub_u32_e32 v8, v2, v20
	s_mov_b64 s[46:47], 0
	s_waitcnt vmcnt(0)
	v_and_b32_e32 v9, 63, v9
	v_sub_u32_e32 v7, v9, v7
	v_ashrrev_i32_e32 v9, 31, v7
	v_lshrrev_b32_e32 v9, 26, v9
	v_add_u32_e32 v9, v7, v9
	v_ashrrev_i32_e32 v11, 6, v9
	v_and_b32_e32 v9, 0xffffffc0, v9
	v_sub_u32_e32 v21, v7, v9
	v_ashrrev_i32_e32 v9, 31, v8
	v_lshrrev_b32_e32 v9, 22, v9
	v_add_u32_e32 v9, v8, v9
	v_and_b32_e32 v22, 0xfffffc00, v9
	v_lshlrev_b32_e32 v7, 4, v21
	v_sub_u32_e32 v24, v8, v22
	v_lshl_add_u32 v7, v11, 10, v7
	v_ashrrev_i32_e32 v12, 10, v9
	v_cmp_lt_i32_e32 vcc, 15, v24
	v_add_u32_e32 v10, v7, v20
	v_sub_u32_e32 v7, v8, v7
	v_addc_co_u32_e64 v8, s[22:23], 0, v12, vcc
	v_sub_u32_e32 v23, v8, v11
	v_ashrrev_i32_e32 v11, 31, v10
	v_lshl_add_u64 v[16:17], v[10:11], 0, v[72:73]
	v_cmp_lt_i32_e64 s[22:23], 15, v7
                                        ; implicit-def: $vgpr8_vgpr9
	s_and_saveexec_b64 s[44:45], s[22:23]
	s_cbranch_execz .LBB36_152
; %bb.143:                              ;   in Loop: Header=BB36_57 Depth=2
	v_lshl_add_u64 v[18:19], v[10:11], 0, v[44:45]
	s_mov_b64 s[58:59], 0
                                        ; implicit-def: $sgpr56_sgpr57
                                        ; implicit-def: $vgpr8_vgpr9
	s_branch .LBB36_145
.LBB36_144:                             ;   in Loop: Header=BB36_145 Depth=3
	s_or_b64 exec, exec, s[22:23]
	v_cmp_gt_i32_e64 s[22:23], 16, v7
	s_or_b64 s[46:47], s[22:23], s[46:47]
	s_andn2_b64 s[22:23], s[56:57], exec
	s_and_b64 s[56:57], s[58:59], exec
	s_or_b64 s[56:57], s[22:23], s[56:57]
	s_andn2_b64 exec, exec, s[46:47]
	s_cbranch_execz .LBB36_151
.LBB36_145:                             ;   Parent Loop BB36_47 Depth=1
                                        ;     Parent Loop BB36_57 Depth=2
                                        ; =>    This Inner Loop Header: Depth=3
	global_load_dwordx4 v[12:15], v[18:19], off nt
	s_and_saveexec_b64 s[22:23], s[58:59]
	s_cbranch_execz .LBB36_147
; %bb.146:                              ;   in Loop: Header=BB36_145 Depth=3
	scratch_load_dwordx2 v[26:27], off, s33 offset:312 ; 8-byte Folded Reload
	s_waitcnt vmcnt(0)
	v_lshl_add_u64 v[26:27], v[16:17], 0, v[26:27]
	global_store_dwordx4 v[16:17], v[8:11], off
	v_mov_b64_e32 v[16:17], v[26:27]
.LBB36_147:                             ;   in Loop: Header=BB36_145 Depth=3
	s_or_b64 exec, exec, s[22:23]
	scratch_load_dwordx2 v[26:27], off, s33 offset:312 ; 8-byte Folded Reload
	v_sub_u32_e32 v7, v7, v76
	v_cmp_lt_i32_e64 s[58:59], 15, v7
	s_waitcnt vmcnt(0)
	v_lshl_add_u64 v[18:19], v[18:19], 0, v[26:27]
	s_and_saveexec_b64 s[22:23], s[58:59]
	s_cbranch_execz .LBB36_149
; %bb.148:                              ;   in Loop: Header=BB36_145 Depth=3
	global_load_dwordx4 v[8:11], v[18:19], off nt
	v_lshl_add_u64 v[18:19], v[18:19], 0, s[88:89]
.LBB36_149:                             ;   in Loop: Header=BB36_145 Depth=3
	s_or_b64 exec, exec, s[22:23]
	v_sub_u32_e32 v23, v23, v60
	global_store_dwordx4 v[16:17], v[12:15], off
	v_lshl_add_u64 v[16:17], v[16:17], 0, s[88:89]
	s_and_saveexec_b64 s[22:23], s[58:59]
	s_cbranch_execz .LBB36_144
; %bb.150:                              ;   in Loop: Header=BB36_145 Depth=3
	v_sub_u32_e32 v23, v23, v60
	v_sub_u32_e32 v7, v7, v76
	v_lshl_add_u64 v[18:19], v[18:19], 0, v[92:93]
	v_lshl_add_u64 v[16:17], v[16:17], 0, v[92:93]
	s_branch .LBB36_144
.LBB36_151:                             ;   in Loop: Header=BB36_57 Depth=2
	s_or_b64 exec, exec, s[46:47]
	s_and_b64 s[46:47], s[56:57], exec
.LBB36_152:                             ;   in Loop: Header=BB36_57 Depth=2
	s_or_b64 exec, exec, s[44:45]
	s_and_saveexec_b64 s[22:23], s[46:47]
	s_cbranch_execz .LBB36_154
; %bb.153:                              ;   in Loop: Header=BB36_57 Depth=2
	s_waitcnt vmcnt(1)
	global_store_dwordx4 v[16:17], v[8:11], off
.LBB36_154:                             ;   in Loop: Header=BB36_57 Depth=2
	s_or_b64 exec, exec, s[22:23]
	s_waitcnt vmcnt(1)
	v_and_b32_e32 v9, 14, v2
	v_cndmask_b32_e32 v2, v24, v9, vcc
	v_cmp_ne_u32_e64 s[22:23], 0, v2
	s_mov_b64 s[46:47], s[40:41]
                                        ; implicit-def: $vgpr7
                                        ; implicit-def: $vgpr8
                                        ; implicit-def: $vgpr14
	s_and_saveexec_b64 s[44:45], s[22:23]
	s_cbranch_execz .LBB36_156
; %bb.155:                              ;   in Loop: Header=BB36_57 Depth=2
	v_sub_u32_e32 v7, v24, v9
	v_cndmask_b32_e32 v7, 0, v7, vcc
	v_cmp_lt_i32_e32 vcc, 0, v23
	v_add3_u32 v7, v22, v20, v7
	s_or_b64 s[46:47], s[40:41], exec
	v_cndmask_b32_e32 v8, 0, v60, vcc
	v_sub_u32_e32 v8, v8, v23
	v_lshl_add_u32 v8, v8, 6, v21
	v_ashrrev_i32_e32 v9, 31, v8
	v_lshrrev_b32_e32 v9, 26, v9
	v_add_u32_e32 v9, v8, v9
	v_and_b32_e32 v9, 0xffffffc0, v9
	v_sub_u32_e32 v14, v8, v9
.LBB36_156:                             ;   in Loop: Header=BB36_57 Depth=2
	s_or_b64 exec, exec, s[44:45]
	s_andn2_b64 s[22:23], s[40:41], exec
	s_and_b64 s[40:41], s[46:47], exec
	s_or_b64 s[40:41], s[22:23], s[40:41]
.LBB36_157:                             ;   in Loop: Header=BB36_57 Depth=2
	s_or_b64 exec, exec, s[42:43]
	s_and_saveexec_b64 s[22:23], s[40:41]
	s_cbranch_execz .LBB36_178
.LBB36_158:                             ;   in Loop: Header=BB36_57 Depth=2
	v_ashrrev_i32_e32 v9, 31, v8
	v_lshrrev_b32_e32 v9, 26, v9
	v_add_u32_e32 v8, v8, v9
	v_ashrrev_i32_e32 v8, 6, v8
	v_lshlrev_b32_e32 v9, 11, v8
	v_lshlrev_b32_e32 v10, 1, v14
	v_add3_u32 v10, v7, v10, v9
	v_ashrrev_i32_e32 v9, 31, v2
	v_lshrrev_b32_e32 v9, 21, v9
	v_add_u32_e32 v9, v2, v9
	v_ashrrev_i32_e32 v15, 11, v9
	v_sub_u32_e32 v12, v15, v8
	v_ashrrev_i32_e32 v11, 31, v10
	v_lshl_add_u64 v[8:9], v[72:73], 0, v[10:11]
	v_cmp_lt_i32_e32 vcc, 0, v12
	s_mov_b64 s[42:43], 0
                                        ; implicit-def: $vgpr16
                                        ; implicit-def: $vgpr17
                                        ; implicit-def: $vgpr18
                                        ; implicit-def: $vgpr19
                                        ; implicit-def: $vgpr20
                                        ; implicit-def: $vgpr21
                                        ; implicit-def: $vgpr22
                                        ; implicit-def: $vgpr23
                                        ; implicit-def: $vgpr24
                                        ; implicit-def: $vgpr25
                                        ; implicit-def: $vgpr26
                                        ; implicit-def: $vgpr27
                                        ; implicit-def: $vgpr30
                                        ; implicit-def: $vgpr32
                                        ; implicit-def: $vgpr33
                                        ; implicit-def: $vgpr34
	s_and_saveexec_b64 s[40:41], vcc
	s_cbranch_execz .LBB36_166
; %bb.159:                              ;   in Loop: Header=BB36_57 Depth=2
	v_lshl_add_u64 v[10:11], v[10:11], 0, v[44:45]
	s_mov_b64 s[46:47], 0
                                        ; implicit-def: $sgpr44_sgpr45
                                        ; implicit-def: $vgpr16
                                        ; implicit-def: $vgpr17
                                        ; implicit-def: $vgpr18
                                        ; implicit-def: $vgpr19
                                        ; implicit-def: $vgpr20
                                        ; implicit-def: $vgpr21
                                        ; implicit-def: $vgpr22
                                        ; implicit-def: $vgpr23
                                        ; implicit-def: $vgpr24
                                        ; implicit-def: $vgpr25
                                        ; implicit-def: $vgpr26
                                        ; implicit-def: $vgpr27
                                        ; implicit-def: $vgpr30
                                        ; implicit-def: $vgpr32
                                        ; implicit-def: $vgpr33
                                        ; implicit-def: $vgpr34
	s_branch .LBB36_161
.LBB36_160:                             ;   in Loop: Header=BB36_161 Depth=3
	s_or_b64 exec, exec, s[56:57]
	s_waitcnt vmcnt(0) lgkmcnt(0)
	flat_store_short v[8:9], v35 nt
	flat_store_short v[8:9], v36 offset:128 nt
	flat_store_short v[8:9], v37 offset:256 nt
	;; [unrolled: 1-line block ×15, first 2 shown]
	v_lshl_add_u64 v[8:9], v[8:9], 0, v[12:13]
	v_lshl_add_u64 v[10:11], v[10:11], 0, v[12:13]
	v_sub_u32_e32 v12, v67, v68
	v_cmp_gt_i32_e32 vcc, 1, v12
	s_or_b64 s[42:43], vcc, s[42:43]
	s_andn2_b64 s[44:45], s[44:45], exec
	s_and_b64 s[56:57], s[46:47], exec
	v_lshl_add_u64 v[8:9], v[8:9], 0, s[90:91]
	s_or_b64 s[44:45], s[44:45], s[56:57]
	s_andn2_b64 exec, exec, s[42:43]
	s_cbranch_execz .LBB36_165
.LBB36_161:                             ;   Parent Loop BB36_47 Depth=1
                                        ;     Parent Loop BB36_57 Depth=2
                                        ; =>    This Inner Loop Header: Depth=3
	flat_load_ushort v35, v[10:11] nt
	flat_load_ushort v36, v[10:11] offset:128 nt
	flat_load_ushort v37, v[10:11] offset:256 nt
	;; [unrolled: 1-line block ×15, first 2 shown]
	s_and_saveexec_b64 s[56:57], s[46:47]
	s_cbranch_execz .LBB36_163
; %bb.162:                              ;   in Loop: Header=BB36_161 Depth=3
	flat_store_short v[8:9], v16 nt
	flat_store_short v[8:9], v17 offset:128 nt
	flat_store_short v[8:9], v18 offset:256 nt
	;; [unrolled: 1-line block ×15, first 2 shown]
	v_lshl_add_u64 v[8:9], v[8:9], 0, v[120:121]
.LBB36_163:                             ;   in Loop: Header=BB36_161 Depth=3
	s_or_b64 exec, exec, s[56:57]
	v_sub_u32_e32 v67, v12, v60
	v_lshl_add_u64 v[10:11], v[10:11], 0, v[120:121]
	v_mov_b32_e32 v68, 0
	v_cmp_lt_i32_e64 s[46:47], 0, v67
	v_mov_b64_e32 v[12:13], 0
	s_and_saveexec_b64 s[56:57], s[46:47]
	s_cbranch_execz .LBB36_160
; %bb.164:                              ;   in Loop: Header=BB36_161 Depth=3
	flat_load_ushort v16, v[10:11] nt
	flat_load_ushort v17, v[10:11] offset:128 nt
	flat_load_ushort v18, v[10:11] offset:256 nt
	;; [unrolled: 1-line block ×15, first 2 shown]
	v_lshl_add_u64 v[10:11], v[10:11], 0, s[90:91]
	v_mov_b32_e32 v68, v60
	v_mov_b64_e32 v[12:13], v[94:95]
	s_branch .LBB36_160
.LBB36_165:                             ;   in Loop: Header=BB36_57 Depth=2
	s_or_b64 exec, exec, s[42:43]
	s_and_b64 s[42:43], s[44:45], exec
.LBB36_166:                             ;   in Loop: Header=BB36_57 Depth=2
	s_or_b64 exec, exec, s[40:41]
	s_and_saveexec_b64 s[40:41], s[42:43]
	s_cbranch_execz .LBB36_168
; %bb.167:                              ;   in Loop: Header=BB36_57 Depth=2
	flat_store_short v[8:9], v16 nt
	flat_store_short v[8:9], v17 offset:128 nt
	flat_store_short v[8:9], v18 offset:256 nt
	;; [unrolled: 1-line block ×15, first 2 shown]
.LBB36_168:                             ;   in Loop: Header=BB36_57 Depth=2
	s_or_b64 exec, exec, s[40:41]
	v_lshlrev_b32_e32 v8, 11, v15
	v_cmp_ne_u32_e32 vcc, v2, v8
	s_and_b64 exec, exec, vcc
	s_cbranch_execz .LBB36_178
; %bb.169:                              ;   in Loop: Header=BB36_57 Depth=2
	v_lshlrev_b32_e32 v9, 6, v12
	v_sub_u32_e32 v9, v14, v9
	v_ashrrev_i32_e32 v10, 31, v9
	v_lshrrev_b32_e32 v10, 26, v10
	v_add_u32_e32 v10, v9, v10
	v_and_b32_e32 v11, 0x7fffffc0, v10
	v_sub_u32_e32 v9, v9, v11
	v_lshlrev_b32_e32 v10, 1, v10
	v_and_b32_e32 v10, 0xffffff80, v10
	v_lshlrev_b32_e32 v9, 1, v9
	v_add3_u32 v8, v10, v9, v8
	v_sub_u32_e32 v12, v2, v8
	v_cmp_lt_i32_e32 vcc, 1, v12
	s_and_b64 exec, exec, vcc
	s_cbranch_execz .LBB36_178
; %bb.170:                              ;   in Loop: Header=BB36_57 Depth=2
	scratch_load_dwordx2 v[16:17], off, s33 offset:256 ; 8-byte Folded Reload
	v_add_u32_e32 v10, v8, v7
	v_ashrrev_i32_e32 v11, 31, v10
	v_lshl_add_u64 v[8:9], v[72:73], 0, v[10:11]
	v_lshl_add_u64 v[10:11], v[10:11], 0, v[44:45]
	s_mov_b64 s[44:45], 0
	s_mov_b64 s[40:41], 0
                                        ; implicit-def: $sgpr42_sgpr43
                                        ; implicit-def: $vgpr2
	s_branch .LBB36_172
.LBB36_171:                             ;   in Loop: Header=BB36_172 Depth=3
	s_or_b64 exec, exec, s[46:47]
	s_waitcnt lgkmcnt(0)
	flat_store_short v[8:9], v7 nt
	v_lshl_add_u64 v[8:9], v[8:9], 0, v[12:13]
	v_lshl_add_u64 v[10:11], v[10:11], 0, v[12:13]
	v_sub_u32_e32 v12, v14, v15
	v_cmp_gt_i32_e32 vcc, 2, v12
	s_or_b64 s[40:41], vcc, s[40:41]
	s_andn2_b64 s[42:43], s[42:43], exec
	s_and_b64 s[46:47], s[44:45], exec
	v_lshl_add_u64 v[8:9], v[8:9], 0, s[92:93]
	s_or_b64 s[42:43], s[42:43], s[46:47]
	s_andn2_b64 exec, exec, s[40:41]
	s_cbranch_execz .LBB36_176
.LBB36_172:                             ;   Parent Loop BB36_47 Depth=1
                                        ;     Parent Loop BB36_57 Depth=2
                                        ; =>    This Inner Loop Header: Depth=3
	flat_load_ushort v7, v[10:11] nt
	s_and_saveexec_b64 s[46:47], s[44:45]
	s_cbranch_execz .LBB36_174
; %bb.173:                              ;   in Loop: Header=BB36_172 Depth=3
	s_waitcnt vmcnt(0)
	v_lshl_add_u64 v[14:15], v[8:9], 0, v[16:17]
	flat_store_short v[8:9], v2 nt
	v_mov_b64_e32 v[8:9], v[14:15]
.LBB36_174:                             ;   in Loop: Header=BB36_172 Depth=3
	s_or_b64 exec, exec, s[46:47]
	v_sub_u32_e32 v14, v12, v31
	s_waitcnt vmcnt(0)
	v_lshl_add_u64 v[10:11], v[10:11], 0, v[16:17]
	v_cmp_lt_i32_e64 s[44:45], 1, v14
	v_mov_b64_e32 v[12:13], 0
	v_mov_b32_e32 v15, 0
	s_and_saveexec_b64 s[46:47], s[44:45]
	s_cbranch_execz .LBB36_171
; %bb.175:                              ;   in Loop: Header=BB36_172 Depth=3
	flat_load_ushort v2, v[10:11] nt
	v_lshl_add_u64 v[10:11], v[10:11], 0, s[92:93]
	v_mov_b32_e32 v15, v31
	v_mov_b64_e32 v[12:13], v[104:105]
	s_branch .LBB36_171
.LBB36_176:                             ;   in Loop: Header=BB36_57 Depth=2
	s_or_b64 exec, exec, s[40:41]
	s_and_b64 exec, exec, s[42:43]
	s_cbranch_execz .LBB36_178
; %bb.177:                              ;   in Loop: Header=BB36_57 Depth=2
	s_waitcnt vmcnt(0)
	flat_store_short v[8:9], v2 nt
.LBB36_178:                             ;   in Loop: Header=BB36_57 Depth=2
	s_or_b64 exec, exec, s[22:23]
	v_cmp_lt_i32_e64 s[22:23], 0, v1
	s_and_saveexec_b64 s[40:41], s[4:5]
	s_cbranch_execz .LBB36_197
.LBB36_179:                             ;   in Loop: Header=BB36_57 Depth=2
	s_and_saveexec_b64 s[42:43], s[76:77]
	s_xor_b64 s[42:43], exec, s[42:43]
	s_cbranch_execz .LBB36_194
; %bb.180:                              ;   in Loop: Header=BB36_57 Depth=2
	s_and_saveexec_b64 s[44:45], s[12:13]
	s_cbranch_execz .LBB36_193
; %bb.181:                              ;   in Loop: Header=BB36_57 Depth=2
	s_mov_b64 s[56:57], exec
	v_mbcnt_lo_u32_b32 v1, s56, 0
	v_mbcnt_hi_u32_b32 v1, s57, v1
	v_cmp_eq_u32_e32 vcc, 0, v1
	s_waitcnt lgkmcnt(0)
	s_and_saveexec_b64 s[46:47], vcc
	s_cbranch_execz .LBB36_183
; %bb.182:                              ;   in Loop: Header=BB36_57 Depth=2
	s_bcnt1_i32_b64 s56, s[56:57]
	s_waitcnt vmcnt(0)
	v_mov_b32_e32 v2, s56
	ds_add_u64 v0, v[2:3]
	s_trap 2
.LBB36_183:                             ;   in Loop: Header=BB36_57 Depth=2
	s_or_b64 exec, exec, s[46:47]
	s_trap 2
	ds_read_b64 v[8:9], v0
	s_waitcnt lgkmcnt(0)
	v_lshl_add_u64 v[56:57], v[56:57], 0, v[60:61]
	v_cmp_lt_u64_e32 vcc, v[8:9], v[56:57]
	s_and_saveexec_b64 s[46:47], vcc
	s_cbranch_execz .LBB36_192
; %bb.184:                              ;   in Loop: Header=BB36_57 Depth=2
	s_mov_b32 s74, 0
	s_mov_b64 s[56:57], 0
                                        ; implicit-def: $sgpr58_sgpr59
                                        ; implicit-def: $sgpr60_sgpr61
	s_branch .LBB36_186
.LBB36_185:                             ;   in Loop: Header=BB36_186 Depth=3
	s_or_b64 exec, exec, s[54:55]
	s_and_b64 vcc, exec, vcc
	s_or_b64 s[56:57], vcc, s[56:57]
	s_andn2_b64 s[58:59], s[58:59], exec
	s_and_b64 vcc, s[60:61], exec
	s_or_b64 s[58:59], s[58:59], vcc
	s_andn2_b64 exec, exec, s[56:57]
	s_cbranch_execz .LBB36_190
.LBB36_186:                             ;   Parent Loop BB36_47 Depth=1
                                        ;     Parent Loop BB36_57 Depth=2
                                        ; =>    This Inner Loop Header: Depth=3
	s_add_i32 s74, s74, 1
	s_cmpk_lg_i32 s74, 0x2710
	s_cselect_b64 s[52:53], -1, 0
	s_and_b64 vcc, exec, s[52:53]
	s_cbranch_vccz .LBB36_188
; %bb.187:                              ;   in Loop: Header=BB36_186 Depth=3
	s_mov_b64 vcc, -1
	s_or_b64 s[60:61], s[60:61], exec
	s_and_saveexec_b64 s[54:55], s[52:53]
	s_cbranch_execz .LBB36_185
	s_branch .LBB36_189
.LBB36_188:                             ;   in Loop: Header=BB36_186 Depth=3
	s_trap 2
	ds_read_b64 v[8:9], v0
	s_andn2_b64 s[52:53], s[52:53], exec
	s_mov_b32 s74, 0
	s_waitcnt vmcnt(0) lgkmcnt(0)
	flat_load_dword v1, v[8:9] sc0 sc1
	s_waitcnt vmcnt(0) lgkmcnt(0)
	buffer_inv sc0 sc1
	v_cmp_eq_u32_e32 vcc, 0, v1
	s_and_b64 vcc, vcc, exec
	s_or_b64 s[52:53], s[52:53], vcc
	s_mov_b64 vcc, -1
	s_or_b64 s[60:61], s[60:61], exec
	s_and_saveexec_b64 s[54:55], s[52:53]
	s_cbranch_execz .LBB36_185
.LBB36_189:                             ;   in Loop: Header=BB36_186 Depth=3
	s_sleep 1
	s_trap 2
	ds_read_b64 v[8:9], v0
	s_waitcnt lgkmcnt(0)
	s_andn2_b64 s[60:61], s[60:61], exec
	v_cmp_ge_u64_e32 vcc, v[8:9], v[56:57]
	s_orn2_b64 vcc, vcc, exec
	s_branch .LBB36_185
.LBB36_190:                             ;   in Loop: Header=BB36_57 Depth=2
	s_or_b64 exec, exec, s[56:57]
	s_and_saveexec_b64 s[56:57], s[58:59]
	s_xor_b64 s[56:57], exec, s[56:57]
	s_cbranch_execz .LBB36_192
; %bb.191:                              ;   in Loop: Header=BB36_57 Depth=2
	v_mov_b32_e32 v1, 1
	ds_write_b32 v0, v1
	s_trap 2
.LBB36_192:                             ;   in Loop: Header=BB36_57 Depth=2
	s_or_b64 exec, exec, s[46:47]
	;;#ASMSTART
	s_wakeup
	;;#ASMEND
.LBB36_193:                             ;   in Loop: Header=BB36_57 Depth=2
	s_or_b64 exec, exec, s[44:45]
.LBB36_194:                             ;   in Loop: Header=BB36_57 Depth=2
	s_andn2_saveexec_b64 s[42:43], s[42:43]
	s_cbranch_execz .LBB36_196
; %bb.195:                              ;   in Loop: Header=BB36_57 Depth=2
	s_waitcnt lgkmcnt(0)
	s_barrier
.LBB36_196:                             ;   in Loop: Header=BB36_57 Depth=2
	s_or_b64 exec, exec, s[42:43]
.LBB36_197:                             ;   in Loop: Header=BB36_57 Depth=2
	s_or_b64 exec, exec, s[40:41]
	v_and_b32_e32 v1, 16, v79
	s_and_saveexec_b64 s[40:41], s[20:21]
	s_xor_b64 s[40:41], exec, s[40:41]
	s_cbranch_execz .LBB36_202
; %bb.198:                              ;   in Loop: Header=BB36_57 Depth=2
	s_waitcnt vmcnt(0)
	v_and_b32_e32 v2, 16, v79
	v_cmp_ne_u32_e32 vcc, 0, v2
	v_and_b32_e32 v1, 16, v79
	s_and_b64 s[42:43], vcc, s[22:23]
	s_and_saveexec_b64 s[22:23], s[42:43]
	s_cbranch_execz .LBB36_200
; %bb.199:                              ;   in Loop: Header=BB36_57 Depth=2
	v_mov_b32_e32 v1, 1
	buffer_wbl2 sc1
	s_waitcnt lgkmcnt(0)
	buffer_inv sc1
.LBB36_200:                             ;   in Loop: Header=BB36_57 Depth=2
	s_or_b64 exec, exec, s[22:23]
	s_andn2_saveexec_b64 s[22:23], s[40:41]
	s_cbranch_execnz .LBB36_203
.LBB36_201:                             ;   in Loop: Header=BB36_57 Depth=2
	s_or_b64 exec, exec, s[22:23]
	v_cmp_ne_u32_e32 vcc, 0, v1
	s_and_saveexec_b64 s[22:23], vcc
	s_cbranch_execz .LBB36_56
	s_branch .LBB36_221
.LBB36_202:                             ;   in Loop: Header=BB36_57 Depth=2
	s_andn2_saveexec_b64 s[22:23], s[40:41]
	s_cbranch_execz .LBB36_201
.LBB36_203:                             ;   in Loop: Header=BB36_57 Depth=2
	s_and_saveexec_b64 s[40:41], s[76:77]
	s_xor_b64 s[40:41], exec, s[40:41]
	s_cbranch_execz .LBB36_218
; %bb.204:                              ;   in Loop: Header=BB36_57 Depth=2
	s_and_saveexec_b64 s[42:43], s[12:13]
	s_cbranch_execz .LBB36_217
; %bb.205:                              ;   in Loop: Header=BB36_57 Depth=2
	s_mov_b64 s[46:47], exec
	s_waitcnt vmcnt(0)
	v_mbcnt_lo_u32_b32 v2, s46, 0
	v_mbcnt_hi_u32_b32 v2, s47, v2
	v_cmp_eq_u32_e32 vcc, 0, v2
	;;#ASMSTART
	s_waitcnt lgkmcnt(0) vmcnt(0)
	;;#ASMEND
	s_and_saveexec_b64 s[44:45], vcc
	s_cbranch_execz .LBB36_207
; %bb.206:                              ;   in Loop: Header=BB36_57 Depth=2
	s_bcnt1_i32_b64 s46, s[46:47]
	v_mov_b32_e32 v2, s46
	s_waitcnt lgkmcnt(0)
	ds_add_u64 v0, v[2:3]
	s_trap 2
.LBB36_207:                             ;   in Loop: Header=BB36_57 Depth=2
	s_or_b64 exec, exec, s[44:45]
	s_trap 2
	ds_read_b64 v[8:9], v0
	s_waitcnt lgkmcnt(0)
	v_lshl_add_u64 v[56:57], v[56:57], 0, v[60:61]
	v_cmp_lt_u64_e32 vcc, v[8:9], v[56:57]
	s_and_saveexec_b64 s[44:45], vcc
	s_cbranch_execz .LBB36_216
; %bb.208:                              ;   in Loop: Header=BB36_57 Depth=2
	s_mov_b32 s74, 0
	s_mov_b64 s[46:47], 0
                                        ; implicit-def: $sgpr56_sgpr57
                                        ; implicit-def: $sgpr58_sgpr59
	s_branch .LBB36_210
.LBB36_209:                             ;   in Loop: Header=BB36_210 Depth=3
	s_or_b64 exec, exec, s[52:53]
	s_and_b64 s[60:61], exec, vcc
	s_or_b64 s[46:47], s[60:61], s[46:47]
	s_andn2_b64 s[56:57], s[56:57], exec
	s_and_b64 s[60:61], s[58:59], exec
	s_or_b64 s[56:57], s[56:57], s[60:61]
	s_andn2_b64 exec, exec, s[46:47]
	s_cbranch_execz .LBB36_214
.LBB36_210:                             ;   Parent Loop BB36_47 Depth=1
                                        ;     Parent Loop BB36_57 Depth=2
                                        ; =>    This Inner Loop Header: Depth=3
	s_add_i32 s74, s74, 1
	s_cmpk_lg_i32 s74, 0x2710
	s_cselect_b64 s[60:61], -1, 0
	s_and_b64 vcc, exec, s[60:61]
	s_cbranch_vccz .LBB36_212
; %bb.211:                              ;   in Loop: Header=BB36_210 Depth=3
	s_mov_b64 vcc, -1
	s_or_b64 s[58:59], s[58:59], exec
	s_and_saveexec_b64 s[52:53], s[60:61]
	s_cbranch_execz .LBB36_209
	s_branch .LBB36_213
.LBB36_212:                             ;   in Loop: Header=BB36_210 Depth=3
	s_trap 2
	ds_read_b64 v[8:9], v0
	s_andn2_b64 s[60:61], s[60:61], exec
	s_mov_b32 s74, 0
	s_waitcnt lgkmcnt(0)
	flat_load_dword v2, v[8:9] sc0 sc1
	s_waitcnt vmcnt(0) lgkmcnt(0)
	buffer_inv sc0 sc1
	v_cmp_eq_u32_e32 vcc, 0, v2
	s_and_b64 vcc, vcc, exec
	s_or_b64 s[60:61], s[60:61], vcc
	s_mov_b64 vcc, -1
	s_or_b64 s[58:59], s[58:59], exec
	s_and_saveexec_b64 s[52:53], s[60:61]
	s_cbranch_execz .LBB36_209
.LBB36_213:                             ;   in Loop: Header=BB36_210 Depth=3
	s_sleep 1
	s_trap 2
	ds_read_b64 v[8:9], v0
	s_waitcnt lgkmcnt(0)
	s_andn2_b64 s[58:59], s[58:59], exec
	v_cmp_ge_u64_e32 vcc, v[8:9], v[56:57]
	s_orn2_b64 vcc, vcc, exec
	s_branch .LBB36_209
.LBB36_214:                             ;   in Loop: Header=BB36_57 Depth=2
	s_or_b64 exec, exec, s[46:47]
	s_and_saveexec_b64 s[46:47], s[56:57]
	s_xor_b64 s[46:47], exec, s[46:47]
	s_cbranch_execz .LBB36_216
; %bb.215:                              ;   in Loop: Header=BB36_57 Depth=2
	v_mov_b32_e32 v2, 1
	ds_write_b32 v0, v2
	s_trap 2
.LBB36_216:                             ;   in Loop: Header=BB36_57 Depth=2
	s_or_b64 exec, exec, s[44:45]
	;;#ASMSTART
	s_wakeup
	;;#ASMEND
.LBB36_217:                             ;   in Loop: Header=BB36_57 Depth=2
	s_or_b64 exec, exec, s[42:43]
.LBB36_218:                             ;   in Loop: Header=BB36_57 Depth=2
	s_andn2_saveexec_b64 s[40:41], s[40:41]
	s_cbranch_execz .LBB36_220
; %bb.219:                              ;   in Loop: Header=BB36_57 Depth=2
	;;#ASMSTART
	s_waitcnt lgkmcnt(0) vmcnt(0)
	;;#ASMEND
	s_barrier
.LBB36_220:                             ;   in Loop: Header=BB36_57 Depth=2
	s_or_b64 exec, exec, s[40:41]
	s_or_b64 exec, exec, s[22:23]
	v_cmp_ne_u32_e32 vcc, 0, v1
	s_and_saveexec_b64 s[22:23], vcc
	s_cbranch_execz .LBB36_56
.LBB36_221:                             ;   in Loop: Header=BB36_57 Depth=2
	s_and_saveexec_b64 s[40:41], s[10:11]
	s_cbranch_execz .LBB36_55
; %bb.222:                              ;   in Loop: Header=BB36_57 Depth=2
	scratch_load_dwordx2 v[8:9], off, s33 offset:296 ; 8-byte Folded Reload
	v_mov_b32_e32 v1, 1
	s_waitcnt vmcnt(0)
	flat_store_dword v[8:9], v1 sc0 sc1
	s_branch .LBB36_55
.LBB36_223:                             ;   in Loop: Header=BB36_47 Depth=1
	s_or_b64 exec, exec, s[26:27]
.LBB36_224:                             ;   in Loop: Header=BB36_47 Depth=1
	s_or_b64 exec, exec, s[24:25]
	v_cmp_gt_i32_e32 vcc, 2, v1
	s_mov_b64 s[24:25], exec
	scratch_load_dwordx2 v[42:43], off, s33 offset:412 ; 8-byte Folded Reload
	s_and_b64 s[22:23], s[24:25], vcc
	v_mov_b32_e32 v59, v31
	s_mov_b64 exec, s[22:23]
	s_cbranch_execz .LBB36_296
; %bb.225:                              ;   in Loop: Header=BB36_47 Depth=1
	v_cmp_eq_u32_e64 s[28:29], 0, v1
	s_mov_b64 s[26:27], 0
	s_branch .LBB36_228
.LBB36_226:                             ;   in Loop: Header=BB36_228 Depth=2
	s_or_b64 exec, exec, s[28:29]
	v_lshl_add_u64 v[4:5], v[4:5], 0, 2
	flat_store_dwordx2 v[40:41], v[4:5] sc0 sc1
.LBB36_227:                             ;   in Loop: Header=BB36_228 Depth=2
	s_or_b64 exec, exec, s[22:23]
	v_add_u32_e32 v118, v0, v118
	s_mov_b64 s[28:29], 0
	s_andn2_b64 exec, exec, s[26:27]
	s_cbranch_execz .LBB36_295
.LBB36_228:                             ;   Parent Loop BB36_47 Depth=1
                                        ; =>  This Loop Header: Depth=2
                                        ;       Child Loop BB36_234 Depth 3
                                        ;       Child Loop BB36_258 Depth 3
	;; [unrolled: 1-line block ×3, first 2 shown]
	v_sub_u32_e32 v1, v6, v118
	v_min_i32_e32 v0, v0, v1
	v_and_b32_e32 v1, 8, v79
	v_cmp_ne_u32_e32 vcc, 0, v1
	s_and_saveexec_b64 s[40:41], vcc
	s_cbranch_execz .LBB36_250
; %bb.229:                              ;   in Loop: Header=BB36_228 Depth=2
	s_waitcnt lgkmcnt(0)
	v_lshl_add_u64 v[10:11], v[46:47], 0, 8
	v_lshl_add_u64 v[8:9], v[4:5], 0, 2
	v_cmp_lt_u64_e32 vcc, v[10:11], v[8:9]
	s_and_saveexec_b64 s[42:43], vcc
	s_cbranch_execz .LBB36_241
; %bb.230:                              ;   in Loop: Header=BB36_228 Depth=2
	v_and_b32_e32 v1, 64, v79
	s_mov_b32 s73, 0
	v_cmp_eq_u32_e32 vcc, 0, v1
	s_mov_b64 s[44:45], 0
                                        ; implicit-def: $sgpr46_sgpr47
                                        ; implicit-def: $sgpr56_sgpr57
                                        ; implicit-def: $sgpr58_sgpr59
	s_branch .LBB36_234
.LBB36_231:                             ;   in Loop: Header=BB36_234 Depth=3
	s_waitcnt vmcnt(0) lgkmcnt(0)
	v_lshl_add_u64 v[10:11], v[46:47], 0, 8
	v_cmp_ge_u64_e64 s[22:23], v[10:11], v[8:9]
	s_or_b64 s[54:55], s[54:55], exec
	s_orn2_b64 s[52:53], s[22:23], exec
.LBB36_232:                             ;   in Loop: Header=BB36_234 Depth=3
	s_or_b64 exec, exec, s[66:67]
	s_andn2_b64 s[22:23], s[58:59], exec
	s_and_b64 s[58:59], s[54:55], exec
	s_or_b64 s[58:59], s[22:23], s[58:59]
	s_andn2_b64 s[22:23], s[56:57], exec
	s_and_b64 s[56:57], s[52:53], exec
	s_or_b64 s[56:57], s[22:23], s[56:57]
.LBB36_233:                             ;   in Loop: Header=BB36_234 Depth=3
	s_or_b64 exec, exec, s[60:61]
	s_and_b64 s[22:23], exec, s[56:57]
	s_or_b64 s[44:45], s[22:23], s[44:45]
	s_andn2_b64 s[22:23], s[46:47], exec
	s_and_b64 s[46:47], s[58:59], exec
	s_or_b64 s[46:47], s[22:23], s[46:47]
	s_andn2_b64 exec, exec, s[44:45]
	s_cbranch_execz .LBB36_238
.LBB36_234:                             ;   Parent Loop BB36_47 Depth=1
                                        ;     Parent Loop BB36_228 Depth=2
                                        ; =>    This Inner Loop Header: Depth=3
	s_sleep 1
	s_waitcnt vmcnt(0) lgkmcnt(0)
	flat_load_dwordx2 v[46:47], v[40:41] sc0 sc1
	s_or_b64 s[58:59], s[58:59], exec
	s_or_b64 s[56:57], s[56:57], exec
                                        ; implicit-def: $vgpr1
	s_and_saveexec_b64 s[60:61], vcc
	s_cbranch_execz .LBB36_233
; %bb.235:                              ;   in Loop: Header=BB36_234 Depth=3
	s_cmpk_lt_i32 s73, 0x270f
	s_cselect_b64 s[64:65], -1, 0
	s_cmpk_gt_i32 s73, 0x270e
	s_mov_b64 s[52:53], -1
	s_cbranch_scc0 .LBB36_237
; %bb.236:                              ;   in Loop: Header=BB36_234 Depth=3
	s_trap 2
	ds_read_b64 v[10:11], v0
	s_andn2_b64 s[64:65], s[64:65], exec
	s_mov_b32 s73, 0
	s_mov_b64 s[54:55], 0
	s_waitcnt vmcnt(0) lgkmcnt(0)
	flat_load_dword v1, v[10:11] sc0 sc1
	s_waitcnt vmcnt(0) lgkmcnt(0)
	buffer_inv sc0 sc1
	v_cmp_eq_u32_e64 s[22:23], 0, v1
	s_and_b64 s[22:23], s[22:23], exec
	s_or_b64 s[64:65], s[64:65], s[22:23]
	s_and_saveexec_b64 s[66:67], s[64:65]
	s_cbranch_execz .LBB36_232
	s_branch .LBB36_231
.LBB36_237:                             ;   in Loop: Header=BB36_234 Depth=3
	s_add_i32 s73, s73, 1
	s_mov_b64 s[54:55], -1
                                        ; implicit-def: $vgpr1
	s_and_saveexec_b64 s[66:67], s[64:65]
	s_cbranch_execz .LBB36_232
	s_branch .LBB36_231
.LBB36_238:                             ;   in Loop: Header=BB36_228 Depth=2
	s_or_b64 exec, exec, s[44:45]
	s_xor_b64 s[22:23], s[46:47], -1
	s_and_saveexec_b64 s[44:45], s[22:23]
	s_xor_b64 s[22:23], exec, s[44:45]
	s_cbranch_execz .LBB36_240
; %bb.239:                              ;   in Loop: Header=BB36_228 Depth=2
	v_or_b32_e32 v79, 64, v79
	s_waitcnt lgkmcnt(0)
	ds_write_b32 v0, v1
	s_trap 2
.LBB36_240:                             ;   in Loop: Header=BB36_228 Depth=2
	s_or_b64 exec, exec, s[22:23]
.LBB36_241:                             ;   in Loop: Header=BB36_228 Depth=2
	s_or_b64 exec, exec, s[42:43]
	v_and_b32_e32 v1, 0x100, v79
	v_cmp_ne_u32_e32 vcc, 0, v1
	s_waitcnt vmcnt(0)
	v_and_b32_e32 v2, 7, v4
	s_mov_b64 s[22:23], -1
	;;#ASMSTART
	s_wakeup
	;;#ASMEND
                                        ; implicit-def: $vgpr4_vgpr5
	s_and_saveexec_b64 s[42:43], vcc
	s_cbranch_execz .LBB36_245
; %bb.242:                              ;   in Loop: Header=BB36_228 Depth=2
	scratch_load_dwordx4 v[10:13], off, s33 offset:280 ; 16-byte Folded Reload
	v_ashrrev_i32_e32 v1, 31, v0
	v_lshlrev_b64 v[4:5], 1, v[0:1]
	s_waitcnt vmcnt(0)
	v_mad_u64_u32 v[10:11], s[22:23], v2, 24, v[10:11]
	flat_load_dword v7, v[10:11]
	s_waitcnt vmcnt(0) lgkmcnt(0)
	v_cmp_ne_u32_e32 vcc, 1, v7
	v_cmp_eq_u32_e64 s[22:23], 1, v7
	flat_store_dwordx2 v[10:11], v[4:5] offset:8
                                        ; implicit-def: $vgpr4_vgpr5
	s_and_saveexec_b64 s[44:45], s[22:23]
	s_cbranch_execz .LBB36_244
; %bb.243:                              ;   in Loop: Header=BB36_228 Depth=2
	flat_load_dword v4, v[10:11] offset:4 sc0 sc1
	s_waitcnt vmcnt(0) lgkmcnt(0)
	v_ashrrev_i32_e32 v5, 31, v4
	v_lshrrev_b64 v[4:5], 1, v[4:5]
.LBB36_244:                             ;   in Loop: Header=BB36_228 Depth=2
	s_or_b64 exec, exec, s[44:45]
	s_orn2_b64 s[22:23], vcc, exec
.LBB36_245:                             ;   in Loop: Header=BB36_228 Depth=2
	s_or_b64 exec, exec, s[42:43]
	s_and_saveexec_b64 s[42:43], s[22:23]
	s_cbranch_execz .LBB36_247
; %bb.246:                              ;   in Loop: Header=BB36_228 Depth=2
	scratch_load_dwordx2 v[4:5], off, s33 offset:348 ; 8-byte Folded Reload
	s_waitcnt vmcnt(0)
	v_mad_i64_i32 v[4:5], s[22:23], v2, v4, 0
.LBB36_247:                             ;   in Loop: Header=BB36_228 Depth=2
	s_or_b64 exec, exec, s[42:43]
	scratch_load_dwordx2 v[10:11], off, s33 offset:264 ; 8-byte Folded Reload
	v_and_b32_e32 v1, 0x2000, v79
	v_cmp_ne_u32_e32 vcc, 0, v1
	s_waitcnt vmcnt(0)
	v_lshl_add_u64 v[4:5], v[4:5], 1, v[10:11]
	ds_write_b64 v0, v[4:5] offset:784
	s_and_saveexec_b64 s[22:23], vcc
	s_cbranch_execz .LBB36_249
; %bb.248:                              ;   in Loop: Header=BB36_228 Depth=2
	ds_read_b64 v[4:5], v0 offset:872
	s_waitcnt lgkmcnt(0)
	v_lshl_add_u64 v[4:5], v[4:5], 0, 1
	ds_write_b64 v0, v[4:5] offset:872
.LBB36_249:                             ;   in Loop: Header=BB36_228 Depth=2
	s_or_b64 exec, exec, s[22:23]
	v_mov_b64_e32 v[4:5], v[8:9]
.LBB36_250:                             ;   in Loop: Header=BB36_228 Depth=2
	s_or_b64 exec, exec, s[40:41]
	s_xor_b64 s[22:23], s[28:29], -1
	s_and_b64 s[22:23], exec, s[22:23]
	s_or_b64 s[26:27], s[22:23], s[26:27]
	s_and_saveexec_b64 s[22:23], s[4:5]
	s_cbranch_execz .LBB36_269
; %bb.251:                              ;   in Loop: Header=BB36_228 Depth=2
	s_and_saveexec_b64 s[28:29], s[76:77]
	s_xor_b64 s[28:29], exec, s[28:29]
	s_cbranch_execz .LBB36_266
; %bb.252:                              ;   in Loop: Header=BB36_228 Depth=2
	s_and_saveexec_b64 s[40:41], s[12:13]
	s_cbranch_execz .LBB36_265
; %bb.253:                              ;   in Loop: Header=BB36_228 Depth=2
	s_mov_b64 s[44:45], exec
	v_mbcnt_lo_u32_b32 v1, s44, 0
	v_mbcnt_hi_u32_b32 v1, s45, v1
	v_cmp_eq_u32_e32 vcc, 0, v1
	s_waitcnt lgkmcnt(0)
	s_and_saveexec_b64 s[42:43], vcc
	s_cbranch_execz .LBB36_255
; %bb.254:                              ;   in Loop: Header=BB36_228 Depth=2
	s_bcnt1_i32_b64 s44, s[44:45]
	s_waitcnt vmcnt(0)
	v_mov_b32_e32 v2, s44
	ds_add_u64 v0, v[2:3]
	s_trap 2
.LBB36_255:                             ;   in Loop: Header=BB36_228 Depth=2
	s_or_b64 exec, exec, s[42:43]
	s_trap 2
	ds_read_b64 v[8:9], v0
	s_waitcnt lgkmcnt(0)
	v_lshl_add_u64 v[56:57], v[56:57], 0, v[60:61]
	v_cmp_lt_u64_e32 vcc, v[8:9], v[56:57]
	s_and_saveexec_b64 s[42:43], vcc
	s_cbranch_execz .LBB36_264
; %bb.256:                              ;   in Loop: Header=BB36_228 Depth=2
	s_mov_b32 s73, 0
	s_mov_b64 s[44:45], 0
                                        ; implicit-def: $sgpr46_sgpr47
                                        ; implicit-def: $sgpr56_sgpr57
	s_branch .LBB36_258
.LBB36_257:                             ;   in Loop: Header=BB36_258 Depth=3
	s_or_b64 exec, exec, s[60:61]
	s_and_b64 s[58:59], exec, vcc
	s_or_b64 s[44:45], s[58:59], s[44:45]
	s_andn2_b64 s[46:47], s[46:47], exec
	s_and_b64 s[58:59], s[56:57], exec
	s_or_b64 s[46:47], s[46:47], s[58:59]
	s_andn2_b64 exec, exec, s[44:45]
	s_cbranch_execz .LBB36_262
.LBB36_258:                             ;   Parent Loop BB36_47 Depth=1
                                        ;     Parent Loop BB36_228 Depth=2
                                        ; =>    This Inner Loop Header: Depth=3
	s_add_i32 s73, s73, 1
	s_cmpk_lg_i32 s73, 0x2710
	s_cselect_b64 s[58:59], -1, 0
	s_and_b64 vcc, exec, s[58:59]
	s_cbranch_vccz .LBB36_260
; %bb.259:                              ;   in Loop: Header=BB36_258 Depth=3
	s_mov_b64 vcc, -1
	s_or_b64 s[56:57], s[56:57], exec
	s_and_saveexec_b64 s[60:61], s[58:59]
	s_cbranch_execz .LBB36_257
	s_branch .LBB36_261
.LBB36_260:                             ;   in Loop: Header=BB36_258 Depth=3
	s_trap 2
	ds_read_b64 v[8:9], v0
	s_andn2_b64 s[58:59], s[58:59], exec
	s_mov_b32 s73, 0
	s_waitcnt vmcnt(0) lgkmcnt(0)
	flat_load_dword v1, v[8:9] sc0 sc1
	s_waitcnt vmcnt(0) lgkmcnt(0)
	buffer_inv sc0 sc1
	v_cmp_eq_u32_e32 vcc, 0, v1
	s_and_b64 s[60:61], vcc, exec
	s_or_b64 s[58:59], s[58:59], s[60:61]
	s_mov_b64 vcc, -1
	s_or_b64 s[56:57], s[56:57], exec
	s_and_saveexec_b64 s[60:61], s[58:59]
	s_cbranch_execz .LBB36_257
.LBB36_261:                             ;   in Loop: Header=BB36_258 Depth=3
	s_sleep 1
	s_trap 2
	ds_read_b64 v[8:9], v0
	s_waitcnt lgkmcnt(0)
	s_andn2_b64 s[56:57], s[56:57], exec
	v_cmp_ge_u64_e32 vcc, v[8:9], v[56:57]
	s_orn2_b64 vcc, vcc, exec
	s_branch .LBB36_257
.LBB36_262:                             ;   in Loop: Header=BB36_228 Depth=2
	s_or_b64 exec, exec, s[44:45]
	s_and_saveexec_b64 s[44:45], s[46:47]
	s_xor_b64 s[44:45], exec, s[44:45]
	s_cbranch_execz .LBB36_264
; %bb.263:                              ;   in Loop: Header=BB36_228 Depth=2
	v_mov_b32_e32 v1, 1
	ds_write_b32 v0, v1
	s_trap 2
.LBB36_264:                             ;   in Loop: Header=BB36_228 Depth=2
	s_or_b64 exec, exec, s[42:43]
	;;#ASMSTART
	s_wakeup
	;;#ASMEND
.LBB36_265:                             ;   in Loop: Header=BB36_228 Depth=2
	s_or_b64 exec, exec, s[40:41]
.LBB36_266:                             ;   in Loop: Header=BB36_228 Depth=2
	s_andn2_saveexec_b64 s[28:29], s[28:29]
	s_cbranch_execz .LBB36_268
; %bb.267:                              ;   in Loop: Header=BB36_228 Depth=2
	s_waitcnt lgkmcnt(0)
	s_barrier
.LBB36_268:                             ;   in Loop: Header=BB36_228 Depth=2
	s_or_b64 exec, exec, s[28:29]
.LBB36_269:                             ;   in Loop: Header=BB36_228 Depth=2
	s_or_b64 exec, exec, s[22:23]
	v_and_b32_e32 v1, 16, v79
	s_and_saveexec_b64 s[22:23], s[20:21]
	s_xor_b64 s[22:23], exec, s[22:23]
	s_cbranch_execz .LBB36_274
; %bb.270:                              ;   in Loop: Header=BB36_228 Depth=2
	s_trap 2
	s_waitcnt vmcnt(0)
	ds_read_b32 v2, v0
	v_cmp_lt_i32_e32 vcc, 0, v0
	v_and_b32_e32 v7, 16, v79
	v_and_b32_e32 v1, 16, v79
	s_waitcnt lgkmcnt(0)
	v_readfirstlane_b32 s28, v2
	s_cmp_eq_u32 s28, 0
	s_cselect_b64 s[28:29], -1, 0
	s_and_b64 s[28:29], vcc, s[28:29]
	v_cmp_ne_u32_e32 vcc, 0, v7
	s_and_b64 s[40:41], vcc, s[28:29]
	s_and_saveexec_b64 s[28:29], s[40:41]
	s_cbranch_execz .LBB36_272
; %bb.271:                              ;   in Loop: Header=BB36_228 Depth=2
	v_mov_b32_e32 v1, 1
	buffer_wbl2 sc1
	buffer_inv sc1
.LBB36_272:                             ;   in Loop: Header=BB36_228 Depth=2
	s_or_b64 exec, exec, s[28:29]
	s_andn2_saveexec_b64 s[22:23], s[22:23]
	s_cbranch_execnz .LBB36_275
.LBB36_273:                             ;   in Loop: Header=BB36_228 Depth=2
	s_or_b64 exec, exec, s[22:23]
	v_cmp_ne_u32_e32 vcc, 0, v1
	s_and_saveexec_b64 s[22:23], vcc
	s_cbranch_execz .LBB36_227
	s_branch .LBB36_293
.LBB36_274:                             ;   in Loop: Header=BB36_228 Depth=2
	s_andn2_saveexec_b64 s[22:23], s[22:23]
	s_cbranch_execz .LBB36_273
.LBB36_275:                             ;   in Loop: Header=BB36_228 Depth=2
	s_and_saveexec_b64 s[28:29], s[76:77]
	s_xor_b64 s[28:29], exec, s[28:29]
	s_cbranch_execz .LBB36_290
; %bb.276:                              ;   in Loop: Header=BB36_228 Depth=2
	s_and_saveexec_b64 s[40:41], s[12:13]
	s_cbranch_execz .LBB36_289
; %bb.277:                              ;   in Loop: Header=BB36_228 Depth=2
	s_mov_b64 s[44:45], exec
	s_waitcnt vmcnt(0)
	v_mbcnt_lo_u32_b32 v2, s44, 0
	v_mbcnt_hi_u32_b32 v2, s45, v2
	v_cmp_eq_u32_e32 vcc, 0, v2
	;;#ASMSTART
	s_waitcnt lgkmcnt(0) vmcnt(0)
	;;#ASMEND
	s_and_saveexec_b64 s[42:43], vcc
	s_cbranch_execz .LBB36_279
; %bb.278:                              ;   in Loop: Header=BB36_228 Depth=2
	s_bcnt1_i32_b64 s44, s[44:45]
	v_mov_b32_e32 v2, s44
	s_waitcnt lgkmcnt(0)
	ds_add_u64 v0, v[2:3]
	s_trap 2
.LBB36_279:                             ;   in Loop: Header=BB36_228 Depth=2
	s_or_b64 exec, exec, s[42:43]
	s_trap 2
	ds_read_b64 v[8:9], v0
	s_waitcnt lgkmcnt(0)
	v_lshl_add_u64 v[56:57], v[56:57], 0, v[60:61]
	v_cmp_lt_u64_e32 vcc, v[8:9], v[56:57]
	s_and_saveexec_b64 s[42:43], vcc
	s_cbranch_execz .LBB36_288
; %bb.280:                              ;   in Loop: Header=BB36_228 Depth=2
	s_mov_b32 s73, 0
	s_mov_b64 s[44:45], 0
                                        ; implicit-def: $sgpr46_sgpr47
                                        ; implicit-def: $sgpr56_sgpr57
	s_branch .LBB36_282
.LBB36_281:                             ;   in Loop: Header=BB36_282 Depth=3
	s_or_b64 exec, exec, s[60:61]
	s_and_b64 s[58:59], exec, vcc
	s_or_b64 s[44:45], s[58:59], s[44:45]
	s_andn2_b64 s[46:47], s[46:47], exec
	s_and_b64 s[58:59], s[56:57], exec
	s_or_b64 s[46:47], s[46:47], s[58:59]
	s_andn2_b64 exec, exec, s[44:45]
	s_cbranch_execz .LBB36_286
.LBB36_282:                             ;   Parent Loop BB36_47 Depth=1
                                        ;     Parent Loop BB36_228 Depth=2
                                        ; =>    This Inner Loop Header: Depth=3
	s_add_i32 s73, s73, 1
	s_cmpk_lg_i32 s73, 0x2710
	s_cselect_b64 s[58:59], -1, 0
	s_and_b64 vcc, exec, s[58:59]
	s_cbranch_vccz .LBB36_284
; %bb.283:                              ;   in Loop: Header=BB36_282 Depth=3
	s_mov_b64 vcc, -1
	s_or_b64 s[56:57], s[56:57], exec
	s_and_saveexec_b64 s[60:61], s[58:59]
	s_cbranch_execz .LBB36_281
	s_branch .LBB36_285
.LBB36_284:                             ;   in Loop: Header=BB36_282 Depth=3
	s_trap 2
	ds_read_b64 v[8:9], v0
	s_andn2_b64 s[58:59], s[58:59], exec
	s_mov_b32 s73, 0
	s_waitcnt lgkmcnt(0)
	flat_load_dword v2, v[8:9] sc0 sc1
	s_waitcnt vmcnt(0) lgkmcnt(0)
	buffer_inv sc0 sc1
	v_cmp_eq_u32_e32 vcc, 0, v2
	s_and_b64 s[60:61], vcc, exec
	s_or_b64 s[58:59], s[58:59], s[60:61]
	s_mov_b64 vcc, -1
	s_or_b64 s[56:57], s[56:57], exec
	s_and_saveexec_b64 s[60:61], s[58:59]
	s_cbranch_execz .LBB36_281
.LBB36_285:                             ;   in Loop: Header=BB36_282 Depth=3
	s_sleep 1
	s_trap 2
	ds_read_b64 v[8:9], v0
	s_waitcnt lgkmcnt(0)
	s_andn2_b64 s[56:57], s[56:57], exec
	v_cmp_ge_u64_e32 vcc, v[8:9], v[56:57]
	s_orn2_b64 vcc, vcc, exec
	s_branch .LBB36_281
.LBB36_286:                             ;   in Loop: Header=BB36_228 Depth=2
	s_or_b64 exec, exec, s[44:45]
	s_and_saveexec_b64 s[44:45], s[46:47]
	s_xor_b64 s[44:45], exec, s[44:45]
	s_cbranch_execz .LBB36_288
; %bb.287:                              ;   in Loop: Header=BB36_228 Depth=2
	v_mov_b32_e32 v2, 1
	ds_write_b32 v0, v2
	s_trap 2
.LBB36_288:                             ;   in Loop: Header=BB36_228 Depth=2
	s_or_b64 exec, exec, s[42:43]
	;;#ASMSTART
	s_wakeup
	;;#ASMEND
.LBB36_289:                             ;   in Loop: Header=BB36_228 Depth=2
	s_or_b64 exec, exec, s[40:41]
.LBB36_290:                             ;   in Loop: Header=BB36_228 Depth=2
	s_andn2_saveexec_b64 s[28:29], s[28:29]
	s_cbranch_execz .LBB36_292
; %bb.291:                              ;   in Loop: Header=BB36_228 Depth=2
	;;#ASMSTART
	s_waitcnt lgkmcnt(0) vmcnt(0)
	;;#ASMEND
	s_barrier
.LBB36_292:                             ;   in Loop: Header=BB36_228 Depth=2
	s_or_b64 exec, exec, s[28:29]
	s_or_b64 exec, exec, s[22:23]
	v_cmp_ne_u32_e32 vcc, 0, v1
	s_and_saveexec_b64 s[22:23], vcc
	s_cbranch_execz .LBB36_227
.LBB36_293:                             ;   in Loop: Header=BB36_228 Depth=2
	s_and_saveexec_b64 s[28:29], s[10:11]
	s_cbranch_execz .LBB36_226
; %bb.294:                              ;   in Loop: Header=BB36_228 Depth=2
	scratch_load_dwordx2 v[8:9], off, s33 offset:296 ; 8-byte Folded Reload
	v_mov_b32_e32 v1, 1
	s_waitcnt vmcnt(0)
	flat_store_dword v[8:9], v1 sc0 sc1
	s_branch .LBB36_226
.LBB36_295:                             ;   in Loop: Header=BB36_47 Depth=1
	s_or_b64 exec, exec, s[26:27]
.LBB36_296:                             ;   in Loop: Header=BB36_47 Depth=1
	s_or_b64 exec, exec, s[24:25]
	v_readlane_b32 s24, v126, 8
	v_readlane_b32 s25, v126, 9
	s_andn2_b64 vcc, exec, s[24:25]
	s_nop 0
	v_cndmask_b32_e64 v0, 0, 1, s[24:25]
	v_cmp_ne_u32_e64 s[22:23], 1, v0
	s_cbranch_vccnz .LBB36_1240
; %bb.297:                              ;   in Loop: Header=BB36_47 Depth=1
	s_mov_b32 s74, 2
	s_branch .LBB36_300
.LBB36_298:                             ;   in Loop: Header=BB36_300 Depth=2
	s_or_b64 exec, exec, s[28:29]
.LBB36_299:                             ;   in Loop: Header=BB36_300 Depth=2
	s_or_b64 exec, exec, s[26:27]
	scratch_load_dwordx2 v[42:43], off, s33 offset:412 ; 8-byte Folded Reload
	s_add_i32 s74, s74, 1
	s_cmp_eq_u32 s74, s80
	s_cbranch_scc1 .LBB36_1240
.LBB36_300:                             ;   Parent Loop BB36_47 Depth=1
                                        ; =>  This Loop Header: Depth=2
                                        ;       Child Loop BB36_303 Depth 3
                                        ;         Child Loop BB36_311 Depth 4
                                        ;         Child Loop BB36_339 Depth 4
	;; [unrolled: 1-line block ×5, first 2 shown]
                                        ;           Child Loop BB36_784 Depth 5
                                        ;           Child Loop BB36_821 Depth 5
                                        ;         Child Loop BB36_898 Depth 4
                                        ;         Child Loop BB36_1101 Depth 4
                                        ;           Child Loop BB36_1102 Depth 5
                                        ;           Child Loop BB36_1111 Depth 5
                                        ;         Child Loop BB36_1130 Depth 4
                                        ;         Child Loop BB36_1149 Depth 4
                                        ;       Child Loop BB36_1168 Depth 3
                                        ;         Child Loop BB36_1174 Depth 4
                                        ;         Child Loop BB36_1202 Depth 4
	;; [unrolled: 1-line block ×3, first 2 shown]
	scratch_load_dwordx2 v[6:7], off, s33 offset:420 ; 8-byte Folded Reload
	s_sub_i32 s24, s84, s74
	s_cmp_ge_i32 s24, s80
	s_cselect_b32 s25, s80, 0
	s_sub_i32 s24, s24, s25
	s_ashr_i32 s25, s24, 31
	v_mov_b32_e32 v58, 0
	s_waitcnt vmcnt(0)
	v_mul_lo_u32 v0, v6, s25
	v_mul_lo_u32 v1, v7, s24
	v_mad_u64_u32 v[74:75], s[24:25], v6, s24, 0
	v_add3_u32 v75, v75, v0, v1
	scratch_load_dwordx2 v[0:1], off, s33 offset:404 ; 8-byte Folded Reload
	s_waitcnt vmcnt(0)
	v_sub_co_u32_e32 v0, vcc, v0, v74
	s_nop 1
	v_subb_co_u32_e32 v1, vcc, v1, v75, vcc
	v_cmp_lt_i64_e32 vcc, v[6:7], v[0:1]
	s_nop 1
	v_cndmask_b32_e32 v0, v0, v6, vcc
	v_max_i32_e32 v6, 0, v0
	v_add_u32_e32 v1, 31, v6
	v_ashrrev_i32_e32 v2, 31, v1
	v_lshrrev_b32_e32 v2, 27, v2
	v_add_u32_e32 v1, v1, v2
	v_ashrrev_i32_e32 v1, 5, v1
	v_lshlrev_b32_e32 v1, 4, v1
	v_cmp_lt_i32_e32 vcc, 0, v0
	v_max_i32_e32 v72, s87, v1
	s_and_b64 s[24:25], s[48:49], vcc
	v_mov_b32_e32 v0, 0
	s_and_saveexec_b64 s[40:41], s[24:25]
	s_cbranch_execz .LBB36_1165
; %bb.301:                              ;   in Loop: Header=BB36_300 Depth=2
	s_mov_b32 s73, 1
	s_mov_b64 s[44:45], -1
	v_mov_b32_e32 v58, 0
	s_mov_b64 s[42:43], 0
	scratch_store_dwordx2 off, v[74:75], s33 offset:428 ; 8-byte Folded Spill
	s_branch .LBB36_303
.LBB36_302:                             ;   in Loop: Header=BB36_303 Depth=3
	s_or_b64 exec, exec, s[24:25]
	v_add_u32_e32 v58, v72, v58
	v_cmp_ge_i32_e32 vcc, v58, v6
	s_xor_b64 s[24:25], s[44:45], -1
	s_or_b64 s[24:25], s[24:25], vcc
	s_and_b64 s[24:25], exec, s[24:25]
	s_or_b64 s[42:43], s[24:25], s[42:43]
	s_mov_b64 s[44:45], 0
	v_mov_b32_e32 v0, s73
	s_mov_b32 s73, 2
	s_andn2_b64 exec, exec, s[42:43]
	s_cbranch_execz .LBB36_1164
.LBB36_303:                             ;   Parent Loop BB36_47 Depth=1
                                        ;     Parent Loop BB36_300 Depth=2
                                        ; =>    This Loop Header: Depth=3
                                        ;         Child Loop BB36_311 Depth 4
                                        ;         Child Loop BB36_339 Depth 4
                                        ;         Child Loop BB36_358 Depth 4
                                        ;         Child Loop BB36_387 Depth 4
                                        ;         Child Loop BB36_783 Depth 4
                                        ;           Child Loop BB36_784 Depth 5
                                        ;           Child Loop BB36_821 Depth 5
                                        ;         Child Loop BB36_898 Depth 4
                                        ;         Child Loop BB36_1101 Depth 4
                                        ;           Child Loop BB36_1102 Depth 5
                                        ;           Child Loop BB36_1111 Depth 5
                                        ;         Child Loop BB36_1130 Depth 4
                                        ;         Child Loop BB36_1149 Depth 4
	s_and_saveexec_b64 s[24:25], s[0:1]
	s_cbranch_execz .LBB36_305
; %bb.304:                              ;   in Loop: Header=BB36_303 Depth=3
	s_trap 2
	scratch_load_dwordx2 v[8:9], off, s33 offset:380 ; 8-byte Folded Reload
	ds_read_b64 v[0:1], v0
	v_ashrrev_i32_e32 v59, 31, v58
	s_waitcnt vmcnt(0) lgkmcnt(0)
	v_lshl_add_u64 v[0:1], v[8:9], 1, v[0:1]
	v_lshl_add_u64 v[0:1], v[74:75], 1, v[0:1]
	;; [unrolled: 1-line block ×3, first 2 shown]
	ds_write_b64 v0, v[0:1]
	scratch_load_dwordx2 v[0:1], off, s33 offset:388 ; 8-byte Folded Reload
	v_mov_b32_e32 v59, v31
	s_waitcnt vmcnt(0)
	ds_write_b64 v0, v[0:1]
.LBB36_305:                             ;   in Loop: Header=BB36_303 Depth=3
	s_or_b64 exec, exec, s[24:25]
	v_sub_u32_e32 v0, v6, v58
	v_min_i32_e32 v72, v72, v0
	v_and_b32_e32 v0, 12, v79
	v_cmp_ne_u32_e32 vcc, 0, v0
	s_and_saveexec_b64 s[26:27], vcc
	s_cbranch_execz .LBB36_331
; %bb.306:                              ;   in Loop: Header=BB36_303 Depth=3
	v_and_b32_e32 v2, 8, v79
	s_waitcnt lgkmcnt(0)
	v_lshl_add_u64 v[8:9], v[46:47], 0, v[2:3]
	v_lshl_add_u64 v[0:1], v[4:5], 0, 2
	v_cmp_lt_u64_e32 vcc, v[8:9], v[0:1]
	s_and_saveexec_b64 s[28:29], vcc
	s_cbranch_execz .LBB36_318
; %bb.307:                              ;   in Loop: Header=BB36_303 Depth=3
	v_and_b32_e32 v5, 64, v79
	s_mov_b32 s70, 0
	v_cmp_eq_u32_e32 vcc, 0, v5
	s_mov_b64 s[46:47], 0
                                        ; implicit-def: $sgpr56_sgpr57
                                        ; implicit-def: $sgpr58_sgpr59
                                        ; implicit-def: $sgpr60_sgpr61
	s_branch .LBB36_311
.LBB36_308:                             ;   in Loop: Header=BB36_311 Depth=4
	s_waitcnt vmcnt(0) lgkmcnt(0)
	v_lshl_add_u64 v[8:9], v[46:47], 0, v[2:3]
	v_cmp_ge_u64_e64 s[24:25], v[8:9], v[0:1]
	s_or_b64 s[64:65], s[64:65], exec
	s_orn2_b64 s[54:55], s[24:25], exec
.LBB36_309:                             ;   in Loop: Header=BB36_311 Depth=4
	s_or_b64 exec, exec, s[68:69]
	s_andn2_b64 s[24:25], s[60:61], exec
	s_and_b64 s[60:61], s[64:65], exec
	s_or_b64 s[60:61], s[24:25], s[60:61]
	s_andn2_b64 s[24:25], s[58:59], exec
	s_and_b64 s[58:59], s[54:55], exec
	s_or_b64 s[58:59], s[24:25], s[58:59]
.LBB36_310:                             ;   in Loop: Header=BB36_311 Depth=4
	s_or_b64 exec, exec, s[52:53]
	s_and_b64 s[24:25], exec, s[58:59]
	s_or_b64 s[46:47], s[24:25], s[46:47]
	s_andn2_b64 s[24:25], s[56:57], exec
	s_and_b64 s[56:57], s[60:61], exec
	s_or_b64 s[56:57], s[24:25], s[56:57]
	s_andn2_b64 exec, exec, s[46:47]
	s_cbranch_execz .LBB36_315
.LBB36_311:                             ;   Parent Loop BB36_47 Depth=1
                                        ;     Parent Loop BB36_300 Depth=2
                                        ;       Parent Loop BB36_303 Depth=3
                                        ; =>      This Inner Loop Header: Depth=4
	s_sleep 1
	s_waitcnt vmcnt(0) lgkmcnt(0)
	flat_load_dwordx2 v[46:47], v[40:41] sc0 sc1
	s_or_b64 s[60:61], s[60:61], exec
	s_or_b64 s[58:59], s[58:59], exec
                                        ; implicit-def: $vgpr5
	s_and_saveexec_b64 s[52:53], vcc
	s_cbranch_execz .LBB36_310
; %bb.312:                              ;   in Loop: Header=BB36_311 Depth=4
	s_cmpk_lt_i32 s70, 0x270f
	s_cselect_b64 s[66:67], -1, 0
	s_cmpk_gt_i32 s70, 0x270e
	s_mov_b64 s[54:55], -1
	s_cbranch_scc0 .LBB36_314
; %bb.313:                              ;   in Loop: Header=BB36_311 Depth=4
	s_trap 2
	ds_read_b64 v[8:9], v0
	s_andn2_b64 s[66:67], s[66:67], exec
	s_mov_b32 s70, 0
	s_mov_b64 s[64:65], 0
	s_waitcnt vmcnt(0) lgkmcnt(0)
	flat_load_dword v5, v[8:9] sc0 sc1
	s_waitcnt vmcnt(0) lgkmcnt(0)
	buffer_inv sc0 sc1
	v_cmp_eq_u32_e64 s[24:25], 0, v5
	s_and_b64 s[24:25], s[24:25], exec
	s_or_b64 s[66:67], s[66:67], s[24:25]
	s_and_saveexec_b64 s[68:69], s[66:67]
	s_cbranch_execz .LBB36_309
	s_branch .LBB36_308
.LBB36_314:                             ;   in Loop: Header=BB36_311 Depth=4
	s_add_i32 s70, s70, 1
	s_mov_b64 s[64:65], -1
                                        ; implicit-def: $vgpr5
	s_and_saveexec_b64 s[68:69], s[66:67]
	s_cbranch_execz .LBB36_309
	s_branch .LBB36_308
.LBB36_315:                             ;   in Loop: Header=BB36_303 Depth=3
	s_or_b64 exec, exec, s[46:47]
	s_xor_b64 s[24:25], s[56:57], -1
	s_and_saveexec_b64 s[46:47], s[24:25]
	s_xor_b64 s[24:25], exec, s[46:47]
	s_cbranch_execz .LBB36_317
; %bb.316:                              ;   in Loop: Header=BB36_303 Depth=3
	v_or_b32_e32 v79, 64, v79
	s_waitcnt lgkmcnt(0)
	ds_write_b32 v0, v5
	s_trap 2
.LBB36_317:                             ;   in Loop: Header=BB36_303 Depth=3
	s_or_b64 exec, exec, s[24:25]
.LBB36_318:                             ;   in Loop: Header=BB36_303 Depth=3
	s_or_b64 exec, exec, s[28:29]
	v_and_b32_e32 v5, 0x108, v79
	v_cmp_ne_u32_e32 vcc, s34, v5
	;;#ASMSTART
	s_wakeup
	;;#ASMEND
                                        ; implicit-def: $vgpr8_vgpr9
	s_and_saveexec_b64 s[24:25], vcc
	s_xor_b64 s[24:25], exec, s[24:25]
; %bb.319:                              ;   in Loop: Header=BB36_303 Depth=3
	v_and_b32_e32 v8, 7, v4
	v_mov_b32_e32 v9, v3
                                        ; implicit-def: $vgpr4_vgpr5
; %bb.320:                              ;   in Loop: Header=BB36_303 Depth=3
	s_andn2_saveexec_b64 s[24:25], s[24:25]
	s_cbranch_execz .LBB36_322
; %bb.321:                              ;   in Loop: Header=BB36_303 Depth=3
	scratch_load_dwordx4 v[10:13], off, s33 offset:280 ; 16-byte Folded Reload
	v_and_b32_e32 v8, 7, v4
	v_ashrrev_i32_e32 v73, 31, v72
	v_mov_b32_e32 v9, v3
	s_waitcnt vmcnt(0)
	v_mad_u64_u32 v[4:5], s[28:29], v8, 24, v[10:11]
	v_lshlrev_b64 v[10:11], 1, v[72:73]
	flat_store_dwordx2 v[4:5], v[10:11] offset:8
.LBB36_322:                             ;   in Loop: Header=BB36_303 Depth=3
	s_or_b64 exec, exec, s[24:25]
	v_and_b32_e32 v4, 0x100, v79
	v_cmp_ne_u32_e32 vcc, 0, v4
	s_mov_b64 s[24:25], -1
                                        ; implicit-def: $vgpr4_vgpr5
	s_and_saveexec_b64 s[28:29], vcc
	s_cbranch_execz .LBB36_326
; %bb.323:                              ;   in Loop: Header=BB36_303 Depth=3
	scratch_load_dwordx4 v[10:13], off, s33 offset:280 ; 16-byte Folded Reload
	s_waitcnt vmcnt(0)
	v_mad_u64_u32 v[10:11], s[24:25], v8, 24, v[10:11]
	v_mov_b32_e32 v4, v11
	v_mad_u64_u32 v[4:5], s[24:25], v9, 24, v[4:5]
	v_mov_b32_e32 v11, v4
	flat_load_dword v4, v[10:11]
	s_waitcnt vmcnt(0) lgkmcnt(0)
	v_cmp_ne_u32_e32 vcc, 1, v4
	v_cmp_eq_u32_e64 s[24:25], 1, v4
                                        ; implicit-def: $vgpr4_vgpr5
	s_and_saveexec_b64 s[46:47], s[24:25]
	s_cbranch_execz .LBB36_325
; %bb.324:                              ;   in Loop: Header=BB36_303 Depth=3
	flat_load_dword v4, v[10:11] offset:4 sc0 sc1
	s_waitcnt vmcnt(0) lgkmcnt(0)
	v_ashrrev_i32_e32 v5, 31, v4
	v_lshrrev_b64 v[4:5], 1, v[4:5]
.LBB36_325:                             ;   in Loop: Header=BB36_303 Depth=3
	s_or_b64 exec, exec, s[46:47]
	s_orn2_b64 s[24:25], vcc, exec
.LBB36_326:                             ;   in Loop: Header=BB36_303 Depth=3
	s_or_b64 exec, exec, s[28:29]
	s_and_saveexec_b64 s[28:29], s[24:25]
	s_cbranch_execz .LBB36_328
; %bb.327:                              ;   in Loop: Header=BB36_303 Depth=3
	scratch_load_dwordx2 v[4:5], off, s33 offset:348 ; 8-byte Folded Reload
	scratch_load_dwordx2 v[10:11], off, s33 offset:372 ; 8-byte Folded Reload
	s_waitcnt vmcnt(0)
	v_mul_lo_u32 v7, v9, v4
	v_mul_lo_u32 v9, v8, v11
	v_mad_u64_u32 v[4:5], s[24:25], v8, v4, 0
	v_add3_u32 v5, v5, v9, v7
.LBB36_328:                             ;   in Loop: Header=BB36_303 Depth=3
	s_or_b64 exec, exec, s[28:29]
	scratch_load_dwordx2 v[8:9], off, s33 offset:264 ; 8-byte Folded Reload
	v_cmp_eq_u32_e32 vcc, 0, v2
	v_mov_b32_e32 v2, 0xc8
	v_mov_b32_e32 v7, 0x90
	v_cndmask_b32_e32 v2, v2, v7, vcc
	v_add_u32_e32 v2, v0, v2
	s_waitcnt vmcnt(0)
	v_lshl_add_u64 v[4:5], v[4:5], 1, v[8:9]
	ds_write_b64 v2, v[4:5] offset:584
	v_and_b32_e32 v2, 0x2000, v79
	v_cmp_ne_u32_e32 vcc, 0, v2
	s_and_saveexec_b64 s[24:25], vcc
	s_cbranch_execz .LBB36_330
; %bb.329:                              ;   in Loop: Header=BB36_303 Depth=3
	ds_read_b64 v[4:5], v0 offset:872
	s_waitcnt lgkmcnt(0)
	v_lshl_add_u64 v[4:5], v[4:5], 0, 1
	ds_write_b64 v0, v[4:5] offset:872
.LBB36_330:                             ;   in Loop: Header=BB36_303 Depth=3
	s_or_b64 exec, exec, s[24:25]
	v_mov_b64_e32 v[4:5], v[0:1]
.LBB36_331:                             ;   in Loop: Header=BB36_303 Depth=3
	s_or_b64 exec, exec, s[26:27]
	s_and_saveexec_b64 s[24:25], s[4:5]
	s_cbranch_execz .LBB36_350
; %bb.332:                              ;   in Loop: Header=BB36_303 Depth=3
	s_and_saveexec_b64 s[26:27], s[76:77]
	s_xor_b64 s[26:27], exec, s[26:27]
	s_cbranch_execz .LBB36_347
; %bb.333:                              ;   in Loop: Header=BB36_303 Depth=3
	s_and_saveexec_b64 s[28:29], s[12:13]
	s_cbranch_execz .LBB36_346
; %bb.334:                              ;   in Loop: Header=BB36_303 Depth=3
	s_mov_b64 s[56:57], exec
	v_mbcnt_lo_u32_b32 v0, s56, 0
	v_mbcnt_hi_u32_b32 v0, s57, v0
	v_cmp_eq_u32_e32 vcc, 0, v0
	s_waitcnt lgkmcnt(0)
	s_and_saveexec_b64 s[46:47], vcc
	s_cbranch_execz .LBB36_336
; %bb.335:                              ;   in Loop: Header=BB36_303 Depth=3
	s_bcnt1_i32_b64 s56, s[56:57]
	v_mov_b32_e32 v2, s56
	ds_add_u64 v0, v[2:3]
	s_trap 2
.LBB36_336:                             ;   in Loop: Header=BB36_303 Depth=3
	s_or_b64 exec, exec, s[46:47]
	s_trap 2
	ds_read_b64 v[0:1], v0
	s_waitcnt lgkmcnt(0)
	v_lshl_add_u64 v[56:57], v[56:57], 0, v[60:61]
	v_cmp_lt_u64_e32 vcc, v[0:1], v[56:57]
	s_and_saveexec_b64 s[46:47], vcc
	s_cbranch_execz .LBB36_345
; %bb.337:                              ;   in Loop: Header=BB36_303 Depth=3
	s_mov_b32 s64, 0
	s_mov_b64 s[56:57], 0
                                        ; implicit-def: $sgpr58_sgpr59
                                        ; implicit-def: $sgpr60_sgpr61
	s_branch .LBB36_339
.LBB36_338:                             ;   in Loop: Header=BB36_339 Depth=4
	s_or_b64 exec, exec, s[54:55]
	s_and_b64 vcc, exec, vcc
	s_or_b64 s[56:57], vcc, s[56:57]
	s_andn2_b64 s[58:59], s[58:59], exec
	s_and_b64 vcc, s[60:61], exec
	s_or_b64 s[58:59], s[58:59], vcc
	s_andn2_b64 exec, exec, s[56:57]
	s_cbranch_execz .LBB36_343
.LBB36_339:                             ;   Parent Loop BB36_47 Depth=1
                                        ;     Parent Loop BB36_300 Depth=2
                                        ;       Parent Loop BB36_303 Depth=3
                                        ; =>      This Inner Loop Header: Depth=4
	s_add_i32 s64, s64, 1
	s_cmpk_lg_i32 s64, 0x2710
	s_cselect_b64 s[52:53], -1, 0
	s_and_b64 vcc, exec, s[52:53]
	s_cbranch_vccz .LBB36_341
; %bb.340:                              ;   in Loop: Header=BB36_339 Depth=4
	s_mov_b64 vcc, -1
	s_or_b64 s[60:61], s[60:61], exec
	s_and_saveexec_b64 s[54:55], s[52:53]
	s_cbranch_execz .LBB36_338
	s_branch .LBB36_342
.LBB36_341:                             ;   in Loop: Header=BB36_339 Depth=4
	s_trap 2
	ds_read_b64 v[0:1], v0
	s_andn2_b64 s[52:53], s[52:53], exec
	s_mov_b32 s64, 0
	s_waitcnt vmcnt(0) lgkmcnt(0)
	flat_load_dword v0, v[0:1] sc0 sc1
	s_waitcnt vmcnt(0) lgkmcnt(0)
	buffer_inv sc0 sc1
	v_cmp_eq_u32_e32 vcc, 0, v0
	s_and_b64 vcc, vcc, exec
	s_or_b64 s[52:53], s[52:53], vcc
	s_mov_b64 vcc, -1
	s_or_b64 s[60:61], s[60:61], exec
	s_and_saveexec_b64 s[54:55], s[52:53]
	s_cbranch_execz .LBB36_338
.LBB36_342:                             ;   in Loop: Header=BB36_339 Depth=4
	s_sleep 1
	s_trap 2
	ds_read_b64 v[0:1], v0
	s_waitcnt lgkmcnt(0)
	s_andn2_b64 s[60:61], s[60:61], exec
	v_cmp_ge_u64_e32 vcc, v[0:1], v[56:57]
	s_orn2_b64 vcc, vcc, exec
	s_branch .LBB36_338
.LBB36_343:                             ;   in Loop: Header=BB36_303 Depth=3
	s_or_b64 exec, exec, s[56:57]
	s_and_saveexec_b64 s[56:57], s[58:59]
	s_xor_b64 s[56:57], exec, s[56:57]
	s_cbranch_execz .LBB36_345
; %bb.344:                              ;   in Loop: Header=BB36_303 Depth=3
	v_mov_b32_e32 v0, 1
	ds_write_b32 v0, v0
	s_trap 2
.LBB36_345:                             ;   in Loop: Header=BB36_303 Depth=3
	s_or_b64 exec, exec, s[46:47]
	;;#ASMSTART
	s_wakeup
	;;#ASMEND
.LBB36_346:                             ;   in Loop: Header=BB36_303 Depth=3
	s_or_b64 exec, exec, s[28:29]
.LBB36_347:                             ;   in Loop: Header=BB36_303 Depth=3
	s_andn2_saveexec_b64 s[26:27], s[26:27]
	s_cbranch_execz .LBB36_349
; %bb.348:                              ;   in Loop: Header=BB36_303 Depth=3
	s_waitcnt lgkmcnt(0)
	s_barrier
.LBB36_349:                             ;   in Loop: Header=BB36_303 Depth=3
	s_or_b64 exec, exec, s[26:27]
.LBB36_350:                             ;   in Loop: Header=BB36_303 Depth=3
	s_or_b64 exec, exec, s[24:25]
	s_trap 2
	ds_read_b32 v7, v0
	v_and_b32_e32 v0, 0x4000, v79
	v_cmp_ne_u32_e32 vcc, 0, v0
	s_xor_b64 s[24:25], s[2:3], -1
	s_and_b64 s[26:27], s[24:25], vcc
	s_and_saveexec_b64 s[24:25], s[26:27]
	s_cbranch_execz .LBB36_369
; %bb.351:                              ;   in Loop: Header=BB36_303 Depth=3
	s_and_saveexec_b64 s[26:27], s[76:77]
	s_xor_b64 s[26:27], exec, s[26:27]
	s_cbranch_execz .LBB36_366
; %bb.352:                              ;   in Loop: Header=BB36_303 Depth=3
	s_and_saveexec_b64 s[28:29], s[12:13]
	s_cbranch_execz .LBB36_365
; %bb.353:                              ;   in Loop: Header=BB36_303 Depth=3
	s_mov_b64 s[56:57], exec
	v_mbcnt_lo_u32_b32 v0, s56, 0
	v_mbcnt_hi_u32_b32 v0, s57, v0
	v_cmp_eq_u32_e32 vcc, 0, v0
	s_waitcnt lgkmcnt(0)
	s_and_saveexec_b64 s[46:47], vcc
	s_cbranch_execz .LBB36_355
; %bb.354:                              ;   in Loop: Header=BB36_303 Depth=3
	s_bcnt1_i32_b64 s56, s[56:57]
	v_mov_b32_e32 v2, s56
	ds_add_u64 v0, v[2:3]
	s_trap 2
.LBB36_355:                             ;   in Loop: Header=BB36_303 Depth=3
	s_or_b64 exec, exec, s[46:47]
	s_trap 2
	ds_read_b64 v[0:1], v0
	s_waitcnt lgkmcnt(0)
	v_lshl_add_u64 v[56:57], v[56:57], 0, v[60:61]
	v_cmp_lt_u64_e32 vcc, v[0:1], v[56:57]
	s_and_saveexec_b64 s[46:47], vcc
	s_cbranch_execz .LBB36_364
; %bb.356:                              ;   in Loop: Header=BB36_303 Depth=3
	s_mov_b32 s64, 0
	s_mov_b64 s[56:57], 0
                                        ; implicit-def: $sgpr58_sgpr59
                                        ; implicit-def: $sgpr60_sgpr61
	s_branch .LBB36_358
.LBB36_357:                             ;   in Loop: Header=BB36_358 Depth=4
	s_or_b64 exec, exec, s[54:55]
	s_and_b64 vcc, exec, vcc
	s_or_b64 s[56:57], vcc, s[56:57]
	s_andn2_b64 s[58:59], s[58:59], exec
	s_and_b64 vcc, s[60:61], exec
	s_or_b64 s[58:59], s[58:59], vcc
	s_andn2_b64 exec, exec, s[56:57]
	s_cbranch_execz .LBB36_362
.LBB36_358:                             ;   Parent Loop BB36_47 Depth=1
                                        ;     Parent Loop BB36_300 Depth=2
                                        ;       Parent Loop BB36_303 Depth=3
                                        ; =>      This Inner Loop Header: Depth=4
	s_add_i32 s64, s64, 1
	s_cmpk_lg_i32 s64, 0x2710
	s_cselect_b64 s[52:53], -1, 0
	s_and_b64 vcc, exec, s[52:53]
	s_cbranch_vccz .LBB36_360
; %bb.359:                              ;   in Loop: Header=BB36_358 Depth=4
	s_mov_b64 vcc, -1
	s_or_b64 s[60:61], s[60:61], exec
	s_and_saveexec_b64 s[54:55], s[52:53]
	s_cbranch_execz .LBB36_357
	s_branch .LBB36_361
.LBB36_360:                             ;   in Loop: Header=BB36_358 Depth=4
	s_trap 2
	ds_read_b64 v[0:1], v0
	s_andn2_b64 s[52:53], s[52:53], exec
	s_mov_b32 s64, 0
	s_waitcnt vmcnt(0) lgkmcnt(0)
	flat_load_dword v0, v[0:1] sc0 sc1
	s_waitcnt vmcnt(0) lgkmcnt(0)
	buffer_inv sc0 sc1
	v_cmp_eq_u32_e32 vcc, 0, v0
	s_and_b64 vcc, vcc, exec
	s_or_b64 s[52:53], s[52:53], vcc
	s_mov_b64 vcc, -1
	s_or_b64 s[60:61], s[60:61], exec
	s_and_saveexec_b64 s[54:55], s[52:53]
	s_cbranch_execz .LBB36_357
.LBB36_361:                             ;   in Loop: Header=BB36_358 Depth=4
	s_sleep 1
	s_trap 2
	ds_read_b64 v[0:1], v0
	s_waitcnt lgkmcnt(0)
	s_andn2_b64 s[60:61], s[60:61], exec
	v_cmp_ge_u64_e32 vcc, v[0:1], v[56:57]
	s_orn2_b64 vcc, vcc, exec
	s_branch .LBB36_357
.LBB36_362:                             ;   in Loop: Header=BB36_303 Depth=3
	s_or_b64 exec, exec, s[56:57]
	s_and_saveexec_b64 s[56:57], s[58:59]
	s_xor_b64 s[56:57], exec, s[56:57]
	s_cbranch_execz .LBB36_364
; %bb.363:                              ;   in Loop: Header=BB36_303 Depth=3
	v_mov_b32_e32 v0, 1
	ds_write_b32 v0, v0
	s_trap 2
.LBB36_364:                             ;   in Loop: Header=BB36_303 Depth=3
	s_or_b64 exec, exec, s[46:47]
	;;#ASMSTART
	s_wakeup
	;;#ASMEND
.LBB36_365:                             ;   in Loop: Header=BB36_303 Depth=3
	s_or_b64 exec, exec, s[28:29]
.LBB36_366:                             ;   in Loop: Header=BB36_303 Depth=3
	s_andn2_saveexec_b64 s[26:27], s[26:27]
	s_cbranch_execz .LBB36_368
; %bb.367:                              ;   in Loop: Header=BB36_303 Depth=3
	s_waitcnt lgkmcnt(0)
	s_barrier
.LBB36_368:                             ;   in Loop: Header=BB36_303 Depth=3
	s_or_b64 exec, exec, s[26:27]
.LBB36_369:                             ;   in Loop: Header=BB36_303 Depth=3
	s_or_b64 exec, exec, s[24:25]
	s_trap 2
	ds_read_b64 v[0:1], v0
	s_waitcnt lgkmcnt(0)
	v_cmp_eq_u64_e32 vcc, 0, v[0:1]
	s_cbranch_vccnz .LBB36_377
; %bb.370:                              ;   in Loop: Header=BB36_303 Depth=3
	s_trap 2
	ds_read_b64 v[118:119], v0
	s_waitcnt lgkmcnt(0)
	v_cmp_eq_u64_e32 vcc, 0, v[118:119]
	s_cbranch_vccnz .LBB36_377
; %bb.371:                              ;   in Loop: Header=BB36_303 Depth=3
	s_trap 2
	ds_read_b64 v[8:9], v0
	s_mov_b64 s[26:27], -1
	s_waitcnt lgkmcnt(0)
	v_readfirstlane_b32 s56, v8
	s_and_saveexec_b64 s[24:25], s[18:19]
	s_cbranch_execz .LBB36_373
; %bb.372:                              ;   in Loop: Header=BB36_303 Depth=3
	ds_read_b32 v2, v0 offset:720
	s_waitcnt lgkmcnt(0)
	v_and_b32_e32 v2, 15, v2
	v_cmp_eq_u32_e32 vcc, 0, v2
	s_orn2_b64 s[26:27], vcc, exec
.LBB36_373:                             ;   in Loop: Header=BB36_303 Depth=3
	s_or_b64 exec, exec, s[24:25]
	s_and_saveexec_b64 s[24:25], s[16:17]
	s_cbranch_execz .LBB36_375
; %bb.374:                              ;   in Loop: Header=BB36_303 Depth=3
	ds_read_b32 v2, v0 offset:784
	s_waitcnt lgkmcnt(0)
	v_and_b32_e32 v2, 15, v2
	v_cmp_eq_u32_e32 vcc, 0, v2
	s_and_b64 s[28:29], s[26:27], vcc
	s_andn2_b64 s[26:27], s[26:27], exec
	s_and_b64 s[28:29], s[28:29], exec
	s_or_b64 s[26:27], s[26:27], s[28:29]
.LBB36_375:                             ;   in Loop: Header=BB36_303 Depth=3
	s_or_b64 exec, exec, s[24:25]
	s_xor_b64 s[26:27], s[26:27], -1
	v_cndmask_b32_e64 v2, 0, 1, s[26:27]
	v_cmp_eq_u32_e64 s[24:25], 0, v7
	s_mov_b64 s[28:29], -1
	v_cmp_ne_u32_e32 vcc, 0, v2
	s_cbranch_vccz .LBB36_382
; %bb.376:                              ;   in Loop: Header=BB36_303 Depth=3
	s_and_b32 s68, s56, 1
	s_mov_b64 s[28:29], 0
	s_mov_b64 s[46:47], -1
	s_branch .LBB36_383
.LBB36_377:                             ;   in Loop: Header=BB36_303 Depth=3
	s_mov_b64 s[24:25], 0
	s_and_saveexec_b64 s[26:27], s[4:5]
	s_cbranch_execnz .LBB36_1123
.LBB36_378:                             ;   in Loop: Header=BB36_303 Depth=3
	s_or_b64 exec, exec, s[26:27]
                                        ; implicit-def: $vgpr0
	s_and_saveexec_b64 s[26:27], s[20:21]
	s_xor_b64 s[26:27], exec, s[26:27]
	s_cbranch_execz .LBB36_1141
.LBB36_379:                             ;   in Loop: Header=BB36_303 Depth=3
	v_and_b32_e32 v1, 16, v79
	v_cmp_ne_u32_e32 vcc, 0, v1
	v_and_b32_e32 v0, 16, v79
	s_and_b64 s[28:29], vcc, s[24:25]
	s_and_saveexec_b64 s[24:25], s[28:29]
	s_cbranch_execz .LBB36_381
; %bb.380:                              ;   in Loop: Header=BB36_303 Depth=3
	v_mov_b32_e32 v0, 1
	buffer_wbl2 sc1
	s_waitcnt vmcnt(0) lgkmcnt(0)
	buffer_inv sc1
.LBB36_381:                             ;   in Loop: Header=BB36_303 Depth=3
	s_or_b64 exec, exec, s[24:25]
	s_andn2_saveexec_b64 s[24:25], s[26:27]
	s_cbranch_execz .LBB36_1160
	s_branch .LBB36_1142
.LBB36_382:                             ;   in Loop: Header=BB36_303 Depth=3
	s_mov_b64 s[46:47], 0
                                        ; implicit-def: $sgpr68
.LBB36_383:                             ;   in Loop: Header=BB36_303 Depth=3
	v_cndmask_b32_e64 v2, 0, v72, s[24:25]
	v_lshlrev_b32_e32 v7, 1, v2
	s_andn2_b64 vcc, exec, s[28:29]
	v_mov_b32_e32 v14, 0
	s_cbranch_vccnz .LBB36_647
; %bb.384:                              ;   in Loop: Header=BB36_303 Depth=3
	v_ashrrev_i32_e32 v8, 31, v7
	v_lshrrev_b32_e32 v8, 20, v8
	v_add_u32_e32 v8, v7, v8
	v_ashrrev_i32_e32 v59, 12, v8
	scratch_load_dword v8, off, s33 offset:344 ; 4-byte Folded Reload
	s_and_b32 s68, s56, 1
	s_mov_b64 s[24:25], 0
                                        ; implicit-def: $vgpr80_vgpr81
                                        ; implicit-def: $vgpr36_vgpr37
                                        ; implicit-def: $vgpr24_vgpr25
                                        ; implicit-def: $vgpr12_vgpr13
                                        ; implicit-def: $vgpr32_vgpr33
                                        ; implicit-def: $vgpr20_vgpr21
                                        ; implicit-def: $vgpr16_vgpr17
	s_waitcnt vmcnt(0)
	v_lshrrev_b32_e32 v8, 6, v8
	v_sub_u32_e32 v73, v59, v8
	scratch_load_dwordx2 v[8:9], off, s33 offset:304 ; 8-byte Folded Reload
	v_cmp_lt_i32_e32 vcc, 0, v73
	s_waitcnt vmcnt(0)
	v_lshl_add_u64 v[108:109], v[118:119], 0, v[8:9]
                                        ; implicit-def: $vgpr8_vgpr9
	s_and_saveexec_b64 s[26:27], vcc
	s_cbranch_execz .LBB36_649
; %bb.385:                              ;   in Loop: Header=BB36_303 Depth=3
	s_trap 2
	scratch_load_dwordx2 v[10:11], off, s33 offset:304 ; 8-byte Folded Reload
	ds_read_b64 v[8:9], v0
	s_and_b32 s24, 0xffff, s68
	s_cmp_eq_u32 s24, 0
	s_mov_b64 s[58:59], 0
	s_mov_b64 s[28:29], 0
	s_cselect_b64 vcc, -1, 0
                                        ; implicit-def: $sgpr56_sgpr57
                                        ; implicit-def: $vgpr80_vgpr81
                                        ; implicit-def: $vgpr36_vgpr37
                                        ; implicit-def: $vgpr24_vgpr25
                                        ; implicit-def: $vgpr12_vgpr13
                                        ; implicit-def: $vgpr32_vgpr33
                                        ; implicit-def: $vgpr20_vgpr21
                                        ; implicit-def: $vgpr16_vgpr17
	s_waitcnt vmcnt(0)
	v_lshl_add_u64 v[124:125], v[0:1], 0, v[10:11]
	s_waitcnt lgkmcnt(0)
	v_lshl_add_u64 v[44:45], v[8:9], 0, v[10:11]
                                        ; implicit-def: $vgpr8_vgpr9
	s_branch .LBB36_387
.LBB36_386:                             ;   in Loop: Header=BB36_387 Depth=4
	s_or_b64 exec, exec, s[60:61]
	v_lshrrev_b32_e32 v55, 16, v68
	v_and_or_b32 v65, v65, s9, v55
	v_lshrrev_b32_e32 v55, 16, v99
	v_and_or_b32 v64, v64, s9, v55
	;; [unrolled: 2-line block ×5, first 2 shown]
	v_lshrrev_b32_e32 v55, 16, v115
	v_lshrrev_b32_e32 v30, 16, v30
	v_and_or_b32 v84, v84, s9, v55
	v_lshrrev_b32_e32 v55, 16, v97
	v_and_or_b32 v96, v100, s9, v30
	;; [unrolled: 2-line block ×9, first 2 shown]
	v_mov_b32_e32 v30, 0x1000
	v_cndmask_b32_e64 v52, v30, v28, s[58:59]
	v_cndmask_b32_e64 v30, 0, v60, s[58:59]
	v_sub_u32_e32 v73, v73, v30
	v_and_or_b32 v87, v87, s9, v55
	v_lshrrev_b32_e32 v55, 16, v112
	v_cmp_gt_i32_e64 s[24:25], 1, v73
	v_and_or_b32 v97, v101, s9, v55
	s_or_b64 s[28:29], s[24:25], s[28:29]
	global_store_dwordx4 v[108:109], v[96:99], off
	global_store_dwordx4 v[108:109], v[84:87], off offset:1024
	global_store_dwordx4 v[108:109], v[64:67], off offset:2048
	;; [unrolled: 1-line block ×3, first 2 shown]
	v_cndmask_b32_e64 v53, 0, v29, s[58:59]
	s_andn2_b64 s[24:25], s[56:57], exec
	v_lshl_add_u64 v[48:49], v[124:125], 0, v[106:107]
	v_lshl_add_u64 v[50:51], v[44:45], 0, v[106:107]
	s_and_b64 s[56:57], s[58:59], exec
	v_lshl_add_u64 v[108:109], v[108:109], 0, v[52:53]
	v_cndmask_b32_e64 v125, v125, v49, s[58:59]
	v_cndmask_b32_e64 v124, v124, v48, s[58:59]
	v_cndmask_b32_e64 v45, v45, v51, s[58:59]
	v_cndmask_b32_e64 v44, v44, v50, s[58:59]
	s_or_b64 s[56:57], s[24:25], s[56:57]
	s_andn2_b64 exec, exec, s[28:29]
	s_cbranch_execz .LBB36_648
.LBB36_387:                             ;   Parent Loop BB36_47 Depth=1
                                        ;     Parent Loop BB36_300 Depth=2
                                        ;       Parent Loop BB36_303 Depth=3
                                        ; =>      This Inner Loop Header: Depth=4
	global_load_dwordx4 v[100:103], v[124:125], off nt
	global_load_dwordx4 v[84:87], v[124:125], off offset:1024 nt
	global_load_dwordx4 v[64:67], v[124:125], off offset:2048 nt
	global_load_dwordx4 v[48:51], v[124:125], off offset:3072 nt
	global_load_dwordx4 v[112:115], v[44:45], off nt
	global_load_dwordx4 v[96:99], v[44:45], off offset:1024 nt
	global_load_dwordx4 v[68:71], v[44:45], off offset:2048 nt
	global_load_dwordx4 v[52:55], v[44:45], off offset:3072 nt
	s_and_saveexec_b64 s[60:61], s[58:59]
	s_cbranch_execz .LBB36_517
; %bb.388:                              ;   in Loop: Header=BB36_387 Depth=4
	v_lshlrev_b32_e32 v30, 16, v80
	v_lshlrev_b32_e32 v116, 16, v32
	v_max_f32_e32 v116, v116, v116
	v_max_f32_e32 v30, v30, v30
	v_min_f32_e32 v117, v30, v116
	v_max_f32_e32 v30, v30, v116
	v_cndmask_b32_e32 v116, v30, v117, vcc
	v_and_b32_e32 v30, 0x7f800000, v116
	v_cmp_ne_u32_e64 s[24:25], s35, v30
                                        ; implicit-def: $vgpr30
	s_and_saveexec_b64 s[58:59], s[24:25]
	s_xor_b64 s[24:25], exec, s[58:59]
; %bb.389:                              ;   in Loop: Header=BB36_387 Depth=4
	v_bfe_u32 v30, v116, 16, 1
	v_add3_u32 v30, v116, v30, s8
                                        ; implicit-def: $vgpr116
; %bb.390:                              ;   in Loop: Header=BB36_387 Depth=4
	s_andn2_saveexec_b64 s[58:59], s[24:25]
; %bb.391:                              ;   in Loop: Header=BB36_387 Depth=4
	v_or_b32_e32 v30, 0x10000, v116
	v_cmp_eq_u32_sdwa s[24:25], v116, v3 src0_sel:WORD_0 src1_sel:DWORD
	s_nop 1
	v_cndmask_b32_e64 v30, v30, v116, s[24:25]
; %bb.392:                              ;   in Loop: Header=BB36_387 Depth=4
	s_or_b64 exec, exec, s[58:59]
	v_and_b32_e32 v80, 0xffff0000, v80
	v_and_b32_e32 v116, 0xffff0000, v32
	v_max_f32_e32 v116, v116, v116
	v_max_f32_e32 v80, v80, v80
	v_min_f32_e32 v117, v80, v116
	v_max_f32_e32 v80, v80, v116
	v_cndmask_b32_e32 v116, v80, v117, vcc
	v_and_b32_e32 v80, 0x7f800000, v116
	v_cmp_ne_u32_e64 s[24:25], s35, v80
                                        ; implicit-def: $vgpr80
	s_and_saveexec_b64 s[58:59], s[24:25]
	s_xor_b64 s[24:25], exec, s[58:59]
; %bb.393:                              ;   in Loop: Header=BB36_387 Depth=4
	v_bfe_u32 v80, v116, 16, 1
	v_add3_u32 v80, v116, v80, s8
                                        ; implicit-def: $vgpr116
; %bb.394:                              ;   in Loop: Header=BB36_387 Depth=4
	s_andn2_saveexec_b64 s[58:59], s[24:25]
; %bb.395:                              ;   in Loop: Header=BB36_387 Depth=4
	v_or_b32_e32 v80, 0x10000, v116
	v_cmp_eq_u32_sdwa s[24:25], v116, v3 src0_sel:WORD_0 src1_sel:DWORD
	s_nop 1
	v_cndmask_b32_e64 v80, v80, v116, s[24:25]
; %bb.396:                              ;   in Loop: Header=BB36_387 Depth=4
	s_or_b64 exec, exec, s[58:59]
	v_lshlrev_b32_e32 v116, 16, v81
	v_lshlrev_b32_e32 v117, 16, v33
	v_max_f32_e32 v117, v117, v117
	v_max_f32_e32 v116, v116, v116
	v_min_f32_e32 v42, v116, v117
	v_max_f32_e32 v116, v116, v117
	v_cndmask_b32_e32 v116, v116, v42, vcc
	v_and_b32_e32 v117, 0x7f800000, v116
	v_cmp_ne_u32_e64 s[24:25], s35, v117
                                        ; implicit-def: $vgpr62
	s_and_saveexec_b64 s[58:59], s[24:25]
	s_xor_b64 s[24:25], exec, s[58:59]
; %bb.397:                              ;   in Loop: Header=BB36_387 Depth=4
	v_bfe_u32 v117, v116, 16, 1
	v_add3_u32 v62, v116, v117, s8
                                        ; implicit-def: $vgpr116
; %bb.398:                              ;   in Loop: Header=BB36_387 Depth=4
	s_andn2_saveexec_b64 s[58:59], s[24:25]
; %bb.399:                              ;   in Loop: Header=BB36_387 Depth=4
	v_or_b32_e32 v117, 0x10000, v116
	v_cmp_eq_u32_sdwa s[24:25], v116, v3 src0_sel:WORD_0 src1_sel:DWORD
	s_nop 1
	v_cndmask_b32_e64 v62, v117, v116, s[24:25]
; %bb.400:                              ;   in Loop: Header=BB36_387 Depth=4
	s_or_b64 exec, exec, s[58:59]
	v_and_b32_e32 v81, 0xffff0000, v81
	v_and_b32_e32 v116, 0xffff0000, v33
	v_max_f32_e32 v116, v116, v116
	v_max_f32_e32 v81, v81, v81
	v_min_f32_e32 v117, v81, v116
	v_max_f32_e32 v81, v81, v116
	v_cndmask_b32_e32 v116, v81, v117, vcc
	v_and_b32_e32 v81, 0x7f800000, v116
	v_cmp_ne_u32_e64 s[24:25], s35, v81
                                        ; implicit-def: $vgpr81
	s_and_saveexec_b64 s[58:59], s[24:25]
	s_xor_b64 s[24:25], exec, s[58:59]
; %bb.401:                              ;   in Loop: Header=BB36_387 Depth=4
	v_bfe_u32 v81, v116, 16, 1
	v_add3_u32 v81, v116, v81, s8
                                        ; implicit-def: $vgpr116
; %bb.402:                              ;   in Loop: Header=BB36_387 Depth=4
	s_andn2_saveexec_b64 s[58:59], s[24:25]
; %bb.403:                              ;   in Loop: Header=BB36_387 Depth=4
	v_or_b32_e32 v81, 0x10000, v116
	v_cmp_eq_u32_sdwa s[24:25], v116, v3 src0_sel:WORD_0 src1_sel:DWORD
	s_nop 1
	v_cndmask_b32_e64 v81, v81, v116, s[24:25]
; %bb.404:                              ;   in Loop: Header=BB36_387 Depth=4
	s_or_b64 exec, exec, s[58:59]
	v_lshlrev_b32_e32 v116, 16, v82
	v_lshlrev_b32_e32 v117, 16, v34
	v_max_f32_e32 v117, v117, v117
	v_max_f32_e32 v116, v116, v116
	v_min_f32_e32 v42, v116, v117
	v_max_f32_e32 v116, v116, v117
	v_cndmask_b32_e32 v116, v116, v42, vcc
	v_and_b32_e32 v117, 0x7f800000, v116
	v_cmp_ne_u32_e64 s[24:25], s35, v117
                                        ; implicit-def: $vgpr63
	s_and_saveexec_b64 s[58:59], s[24:25]
	s_xor_b64 s[24:25], exec, s[58:59]
; %bb.405:                              ;   in Loop: Header=BB36_387 Depth=4
	v_bfe_u32 v117, v116, 16, 1
	v_add3_u32 v63, v116, v117, s8
                                        ; implicit-def: $vgpr116
; %bb.406:                              ;   in Loop: Header=BB36_387 Depth=4
	s_andn2_saveexec_b64 s[58:59], s[24:25]
; %bb.407:                              ;   in Loop: Header=BB36_387 Depth=4
	v_or_b32_e32 v117, 0x10000, v116
	v_cmp_eq_u32_sdwa s[24:25], v116, v3 src0_sel:WORD_0 src1_sel:DWORD
	s_nop 1
	v_cndmask_b32_e64 v63, v117, v116, s[24:25]
; %bb.408:                              ;   in Loop: Header=BB36_387 Depth=4
	s_or_b64 exec, exec, s[58:59]
	v_and_b32_e32 v82, 0xffff0000, v82
	v_and_b32_e32 v116, 0xffff0000, v34
	v_max_f32_e32 v116, v116, v116
	v_max_f32_e32 v82, v82, v82
	v_min_f32_e32 v117, v82, v116
	v_max_f32_e32 v82, v82, v116
	v_cndmask_b32_e32 v116, v82, v117, vcc
	v_and_b32_e32 v82, 0x7f800000, v116
	v_cmp_ne_u32_e64 s[24:25], s35, v82
                                        ; implicit-def: $vgpr82
	s_and_saveexec_b64 s[58:59], s[24:25]
	s_xor_b64 s[24:25], exec, s[58:59]
; %bb.409:                              ;   in Loop: Header=BB36_387 Depth=4
	v_bfe_u32 v82, v116, 16, 1
	v_add3_u32 v82, v116, v82, s8
                                        ; implicit-def: $vgpr116
; %bb.410:                              ;   in Loop: Header=BB36_387 Depth=4
	s_andn2_saveexec_b64 s[58:59], s[24:25]
; %bb.411:                              ;   in Loop: Header=BB36_387 Depth=4
	v_or_b32_e32 v82, 0x10000, v116
	v_cmp_eq_u32_sdwa s[24:25], v116, v3 src0_sel:WORD_0 src1_sel:DWORD
	s_nop 1
	v_cndmask_b32_e64 v82, v82, v116, s[24:25]
; %bb.412:                              ;   in Loop: Header=BB36_387 Depth=4
	s_or_b64 exec, exec, s[58:59]
	v_lshlrev_b32_e32 v116, 16, v83
	v_lshlrev_b32_e32 v117, 16, v35
	v_max_f32_e32 v117, v117, v117
	v_max_f32_e32 v116, v116, v116
	v_min_f32_e32 v42, v116, v117
	v_max_f32_e32 v116, v116, v117
	v_cndmask_b32_e32 v116, v116, v42, vcc
	v_and_b32_e32 v117, 0x7f800000, v116
	v_cmp_ne_u32_e64 s[24:25], s35, v117
                                        ; implicit-def: $vgpr42
	s_and_saveexec_b64 s[58:59], s[24:25]
	s_xor_b64 s[24:25], exec, s[58:59]
; %bb.413:                              ;   in Loop: Header=BB36_387 Depth=4
	v_bfe_u32 v117, v116, 16, 1
	v_add3_u32 v42, v116, v117, s8
                                        ; implicit-def: $vgpr116
; %bb.414:                              ;   in Loop: Header=BB36_387 Depth=4
	s_andn2_saveexec_b64 s[58:59], s[24:25]
; %bb.415:                              ;   in Loop: Header=BB36_387 Depth=4
	v_or_b32_e32 v117, 0x10000, v116
	v_cmp_eq_u32_sdwa s[24:25], v116, v3 src0_sel:WORD_0 src1_sel:DWORD
	s_nop 1
	v_cndmask_b32_e64 v42, v117, v116, s[24:25]
; %bb.416:                              ;   in Loop: Header=BB36_387 Depth=4
	s_or_b64 exec, exec, s[58:59]
	v_and_b32_e32 v83, 0xffff0000, v83
	v_and_b32_e32 v116, 0xffff0000, v35
	v_max_f32_e32 v116, v116, v116
	v_max_f32_e32 v83, v83, v83
	v_min_f32_e32 v117, v83, v116
	v_max_f32_e32 v83, v83, v116
	v_cndmask_b32_e32 v116, v83, v117, vcc
	v_and_b32_e32 v83, 0x7f800000, v116
	v_cmp_ne_u32_e64 s[24:25], s35, v83
                                        ; implicit-def: $vgpr83
	s_and_saveexec_b64 s[58:59], s[24:25]
	s_xor_b64 s[24:25], exec, s[58:59]
; %bb.417:                              ;   in Loop: Header=BB36_387 Depth=4
	v_bfe_u32 v83, v116, 16, 1
	v_add3_u32 v83, v116, v83, s8
                                        ; implicit-def: $vgpr116
; %bb.418:                              ;   in Loop: Header=BB36_387 Depth=4
	s_andn2_saveexec_b64 s[58:59], s[24:25]
; %bb.419:                              ;   in Loop: Header=BB36_387 Depth=4
	v_or_b32_e32 v83, 0x10000, v116
	v_cmp_eq_u32_sdwa s[24:25], v116, v3 src0_sel:WORD_0 src1_sel:DWORD
	s_nop 1
	v_cndmask_b32_e64 v83, v83, v116, s[24:25]
; %bb.420:                              ;   in Loop: Header=BB36_387 Depth=4
	s_or_b64 exec, exec, s[58:59]
	v_lshlrev_b32_e32 v116, 16, v36
	v_lshlrev_b32_e32 v117, 16, v20
	v_max_f32_e32 v117, v117, v117
	v_max_f32_e32 v116, v116, v116
	v_min_f32_e32 v43, v116, v117
	v_max_f32_e32 v116, v116, v117
	v_cndmask_b32_e32 v116, v116, v43, vcc
	v_and_b32_e32 v117, 0x7f800000, v116
	v_cmp_ne_u32_e64 s[24:25], s35, v117
                                        ; implicit-def: $vgpr43
	s_and_saveexec_b64 s[58:59], s[24:25]
	s_xor_b64 s[24:25], exec, s[58:59]
; %bb.421:                              ;   in Loop: Header=BB36_387 Depth=4
	v_bfe_u32 v117, v116, 16, 1
	v_add3_u32 v43, v116, v117, s8
                                        ; implicit-def: $vgpr116
; %bb.422:                              ;   in Loop: Header=BB36_387 Depth=4
	s_andn2_saveexec_b64 s[58:59], s[24:25]
; %bb.423:                              ;   in Loop: Header=BB36_387 Depth=4
	v_or_b32_e32 v117, 0x10000, v116
	v_cmp_eq_u32_sdwa s[24:25], v116, v3 src0_sel:WORD_0 src1_sel:DWORD
	s_nop 1
	v_cndmask_b32_e64 v43, v117, v116, s[24:25]
; %bb.424:                              ;   in Loop: Header=BB36_387 Depth=4
	s_or_b64 exec, exec, s[58:59]
	v_and_b32_e32 v36, 0xffff0000, v36
	v_and_b32_e32 v116, 0xffff0000, v20
	v_max_f32_e32 v116, v116, v116
	v_max_f32_e32 v36, v36, v36
	v_min_f32_e32 v117, v36, v116
	v_max_f32_e32 v36, v36, v116
	v_cndmask_b32_e32 v116, v36, v117, vcc
	v_and_b32_e32 v36, 0x7f800000, v116
	v_cmp_ne_u32_e64 s[24:25], s35, v36
                                        ; implicit-def: $vgpr36
	s_and_saveexec_b64 s[58:59], s[24:25]
	s_xor_b64 s[24:25], exec, s[58:59]
; %bb.425:                              ;   in Loop: Header=BB36_387 Depth=4
	v_bfe_u32 v36, v116, 16, 1
	v_add3_u32 v36, v116, v36, s8
                                        ; implicit-def: $vgpr116
; %bb.426:                              ;   in Loop: Header=BB36_387 Depth=4
	s_andn2_saveexec_b64 s[58:59], s[24:25]
; %bb.427:                              ;   in Loop: Header=BB36_387 Depth=4
	v_or_b32_e32 v36, 0x10000, v116
	v_cmp_eq_u32_sdwa s[24:25], v116, v3 src0_sel:WORD_0 src1_sel:DWORD
	s_nop 1
	v_cndmask_b32_e64 v36, v36, v116, s[24:25]
; %bb.428:                              ;   in Loop: Header=BB36_387 Depth=4
	s_or_b64 exec, exec, s[58:59]
	v_lshlrev_b32_e32 v116, 16, v37
	v_lshlrev_b32_e32 v117, 16, v21
	v_max_f32_e32 v117, v117, v117
	v_max_f32_e32 v116, v116, v116
	v_min_f32_e32 v74, v116, v117
	v_max_f32_e32 v116, v116, v117
	v_cndmask_b32_e32 v116, v116, v74, vcc
	v_and_b32_e32 v117, 0x7f800000, v116
	v_cmp_ne_u32_e64 s[24:25], s35, v117
                                        ; implicit-def: $vgpr110
	s_and_saveexec_b64 s[58:59], s[24:25]
	s_xor_b64 s[24:25], exec, s[58:59]
; %bb.429:                              ;   in Loop: Header=BB36_387 Depth=4
	v_bfe_u32 v117, v116, 16, 1
	v_add3_u32 v110, v116, v117, s8
                                        ; implicit-def: $vgpr116
; %bb.430:                              ;   in Loop: Header=BB36_387 Depth=4
	s_andn2_saveexec_b64 s[58:59], s[24:25]
; %bb.431:                              ;   in Loop: Header=BB36_387 Depth=4
	v_or_b32_e32 v117, 0x10000, v116
	v_cmp_eq_u32_sdwa s[24:25], v116, v3 src0_sel:WORD_0 src1_sel:DWORD
	s_nop 1
	v_cndmask_b32_e64 v110, v117, v116, s[24:25]
; %bb.432:                              ;   in Loop: Header=BB36_387 Depth=4
	s_or_b64 exec, exec, s[58:59]
	v_and_b32_e32 v37, 0xffff0000, v37
	v_and_b32_e32 v116, 0xffff0000, v21
	v_max_f32_e32 v116, v116, v116
	v_max_f32_e32 v37, v37, v37
	v_min_f32_e32 v117, v37, v116
	v_max_f32_e32 v37, v37, v116
	v_cndmask_b32_e32 v116, v37, v117, vcc
	v_and_b32_e32 v37, 0x7f800000, v116
	v_cmp_ne_u32_e64 s[24:25], s35, v37
                                        ; implicit-def: $vgpr37
	s_and_saveexec_b64 s[58:59], s[24:25]
	s_xor_b64 s[24:25], exec, s[58:59]
; %bb.433:                              ;   in Loop: Header=BB36_387 Depth=4
	v_bfe_u32 v37, v116, 16, 1
	v_add3_u32 v37, v116, v37, s8
                                        ; implicit-def: $vgpr116
; %bb.434:                              ;   in Loop: Header=BB36_387 Depth=4
	s_andn2_saveexec_b64 s[58:59], s[24:25]
; %bb.435:                              ;   in Loop: Header=BB36_387 Depth=4
	v_or_b32_e32 v37, 0x10000, v116
	v_cmp_eq_u32_sdwa s[24:25], v116, v3 src0_sel:WORD_0 src1_sel:DWORD
	s_nop 1
	v_cndmask_b32_e64 v37, v37, v116, s[24:25]
; %bb.436:                              ;   in Loop: Header=BB36_387 Depth=4
	s_or_b64 exec, exec, s[58:59]
	v_lshlrev_b32_e32 v116, 16, v38
	v_lshlrev_b32_e32 v117, 16, v22
	v_max_f32_e32 v117, v117, v117
	v_max_f32_e32 v116, v116, v116
	v_min_f32_e32 v74, v116, v117
	v_max_f32_e32 v116, v116, v117
	v_cndmask_b32_e32 v116, v116, v74, vcc
	v_and_b32_e32 v117, 0x7f800000, v116
	v_cmp_ne_u32_e64 s[24:25], s35, v117
                                        ; implicit-def: $vgpr111
	s_and_saveexec_b64 s[58:59], s[24:25]
	s_xor_b64 s[24:25], exec, s[58:59]
; %bb.437:                              ;   in Loop: Header=BB36_387 Depth=4
	v_bfe_u32 v117, v116, 16, 1
	v_add3_u32 v111, v116, v117, s8
                                        ; implicit-def: $vgpr116
; %bb.438:                              ;   in Loop: Header=BB36_387 Depth=4
	s_andn2_saveexec_b64 s[58:59], s[24:25]
; %bb.439:                              ;   in Loop: Header=BB36_387 Depth=4
	v_or_b32_e32 v117, 0x10000, v116
	v_cmp_eq_u32_sdwa s[24:25], v116, v3 src0_sel:WORD_0 src1_sel:DWORD
	s_nop 1
	v_cndmask_b32_e64 v111, v117, v116, s[24:25]
; %bb.440:                              ;   in Loop: Header=BB36_387 Depth=4
	s_or_b64 exec, exec, s[58:59]
	v_and_b32_e32 v38, 0xffff0000, v38
	v_and_b32_e32 v116, 0xffff0000, v22
	v_max_f32_e32 v116, v116, v116
	v_max_f32_e32 v38, v38, v38
	v_min_f32_e32 v117, v38, v116
	v_max_f32_e32 v38, v38, v116
	v_cndmask_b32_e32 v116, v38, v117, vcc
	v_and_b32_e32 v38, 0x7f800000, v116
	v_cmp_ne_u32_e64 s[24:25], s35, v38
                                        ; implicit-def: $vgpr38
	s_and_saveexec_b64 s[58:59], s[24:25]
	s_xor_b64 s[24:25], exec, s[58:59]
; %bb.441:                              ;   in Loop: Header=BB36_387 Depth=4
	v_bfe_u32 v38, v116, 16, 1
	v_add3_u32 v38, v116, v38, s8
                                        ; implicit-def: $vgpr116
; %bb.442:                              ;   in Loop: Header=BB36_387 Depth=4
	s_andn2_saveexec_b64 s[58:59], s[24:25]
; %bb.443:                              ;   in Loop: Header=BB36_387 Depth=4
	v_or_b32_e32 v38, 0x10000, v116
	v_cmp_eq_u32_sdwa s[24:25], v116, v3 src0_sel:WORD_0 src1_sel:DWORD
	s_nop 1
	v_cndmask_b32_e64 v38, v38, v116, s[24:25]
; %bb.444:                              ;   in Loop: Header=BB36_387 Depth=4
	s_or_b64 exec, exec, s[58:59]
	v_lshlrev_b32_e32 v116, 16, v39
	v_lshlrev_b32_e32 v117, 16, v23
	v_max_f32_e32 v117, v117, v117
	v_max_f32_e32 v116, v116, v116
	v_min_f32_e32 v74, v116, v117
	v_max_f32_e32 v116, v116, v117
	v_cndmask_b32_e32 v116, v116, v74, vcc
	v_and_b32_e32 v117, 0x7f800000, v116
	v_cmp_ne_u32_e64 s[24:25], s35, v117
                                        ; implicit-def: $vgpr122
	s_and_saveexec_b64 s[58:59], s[24:25]
	s_xor_b64 s[24:25], exec, s[58:59]
; %bb.445:                              ;   in Loop: Header=BB36_387 Depth=4
	v_bfe_u32 v117, v116, 16, 1
	v_add3_u32 v122, v116, v117, s8
                                        ; implicit-def: $vgpr116
; %bb.446:                              ;   in Loop: Header=BB36_387 Depth=4
	s_andn2_saveexec_b64 s[58:59], s[24:25]
; %bb.447:                              ;   in Loop: Header=BB36_387 Depth=4
	v_or_b32_e32 v117, 0x10000, v116
	v_cmp_eq_u32_sdwa s[24:25], v116, v3 src0_sel:WORD_0 src1_sel:DWORD
	s_nop 1
	v_cndmask_b32_e64 v122, v117, v116, s[24:25]
; %bb.448:                              ;   in Loop: Header=BB36_387 Depth=4
	s_or_b64 exec, exec, s[58:59]
	v_and_b32_e32 v39, 0xffff0000, v39
	v_and_b32_e32 v116, 0xffff0000, v23
	v_max_f32_e32 v116, v116, v116
	v_max_f32_e32 v39, v39, v39
	v_min_f32_e32 v117, v39, v116
	v_max_f32_e32 v39, v39, v116
	v_cndmask_b32_e32 v116, v39, v117, vcc
	v_and_b32_e32 v39, 0x7f800000, v116
	v_cmp_ne_u32_e64 s[24:25], s35, v39
                                        ; implicit-def: $vgpr39
	s_and_saveexec_b64 s[58:59], s[24:25]
	s_xor_b64 s[24:25], exec, s[58:59]
; %bb.449:                              ;   in Loop: Header=BB36_387 Depth=4
	v_bfe_u32 v39, v116, 16, 1
	v_add3_u32 v39, v116, v39, s8
                                        ; implicit-def: $vgpr116
; %bb.450:                              ;   in Loop: Header=BB36_387 Depth=4
	s_andn2_saveexec_b64 s[58:59], s[24:25]
; %bb.451:                              ;   in Loop: Header=BB36_387 Depth=4
	v_or_b32_e32 v39, 0x10000, v116
	v_cmp_eq_u32_sdwa s[24:25], v116, v3 src0_sel:WORD_0 src1_sel:DWORD
	s_nop 1
	v_cndmask_b32_e64 v39, v39, v116, s[24:25]
; %bb.452:                              ;   in Loop: Header=BB36_387 Depth=4
	s_or_b64 exec, exec, s[58:59]
	v_lshlrev_b32_e32 v116, 16, v24
	v_lshlrev_b32_e32 v117, 16, v16
	v_max_f32_e32 v117, v117, v117
	v_max_f32_e32 v116, v116, v116
	v_min_f32_e32 v74, v116, v117
	v_max_f32_e32 v116, v116, v117
	v_cndmask_b32_e32 v116, v116, v74, vcc
	v_and_b32_e32 v117, 0x7f800000, v116
	v_cmp_ne_u32_e64 s[24:25], s35, v117
                                        ; implicit-def: $vgpr123
	s_and_saveexec_b64 s[58:59], s[24:25]
	s_xor_b64 s[24:25], exec, s[58:59]
; %bb.453:                              ;   in Loop: Header=BB36_387 Depth=4
	v_bfe_u32 v117, v116, 16, 1
	v_add3_u32 v123, v116, v117, s8
                                        ; implicit-def: $vgpr116
; %bb.454:                              ;   in Loop: Header=BB36_387 Depth=4
	s_andn2_saveexec_b64 s[58:59], s[24:25]
; %bb.455:                              ;   in Loop: Header=BB36_387 Depth=4
	v_or_b32_e32 v117, 0x10000, v116
	v_cmp_eq_u32_sdwa s[24:25], v116, v3 src0_sel:WORD_0 src1_sel:DWORD
	s_nop 1
	v_cndmask_b32_e64 v123, v117, v116, s[24:25]
; %bb.456:                              ;   in Loop: Header=BB36_387 Depth=4
	s_or_b64 exec, exec, s[58:59]
	v_and_b32_e32 v24, 0xffff0000, v24
	v_and_b32_e32 v116, 0xffff0000, v16
	v_max_f32_e32 v116, v116, v116
	v_max_f32_e32 v24, v24, v24
	v_min_f32_e32 v117, v24, v116
	v_max_f32_e32 v24, v24, v116
	v_cndmask_b32_e32 v116, v24, v117, vcc
	v_and_b32_e32 v24, 0x7f800000, v116
	v_cmp_ne_u32_e64 s[24:25], s35, v24
                                        ; implicit-def: $vgpr24
	s_and_saveexec_b64 s[58:59], s[24:25]
	s_xor_b64 s[24:25], exec, s[58:59]
; %bb.457:                              ;   in Loop: Header=BB36_387 Depth=4
	v_bfe_u32 v24, v116, 16, 1
	v_add3_u32 v24, v116, v24, s8
                                        ; implicit-def: $vgpr116
; %bb.458:                              ;   in Loop: Header=BB36_387 Depth=4
	s_andn2_saveexec_b64 s[58:59], s[24:25]
; %bb.459:                              ;   in Loop: Header=BB36_387 Depth=4
	v_or_b32_e32 v24, 0x10000, v116
	v_cmp_eq_u32_sdwa s[24:25], v116, v3 src0_sel:WORD_0 src1_sel:DWORD
	s_nop 1
	v_cndmask_b32_e64 v24, v24, v116, s[24:25]
; %bb.460:                              ;   in Loop: Header=BB36_387 Depth=4
	s_or_b64 exec, exec, s[58:59]
	v_lshlrev_b32_e32 v116, 16, v25
	v_lshlrev_b32_e32 v117, 16, v17
	v_max_f32_e32 v117, v117, v117
	v_max_f32_e32 v116, v116, v116
	v_min_f32_e32 v74, v116, v117
	v_max_f32_e32 v116, v116, v117
	v_cndmask_b32_e32 v116, v116, v74, vcc
	v_and_b32_e32 v117, 0x7f800000, v116
	v_cmp_ne_u32_e64 s[24:25], s35, v117
                                        ; implicit-def: $vgpr88
	s_and_saveexec_b64 s[58:59], s[24:25]
	s_xor_b64 s[24:25], exec, s[58:59]
; %bb.461:                              ;   in Loop: Header=BB36_387 Depth=4
	v_bfe_u32 v117, v116, 16, 1
	v_add3_u32 v88, v116, v117, s8
                                        ; implicit-def: $vgpr116
; %bb.462:                              ;   in Loop: Header=BB36_387 Depth=4
	s_andn2_saveexec_b64 s[58:59], s[24:25]
; %bb.463:                              ;   in Loop: Header=BB36_387 Depth=4
	v_or_b32_e32 v117, 0x10000, v116
	v_cmp_eq_u32_sdwa s[24:25], v116, v3 src0_sel:WORD_0 src1_sel:DWORD
	s_nop 1
	v_cndmask_b32_e64 v88, v117, v116, s[24:25]
; %bb.464:                              ;   in Loop: Header=BB36_387 Depth=4
	s_or_b64 exec, exec, s[58:59]
	v_and_b32_e32 v25, 0xffff0000, v25
	v_and_b32_e32 v116, 0xffff0000, v17
	v_max_f32_e32 v116, v116, v116
	v_max_f32_e32 v25, v25, v25
	v_min_f32_e32 v117, v25, v116
	v_max_f32_e32 v25, v25, v116
	v_cndmask_b32_e32 v116, v25, v117, vcc
	v_and_b32_e32 v25, 0x7f800000, v116
	v_cmp_ne_u32_e64 s[24:25], s35, v25
                                        ; implicit-def: $vgpr25
	s_and_saveexec_b64 s[58:59], s[24:25]
	s_xor_b64 s[24:25], exec, s[58:59]
; %bb.465:                              ;   in Loop: Header=BB36_387 Depth=4
	v_bfe_u32 v25, v116, 16, 1
	v_add3_u32 v25, v116, v25, s8
                                        ; implicit-def: $vgpr116
; %bb.466:                              ;   in Loop: Header=BB36_387 Depth=4
	s_andn2_saveexec_b64 s[58:59], s[24:25]
; %bb.467:                              ;   in Loop: Header=BB36_387 Depth=4
	v_or_b32_e32 v25, 0x10000, v116
	v_cmp_eq_u32_sdwa s[24:25], v116, v3 src0_sel:WORD_0 src1_sel:DWORD
	s_nop 1
	v_cndmask_b32_e64 v25, v25, v116, s[24:25]
; %bb.468:                              ;   in Loop: Header=BB36_387 Depth=4
	s_or_b64 exec, exec, s[58:59]
	v_lshlrev_b32_e32 v116, 16, v26
	v_lshlrev_b32_e32 v117, 16, v18
	v_max_f32_e32 v117, v117, v117
	v_max_f32_e32 v116, v116, v116
	v_min_f32_e32 v74, v116, v117
	v_max_f32_e32 v116, v116, v117
	v_cndmask_b32_e32 v116, v116, v74, vcc
	v_and_b32_e32 v117, 0x7f800000, v116
	v_cmp_ne_u32_e64 s[24:25], s35, v117
                                        ; implicit-def: $vgpr89
	s_and_saveexec_b64 s[58:59], s[24:25]
	s_xor_b64 s[24:25], exec, s[58:59]
; %bb.469:                              ;   in Loop: Header=BB36_387 Depth=4
	v_bfe_u32 v117, v116, 16, 1
	v_add3_u32 v89, v116, v117, s8
                                        ; implicit-def: $vgpr116
; %bb.470:                              ;   in Loop: Header=BB36_387 Depth=4
	s_andn2_saveexec_b64 s[58:59], s[24:25]
; %bb.471:                              ;   in Loop: Header=BB36_387 Depth=4
	v_or_b32_e32 v117, 0x10000, v116
	v_cmp_eq_u32_sdwa s[24:25], v116, v3 src0_sel:WORD_0 src1_sel:DWORD
	s_nop 1
	v_cndmask_b32_e64 v89, v117, v116, s[24:25]
; %bb.472:                              ;   in Loop: Header=BB36_387 Depth=4
	s_or_b64 exec, exec, s[58:59]
	v_and_b32_e32 v26, 0xffff0000, v26
	v_and_b32_e32 v116, 0xffff0000, v18
	v_max_f32_e32 v116, v116, v116
	v_max_f32_e32 v26, v26, v26
	v_min_f32_e32 v117, v26, v116
	v_max_f32_e32 v26, v26, v116
	v_cndmask_b32_e32 v116, v26, v117, vcc
	v_and_b32_e32 v26, 0x7f800000, v116
	v_cmp_ne_u32_e64 s[24:25], s35, v26
                                        ; implicit-def: $vgpr26
	s_and_saveexec_b64 s[58:59], s[24:25]
	s_xor_b64 s[24:25], exec, s[58:59]
; %bb.473:                              ;   in Loop: Header=BB36_387 Depth=4
	v_bfe_u32 v26, v116, 16, 1
	v_add3_u32 v26, v116, v26, s8
                                        ; implicit-def: $vgpr116
; %bb.474:                              ;   in Loop: Header=BB36_387 Depth=4
	s_andn2_saveexec_b64 s[58:59], s[24:25]
; %bb.475:                              ;   in Loop: Header=BB36_387 Depth=4
	v_or_b32_e32 v26, 0x10000, v116
	v_cmp_eq_u32_sdwa s[24:25], v116, v3 src0_sel:WORD_0 src1_sel:DWORD
	s_nop 1
	v_cndmask_b32_e64 v26, v26, v116, s[24:25]
; %bb.476:                              ;   in Loop: Header=BB36_387 Depth=4
	s_or_b64 exec, exec, s[58:59]
	v_lshlrev_b32_e32 v116, 16, v27
	v_lshlrev_b32_e32 v117, 16, v19
	v_max_f32_e32 v117, v117, v117
	v_max_f32_e32 v116, v116, v116
	v_min_f32_e32 v74, v116, v117
	v_max_f32_e32 v116, v116, v117
	v_cndmask_b32_e32 v116, v116, v74, vcc
	v_and_b32_e32 v117, 0x7f800000, v116
	v_cmp_ne_u32_e64 s[24:25], s35, v117
                                        ; implicit-def: $vgpr90
	s_and_saveexec_b64 s[58:59], s[24:25]
	s_xor_b64 s[24:25], exec, s[58:59]
; %bb.477:                              ;   in Loop: Header=BB36_387 Depth=4
	v_bfe_u32 v117, v116, 16, 1
	v_add3_u32 v90, v116, v117, s8
                                        ; implicit-def: $vgpr116
; %bb.478:                              ;   in Loop: Header=BB36_387 Depth=4
	s_andn2_saveexec_b64 s[58:59], s[24:25]
; %bb.479:                              ;   in Loop: Header=BB36_387 Depth=4
	v_or_b32_e32 v117, 0x10000, v116
	v_cmp_eq_u32_sdwa s[24:25], v116, v3 src0_sel:WORD_0 src1_sel:DWORD
	s_nop 1
	v_cndmask_b32_e64 v90, v117, v116, s[24:25]
; %bb.480:                              ;   in Loop: Header=BB36_387 Depth=4
	s_or_b64 exec, exec, s[58:59]
	v_and_b32_e32 v27, 0xffff0000, v27
	v_and_b32_e32 v116, 0xffff0000, v19
	v_max_f32_e32 v116, v116, v116
	v_max_f32_e32 v27, v27, v27
	v_min_f32_e32 v117, v27, v116
	v_max_f32_e32 v27, v27, v116
	v_cndmask_b32_e32 v116, v27, v117, vcc
	v_and_b32_e32 v27, 0x7f800000, v116
	v_cmp_ne_u32_e64 s[24:25], s35, v27
                                        ; implicit-def: $vgpr27
	s_and_saveexec_b64 s[58:59], s[24:25]
	s_xor_b64 s[24:25], exec, s[58:59]
; %bb.481:                              ;   in Loop: Header=BB36_387 Depth=4
	v_bfe_u32 v27, v116, 16, 1
	v_add3_u32 v27, v116, v27, s8
                                        ; implicit-def: $vgpr116
; %bb.482:                              ;   in Loop: Header=BB36_387 Depth=4
	s_andn2_saveexec_b64 s[58:59], s[24:25]
; %bb.483:                              ;   in Loop: Header=BB36_387 Depth=4
	v_or_b32_e32 v27, 0x10000, v116
	v_cmp_eq_u32_sdwa s[24:25], v116, v3 src0_sel:WORD_0 src1_sel:DWORD
	s_nop 1
	v_cndmask_b32_e64 v27, v27, v116, s[24:25]
; %bb.484:                              ;   in Loop: Header=BB36_387 Depth=4
	s_or_b64 exec, exec, s[58:59]
	v_lshlrev_b32_e32 v116, 16, v12
	v_lshlrev_b32_e32 v117, 16, v8
	v_max_f32_e32 v117, v117, v117
	v_max_f32_e32 v116, v116, v116
	v_min_f32_e32 v74, v116, v117
	v_max_f32_e32 v116, v116, v117
	v_cndmask_b32_e32 v116, v116, v74, vcc
	v_and_b32_e32 v117, 0x7f800000, v116
	v_cmp_ne_u32_e64 s[24:25], s35, v117
                                        ; implicit-def: $vgpr91
	s_and_saveexec_b64 s[58:59], s[24:25]
	s_xor_b64 s[24:25], exec, s[58:59]
; %bb.485:                              ;   in Loop: Header=BB36_387 Depth=4
	v_bfe_u32 v117, v116, 16, 1
	v_add3_u32 v91, v116, v117, s8
                                        ; implicit-def: $vgpr116
; %bb.486:                              ;   in Loop: Header=BB36_387 Depth=4
	s_andn2_saveexec_b64 s[58:59], s[24:25]
; %bb.487:                              ;   in Loop: Header=BB36_387 Depth=4
	v_or_b32_e32 v117, 0x10000, v116
	v_cmp_eq_u32_sdwa s[24:25], v116, v3 src0_sel:WORD_0 src1_sel:DWORD
	s_nop 1
	v_cndmask_b32_e64 v91, v117, v116, s[24:25]
; %bb.488:                              ;   in Loop: Header=BB36_387 Depth=4
	s_or_b64 exec, exec, s[58:59]
	v_and_b32_e32 v12, 0xffff0000, v12
	v_and_b32_e32 v116, 0xffff0000, v8
	v_max_f32_e32 v116, v116, v116
	v_max_f32_e32 v12, v12, v12
	v_min_f32_e32 v117, v12, v116
	v_max_f32_e32 v12, v12, v116
	v_cndmask_b32_e32 v116, v12, v117, vcc
	v_and_b32_e32 v12, 0x7f800000, v116
	v_cmp_ne_u32_e64 s[24:25], s35, v12
                                        ; implicit-def: $vgpr12
	s_and_saveexec_b64 s[58:59], s[24:25]
	s_xor_b64 s[24:25], exec, s[58:59]
; %bb.489:                              ;   in Loop: Header=BB36_387 Depth=4
	v_bfe_u32 v12, v116, 16, 1
	v_add3_u32 v12, v116, v12, s8
                                        ; implicit-def: $vgpr116
; %bb.490:                              ;   in Loop: Header=BB36_387 Depth=4
	s_andn2_saveexec_b64 s[58:59], s[24:25]
; %bb.491:                              ;   in Loop: Header=BB36_387 Depth=4
	v_or_b32_e32 v12, 0x10000, v116
	v_cmp_eq_u32_sdwa s[24:25], v116, v3 src0_sel:WORD_0 src1_sel:DWORD
	s_nop 1
	v_cndmask_b32_e64 v12, v12, v116, s[24:25]
; %bb.492:                              ;   in Loop: Header=BB36_387 Depth=4
	s_or_b64 exec, exec, s[58:59]
	v_lshlrev_b32_e32 v116, 16, v13
	v_lshlrev_b32_e32 v117, 16, v9
	v_max_f32_e32 v117, v117, v117
	v_max_f32_e32 v116, v116, v116
	v_min_f32_e32 v74, v116, v117
	v_max_f32_e32 v116, v116, v117
	v_cndmask_b32_e32 v116, v116, v74, vcc
	v_and_b32_e32 v117, 0x7f800000, v116
	v_cmp_ne_u32_e64 s[24:25], s35, v117
                                        ; implicit-def: $vgpr74
	s_and_saveexec_b64 s[58:59], s[24:25]
	s_xor_b64 s[24:25], exec, s[58:59]
; %bb.493:                              ;   in Loop: Header=BB36_387 Depth=4
	v_bfe_u32 v117, v116, 16, 1
	v_add3_u32 v74, v116, v117, s8
                                        ; implicit-def: $vgpr116
; %bb.494:                              ;   in Loop: Header=BB36_387 Depth=4
	s_andn2_saveexec_b64 s[58:59], s[24:25]
; %bb.495:                              ;   in Loop: Header=BB36_387 Depth=4
	v_or_b32_e32 v117, 0x10000, v116
	v_cmp_eq_u32_sdwa s[24:25], v116, v3 src0_sel:WORD_0 src1_sel:DWORD
	s_nop 1
	v_cndmask_b32_e64 v74, v117, v116, s[24:25]
; %bb.496:                              ;   in Loop: Header=BB36_387 Depth=4
	s_or_b64 exec, exec, s[58:59]
	v_and_b32_e32 v13, 0xffff0000, v13
	v_and_b32_e32 v116, 0xffff0000, v9
	v_max_f32_e32 v116, v116, v116
	v_max_f32_e32 v13, v13, v13
	v_min_f32_e32 v117, v13, v116
	v_max_f32_e32 v13, v13, v116
	v_cndmask_b32_e32 v116, v13, v117, vcc
	v_and_b32_e32 v13, 0x7f800000, v116
	v_cmp_ne_u32_e64 s[24:25], s35, v13
                                        ; implicit-def: $vgpr13
	s_and_saveexec_b64 s[58:59], s[24:25]
	s_xor_b64 s[24:25], exec, s[58:59]
; %bb.497:                              ;   in Loop: Header=BB36_387 Depth=4
	v_bfe_u32 v13, v116, 16, 1
	v_add3_u32 v13, v116, v13, s8
                                        ; implicit-def: $vgpr116
; %bb.498:                              ;   in Loop: Header=BB36_387 Depth=4
	s_andn2_saveexec_b64 s[58:59], s[24:25]
; %bb.499:                              ;   in Loop: Header=BB36_387 Depth=4
	v_or_b32_e32 v13, 0x10000, v116
	v_cmp_eq_u32_sdwa s[24:25], v116, v3 src0_sel:WORD_0 src1_sel:DWORD
	s_nop 1
	v_cndmask_b32_e64 v13, v13, v116, s[24:25]
; %bb.500:                              ;   in Loop: Header=BB36_387 Depth=4
	s_or_b64 exec, exec, s[58:59]
	v_lshlrev_b32_e32 v116, 16, v14
	v_lshlrev_b32_e32 v117, 16, v10
	v_max_f32_e32 v117, v117, v117
	v_max_f32_e32 v116, v116, v116
	v_min_f32_e32 v75, v116, v117
	v_max_f32_e32 v116, v116, v117
	v_cndmask_b32_e32 v116, v116, v75, vcc
	v_and_b32_e32 v117, 0x7f800000, v116
	v_cmp_ne_u32_e64 s[24:25], s35, v117
                                        ; implicit-def: $vgpr75
	s_and_saveexec_b64 s[58:59], s[24:25]
	s_xor_b64 s[24:25], exec, s[58:59]
; %bb.501:                              ;   in Loop: Header=BB36_387 Depth=4
	v_bfe_u32 v117, v116, 16, 1
	v_add3_u32 v75, v116, v117, s8
                                        ; implicit-def: $vgpr116
; %bb.502:                              ;   in Loop: Header=BB36_387 Depth=4
	s_andn2_saveexec_b64 s[58:59], s[24:25]
; %bb.503:                              ;   in Loop: Header=BB36_387 Depth=4
	v_or_b32_e32 v117, 0x10000, v116
	v_cmp_eq_u32_sdwa s[24:25], v116, v3 src0_sel:WORD_0 src1_sel:DWORD
	s_nop 1
	v_cndmask_b32_e64 v75, v117, v116, s[24:25]
; %bb.504:                              ;   in Loop: Header=BB36_387 Depth=4
	s_or_b64 exec, exec, s[58:59]
	v_and_b32_e32 v14, 0xffff0000, v14
	v_and_b32_e32 v116, 0xffff0000, v10
	v_max_f32_e32 v116, v116, v116
	v_max_f32_e32 v14, v14, v14
	v_min_f32_e32 v117, v14, v116
	v_max_f32_e32 v14, v14, v116
	v_cndmask_b32_e32 v116, v14, v117, vcc
	v_and_b32_e32 v14, 0x7f800000, v116
	v_cmp_ne_u32_e64 s[24:25], s35, v14
                                        ; implicit-def: $vgpr14
	s_and_saveexec_b64 s[58:59], s[24:25]
	s_xor_b64 s[24:25], exec, s[58:59]
; %bb.505:                              ;   in Loop: Header=BB36_387 Depth=4
	v_bfe_u32 v14, v116, 16, 1
	v_add3_u32 v14, v116, v14, s8
                                        ; implicit-def: $vgpr116
; %bb.506:                              ;   in Loop: Header=BB36_387 Depth=4
	s_andn2_saveexec_b64 s[58:59], s[24:25]
; %bb.507:                              ;   in Loop: Header=BB36_387 Depth=4
	v_or_b32_e32 v14, 0x10000, v116
	v_cmp_eq_u32_sdwa s[24:25], v116, v3 src0_sel:WORD_0 src1_sel:DWORD
	s_nop 1
	v_cndmask_b32_e64 v14, v14, v116, s[24:25]
; %bb.508:                              ;   in Loop: Header=BB36_387 Depth=4
	s_or_b64 exec, exec, s[58:59]
	v_lshlrev_b32_e32 v116, 16, v15
	v_lshlrev_b32_e32 v117, 16, v11
	v_max_f32_e32 v117, v117, v117
	v_max_f32_e32 v116, v116, v116
	v_min_f32_e32 v78, v116, v117
	v_max_f32_e32 v116, v116, v117
	v_cndmask_b32_e32 v117, v116, v78, vcc
	v_and_b32_e32 v116, 0x7f800000, v117
	v_cmp_ne_u32_e64 s[24:25], s35, v116
                                        ; implicit-def: $vgpr116
	s_and_saveexec_b64 s[58:59], s[24:25]
	s_xor_b64 s[24:25], exec, s[58:59]
; %bb.509:                              ;   in Loop: Header=BB36_387 Depth=4
	v_bfe_u32 v116, v117, 16, 1
	v_add3_u32 v116, v117, v116, s8
                                        ; implicit-def: $vgpr117
; %bb.510:                              ;   in Loop: Header=BB36_387 Depth=4
	s_andn2_saveexec_b64 s[58:59], s[24:25]
; %bb.511:                              ;   in Loop: Header=BB36_387 Depth=4
	v_or_b32_e32 v116, 0x10000, v117
	v_cmp_eq_u32_sdwa s[24:25], v117, v3 src0_sel:WORD_0 src1_sel:DWORD
	s_nop 1
	v_cndmask_b32_e64 v116, v116, v117, s[24:25]
; %bb.512:                              ;   in Loop: Header=BB36_387 Depth=4
	s_or_b64 exec, exec, s[58:59]
	v_and_b32_e32 v15, 0xffff0000, v15
	v_and_b32_e32 v117, 0xffff0000, v11
	v_max_f32_e32 v117, v117, v117
	v_max_f32_e32 v15, v15, v15
	v_min_f32_e32 v78, v15, v117
	v_max_f32_e32 v15, v15, v117
	v_cndmask_b32_e32 v117, v15, v78, vcc
	v_and_b32_e32 v15, 0x7f800000, v117
	v_cmp_ne_u32_e64 s[24:25], s35, v15
                                        ; implicit-def: $vgpr15
	s_and_saveexec_b64 s[58:59], s[24:25]
	s_xor_b64 s[24:25], exec, s[58:59]
; %bb.513:                              ;   in Loop: Header=BB36_387 Depth=4
	v_bfe_u32 v15, v117, 16, 1
	v_add3_u32 v15, v117, v15, s8
                                        ; implicit-def: $vgpr117
; %bb.514:                              ;   in Loop: Header=BB36_387 Depth=4
	s_andn2_saveexec_b64 s[58:59], s[24:25]
; %bb.515:                              ;   in Loop: Header=BB36_387 Depth=4
	v_or_b32_e32 v15, 0x10000, v117
	v_cmp_eq_u32_sdwa s[24:25], v117, v3 src0_sel:WORD_0 src1_sel:DWORD
	s_nop 1
	v_cndmask_b32_e64 v15, v15, v117, s[24:25]
; %bb.516:                              ;   in Loop: Header=BB36_387 Depth=4
	s_or_b64 exec, exec, s[58:59]
	v_lshrrev_b32_e32 v117, 16, v88
	v_and_or_b32 v25, v25, s9, v117
	v_lshrrev_b32_e32 v117, 16, v123
	v_and_or_b32 v24, v24, s9, v117
	;; [unrolled: 2-line block ×3, first 2 shown]
	v_lshrrev_b32_e32 v117, 16, v90
	v_lshrrev_b32_e32 v30, 16, v30
	v_and_or_b32 v27, v27, s9, v117
	v_lshrrev_b32_e32 v117, 16, v110
	v_and_or_b32 v80, v80, s9, v30
	;; [unrolled: 2-line block ×11, first 2 shown]
	v_and_or_b32 v14, v14, s9, v30
	v_lshrrev_b32_e32 v30, 16, v116
	v_and_or_b32 v15, v15, s9, v30
	global_store_dwordx4 v[108:109], v[80:83], off
	global_store_dwordx4 v[108:109], v[36:39], off offset:1024
	global_store_dwordx4 v[108:109], v[24:27], off offset:2048
	;; [unrolled: 1-line block ×3, first 2 shown]
	v_lshl_add_u64 v[108:109], v[108:109], 0, v[28:29]
.LBB36_517:                             ;   in Loop: Header=BB36_387 Depth=4
	s_or_b64 exec, exec, s[60:61]
	v_sub_u32_e32 v73, v73, v60
	v_lshl_add_u64 v[124:125], v[124:125], 0, v[28:29]
	v_lshl_add_u64 v[44:45], v[44:45], 0, v[28:29]
	v_cmp_lt_i32_e64 s[58:59], 0, v73
	s_and_saveexec_b64 s[24:25], s[58:59]
	s_cbranch_execz .LBB36_519
; %bb.518:                              ;   in Loop: Header=BB36_387 Depth=4
	global_load_dwordx4 v[80:83], v[124:125], off nt
	global_load_dwordx4 v[36:39], v[124:125], off offset:1024 nt
	global_load_dwordx4 v[24:27], v[124:125], off offset:2048 nt
	global_load_dwordx4 v[12:15], v[124:125], off offset:3072 nt
	global_load_dwordx4 v[32:35], v[44:45], off nt
	global_load_dwordx4 v[20:23], v[44:45], off offset:1024 nt
	global_load_dwordx4 v[16:19], v[44:45], off offset:2048 nt
	;; [unrolled: 1-line block ×3, first 2 shown]
	v_lshl_add_u64 v[124:125], v[124:125], 0, s[30:31]
	v_lshl_add_u64 v[44:45], v[44:45], 0, s[30:31]
.LBB36_519:                             ;   in Loop: Header=BB36_387 Depth=4
	s_or_b64 exec, exec, s[24:25]
	s_waitcnt vmcnt(7)
	v_lshlrev_b32_e32 v30, 16, v100
	s_waitcnt vmcnt(3)
	v_lshlrev_b32_e32 v116, 16, v112
	v_max_f32_e32 v116, v116, v116
	v_max_f32_e32 v30, v30, v30
	v_min_f32_e32 v117, v30, v116
	v_max_f32_e32 v30, v30, v116
	v_cndmask_b32_e32 v116, v30, v117, vcc
	v_and_b32_e32 v30, 0x7f800000, v116
	v_cmp_ne_u32_e64 s[24:25], s35, v30
                                        ; implicit-def: $vgpr30
	s_and_saveexec_b64 s[60:61], s[24:25]
	s_xor_b64 s[24:25], exec, s[60:61]
; %bb.520:                              ;   in Loop: Header=BB36_387 Depth=4
	v_bfe_u32 v30, v116, 16, 1
	v_add3_u32 v30, v116, v30, s8
                                        ; implicit-def: $vgpr116
; %bb.521:                              ;   in Loop: Header=BB36_387 Depth=4
	s_andn2_saveexec_b64 s[60:61], s[24:25]
; %bb.522:                              ;   in Loop: Header=BB36_387 Depth=4
	v_or_b32_e32 v30, 0x10000, v116
	v_cmp_eq_u32_sdwa s[24:25], v116, v3 src0_sel:WORD_0 src1_sel:DWORD
	s_nop 1
	v_cndmask_b32_e64 v30, v30, v116, s[24:25]
; %bb.523:                              ;   in Loop: Header=BB36_387 Depth=4
	s_or_b64 exec, exec, s[60:61]
	v_and_b32_e32 v100, 0xffff0000, v100
	v_and_b32_e32 v112, 0xffff0000, v112
	v_max_f32_e32 v112, v112, v112
	v_max_f32_e32 v100, v100, v100
	v_min_f32_e32 v116, v100, v112
	v_max_f32_e32 v100, v100, v112
	v_cndmask_b32_e32 v112, v100, v116, vcc
	v_and_b32_e32 v100, 0x7f800000, v112
	v_cmp_ne_u32_e64 s[24:25], s35, v100
                                        ; implicit-def: $vgpr100
	s_and_saveexec_b64 s[60:61], s[24:25]
	s_xor_b64 s[24:25], exec, s[60:61]
; %bb.524:                              ;   in Loop: Header=BB36_387 Depth=4
	v_bfe_u32 v100, v112, 16, 1
	v_add3_u32 v100, v112, v100, s8
                                        ; implicit-def: $vgpr112
; %bb.525:                              ;   in Loop: Header=BB36_387 Depth=4
	s_andn2_saveexec_b64 s[60:61], s[24:25]
; %bb.526:                              ;   in Loop: Header=BB36_387 Depth=4
	v_or_b32_e32 v100, 0x10000, v112
	v_cmp_eq_u32_sdwa s[24:25], v112, v3 src0_sel:WORD_0 src1_sel:DWORD
	s_nop 1
	v_cndmask_b32_e64 v100, v100, v112, s[24:25]
; %bb.527:                              ;   in Loop: Header=BB36_387 Depth=4
	s_or_b64 exec, exec, s[60:61]
	v_lshlrev_b32_e32 v112, 16, v101
	v_lshlrev_b32_e32 v116, 16, v113
	v_max_f32_e32 v116, v116, v116
	v_max_f32_e32 v112, v112, v112
	v_min_f32_e32 v117, v112, v116
	v_max_f32_e32 v112, v112, v116
	v_cndmask_b32_e32 v116, v112, v117, vcc
	v_and_b32_e32 v112, 0x7f800000, v116
	v_cmp_ne_u32_e64 s[24:25], s35, v112
                                        ; implicit-def: $vgpr112
	s_and_saveexec_b64 s[60:61], s[24:25]
	s_xor_b64 s[24:25], exec, s[60:61]
; %bb.528:                              ;   in Loop: Header=BB36_387 Depth=4
	v_bfe_u32 v112, v116, 16, 1
	v_add3_u32 v112, v116, v112, s8
                                        ; implicit-def: $vgpr116
; %bb.529:                              ;   in Loop: Header=BB36_387 Depth=4
	s_andn2_saveexec_b64 s[60:61], s[24:25]
; %bb.530:                              ;   in Loop: Header=BB36_387 Depth=4
	v_or_b32_e32 v112, 0x10000, v116
	v_cmp_eq_u32_sdwa s[24:25], v116, v3 src0_sel:WORD_0 src1_sel:DWORD
	s_nop 1
	v_cndmask_b32_e64 v112, v112, v116, s[24:25]
; %bb.531:                              ;   in Loop: Header=BB36_387 Depth=4
	s_or_b64 exec, exec, s[60:61]
	v_and_b32_e32 v101, 0xffff0000, v101
	v_and_b32_e32 v113, 0xffff0000, v113
	v_max_f32_e32 v113, v113, v113
	v_max_f32_e32 v101, v101, v101
	v_min_f32_e32 v116, v101, v113
	v_max_f32_e32 v101, v101, v113
	v_cndmask_b32_e32 v113, v101, v116, vcc
	v_and_b32_e32 v101, 0x7f800000, v113
	v_cmp_ne_u32_e64 s[24:25], s35, v101
                                        ; implicit-def: $vgpr101
	s_and_saveexec_b64 s[60:61], s[24:25]
	s_xor_b64 s[24:25], exec, s[60:61]
; %bb.532:                              ;   in Loop: Header=BB36_387 Depth=4
	v_bfe_u32 v101, v113, 16, 1
	v_add3_u32 v101, v113, v101, s8
                                        ; implicit-def: $vgpr113
; %bb.533:                              ;   in Loop: Header=BB36_387 Depth=4
	s_andn2_saveexec_b64 s[60:61], s[24:25]
; %bb.534:                              ;   in Loop: Header=BB36_387 Depth=4
	v_or_b32_e32 v101, 0x10000, v113
	v_cmp_eq_u32_sdwa s[24:25], v113, v3 src0_sel:WORD_0 src1_sel:DWORD
	s_nop 1
	v_cndmask_b32_e64 v101, v101, v113, s[24:25]
; %bb.535:                              ;   in Loop: Header=BB36_387 Depth=4
	s_or_b64 exec, exec, s[60:61]
	v_lshlrev_b32_e32 v113, 16, v102
	v_lshlrev_b32_e32 v116, 16, v114
	v_max_f32_e32 v116, v116, v116
	v_max_f32_e32 v113, v113, v113
	v_min_f32_e32 v117, v113, v116
	v_max_f32_e32 v113, v113, v116
	v_cndmask_b32_e32 v116, v113, v117, vcc
	v_and_b32_e32 v113, 0x7f800000, v116
	v_cmp_ne_u32_e64 s[24:25], s35, v113
                                        ; implicit-def: $vgpr113
	s_and_saveexec_b64 s[60:61], s[24:25]
	s_xor_b64 s[24:25], exec, s[60:61]
; %bb.536:                              ;   in Loop: Header=BB36_387 Depth=4
	v_bfe_u32 v113, v116, 16, 1
	v_add3_u32 v113, v116, v113, s8
                                        ; implicit-def: $vgpr116
; %bb.537:                              ;   in Loop: Header=BB36_387 Depth=4
	s_andn2_saveexec_b64 s[60:61], s[24:25]
; %bb.538:                              ;   in Loop: Header=BB36_387 Depth=4
	v_or_b32_e32 v113, 0x10000, v116
	v_cmp_eq_u32_sdwa s[24:25], v116, v3 src0_sel:WORD_0 src1_sel:DWORD
	s_nop 1
	v_cndmask_b32_e64 v113, v113, v116, s[24:25]
; %bb.539:                              ;   in Loop: Header=BB36_387 Depth=4
	s_or_b64 exec, exec, s[60:61]
	v_and_b32_e32 v102, 0xffff0000, v102
	v_and_b32_e32 v114, 0xffff0000, v114
	v_max_f32_e32 v114, v114, v114
	v_max_f32_e32 v102, v102, v102
	v_min_f32_e32 v116, v102, v114
	v_max_f32_e32 v102, v102, v114
	v_cndmask_b32_e32 v114, v102, v116, vcc
	v_and_b32_e32 v102, 0x7f800000, v114
	v_cmp_ne_u32_e64 s[24:25], s35, v102
                                        ; implicit-def: $vgpr102
	s_and_saveexec_b64 s[60:61], s[24:25]
	s_xor_b64 s[24:25], exec, s[60:61]
; %bb.540:                              ;   in Loop: Header=BB36_387 Depth=4
	v_bfe_u32 v102, v114, 16, 1
	v_add3_u32 v102, v114, v102, s8
                                        ; implicit-def: $vgpr114
; %bb.541:                              ;   in Loop: Header=BB36_387 Depth=4
	s_andn2_saveexec_b64 s[60:61], s[24:25]
; %bb.542:                              ;   in Loop: Header=BB36_387 Depth=4
	v_or_b32_e32 v102, 0x10000, v114
	v_cmp_eq_u32_sdwa s[24:25], v114, v3 src0_sel:WORD_0 src1_sel:DWORD
	s_nop 1
	v_cndmask_b32_e64 v102, v102, v114, s[24:25]
; %bb.543:                              ;   in Loop: Header=BB36_387 Depth=4
	s_or_b64 exec, exec, s[60:61]
	v_lshlrev_b32_e32 v114, 16, v103
	v_lshlrev_b32_e32 v116, 16, v115
	v_max_f32_e32 v116, v116, v116
	v_max_f32_e32 v114, v114, v114
	v_min_f32_e32 v117, v114, v116
	v_max_f32_e32 v114, v114, v116
	v_cndmask_b32_e32 v116, v114, v117, vcc
	v_and_b32_e32 v114, 0x7f800000, v116
	v_cmp_ne_u32_e64 s[24:25], s35, v114
                                        ; implicit-def: $vgpr114
	s_and_saveexec_b64 s[60:61], s[24:25]
	s_xor_b64 s[24:25], exec, s[60:61]
; %bb.544:                              ;   in Loop: Header=BB36_387 Depth=4
	v_bfe_u32 v114, v116, 16, 1
	v_add3_u32 v114, v116, v114, s8
                                        ; implicit-def: $vgpr116
; %bb.545:                              ;   in Loop: Header=BB36_387 Depth=4
	s_andn2_saveexec_b64 s[60:61], s[24:25]
; %bb.546:                              ;   in Loop: Header=BB36_387 Depth=4
	v_or_b32_e32 v114, 0x10000, v116
	v_cmp_eq_u32_sdwa s[24:25], v116, v3 src0_sel:WORD_0 src1_sel:DWORD
	s_nop 1
	v_cndmask_b32_e64 v114, v114, v116, s[24:25]
; %bb.547:                              ;   in Loop: Header=BB36_387 Depth=4
	s_or_b64 exec, exec, s[60:61]
	v_and_b32_e32 v103, 0xffff0000, v103
	v_and_b32_e32 v115, 0xffff0000, v115
	v_max_f32_e32 v115, v115, v115
	v_max_f32_e32 v103, v103, v103
	v_min_f32_e32 v116, v103, v115
	v_max_f32_e32 v103, v103, v115
	v_cndmask_b32_e32 v115, v103, v116, vcc
	v_and_b32_e32 v103, 0x7f800000, v115
	v_cmp_ne_u32_e64 s[24:25], s35, v103
                                        ; implicit-def: $vgpr103
	s_and_saveexec_b64 s[60:61], s[24:25]
	s_xor_b64 s[24:25], exec, s[60:61]
; %bb.548:                              ;   in Loop: Header=BB36_387 Depth=4
	v_bfe_u32 v103, v115, 16, 1
	v_add3_u32 v103, v115, v103, s8
                                        ; implicit-def: $vgpr115
; %bb.549:                              ;   in Loop: Header=BB36_387 Depth=4
	s_andn2_saveexec_b64 s[60:61], s[24:25]
; %bb.550:                              ;   in Loop: Header=BB36_387 Depth=4
	v_or_b32_e32 v103, 0x10000, v115
	v_cmp_eq_u32_sdwa s[24:25], v115, v3 src0_sel:WORD_0 src1_sel:DWORD
	s_nop 1
	v_cndmask_b32_e64 v103, v103, v115, s[24:25]
; %bb.551:                              ;   in Loop: Header=BB36_387 Depth=4
	s_or_b64 exec, exec, s[60:61]
	v_lshlrev_b32_e32 v115, 16, v84
	s_waitcnt vmcnt(2)
	v_lshlrev_b32_e32 v116, 16, v96
	v_max_f32_e32 v116, v116, v116
	v_max_f32_e32 v115, v115, v115
	v_min_f32_e32 v117, v115, v116
	v_max_f32_e32 v115, v115, v116
	v_cndmask_b32_e32 v116, v115, v117, vcc
	v_and_b32_e32 v115, 0x7f800000, v116
	v_cmp_ne_u32_e64 s[24:25], s35, v115
                                        ; implicit-def: $vgpr115
	s_and_saveexec_b64 s[60:61], s[24:25]
	s_xor_b64 s[24:25], exec, s[60:61]
; %bb.552:                              ;   in Loop: Header=BB36_387 Depth=4
	v_bfe_u32 v115, v116, 16, 1
	v_add3_u32 v115, v116, v115, s8
                                        ; implicit-def: $vgpr116
; %bb.553:                              ;   in Loop: Header=BB36_387 Depth=4
	s_andn2_saveexec_b64 s[60:61], s[24:25]
; %bb.554:                              ;   in Loop: Header=BB36_387 Depth=4
	v_or_b32_e32 v115, 0x10000, v116
	v_cmp_eq_u32_sdwa s[24:25], v116, v3 src0_sel:WORD_0 src1_sel:DWORD
	s_nop 1
	v_cndmask_b32_e64 v115, v115, v116, s[24:25]
; %bb.555:                              ;   in Loop: Header=BB36_387 Depth=4
	s_or_b64 exec, exec, s[60:61]
	v_and_b32_e32 v84, 0xffff0000, v84
	v_and_b32_e32 v96, 0xffff0000, v96
	v_max_f32_e32 v96, v96, v96
	v_max_f32_e32 v84, v84, v84
	v_min_f32_e32 v116, v84, v96
	v_max_f32_e32 v84, v84, v96
	v_cndmask_b32_e32 v96, v84, v116, vcc
	v_and_b32_e32 v84, 0x7f800000, v96
	v_cmp_ne_u32_e64 s[24:25], s35, v84
                                        ; implicit-def: $vgpr84
	s_and_saveexec_b64 s[60:61], s[24:25]
	s_xor_b64 s[24:25], exec, s[60:61]
; %bb.556:                              ;   in Loop: Header=BB36_387 Depth=4
	v_bfe_u32 v84, v96, 16, 1
	v_add3_u32 v84, v96, v84, s8
                                        ; implicit-def: $vgpr96
; %bb.557:                              ;   in Loop: Header=BB36_387 Depth=4
	s_andn2_saveexec_b64 s[60:61], s[24:25]
; %bb.558:                              ;   in Loop: Header=BB36_387 Depth=4
	v_or_b32_e32 v84, 0x10000, v96
	v_cmp_eq_u32_sdwa s[24:25], v96, v3 src0_sel:WORD_0 src1_sel:DWORD
	s_nop 1
	v_cndmask_b32_e64 v84, v84, v96, s[24:25]
; %bb.559:                              ;   in Loop: Header=BB36_387 Depth=4
	s_or_b64 exec, exec, s[60:61]
	v_lshlrev_b32_e32 v96, 16, v85
	v_lshlrev_b32_e32 v116, 16, v97
	v_max_f32_e32 v116, v116, v116
	v_max_f32_e32 v96, v96, v96
	v_min_f32_e32 v117, v96, v116
	v_max_f32_e32 v96, v96, v116
	v_cndmask_b32_e32 v116, v96, v117, vcc
	v_and_b32_e32 v96, 0x7f800000, v116
	v_cmp_ne_u32_e64 s[24:25], s35, v96
                                        ; implicit-def: $vgpr96
	s_and_saveexec_b64 s[60:61], s[24:25]
	s_xor_b64 s[24:25], exec, s[60:61]
; %bb.560:                              ;   in Loop: Header=BB36_387 Depth=4
	v_bfe_u32 v96, v116, 16, 1
	v_add3_u32 v96, v116, v96, s8
                                        ; implicit-def: $vgpr116
; %bb.561:                              ;   in Loop: Header=BB36_387 Depth=4
	s_andn2_saveexec_b64 s[60:61], s[24:25]
; %bb.562:                              ;   in Loop: Header=BB36_387 Depth=4
	v_or_b32_e32 v96, 0x10000, v116
	v_cmp_eq_u32_sdwa s[24:25], v116, v3 src0_sel:WORD_0 src1_sel:DWORD
	s_nop 1
	v_cndmask_b32_e64 v96, v96, v116, s[24:25]
; %bb.563:                              ;   in Loop: Header=BB36_387 Depth=4
	s_or_b64 exec, exec, s[60:61]
	v_and_b32_e32 v85, 0xffff0000, v85
	v_and_b32_e32 v97, 0xffff0000, v97
	v_max_f32_e32 v97, v97, v97
	v_max_f32_e32 v85, v85, v85
	v_min_f32_e32 v116, v85, v97
	v_max_f32_e32 v85, v85, v97
	v_cndmask_b32_e32 v97, v85, v116, vcc
	v_and_b32_e32 v85, 0x7f800000, v97
	v_cmp_ne_u32_e64 s[24:25], s35, v85
                                        ; implicit-def: $vgpr85
	s_and_saveexec_b64 s[60:61], s[24:25]
	s_xor_b64 s[24:25], exec, s[60:61]
; %bb.564:                              ;   in Loop: Header=BB36_387 Depth=4
	v_bfe_u32 v85, v97, 16, 1
	v_add3_u32 v85, v97, v85, s8
                                        ; implicit-def: $vgpr97
; %bb.565:                              ;   in Loop: Header=BB36_387 Depth=4
	s_andn2_saveexec_b64 s[60:61], s[24:25]
; %bb.566:                              ;   in Loop: Header=BB36_387 Depth=4
	v_or_b32_e32 v85, 0x10000, v97
	v_cmp_eq_u32_sdwa s[24:25], v97, v3 src0_sel:WORD_0 src1_sel:DWORD
	s_nop 1
	v_cndmask_b32_e64 v85, v85, v97, s[24:25]
; %bb.567:                              ;   in Loop: Header=BB36_387 Depth=4
	s_or_b64 exec, exec, s[60:61]
	v_lshlrev_b32_e32 v97, 16, v86
	v_lshlrev_b32_e32 v116, 16, v98
	v_max_f32_e32 v116, v116, v116
	v_max_f32_e32 v97, v97, v97
	v_min_f32_e32 v117, v97, v116
	v_max_f32_e32 v97, v97, v116
	v_cndmask_b32_e32 v116, v97, v117, vcc
	v_and_b32_e32 v97, 0x7f800000, v116
	v_cmp_ne_u32_e64 s[24:25], s35, v97
                                        ; implicit-def: $vgpr97
	s_and_saveexec_b64 s[60:61], s[24:25]
	s_xor_b64 s[24:25], exec, s[60:61]
; %bb.568:                              ;   in Loop: Header=BB36_387 Depth=4
	v_bfe_u32 v97, v116, 16, 1
	v_add3_u32 v97, v116, v97, s8
                                        ; implicit-def: $vgpr116
; %bb.569:                              ;   in Loop: Header=BB36_387 Depth=4
	s_andn2_saveexec_b64 s[60:61], s[24:25]
; %bb.570:                              ;   in Loop: Header=BB36_387 Depth=4
	v_or_b32_e32 v97, 0x10000, v116
	v_cmp_eq_u32_sdwa s[24:25], v116, v3 src0_sel:WORD_0 src1_sel:DWORD
	s_nop 1
	v_cndmask_b32_e64 v97, v97, v116, s[24:25]
; %bb.571:                              ;   in Loop: Header=BB36_387 Depth=4
	s_or_b64 exec, exec, s[60:61]
	v_and_b32_e32 v86, 0xffff0000, v86
	v_and_b32_e32 v98, 0xffff0000, v98
	v_max_f32_e32 v98, v98, v98
	v_max_f32_e32 v86, v86, v86
	v_min_f32_e32 v116, v86, v98
	v_max_f32_e32 v86, v86, v98
	v_cndmask_b32_e32 v98, v86, v116, vcc
	v_and_b32_e32 v86, 0x7f800000, v98
	v_cmp_ne_u32_e64 s[24:25], s35, v86
                                        ; implicit-def: $vgpr86
	s_and_saveexec_b64 s[60:61], s[24:25]
	s_xor_b64 s[24:25], exec, s[60:61]
; %bb.572:                              ;   in Loop: Header=BB36_387 Depth=4
	v_bfe_u32 v86, v98, 16, 1
	v_add3_u32 v86, v98, v86, s8
                                        ; implicit-def: $vgpr98
; %bb.573:                              ;   in Loop: Header=BB36_387 Depth=4
	s_andn2_saveexec_b64 s[60:61], s[24:25]
; %bb.574:                              ;   in Loop: Header=BB36_387 Depth=4
	v_or_b32_e32 v86, 0x10000, v98
	v_cmp_eq_u32_sdwa s[24:25], v98, v3 src0_sel:WORD_0 src1_sel:DWORD
	s_nop 1
	v_cndmask_b32_e64 v86, v86, v98, s[24:25]
; %bb.575:                              ;   in Loop: Header=BB36_387 Depth=4
	s_or_b64 exec, exec, s[60:61]
	v_lshlrev_b32_e32 v98, 16, v87
	v_lshlrev_b32_e32 v116, 16, v99
	v_max_f32_e32 v116, v116, v116
	v_max_f32_e32 v98, v98, v98
	v_min_f32_e32 v117, v98, v116
	v_max_f32_e32 v98, v98, v116
	v_cndmask_b32_e32 v116, v98, v117, vcc
	v_and_b32_e32 v98, 0x7f800000, v116
	v_cmp_ne_u32_e64 s[24:25], s35, v98
                                        ; implicit-def: $vgpr98
	s_and_saveexec_b64 s[60:61], s[24:25]
	s_xor_b64 s[24:25], exec, s[60:61]
; %bb.576:                              ;   in Loop: Header=BB36_387 Depth=4
	v_bfe_u32 v98, v116, 16, 1
	v_add3_u32 v98, v116, v98, s8
                                        ; implicit-def: $vgpr116
; %bb.577:                              ;   in Loop: Header=BB36_387 Depth=4
	s_andn2_saveexec_b64 s[60:61], s[24:25]
; %bb.578:                              ;   in Loop: Header=BB36_387 Depth=4
	v_or_b32_e32 v98, 0x10000, v116
	v_cmp_eq_u32_sdwa s[24:25], v116, v3 src0_sel:WORD_0 src1_sel:DWORD
	s_nop 1
	v_cndmask_b32_e64 v98, v98, v116, s[24:25]
; %bb.579:                              ;   in Loop: Header=BB36_387 Depth=4
	s_or_b64 exec, exec, s[60:61]
	v_and_b32_e32 v87, 0xffff0000, v87
	v_and_b32_e32 v99, 0xffff0000, v99
	v_max_f32_e32 v99, v99, v99
	v_max_f32_e32 v87, v87, v87
	v_min_f32_e32 v116, v87, v99
	v_max_f32_e32 v87, v87, v99
	v_cndmask_b32_e32 v99, v87, v116, vcc
	v_and_b32_e32 v87, 0x7f800000, v99
	v_cmp_ne_u32_e64 s[24:25], s35, v87
                                        ; implicit-def: $vgpr87
	s_and_saveexec_b64 s[60:61], s[24:25]
	s_xor_b64 s[24:25], exec, s[60:61]
; %bb.580:                              ;   in Loop: Header=BB36_387 Depth=4
	v_bfe_u32 v87, v99, 16, 1
	v_add3_u32 v87, v99, v87, s8
                                        ; implicit-def: $vgpr99
; %bb.581:                              ;   in Loop: Header=BB36_387 Depth=4
	s_andn2_saveexec_b64 s[60:61], s[24:25]
; %bb.582:                              ;   in Loop: Header=BB36_387 Depth=4
	v_or_b32_e32 v87, 0x10000, v99
	v_cmp_eq_u32_sdwa s[24:25], v99, v3 src0_sel:WORD_0 src1_sel:DWORD
	s_nop 1
	v_cndmask_b32_e64 v87, v87, v99, s[24:25]
; %bb.583:                              ;   in Loop: Header=BB36_387 Depth=4
	s_or_b64 exec, exec, s[60:61]
	v_lshlrev_b32_e32 v99, 16, v64
	s_waitcnt vmcnt(1)
	v_lshlrev_b32_e32 v116, 16, v68
	v_max_f32_e32 v116, v116, v116
	v_max_f32_e32 v99, v99, v99
	v_min_f32_e32 v117, v99, v116
	v_max_f32_e32 v99, v99, v116
	v_cndmask_b32_e32 v116, v99, v117, vcc
	v_and_b32_e32 v99, 0x7f800000, v116
	v_cmp_ne_u32_e64 s[24:25], s35, v99
                                        ; implicit-def: $vgpr99
	s_and_saveexec_b64 s[60:61], s[24:25]
	s_xor_b64 s[24:25], exec, s[60:61]
; %bb.584:                              ;   in Loop: Header=BB36_387 Depth=4
	v_bfe_u32 v99, v116, 16, 1
	v_add3_u32 v99, v116, v99, s8
                                        ; implicit-def: $vgpr116
; %bb.585:                              ;   in Loop: Header=BB36_387 Depth=4
	s_andn2_saveexec_b64 s[60:61], s[24:25]
; %bb.586:                              ;   in Loop: Header=BB36_387 Depth=4
	v_or_b32_e32 v99, 0x10000, v116
	v_cmp_eq_u32_sdwa s[24:25], v116, v3 src0_sel:WORD_0 src1_sel:DWORD
	s_nop 1
	v_cndmask_b32_e64 v99, v99, v116, s[24:25]
; %bb.587:                              ;   in Loop: Header=BB36_387 Depth=4
	s_or_b64 exec, exec, s[60:61]
	v_and_b32_e32 v64, 0xffff0000, v64
	v_and_b32_e32 v68, 0xffff0000, v68
	v_max_f32_e32 v68, v68, v68
	v_max_f32_e32 v64, v64, v64
	v_min_f32_e32 v116, v64, v68
	v_max_f32_e32 v64, v64, v68
	v_cndmask_b32_e32 v68, v64, v116, vcc
	v_and_b32_e32 v64, 0x7f800000, v68
	v_cmp_ne_u32_e64 s[24:25], s35, v64
                                        ; implicit-def: $vgpr64
	s_and_saveexec_b64 s[60:61], s[24:25]
	s_xor_b64 s[24:25], exec, s[60:61]
; %bb.588:                              ;   in Loop: Header=BB36_387 Depth=4
	v_bfe_u32 v64, v68, 16, 1
	v_add3_u32 v64, v68, v64, s8
                                        ; implicit-def: $vgpr68
; %bb.589:                              ;   in Loop: Header=BB36_387 Depth=4
	s_andn2_saveexec_b64 s[60:61], s[24:25]
; %bb.590:                              ;   in Loop: Header=BB36_387 Depth=4
	v_or_b32_e32 v64, 0x10000, v68
	v_cmp_eq_u32_sdwa s[24:25], v68, v3 src0_sel:WORD_0 src1_sel:DWORD
	s_nop 1
	v_cndmask_b32_e64 v64, v64, v68, s[24:25]
; %bb.591:                              ;   in Loop: Header=BB36_387 Depth=4
	s_or_b64 exec, exec, s[60:61]
	v_lshlrev_b32_e32 v68, 16, v65
	v_lshlrev_b32_e32 v116, 16, v69
	v_max_f32_e32 v116, v116, v116
	v_max_f32_e32 v68, v68, v68
	v_min_f32_e32 v117, v68, v116
	v_max_f32_e32 v68, v68, v116
	v_cndmask_b32_e32 v116, v68, v117, vcc
	v_and_b32_e32 v68, 0x7f800000, v116
	v_cmp_ne_u32_e64 s[24:25], s35, v68
                                        ; implicit-def: $vgpr68
	s_and_saveexec_b64 s[60:61], s[24:25]
	s_xor_b64 s[24:25], exec, s[60:61]
; %bb.592:                              ;   in Loop: Header=BB36_387 Depth=4
	v_bfe_u32 v68, v116, 16, 1
	v_add3_u32 v68, v116, v68, s8
                                        ; implicit-def: $vgpr116
; %bb.593:                              ;   in Loop: Header=BB36_387 Depth=4
	s_andn2_saveexec_b64 s[60:61], s[24:25]
; %bb.594:                              ;   in Loop: Header=BB36_387 Depth=4
	v_or_b32_e32 v68, 0x10000, v116
	v_cmp_eq_u32_sdwa s[24:25], v116, v3 src0_sel:WORD_0 src1_sel:DWORD
	s_nop 1
	v_cndmask_b32_e64 v68, v68, v116, s[24:25]
; %bb.595:                              ;   in Loop: Header=BB36_387 Depth=4
	s_or_b64 exec, exec, s[60:61]
	v_and_b32_e32 v65, 0xffff0000, v65
	v_and_b32_e32 v69, 0xffff0000, v69
	v_max_f32_e32 v69, v69, v69
	v_max_f32_e32 v65, v65, v65
	v_min_f32_e32 v116, v65, v69
	v_max_f32_e32 v65, v65, v69
	v_cndmask_b32_e32 v69, v65, v116, vcc
	v_and_b32_e32 v65, 0x7f800000, v69
	v_cmp_ne_u32_e64 s[24:25], s35, v65
                                        ; implicit-def: $vgpr65
	s_and_saveexec_b64 s[60:61], s[24:25]
	s_xor_b64 s[24:25], exec, s[60:61]
; %bb.596:                              ;   in Loop: Header=BB36_387 Depth=4
	v_bfe_u32 v65, v69, 16, 1
	v_add3_u32 v65, v69, v65, s8
                                        ; implicit-def: $vgpr69
; %bb.597:                              ;   in Loop: Header=BB36_387 Depth=4
	s_andn2_saveexec_b64 s[60:61], s[24:25]
; %bb.598:                              ;   in Loop: Header=BB36_387 Depth=4
	v_or_b32_e32 v65, 0x10000, v69
	v_cmp_eq_u32_sdwa s[24:25], v69, v3 src0_sel:WORD_0 src1_sel:DWORD
	s_nop 1
	v_cndmask_b32_e64 v65, v65, v69, s[24:25]
; %bb.599:                              ;   in Loop: Header=BB36_387 Depth=4
	s_or_b64 exec, exec, s[60:61]
	v_lshlrev_b32_e32 v69, 16, v66
	v_lshlrev_b32_e32 v116, 16, v70
	v_max_f32_e32 v116, v116, v116
	v_max_f32_e32 v69, v69, v69
	v_min_f32_e32 v117, v69, v116
	v_max_f32_e32 v69, v69, v116
	v_cndmask_b32_e32 v116, v69, v117, vcc
	v_and_b32_e32 v69, 0x7f800000, v116
	v_cmp_ne_u32_e64 s[24:25], s35, v69
                                        ; implicit-def: $vgpr69
	s_and_saveexec_b64 s[60:61], s[24:25]
	s_xor_b64 s[24:25], exec, s[60:61]
; %bb.600:                              ;   in Loop: Header=BB36_387 Depth=4
	v_bfe_u32 v69, v116, 16, 1
	v_add3_u32 v69, v116, v69, s8
                                        ; implicit-def: $vgpr116
; %bb.601:                              ;   in Loop: Header=BB36_387 Depth=4
	s_andn2_saveexec_b64 s[60:61], s[24:25]
; %bb.602:                              ;   in Loop: Header=BB36_387 Depth=4
	v_or_b32_e32 v69, 0x10000, v116
	v_cmp_eq_u32_sdwa s[24:25], v116, v3 src0_sel:WORD_0 src1_sel:DWORD
	s_nop 1
	v_cndmask_b32_e64 v69, v69, v116, s[24:25]
; %bb.603:                              ;   in Loop: Header=BB36_387 Depth=4
	s_or_b64 exec, exec, s[60:61]
	v_and_b32_e32 v66, 0xffff0000, v66
	v_and_b32_e32 v70, 0xffff0000, v70
	v_max_f32_e32 v70, v70, v70
	v_max_f32_e32 v66, v66, v66
	v_min_f32_e32 v116, v66, v70
	v_max_f32_e32 v66, v66, v70
	v_cndmask_b32_e32 v70, v66, v116, vcc
	v_and_b32_e32 v66, 0x7f800000, v70
	v_cmp_ne_u32_e64 s[24:25], s35, v66
                                        ; implicit-def: $vgpr66
	s_and_saveexec_b64 s[60:61], s[24:25]
	s_xor_b64 s[24:25], exec, s[60:61]
; %bb.604:                              ;   in Loop: Header=BB36_387 Depth=4
	v_bfe_u32 v66, v70, 16, 1
	v_add3_u32 v66, v70, v66, s8
                                        ; implicit-def: $vgpr70
; %bb.605:                              ;   in Loop: Header=BB36_387 Depth=4
	s_andn2_saveexec_b64 s[60:61], s[24:25]
; %bb.606:                              ;   in Loop: Header=BB36_387 Depth=4
	v_or_b32_e32 v66, 0x10000, v70
	v_cmp_eq_u32_sdwa s[24:25], v70, v3 src0_sel:WORD_0 src1_sel:DWORD
	s_nop 1
	v_cndmask_b32_e64 v66, v66, v70, s[24:25]
; %bb.607:                              ;   in Loop: Header=BB36_387 Depth=4
	s_or_b64 exec, exec, s[60:61]
	v_lshlrev_b32_e32 v70, 16, v67
	v_lshlrev_b32_e32 v116, 16, v71
	v_max_f32_e32 v116, v116, v116
	v_max_f32_e32 v70, v70, v70
	v_min_f32_e32 v117, v70, v116
	v_max_f32_e32 v70, v70, v116
	v_cndmask_b32_e32 v116, v70, v117, vcc
	v_and_b32_e32 v70, 0x7f800000, v116
	v_cmp_ne_u32_e64 s[24:25], s35, v70
                                        ; implicit-def: $vgpr70
	s_and_saveexec_b64 s[60:61], s[24:25]
	s_xor_b64 s[24:25], exec, s[60:61]
; %bb.608:                              ;   in Loop: Header=BB36_387 Depth=4
	v_bfe_u32 v70, v116, 16, 1
	v_add3_u32 v70, v116, v70, s8
                                        ; implicit-def: $vgpr116
; %bb.609:                              ;   in Loop: Header=BB36_387 Depth=4
	s_andn2_saveexec_b64 s[60:61], s[24:25]
; %bb.610:                              ;   in Loop: Header=BB36_387 Depth=4
	v_or_b32_e32 v70, 0x10000, v116
	v_cmp_eq_u32_sdwa s[24:25], v116, v3 src0_sel:WORD_0 src1_sel:DWORD
	s_nop 1
	v_cndmask_b32_e64 v70, v70, v116, s[24:25]
; %bb.611:                              ;   in Loop: Header=BB36_387 Depth=4
	s_or_b64 exec, exec, s[60:61]
	v_and_b32_e32 v67, 0xffff0000, v67
	v_and_b32_e32 v71, 0xffff0000, v71
	v_max_f32_e32 v71, v71, v71
	v_max_f32_e32 v67, v67, v67
	v_min_f32_e32 v116, v67, v71
	v_max_f32_e32 v67, v67, v71
	v_cndmask_b32_e32 v71, v67, v116, vcc
	v_and_b32_e32 v67, 0x7f800000, v71
	v_cmp_ne_u32_e64 s[24:25], s35, v67
                                        ; implicit-def: $vgpr67
	s_and_saveexec_b64 s[60:61], s[24:25]
	s_xor_b64 s[24:25], exec, s[60:61]
; %bb.612:                              ;   in Loop: Header=BB36_387 Depth=4
	v_bfe_u32 v67, v71, 16, 1
	v_add3_u32 v67, v71, v67, s8
                                        ; implicit-def: $vgpr71
; %bb.613:                              ;   in Loop: Header=BB36_387 Depth=4
	s_andn2_saveexec_b64 s[60:61], s[24:25]
; %bb.614:                              ;   in Loop: Header=BB36_387 Depth=4
	v_or_b32_e32 v67, 0x10000, v71
	v_cmp_eq_u32_sdwa s[24:25], v71, v3 src0_sel:WORD_0 src1_sel:DWORD
	s_nop 1
	v_cndmask_b32_e64 v67, v67, v71, s[24:25]
; %bb.615:                              ;   in Loop: Header=BB36_387 Depth=4
	s_or_b64 exec, exec, s[60:61]
	v_lshlrev_b32_e32 v71, 16, v48
	s_waitcnt vmcnt(0)
	v_lshlrev_b32_e32 v116, 16, v52
	v_max_f32_e32 v116, v116, v116
	v_max_f32_e32 v71, v71, v71
	v_min_f32_e32 v117, v71, v116
	v_max_f32_e32 v71, v71, v116
	v_cndmask_b32_e32 v116, v71, v117, vcc
	v_and_b32_e32 v71, 0x7f800000, v116
	v_cmp_ne_u32_e64 s[24:25], s35, v71
                                        ; implicit-def: $vgpr71
	s_and_saveexec_b64 s[60:61], s[24:25]
	s_xor_b64 s[24:25], exec, s[60:61]
; %bb.616:                              ;   in Loop: Header=BB36_387 Depth=4
	v_bfe_u32 v71, v116, 16, 1
	v_add3_u32 v71, v116, v71, s8
                                        ; implicit-def: $vgpr116
; %bb.617:                              ;   in Loop: Header=BB36_387 Depth=4
	s_andn2_saveexec_b64 s[60:61], s[24:25]
; %bb.618:                              ;   in Loop: Header=BB36_387 Depth=4
	v_or_b32_e32 v71, 0x10000, v116
	v_cmp_eq_u32_sdwa s[24:25], v116, v3 src0_sel:WORD_0 src1_sel:DWORD
	s_nop 1
	v_cndmask_b32_e64 v71, v71, v116, s[24:25]
; %bb.619:                              ;   in Loop: Header=BB36_387 Depth=4
	s_or_b64 exec, exec, s[60:61]
	v_and_b32_e32 v48, 0xffff0000, v48
	v_and_b32_e32 v52, 0xffff0000, v52
	v_max_f32_e32 v52, v52, v52
	v_max_f32_e32 v48, v48, v48
	v_min_f32_e32 v116, v48, v52
	v_max_f32_e32 v48, v48, v52
	v_cndmask_b32_e32 v52, v48, v116, vcc
	v_and_b32_e32 v48, 0x7f800000, v52
	v_cmp_ne_u32_e64 s[24:25], s35, v48
                                        ; implicit-def: $vgpr48
	s_and_saveexec_b64 s[60:61], s[24:25]
	s_xor_b64 s[24:25], exec, s[60:61]
; %bb.620:                              ;   in Loop: Header=BB36_387 Depth=4
	v_bfe_u32 v48, v52, 16, 1
	v_add3_u32 v48, v52, v48, s8
                                        ; implicit-def: $vgpr52
; %bb.621:                              ;   in Loop: Header=BB36_387 Depth=4
	s_andn2_saveexec_b64 s[60:61], s[24:25]
; %bb.622:                              ;   in Loop: Header=BB36_387 Depth=4
	v_or_b32_e32 v48, 0x10000, v52
	v_cmp_eq_u32_sdwa s[24:25], v52, v3 src0_sel:WORD_0 src1_sel:DWORD
	s_nop 1
	v_cndmask_b32_e64 v48, v48, v52, s[24:25]
; %bb.623:                              ;   in Loop: Header=BB36_387 Depth=4
	s_or_b64 exec, exec, s[60:61]
	v_lshlrev_b32_e32 v52, 16, v49
	v_lshlrev_b32_e32 v116, 16, v53
	v_max_f32_e32 v116, v116, v116
	v_max_f32_e32 v52, v52, v52
	v_min_f32_e32 v117, v52, v116
	v_max_f32_e32 v52, v52, v116
	v_cndmask_b32_e32 v116, v52, v117, vcc
	v_and_b32_e32 v52, 0x7f800000, v116
	v_cmp_ne_u32_e64 s[24:25], s35, v52
                                        ; implicit-def: $vgpr52
	s_and_saveexec_b64 s[60:61], s[24:25]
	s_xor_b64 s[24:25], exec, s[60:61]
; %bb.624:                              ;   in Loop: Header=BB36_387 Depth=4
	v_bfe_u32 v52, v116, 16, 1
	v_add3_u32 v52, v116, v52, s8
                                        ; implicit-def: $vgpr116
; %bb.625:                              ;   in Loop: Header=BB36_387 Depth=4
	s_andn2_saveexec_b64 s[60:61], s[24:25]
; %bb.626:                              ;   in Loop: Header=BB36_387 Depth=4
	v_or_b32_e32 v52, 0x10000, v116
	v_cmp_eq_u32_sdwa s[24:25], v116, v3 src0_sel:WORD_0 src1_sel:DWORD
	s_nop 1
	v_cndmask_b32_e64 v52, v52, v116, s[24:25]
; %bb.627:                              ;   in Loop: Header=BB36_387 Depth=4
	s_or_b64 exec, exec, s[60:61]
	v_and_b32_e32 v49, 0xffff0000, v49
	v_and_b32_e32 v53, 0xffff0000, v53
	v_max_f32_e32 v53, v53, v53
	v_max_f32_e32 v49, v49, v49
	v_min_f32_e32 v116, v49, v53
	v_max_f32_e32 v49, v49, v53
	v_cndmask_b32_e32 v53, v49, v116, vcc
	v_and_b32_e32 v49, 0x7f800000, v53
	v_cmp_ne_u32_e64 s[24:25], s35, v49
                                        ; implicit-def: $vgpr49
	s_and_saveexec_b64 s[60:61], s[24:25]
	s_xor_b64 s[24:25], exec, s[60:61]
; %bb.628:                              ;   in Loop: Header=BB36_387 Depth=4
	v_bfe_u32 v49, v53, 16, 1
	v_add3_u32 v49, v53, v49, s8
                                        ; implicit-def: $vgpr53
; %bb.629:                              ;   in Loop: Header=BB36_387 Depth=4
	s_andn2_saveexec_b64 s[60:61], s[24:25]
; %bb.630:                              ;   in Loop: Header=BB36_387 Depth=4
	v_or_b32_e32 v49, 0x10000, v53
	v_cmp_eq_u32_sdwa s[24:25], v53, v3 src0_sel:WORD_0 src1_sel:DWORD
	s_nop 1
	v_cndmask_b32_e64 v49, v49, v53, s[24:25]
; %bb.631:                              ;   in Loop: Header=BB36_387 Depth=4
	s_or_b64 exec, exec, s[60:61]
	v_lshlrev_b32_e32 v53, 16, v50
	v_lshlrev_b32_e32 v116, 16, v54
	v_max_f32_e32 v116, v116, v116
	v_max_f32_e32 v53, v53, v53
	v_min_f32_e32 v117, v53, v116
	v_max_f32_e32 v53, v53, v116
	v_cndmask_b32_e32 v116, v53, v117, vcc
	v_and_b32_e32 v53, 0x7f800000, v116
	v_cmp_ne_u32_e64 s[24:25], s35, v53
                                        ; implicit-def: $vgpr53
	s_and_saveexec_b64 s[60:61], s[24:25]
	s_xor_b64 s[24:25], exec, s[60:61]
; %bb.632:                              ;   in Loop: Header=BB36_387 Depth=4
	v_bfe_u32 v53, v116, 16, 1
	v_add3_u32 v53, v116, v53, s8
                                        ; implicit-def: $vgpr116
; %bb.633:                              ;   in Loop: Header=BB36_387 Depth=4
	s_andn2_saveexec_b64 s[60:61], s[24:25]
; %bb.634:                              ;   in Loop: Header=BB36_387 Depth=4
	v_or_b32_e32 v53, 0x10000, v116
	v_cmp_eq_u32_sdwa s[24:25], v116, v3 src0_sel:WORD_0 src1_sel:DWORD
	s_nop 1
	v_cndmask_b32_e64 v53, v53, v116, s[24:25]
; %bb.635:                              ;   in Loop: Header=BB36_387 Depth=4
	s_or_b64 exec, exec, s[60:61]
	v_and_b32_e32 v50, 0xffff0000, v50
	v_and_b32_e32 v54, 0xffff0000, v54
	v_max_f32_e32 v54, v54, v54
	v_max_f32_e32 v50, v50, v50
	v_min_f32_e32 v116, v50, v54
	v_max_f32_e32 v50, v50, v54
	v_cndmask_b32_e32 v54, v50, v116, vcc
	v_and_b32_e32 v50, 0x7f800000, v54
	v_cmp_ne_u32_e64 s[24:25], s35, v50
                                        ; implicit-def: $vgpr50
	s_and_saveexec_b64 s[60:61], s[24:25]
	s_xor_b64 s[24:25], exec, s[60:61]
; %bb.636:                              ;   in Loop: Header=BB36_387 Depth=4
	v_bfe_u32 v50, v54, 16, 1
	v_add3_u32 v50, v54, v50, s8
                                        ; implicit-def: $vgpr54
; %bb.637:                              ;   in Loop: Header=BB36_387 Depth=4
	s_andn2_saveexec_b64 s[60:61], s[24:25]
; %bb.638:                              ;   in Loop: Header=BB36_387 Depth=4
	v_or_b32_e32 v50, 0x10000, v54
	v_cmp_eq_u32_sdwa s[24:25], v54, v3 src0_sel:WORD_0 src1_sel:DWORD
	s_nop 1
	v_cndmask_b32_e64 v50, v50, v54, s[24:25]
; %bb.639:                              ;   in Loop: Header=BB36_387 Depth=4
	s_or_b64 exec, exec, s[60:61]
	v_lshlrev_b32_e32 v54, 16, v51
	v_lshlrev_b32_e32 v116, 16, v55
	v_max_f32_e32 v116, v116, v116
	v_max_f32_e32 v54, v54, v54
	v_min_f32_e32 v117, v54, v116
	v_max_f32_e32 v54, v54, v116
	v_cndmask_b32_e32 v116, v54, v117, vcc
	v_and_b32_e32 v54, 0x7f800000, v116
	v_cmp_ne_u32_e64 s[24:25], s35, v54
                                        ; implicit-def: $vgpr54
	s_and_saveexec_b64 s[60:61], s[24:25]
	s_xor_b64 s[24:25], exec, s[60:61]
; %bb.640:                              ;   in Loop: Header=BB36_387 Depth=4
	v_bfe_u32 v54, v116, 16, 1
	v_add3_u32 v54, v116, v54, s8
                                        ; implicit-def: $vgpr116
; %bb.641:                              ;   in Loop: Header=BB36_387 Depth=4
	s_andn2_saveexec_b64 s[60:61], s[24:25]
; %bb.642:                              ;   in Loop: Header=BB36_387 Depth=4
	v_or_b32_e32 v54, 0x10000, v116
	v_cmp_eq_u32_sdwa s[24:25], v116, v3 src0_sel:WORD_0 src1_sel:DWORD
	s_nop 1
	v_cndmask_b32_e64 v54, v54, v116, s[24:25]
; %bb.643:                              ;   in Loop: Header=BB36_387 Depth=4
	s_or_b64 exec, exec, s[60:61]
	v_and_b32_e32 v51, 0xffff0000, v51
	v_and_b32_e32 v55, 0xffff0000, v55
	v_max_f32_e32 v55, v55, v55
	v_max_f32_e32 v51, v51, v51
	v_min_f32_e32 v116, v51, v55
	v_max_f32_e32 v51, v51, v55
	v_cndmask_b32_e32 v55, v51, v116, vcc
	v_and_b32_e32 v51, 0x7f800000, v55
	v_cmp_ne_u32_e64 s[24:25], s35, v51
                                        ; implicit-def: $vgpr51
	s_and_saveexec_b64 s[60:61], s[24:25]
	s_xor_b64 s[24:25], exec, s[60:61]
; %bb.644:                              ;   in Loop: Header=BB36_387 Depth=4
	v_bfe_u32 v51, v55, 16, 1
	v_add3_u32 v51, v55, v51, s8
                                        ; implicit-def: $vgpr55
; %bb.645:                              ;   in Loop: Header=BB36_387 Depth=4
	s_andn2_saveexec_b64 s[60:61], s[24:25]
	s_cbranch_execz .LBB36_386
; %bb.646:                              ;   in Loop: Header=BB36_387 Depth=4
	v_or_b32_e32 v51, 0x10000, v55
	v_cmp_eq_u32_sdwa s[24:25], v55, v3 src0_sel:WORD_0 src1_sel:DWORD
	s_nop 1
	v_cndmask_b32_e64 v51, v51, v55, s[24:25]
	s_branch .LBB36_386
.LBB36_647:                             ;   in Loop: Header=BB36_303 Depth=3
	scratch_load_dword v9, off, s33 offset:344 ; 4-byte Folded Reload
	s_waitcnt vmcnt(0)
	v_mov_b32_e32 v8, v9
	v_and_b32_e32 v15, 63, v9
	s_and_saveexec_b64 s[56:57], s[46:47]
	s_cbranch_execnz .LBB36_895
	s_branch .LBB36_1122
.LBB36_648:                             ;   in Loop: Header=BB36_303 Depth=3
	s_or_b64 exec, exec, s[28:29]
	scratch_load_dwordx2 v[74:75], off, s33 offset:428 ; 8-byte Folded Reload
	s_and_b64 s[24:25], s[56:57], exec
.LBB36_649:                             ;   in Loop: Header=BB36_303 Depth=3
	s_or_b64 exec, exec, s[26:27]
	s_and_saveexec_b64 s[26:27], s[24:25]
	s_cbranch_execz .LBB36_779
; %bb.650:                              ;   in Loop: Header=BB36_303 Depth=3
	s_and_b32 s24, 0xffff, s68
	v_lshlrev_b32_e32 v30, 16, v80
	v_lshlrev_b32_e32 v48, 16, v32
	s_cmp_eq_u32 s24, 0
	v_max_f32_e32 v48, v48, v48
	v_max_f32_e32 v30, v30, v30
	v_min_f32_e32 v49, v30, v48
	v_max_f32_e32 v30, v30, v48
	s_cselect_b64 vcc, -1, 0
	v_cndmask_b32_e32 v48, v30, v49, vcc
	v_and_b32_e32 v30, 0x7f800000, v48
	v_cmp_ne_u32_e64 s[24:25], s35, v30
                                        ; implicit-def: $vgpr30
	s_and_saveexec_b64 s[28:29], s[24:25]
	s_xor_b64 s[24:25], exec, s[28:29]
; %bb.651:                              ;   in Loop: Header=BB36_303 Depth=3
	v_bfe_u32 v30, v48, 16, 1
	v_add3_u32 v30, v48, v30, s8
                                        ; implicit-def: $vgpr48
; %bb.652:                              ;   in Loop: Header=BB36_303 Depth=3
	s_andn2_saveexec_b64 s[28:29], s[24:25]
; %bb.653:                              ;   in Loop: Header=BB36_303 Depth=3
	v_or_b32_e32 v30, 0x10000, v48
	v_cmp_eq_u32_sdwa s[24:25], v48, v3 src0_sel:WORD_0 src1_sel:DWORD
	s_nop 1
	v_cndmask_b32_e64 v30, v30, v48, s[24:25]
; %bb.654:                              ;   in Loop: Header=BB36_303 Depth=3
	s_or_b64 exec, exec, s[28:29]
	v_and_b32_e32 v48, 0xffff0000, v80
	v_and_b32_e32 v32, 0xffff0000, v32
	v_max_f32_e32 v32, v32, v32
	v_max_f32_e32 v48, v48, v48
	v_min_f32_e32 v49, v48, v32
	v_max_f32_e32 v32, v48, v32
	v_cndmask_b32_e32 v48, v32, v49, vcc
	v_and_b32_e32 v32, 0x7f800000, v48
	v_cmp_ne_u32_e64 s[24:25], s35, v32
                                        ; implicit-def: $vgpr32
	s_and_saveexec_b64 s[28:29], s[24:25]
	s_xor_b64 s[24:25], exec, s[28:29]
; %bb.655:                              ;   in Loop: Header=BB36_303 Depth=3
	v_bfe_u32 v32, v48, 16, 1
	v_add3_u32 v32, v48, v32, s8
                                        ; implicit-def: $vgpr48
; %bb.656:                              ;   in Loop: Header=BB36_303 Depth=3
	s_andn2_saveexec_b64 s[28:29], s[24:25]
; %bb.657:                              ;   in Loop: Header=BB36_303 Depth=3
	v_or_b32_e32 v32, 0x10000, v48
	v_cmp_eq_u32_sdwa s[24:25], v48, v3 src0_sel:WORD_0 src1_sel:DWORD
	s_nop 1
	v_cndmask_b32_e64 v32, v32, v48, s[24:25]
; %bb.658:                              ;   in Loop: Header=BB36_303 Depth=3
	s_or_b64 exec, exec, s[28:29]
	v_lshlrev_b32_e32 v48, 16, v81
	v_lshlrev_b32_e32 v49, 16, v33
	v_max_f32_e32 v49, v49, v49
	v_max_f32_e32 v48, v48, v48
	v_min_f32_e32 v50, v48, v49
	v_max_f32_e32 v48, v48, v49
	v_cndmask_b32_e32 v49, v48, v50, vcc
	v_and_b32_e32 v48, 0x7f800000, v49
	v_cmp_ne_u32_e64 s[24:25], s35, v48
                                        ; implicit-def: $vgpr48
	s_and_saveexec_b64 s[28:29], s[24:25]
	s_xor_b64 s[24:25], exec, s[28:29]
; %bb.659:                              ;   in Loop: Header=BB36_303 Depth=3
	v_bfe_u32 v48, v49, 16, 1
	v_add3_u32 v48, v49, v48, s8
                                        ; implicit-def: $vgpr49
; %bb.660:                              ;   in Loop: Header=BB36_303 Depth=3
	s_andn2_saveexec_b64 s[28:29], s[24:25]
; %bb.661:                              ;   in Loop: Header=BB36_303 Depth=3
	v_or_b32_e32 v48, 0x10000, v49
	v_cmp_eq_u32_sdwa s[24:25], v49, v3 src0_sel:WORD_0 src1_sel:DWORD
	s_nop 1
	v_cndmask_b32_e64 v48, v48, v49, s[24:25]
; %bb.662:                              ;   in Loop: Header=BB36_303 Depth=3
	s_or_b64 exec, exec, s[28:29]
	v_and_b32_e32 v49, 0xffff0000, v81
	v_and_b32_e32 v33, 0xffff0000, v33
	v_max_f32_e32 v33, v33, v33
	v_max_f32_e32 v49, v49, v49
	v_min_f32_e32 v50, v49, v33
	v_max_f32_e32 v33, v49, v33
	v_cndmask_b32_e32 v49, v33, v50, vcc
	v_and_b32_e32 v33, 0x7f800000, v49
	v_cmp_ne_u32_e64 s[24:25], s35, v33
                                        ; implicit-def: $vgpr33
	s_and_saveexec_b64 s[28:29], s[24:25]
	s_xor_b64 s[24:25], exec, s[28:29]
; %bb.663:                              ;   in Loop: Header=BB36_303 Depth=3
	v_bfe_u32 v33, v49, 16, 1
	v_add3_u32 v33, v49, v33, s8
                                        ; implicit-def: $vgpr49
; %bb.664:                              ;   in Loop: Header=BB36_303 Depth=3
	s_andn2_saveexec_b64 s[28:29], s[24:25]
; %bb.665:                              ;   in Loop: Header=BB36_303 Depth=3
	v_or_b32_e32 v33, 0x10000, v49
	v_cmp_eq_u32_sdwa s[24:25], v49, v3 src0_sel:WORD_0 src1_sel:DWORD
	s_nop 1
	v_cndmask_b32_e64 v33, v33, v49, s[24:25]
; %bb.666:                              ;   in Loop: Header=BB36_303 Depth=3
	s_or_b64 exec, exec, s[28:29]
	v_lshlrev_b32_e32 v49, 16, v82
	v_lshlrev_b32_e32 v50, 16, v34
	v_max_f32_e32 v50, v50, v50
	v_max_f32_e32 v49, v49, v49
	v_min_f32_e32 v51, v49, v50
	v_max_f32_e32 v49, v49, v50
	v_cndmask_b32_e32 v50, v49, v51, vcc
	v_and_b32_e32 v49, 0x7f800000, v50
	v_cmp_ne_u32_e64 s[24:25], s35, v49
                                        ; implicit-def: $vgpr49
	s_and_saveexec_b64 s[28:29], s[24:25]
	s_xor_b64 s[24:25], exec, s[28:29]
; %bb.667:                              ;   in Loop: Header=BB36_303 Depth=3
	v_bfe_u32 v49, v50, 16, 1
	v_add3_u32 v49, v50, v49, s8
                                        ; implicit-def: $vgpr50
; %bb.668:                              ;   in Loop: Header=BB36_303 Depth=3
	s_andn2_saveexec_b64 s[28:29], s[24:25]
; %bb.669:                              ;   in Loop: Header=BB36_303 Depth=3
	v_or_b32_e32 v49, 0x10000, v50
	v_cmp_eq_u32_sdwa s[24:25], v50, v3 src0_sel:WORD_0 src1_sel:DWORD
	s_nop 1
	v_cndmask_b32_e64 v49, v49, v50, s[24:25]
; %bb.670:                              ;   in Loop: Header=BB36_303 Depth=3
	s_or_b64 exec, exec, s[28:29]
	v_and_b32_e32 v50, 0xffff0000, v82
	v_and_b32_e32 v34, 0xffff0000, v34
	v_max_f32_e32 v34, v34, v34
	v_max_f32_e32 v50, v50, v50
	v_min_f32_e32 v51, v50, v34
	v_max_f32_e32 v34, v50, v34
	v_cndmask_b32_e32 v50, v34, v51, vcc
	v_and_b32_e32 v34, 0x7f800000, v50
	v_cmp_ne_u32_e64 s[24:25], s35, v34
                                        ; implicit-def: $vgpr34
	s_and_saveexec_b64 s[28:29], s[24:25]
	s_xor_b64 s[24:25], exec, s[28:29]
; %bb.671:                              ;   in Loop: Header=BB36_303 Depth=3
	v_bfe_u32 v34, v50, 16, 1
	v_add3_u32 v34, v50, v34, s8
                                        ; implicit-def: $vgpr50
; %bb.672:                              ;   in Loop: Header=BB36_303 Depth=3
	s_andn2_saveexec_b64 s[28:29], s[24:25]
; %bb.673:                              ;   in Loop: Header=BB36_303 Depth=3
	v_or_b32_e32 v34, 0x10000, v50
	v_cmp_eq_u32_sdwa s[24:25], v50, v3 src0_sel:WORD_0 src1_sel:DWORD
	s_nop 1
	v_cndmask_b32_e64 v34, v34, v50, s[24:25]
; %bb.674:                              ;   in Loop: Header=BB36_303 Depth=3
	s_or_b64 exec, exec, s[28:29]
	v_lshlrev_b32_e32 v50, 16, v83
	v_lshlrev_b32_e32 v51, 16, v35
	v_max_f32_e32 v51, v51, v51
	v_max_f32_e32 v50, v50, v50
	v_min_f32_e32 v52, v50, v51
	v_max_f32_e32 v50, v50, v51
	v_cndmask_b32_e32 v51, v50, v52, vcc
	v_and_b32_e32 v50, 0x7f800000, v51
	v_cmp_ne_u32_e64 s[24:25], s35, v50
                                        ; implicit-def: $vgpr50
	s_and_saveexec_b64 s[28:29], s[24:25]
	s_xor_b64 s[24:25], exec, s[28:29]
; %bb.675:                              ;   in Loop: Header=BB36_303 Depth=3
	v_bfe_u32 v50, v51, 16, 1
	v_add3_u32 v50, v51, v50, s8
                                        ; implicit-def: $vgpr51
; %bb.676:                              ;   in Loop: Header=BB36_303 Depth=3
	s_andn2_saveexec_b64 s[28:29], s[24:25]
; %bb.677:                              ;   in Loop: Header=BB36_303 Depth=3
	v_or_b32_e32 v50, 0x10000, v51
	v_cmp_eq_u32_sdwa s[24:25], v51, v3 src0_sel:WORD_0 src1_sel:DWORD
	s_nop 1
	v_cndmask_b32_e64 v50, v50, v51, s[24:25]
; %bb.678:                              ;   in Loop: Header=BB36_303 Depth=3
	s_or_b64 exec, exec, s[28:29]
	v_and_b32_e32 v51, 0xffff0000, v83
	v_and_b32_e32 v35, 0xffff0000, v35
	v_max_f32_e32 v35, v35, v35
	v_max_f32_e32 v51, v51, v51
	v_min_f32_e32 v52, v51, v35
	v_max_f32_e32 v35, v51, v35
	v_cndmask_b32_e32 v51, v35, v52, vcc
	v_and_b32_e32 v35, 0x7f800000, v51
	v_cmp_ne_u32_e64 s[24:25], s35, v35
                                        ; implicit-def: $vgpr35
	s_and_saveexec_b64 s[28:29], s[24:25]
	s_xor_b64 s[24:25], exec, s[28:29]
; %bb.679:                              ;   in Loop: Header=BB36_303 Depth=3
	v_bfe_u32 v35, v51, 16, 1
	v_add3_u32 v35, v51, v35, s8
                                        ; implicit-def: $vgpr51
; %bb.680:                              ;   in Loop: Header=BB36_303 Depth=3
	s_andn2_saveexec_b64 s[28:29], s[24:25]
; %bb.681:                              ;   in Loop: Header=BB36_303 Depth=3
	v_or_b32_e32 v35, 0x10000, v51
	v_cmp_eq_u32_sdwa s[24:25], v51, v3 src0_sel:WORD_0 src1_sel:DWORD
	s_nop 1
	v_cndmask_b32_e64 v35, v35, v51, s[24:25]
; %bb.682:                              ;   in Loop: Header=BB36_303 Depth=3
	s_or_b64 exec, exec, s[28:29]
	v_lshlrev_b32_e32 v51, 16, v36
	v_lshlrev_b32_e32 v52, 16, v20
	v_max_f32_e32 v52, v52, v52
	v_max_f32_e32 v51, v51, v51
	v_min_f32_e32 v53, v51, v52
	v_max_f32_e32 v51, v51, v52
	v_cndmask_b32_e32 v52, v51, v53, vcc
	v_and_b32_e32 v51, 0x7f800000, v52
	v_cmp_ne_u32_e64 s[24:25], s35, v51
                                        ; implicit-def: $vgpr51
	s_and_saveexec_b64 s[28:29], s[24:25]
	s_xor_b64 s[24:25], exec, s[28:29]
; %bb.683:                              ;   in Loop: Header=BB36_303 Depth=3
	v_bfe_u32 v51, v52, 16, 1
	v_add3_u32 v51, v52, v51, s8
                                        ; implicit-def: $vgpr52
; %bb.684:                              ;   in Loop: Header=BB36_303 Depth=3
	s_andn2_saveexec_b64 s[28:29], s[24:25]
; %bb.685:                              ;   in Loop: Header=BB36_303 Depth=3
	v_or_b32_e32 v51, 0x10000, v52
	v_cmp_eq_u32_sdwa s[24:25], v52, v3 src0_sel:WORD_0 src1_sel:DWORD
	s_nop 1
	v_cndmask_b32_e64 v51, v51, v52, s[24:25]
; %bb.686:                              ;   in Loop: Header=BB36_303 Depth=3
	s_or_b64 exec, exec, s[28:29]
	v_and_b32_e32 v36, 0xffff0000, v36
	v_and_b32_e32 v20, 0xffff0000, v20
	v_max_f32_e32 v20, v20, v20
	v_max_f32_e32 v36, v36, v36
	v_min_f32_e32 v52, v36, v20
	v_max_f32_e32 v20, v36, v20
	v_cndmask_b32_e32 v36, v20, v52, vcc
	v_and_b32_e32 v20, 0x7f800000, v36
	v_cmp_ne_u32_e64 s[24:25], s35, v20
                                        ; implicit-def: $vgpr20
	s_and_saveexec_b64 s[28:29], s[24:25]
	s_xor_b64 s[24:25], exec, s[28:29]
; %bb.687:                              ;   in Loop: Header=BB36_303 Depth=3
	v_bfe_u32 v20, v36, 16, 1
	v_add3_u32 v20, v36, v20, s8
                                        ; implicit-def: $vgpr36
; %bb.688:                              ;   in Loop: Header=BB36_303 Depth=3
	s_andn2_saveexec_b64 s[28:29], s[24:25]
; %bb.689:                              ;   in Loop: Header=BB36_303 Depth=3
	v_or_b32_e32 v20, 0x10000, v36
	v_cmp_eq_u32_sdwa s[24:25], v36, v3 src0_sel:WORD_0 src1_sel:DWORD
	s_nop 1
	v_cndmask_b32_e64 v20, v20, v36, s[24:25]
; %bb.690:                              ;   in Loop: Header=BB36_303 Depth=3
	s_or_b64 exec, exec, s[28:29]
	v_lshlrev_b32_e32 v36, 16, v37
	v_lshlrev_b32_e32 v52, 16, v21
	v_max_f32_e32 v52, v52, v52
	v_max_f32_e32 v36, v36, v36
	v_min_f32_e32 v53, v36, v52
	v_max_f32_e32 v36, v36, v52
	v_cndmask_b32_e32 v52, v36, v53, vcc
	v_and_b32_e32 v36, 0x7f800000, v52
	v_cmp_ne_u32_e64 s[24:25], s35, v36
                                        ; implicit-def: $vgpr36
	s_and_saveexec_b64 s[28:29], s[24:25]
	s_xor_b64 s[24:25], exec, s[28:29]
; %bb.691:                              ;   in Loop: Header=BB36_303 Depth=3
	v_bfe_u32 v36, v52, 16, 1
	v_add3_u32 v36, v52, v36, s8
                                        ; implicit-def: $vgpr52
; %bb.692:                              ;   in Loop: Header=BB36_303 Depth=3
	s_andn2_saveexec_b64 s[28:29], s[24:25]
; %bb.693:                              ;   in Loop: Header=BB36_303 Depth=3
	v_or_b32_e32 v36, 0x10000, v52
	v_cmp_eq_u32_sdwa s[24:25], v52, v3 src0_sel:WORD_0 src1_sel:DWORD
	s_nop 1
	v_cndmask_b32_e64 v36, v36, v52, s[24:25]
; %bb.694:                              ;   in Loop: Header=BB36_303 Depth=3
	s_or_b64 exec, exec, s[28:29]
	v_and_b32_e32 v37, 0xffff0000, v37
	v_and_b32_e32 v21, 0xffff0000, v21
	v_max_f32_e32 v21, v21, v21
	v_max_f32_e32 v37, v37, v37
	v_min_f32_e32 v52, v37, v21
	v_max_f32_e32 v21, v37, v21
	v_cndmask_b32_e32 v37, v21, v52, vcc
	v_and_b32_e32 v21, 0x7f800000, v37
	v_cmp_ne_u32_e64 s[24:25], s35, v21
                                        ; implicit-def: $vgpr21
	s_and_saveexec_b64 s[28:29], s[24:25]
	s_xor_b64 s[24:25], exec, s[28:29]
; %bb.695:                              ;   in Loop: Header=BB36_303 Depth=3
	v_bfe_u32 v21, v37, 16, 1
	v_add3_u32 v21, v37, v21, s8
                                        ; implicit-def: $vgpr37
; %bb.696:                              ;   in Loop: Header=BB36_303 Depth=3
	s_andn2_saveexec_b64 s[28:29], s[24:25]
; %bb.697:                              ;   in Loop: Header=BB36_303 Depth=3
	v_or_b32_e32 v21, 0x10000, v37
	v_cmp_eq_u32_sdwa s[24:25], v37, v3 src0_sel:WORD_0 src1_sel:DWORD
	s_nop 1
	v_cndmask_b32_e64 v21, v21, v37, s[24:25]
; %bb.698:                              ;   in Loop: Header=BB36_303 Depth=3
	s_or_b64 exec, exec, s[28:29]
	v_lshlrev_b32_e32 v37, 16, v38
	v_lshlrev_b32_e32 v52, 16, v22
	v_max_f32_e32 v52, v52, v52
	v_max_f32_e32 v37, v37, v37
	v_min_f32_e32 v53, v37, v52
	v_max_f32_e32 v37, v37, v52
	v_cndmask_b32_e32 v52, v37, v53, vcc
	v_and_b32_e32 v37, 0x7f800000, v52
	v_cmp_ne_u32_e64 s[24:25], s35, v37
                                        ; implicit-def: $vgpr37
	s_and_saveexec_b64 s[28:29], s[24:25]
	s_xor_b64 s[24:25], exec, s[28:29]
; %bb.699:                              ;   in Loop: Header=BB36_303 Depth=3
	v_bfe_u32 v37, v52, 16, 1
	v_add3_u32 v37, v52, v37, s8
                                        ; implicit-def: $vgpr52
; %bb.700:                              ;   in Loop: Header=BB36_303 Depth=3
	s_andn2_saveexec_b64 s[28:29], s[24:25]
; %bb.701:                              ;   in Loop: Header=BB36_303 Depth=3
	v_or_b32_e32 v37, 0x10000, v52
	v_cmp_eq_u32_sdwa s[24:25], v52, v3 src0_sel:WORD_0 src1_sel:DWORD
	s_nop 1
	v_cndmask_b32_e64 v37, v37, v52, s[24:25]
; %bb.702:                              ;   in Loop: Header=BB36_303 Depth=3
	s_or_b64 exec, exec, s[28:29]
	v_and_b32_e32 v38, 0xffff0000, v38
	v_and_b32_e32 v22, 0xffff0000, v22
	v_max_f32_e32 v22, v22, v22
	v_max_f32_e32 v38, v38, v38
	v_min_f32_e32 v52, v38, v22
	v_max_f32_e32 v22, v38, v22
	v_cndmask_b32_e32 v38, v22, v52, vcc
	v_and_b32_e32 v22, 0x7f800000, v38
	v_cmp_ne_u32_e64 s[24:25], s35, v22
                                        ; implicit-def: $vgpr22
	s_and_saveexec_b64 s[28:29], s[24:25]
	s_xor_b64 s[24:25], exec, s[28:29]
; %bb.703:                              ;   in Loop: Header=BB36_303 Depth=3
	v_bfe_u32 v22, v38, 16, 1
	v_add3_u32 v22, v38, v22, s8
                                        ; implicit-def: $vgpr38
; %bb.704:                              ;   in Loop: Header=BB36_303 Depth=3
	s_andn2_saveexec_b64 s[28:29], s[24:25]
; %bb.705:                              ;   in Loop: Header=BB36_303 Depth=3
	v_or_b32_e32 v22, 0x10000, v38
	v_cmp_eq_u32_sdwa s[24:25], v38, v3 src0_sel:WORD_0 src1_sel:DWORD
	s_nop 1
	v_cndmask_b32_e64 v22, v22, v38, s[24:25]
; %bb.706:                              ;   in Loop: Header=BB36_303 Depth=3
	s_or_b64 exec, exec, s[28:29]
	v_lshlrev_b32_e32 v38, 16, v39
	v_lshlrev_b32_e32 v52, 16, v23
	v_max_f32_e32 v52, v52, v52
	v_max_f32_e32 v38, v38, v38
	v_min_f32_e32 v53, v38, v52
	v_max_f32_e32 v38, v38, v52
	v_cndmask_b32_e32 v52, v38, v53, vcc
	v_and_b32_e32 v38, 0x7f800000, v52
	v_cmp_ne_u32_e64 s[24:25], s35, v38
                                        ; implicit-def: $vgpr38
	s_and_saveexec_b64 s[28:29], s[24:25]
	s_xor_b64 s[24:25], exec, s[28:29]
; %bb.707:                              ;   in Loop: Header=BB36_303 Depth=3
	v_bfe_u32 v38, v52, 16, 1
	v_add3_u32 v38, v52, v38, s8
                                        ; implicit-def: $vgpr52
; %bb.708:                              ;   in Loop: Header=BB36_303 Depth=3
	s_andn2_saveexec_b64 s[28:29], s[24:25]
; %bb.709:                              ;   in Loop: Header=BB36_303 Depth=3
	v_or_b32_e32 v38, 0x10000, v52
	v_cmp_eq_u32_sdwa s[24:25], v52, v3 src0_sel:WORD_0 src1_sel:DWORD
	s_nop 1
	v_cndmask_b32_e64 v38, v38, v52, s[24:25]
; %bb.710:                              ;   in Loop: Header=BB36_303 Depth=3
	s_or_b64 exec, exec, s[28:29]
	v_and_b32_e32 v39, 0xffff0000, v39
	v_and_b32_e32 v23, 0xffff0000, v23
	v_max_f32_e32 v23, v23, v23
	v_max_f32_e32 v39, v39, v39
	v_min_f32_e32 v52, v39, v23
	v_max_f32_e32 v23, v39, v23
	v_cndmask_b32_e32 v39, v23, v52, vcc
	v_and_b32_e32 v23, 0x7f800000, v39
	v_cmp_ne_u32_e64 s[24:25], s35, v23
                                        ; implicit-def: $vgpr23
	s_and_saveexec_b64 s[28:29], s[24:25]
	s_xor_b64 s[24:25], exec, s[28:29]
; %bb.711:                              ;   in Loop: Header=BB36_303 Depth=3
	v_bfe_u32 v23, v39, 16, 1
	v_add3_u32 v23, v39, v23, s8
                                        ; implicit-def: $vgpr39
; %bb.712:                              ;   in Loop: Header=BB36_303 Depth=3
	s_andn2_saveexec_b64 s[28:29], s[24:25]
; %bb.713:                              ;   in Loop: Header=BB36_303 Depth=3
	v_or_b32_e32 v23, 0x10000, v39
	v_cmp_eq_u32_sdwa s[24:25], v39, v3 src0_sel:WORD_0 src1_sel:DWORD
	s_nop 1
	v_cndmask_b32_e64 v23, v23, v39, s[24:25]
; %bb.714:                              ;   in Loop: Header=BB36_303 Depth=3
	s_or_b64 exec, exec, s[28:29]
	v_lshlrev_b32_e32 v39, 16, v24
	v_lshlrev_b32_e32 v52, 16, v16
	v_max_f32_e32 v52, v52, v52
	v_max_f32_e32 v39, v39, v39
	v_min_f32_e32 v53, v39, v52
	v_max_f32_e32 v39, v39, v52
	v_cndmask_b32_e32 v52, v39, v53, vcc
	v_and_b32_e32 v39, 0x7f800000, v52
	v_cmp_ne_u32_e64 s[24:25], s35, v39
                                        ; implicit-def: $vgpr39
	s_and_saveexec_b64 s[28:29], s[24:25]
	s_xor_b64 s[24:25], exec, s[28:29]
; %bb.715:                              ;   in Loop: Header=BB36_303 Depth=3
	v_bfe_u32 v39, v52, 16, 1
	v_add3_u32 v39, v52, v39, s8
                                        ; implicit-def: $vgpr52
; %bb.716:                              ;   in Loop: Header=BB36_303 Depth=3
	s_andn2_saveexec_b64 s[28:29], s[24:25]
; %bb.717:                              ;   in Loop: Header=BB36_303 Depth=3
	v_or_b32_e32 v39, 0x10000, v52
	v_cmp_eq_u32_sdwa s[24:25], v52, v3 src0_sel:WORD_0 src1_sel:DWORD
	s_nop 1
	v_cndmask_b32_e64 v39, v39, v52, s[24:25]
; %bb.718:                              ;   in Loop: Header=BB36_303 Depth=3
	s_or_b64 exec, exec, s[28:29]
	v_and_b32_e32 v24, 0xffff0000, v24
	v_and_b32_e32 v16, 0xffff0000, v16
	v_max_f32_e32 v16, v16, v16
	v_max_f32_e32 v24, v24, v24
	v_min_f32_e32 v52, v24, v16
	v_max_f32_e32 v16, v24, v16
	v_cndmask_b32_e32 v24, v16, v52, vcc
	v_and_b32_e32 v16, 0x7f800000, v24
	v_cmp_ne_u32_e64 s[24:25], s35, v16
                                        ; implicit-def: $vgpr16
	s_and_saveexec_b64 s[28:29], s[24:25]
	s_xor_b64 s[24:25], exec, s[28:29]
; %bb.719:                              ;   in Loop: Header=BB36_303 Depth=3
	v_bfe_u32 v16, v24, 16, 1
	v_add3_u32 v16, v24, v16, s8
                                        ; implicit-def: $vgpr24
; %bb.720:                              ;   in Loop: Header=BB36_303 Depth=3
	s_andn2_saveexec_b64 s[28:29], s[24:25]
; %bb.721:                              ;   in Loop: Header=BB36_303 Depth=3
	v_or_b32_e32 v16, 0x10000, v24
	v_cmp_eq_u32_sdwa s[24:25], v24, v3 src0_sel:WORD_0 src1_sel:DWORD
	s_nop 1
	v_cndmask_b32_e64 v16, v16, v24, s[24:25]
; %bb.722:                              ;   in Loop: Header=BB36_303 Depth=3
	s_or_b64 exec, exec, s[28:29]
	v_lshlrev_b32_e32 v24, 16, v25
	v_lshlrev_b32_e32 v52, 16, v17
	v_max_f32_e32 v52, v52, v52
	v_max_f32_e32 v24, v24, v24
	v_min_f32_e32 v53, v24, v52
	v_max_f32_e32 v24, v24, v52
	v_cndmask_b32_e32 v52, v24, v53, vcc
	v_and_b32_e32 v24, 0x7f800000, v52
	v_cmp_ne_u32_e64 s[24:25], s35, v24
                                        ; implicit-def: $vgpr24
	s_and_saveexec_b64 s[28:29], s[24:25]
	s_xor_b64 s[24:25], exec, s[28:29]
; %bb.723:                              ;   in Loop: Header=BB36_303 Depth=3
	v_bfe_u32 v24, v52, 16, 1
	v_add3_u32 v24, v52, v24, s8
                                        ; implicit-def: $vgpr52
; %bb.724:                              ;   in Loop: Header=BB36_303 Depth=3
	s_andn2_saveexec_b64 s[28:29], s[24:25]
; %bb.725:                              ;   in Loop: Header=BB36_303 Depth=3
	v_or_b32_e32 v24, 0x10000, v52
	v_cmp_eq_u32_sdwa s[24:25], v52, v3 src0_sel:WORD_0 src1_sel:DWORD
	s_nop 1
	v_cndmask_b32_e64 v24, v24, v52, s[24:25]
; %bb.726:                              ;   in Loop: Header=BB36_303 Depth=3
	s_or_b64 exec, exec, s[28:29]
	v_and_b32_e32 v25, 0xffff0000, v25
	v_and_b32_e32 v17, 0xffff0000, v17
	v_max_f32_e32 v17, v17, v17
	v_max_f32_e32 v25, v25, v25
	v_min_f32_e32 v52, v25, v17
	v_max_f32_e32 v17, v25, v17
	v_cndmask_b32_e32 v25, v17, v52, vcc
	v_and_b32_e32 v17, 0x7f800000, v25
	v_cmp_ne_u32_e64 s[24:25], s35, v17
                                        ; implicit-def: $vgpr17
	s_and_saveexec_b64 s[28:29], s[24:25]
	s_xor_b64 s[24:25], exec, s[28:29]
; %bb.727:                              ;   in Loop: Header=BB36_303 Depth=3
	v_bfe_u32 v17, v25, 16, 1
	v_add3_u32 v17, v25, v17, s8
                                        ; implicit-def: $vgpr25
; %bb.728:                              ;   in Loop: Header=BB36_303 Depth=3
	s_andn2_saveexec_b64 s[28:29], s[24:25]
; %bb.729:                              ;   in Loop: Header=BB36_303 Depth=3
	v_or_b32_e32 v17, 0x10000, v25
	v_cmp_eq_u32_sdwa s[24:25], v25, v3 src0_sel:WORD_0 src1_sel:DWORD
	s_nop 1
	v_cndmask_b32_e64 v17, v17, v25, s[24:25]
; %bb.730:                              ;   in Loop: Header=BB36_303 Depth=3
	s_or_b64 exec, exec, s[28:29]
	v_lshlrev_b32_e32 v25, 16, v26
	v_lshlrev_b32_e32 v52, 16, v18
	v_max_f32_e32 v52, v52, v52
	v_max_f32_e32 v25, v25, v25
	v_min_f32_e32 v53, v25, v52
	v_max_f32_e32 v25, v25, v52
	v_cndmask_b32_e32 v52, v25, v53, vcc
	v_and_b32_e32 v25, 0x7f800000, v52
	v_cmp_ne_u32_e64 s[24:25], s35, v25
                                        ; implicit-def: $vgpr25
	s_and_saveexec_b64 s[28:29], s[24:25]
	s_xor_b64 s[24:25], exec, s[28:29]
; %bb.731:                              ;   in Loop: Header=BB36_303 Depth=3
	v_bfe_u32 v25, v52, 16, 1
	v_add3_u32 v25, v52, v25, s8
                                        ; implicit-def: $vgpr52
; %bb.732:                              ;   in Loop: Header=BB36_303 Depth=3
	s_andn2_saveexec_b64 s[28:29], s[24:25]
; %bb.733:                              ;   in Loop: Header=BB36_303 Depth=3
	v_or_b32_e32 v25, 0x10000, v52
	v_cmp_eq_u32_sdwa s[24:25], v52, v3 src0_sel:WORD_0 src1_sel:DWORD
	s_nop 1
	v_cndmask_b32_e64 v25, v25, v52, s[24:25]
; %bb.734:                              ;   in Loop: Header=BB36_303 Depth=3
	s_or_b64 exec, exec, s[28:29]
	v_and_b32_e32 v26, 0xffff0000, v26
	v_and_b32_e32 v18, 0xffff0000, v18
	v_max_f32_e32 v18, v18, v18
	v_max_f32_e32 v26, v26, v26
	v_min_f32_e32 v52, v26, v18
	v_max_f32_e32 v18, v26, v18
	v_cndmask_b32_e32 v26, v18, v52, vcc
	v_and_b32_e32 v18, 0x7f800000, v26
	v_cmp_ne_u32_e64 s[24:25], s35, v18
                                        ; implicit-def: $vgpr18
	s_and_saveexec_b64 s[28:29], s[24:25]
	s_xor_b64 s[24:25], exec, s[28:29]
; %bb.735:                              ;   in Loop: Header=BB36_303 Depth=3
	v_bfe_u32 v18, v26, 16, 1
	v_add3_u32 v18, v26, v18, s8
                                        ; implicit-def: $vgpr26
; %bb.736:                              ;   in Loop: Header=BB36_303 Depth=3
	s_andn2_saveexec_b64 s[28:29], s[24:25]
; %bb.737:                              ;   in Loop: Header=BB36_303 Depth=3
	v_or_b32_e32 v18, 0x10000, v26
	v_cmp_eq_u32_sdwa s[24:25], v26, v3 src0_sel:WORD_0 src1_sel:DWORD
	s_nop 1
	v_cndmask_b32_e64 v18, v18, v26, s[24:25]
; %bb.738:                              ;   in Loop: Header=BB36_303 Depth=3
	s_or_b64 exec, exec, s[28:29]
	v_lshlrev_b32_e32 v26, 16, v27
	v_lshlrev_b32_e32 v52, 16, v19
	v_max_f32_e32 v52, v52, v52
	v_max_f32_e32 v26, v26, v26
	v_min_f32_e32 v53, v26, v52
	v_max_f32_e32 v26, v26, v52
	v_cndmask_b32_e32 v52, v26, v53, vcc
	v_and_b32_e32 v26, 0x7f800000, v52
	v_cmp_ne_u32_e64 s[24:25], s35, v26
                                        ; implicit-def: $vgpr26
	s_and_saveexec_b64 s[28:29], s[24:25]
	s_xor_b64 s[24:25], exec, s[28:29]
; %bb.739:                              ;   in Loop: Header=BB36_303 Depth=3
	v_bfe_u32 v26, v52, 16, 1
	v_add3_u32 v26, v52, v26, s8
                                        ; implicit-def: $vgpr52
; %bb.740:                              ;   in Loop: Header=BB36_303 Depth=3
	s_andn2_saveexec_b64 s[28:29], s[24:25]
; %bb.741:                              ;   in Loop: Header=BB36_303 Depth=3
	v_or_b32_e32 v26, 0x10000, v52
	v_cmp_eq_u32_sdwa s[24:25], v52, v3 src0_sel:WORD_0 src1_sel:DWORD
	s_nop 1
	v_cndmask_b32_e64 v26, v26, v52, s[24:25]
; %bb.742:                              ;   in Loop: Header=BB36_303 Depth=3
	s_or_b64 exec, exec, s[28:29]
	v_and_b32_e32 v27, 0xffff0000, v27
	v_and_b32_e32 v19, 0xffff0000, v19
	v_max_f32_e32 v19, v19, v19
	v_max_f32_e32 v27, v27, v27
	v_min_f32_e32 v52, v27, v19
	v_max_f32_e32 v19, v27, v19
	v_cndmask_b32_e32 v27, v19, v52, vcc
	v_and_b32_e32 v19, 0x7f800000, v27
	v_cmp_ne_u32_e64 s[24:25], s35, v19
                                        ; implicit-def: $vgpr19
	s_and_saveexec_b64 s[28:29], s[24:25]
	s_xor_b64 s[24:25], exec, s[28:29]
; %bb.743:                              ;   in Loop: Header=BB36_303 Depth=3
	v_bfe_u32 v19, v27, 16, 1
	v_add3_u32 v19, v27, v19, s8
                                        ; implicit-def: $vgpr27
; %bb.744:                              ;   in Loop: Header=BB36_303 Depth=3
	s_andn2_saveexec_b64 s[28:29], s[24:25]
; %bb.745:                              ;   in Loop: Header=BB36_303 Depth=3
	v_or_b32_e32 v19, 0x10000, v27
	v_cmp_eq_u32_sdwa s[24:25], v27, v3 src0_sel:WORD_0 src1_sel:DWORD
	s_nop 1
	v_cndmask_b32_e64 v19, v19, v27, s[24:25]
; %bb.746:                              ;   in Loop: Header=BB36_303 Depth=3
	s_or_b64 exec, exec, s[28:29]
	v_lshlrev_b32_e32 v27, 16, v12
	v_lshlrev_b32_e32 v52, 16, v8
	v_max_f32_e32 v52, v52, v52
	v_max_f32_e32 v27, v27, v27
	v_min_f32_e32 v53, v27, v52
	v_max_f32_e32 v27, v27, v52
	v_cndmask_b32_e32 v52, v27, v53, vcc
	v_and_b32_e32 v27, 0x7f800000, v52
	v_cmp_ne_u32_e64 s[24:25], s35, v27
                                        ; implicit-def: $vgpr27
	s_and_saveexec_b64 s[28:29], s[24:25]
	s_xor_b64 s[24:25], exec, s[28:29]
; %bb.747:                              ;   in Loop: Header=BB36_303 Depth=3
	v_bfe_u32 v27, v52, 16, 1
	v_add3_u32 v27, v52, v27, s8
                                        ; implicit-def: $vgpr52
; %bb.748:                              ;   in Loop: Header=BB36_303 Depth=3
	s_andn2_saveexec_b64 s[28:29], s[24:25]
; %bb.749:                              ;   in Loop: Header=BB36_303 Depth=3
	v_or_b32_e32 v27, 0x10000, v52
	v_cmp_eq_u32_sdwa s[24:25], v52, v3 src0_sel:WORD_0 src1_sel:DWORD
	s_nop 1
	v_cndmask_b32_e64 v27, v27, v52, s[24:25]
; %bb.750:                              ;   in Loop: Header=BB36_303 Depth=3
	s_or_b64 exec, exec, s[28:29]
	v_and_b32_e32 v12, 0xffff0000, v12
	v_and_b32_e32 v8, 0xffff0000, v8
	v_max_f32_e32 v8, v8, v8
	v_max_f32_e32 v12, v12, v12
	v_min_f32_e32 v52, v12, v8
	v_max_f32_e32 v8, v12, v8
	v_cndmask_b32_e32 v12, v8, v52, vcc
	v_and_b32_e32 v8, 0x7f800000, v12
	v_cmp_ne_u32_e64 s[24:25], s35, v8
                                        ; implicit-def: $vgpr8
	s_and_saveexec_b64 s[28:29], s[24:25]
	s_xor_b64 s[24:25], exec, s[28:29]
; %bb.751:                              ;   in Loop: Header=BB36_303 Depth=3
	v_bfe_u32 v8, v12, 16, 1
	v_add3_u32 v8, v12, v8, s8
                                        ; implicit-def: $vgpr12
; %bb.752:                              ;   in Loop: Header=BB36_303 Depth=3
	s_andn2_saveexec_b64 s[28:29], s[24:25]
; %bb.753:                              ;   in Loop: Header=BB36_303 Depth=3
	v_or_b32_e32 v8, 0x10000, v12
	v_cmp_eq_u32_sdwa s[24:25], v12, v3 src0_sel:WORD_0 src1_sel:DWORD
	s_nop 1
	v_cndmask_b32_e64 v8, v8, v12, s[24:25]
; %bb.754:                              ;   in Loop: Header=BB36_303 Depth=3
	s_or_b64 exec, exec, s[28:29]
	v_lshlrev_b32_e32 v12, 16, v13
	v_lshlrev_b32_e32 v52, 16, v9
	v_max_f32_e32 v52, v52, v52
	v_max_f32_e32 v12, v12, v12
	v_min_f32_e32 v53, v12, v52
	v_max_f32_e32 v12, v12, v52
	v_cndmask_b32_e32 v52, v12, v53, vcc
	v_and_b32_e32 v12, 0x7f800000, v52
	v_cmp_ne_u32_e64 s[24:25], s35, v12
                                        ; implicit-def: $vgpr12
	s_and_saveexec_b64 s[28:29], s[24:25]
	s_xor_b64 s[24:25], exec, s[28:29]
; %bb.755:                              ;   in Loop: Header=BB36_303 Depth=3
	v_bfe_u32 v12, v52, 16, 1
	v_add3_u32 v12, v52, v12, s8
                                        ; implicit-def: $vgpr52
; %bb.756:                              ;   in Loop: Header=BB36_303 Depth=3
	s_andn2_saveexec_b64 s[28:29], s[24:25]
; %bb.757:                              ;   in Loop: Header=BB36_303 Depth=3
	v_or_b32_e32 v12, 0x10000, v52
	v_cmp_eq_u32_sdwa s[24:25], v52, v3 src0_sel:WORD_0 src1_sel:DWORD
	s_nop 1
	v_cndmask_b32_e64 v12, v12, v52, s[24:25]
; %bb.758:                              ;   in Loop: Header=BB36_303 Depth=3
	s_or_b64 exec, exec, s[28:29]
	v_and_b32_e32 v13, 0xffff0000, v13
	v_and_b32_e32 v9, 0xffff0000, v9
	v_max_f32_e32 v9, v9, v9
	v_max_f32_e32 v13, v13, v13
	v_min_f32_e32 v52, v13, v9
	v_max_f32_e32 v9, v13, v9
	v_cndmask_b32_e32 v13, v9, v52, vcc
	v_and_b32_e32 v9, 0x7f800000, v13
	v_cmp_ne_u32_e64 s[24:25], s35, v9
                                        ; implicit-def: $vgpr9
	s_and_saveexec_b64 s[28:29], s[24:25]
	s_xor_b64 s[24:25], exec, s[28:29]
; %bb.759:                              ;   in Loop: Header=BB36_303 Depth=3
	v_bfe_u32 v9, v13, 16, 1
	v_add3_u32 v9, v13, v9, s8
                                        ; implicit-def: $vgpr13
; %bb.760:                              ;   in Loop: Header=BB36_303 Depth=3
	s_andn2_saveexec_b64 s[28:29], s[24:25]
; %bb.761:                              ;   in Loop: Header=BB36_303 Depth=3
	v_or_b32_e32 v9, 0x10000, v13
	v_cmp_eq_u32_sdwa s[24:25], v13, v3 src0_sel:WORD_0 src1_sel:DWORD
	s_nop 1
	v_cndmask_b32_e64 v9, v9, v13, s[24:25]
; %bb.762:                              ;   in Loop: Header=BB36_303 Depth=3
	s_or_b64 exec, exec, s[28:29]
	v_lshlrev_b32_e32 v13, 16, v14
	v_lshlrev_b32_e32 v52, 16, v10
	v_max_f32_e32 v52, v52, v52
	v_max_f32_e32 v13, v13, v13
	v_min_f32_e32 v53, v13, v52
	v_max_f32_e32 v13, v13, v52
	v_cndmask_b32_e32 v52, v13, v53, vcc
	v_and_b32_e32 v13, 0x7f800000, v52
	v_cmp_ne_u32_e64 s[24:25], s35, v13
                                        ; implicit-def: $vgpr13
	s_and_saveexec_b64 s[28:29], s[24:25]
	s_xor_b64 s[24:25], exec, s[28:29]
; %bb.763:                              ;   in Loop: Header=BB36_303 Depth=3
	v_bfe_u32 v13, v52, 16, 1
	v_add3_u32 v13, v52, v13, s8
                                        ; implicit-def: $vgpr52
; %bb.764:                              ;   in Loop: Header=BB36_303 Depth=3
	s_andn2_saveexec_b64 s[28:29], s[24:25]
; %bb.765:                              ;   in Loop: Header=BB36_303 Depth=3
	v_or_b32_e32 v13, 0x10000, v52
	v_cmp_eq_u32_sdwa s[24:25], v52, v3 src0_sel:WORD_0 src1_sel:DWORD
	s_nop 1
	v_cndmask_b32_e64 v13, v13, v52, s[24:25]
; %bb.766:                              ;   in Loop: Header=BB36_303 Depth=3
	s_or_b64 exec, exec, s[28:29]
	v_and_b32_e32 v14, 0xffff0000, v14
	v_and_b32_e32 v10, 0xffff0000, v10
	v_max_f32_e32 v10, v10, v10
	v_max_f32_e32 v14, v14, v14
	v_min_f32_e32 v52, v14, v10
	v_max_f32_e32 v10, v14, v10
	v_cndmask_b32_e32 v14, v10, v52, vcc
	v_and_b32_e32 v10, 0x7f800000, v14
	v_cmp_ne_u32_e64 s[24:25], s35, v10
                                        ; implicit-def: $vgpr10
	s_and_saveexec_b64 s[28:29], s[24:25]
	s_xor_b64 s[24:25], exec, s[28:29]
; %bb.767:                              ;   in Loop: Header=BB36_303 Depth=3
	v_bfe_u32 v10, v14, 16, 1
	v_add3_u32 v10, v14, v10, s8
                                        ; implicit-def: $vgpr14
; %bb.768:                              ;   in Loop: Header=BB36_303 Depth=3
	s_andn2_saveexec_b64 s[28:29], s[24:25]
; %bb.769:                              ;   in Loop: Header=BB36_303 Depth=3
	v_or_b32_e32 v10, 0x10000, v14
	v_cmp_eq_u32_sdwa s[24:25], v14, v3 src0_sel:WORD_0 src1_sel:DWORD
	s_nop 1
	v_cndmask_b32_e64 v10, v10, v14, s[24:25]
; %bb.770:                              ;   in Loop: Header=BB36_303 Depth=3
	s_or_b64 exec, exec, s[28:29]
	v_lshlrev_b32_e32 v14, 16, v15
	v_lshlrev_b32_e32 v52, 16, v11
	v_max_f32_e32 v52, v52, v52
	v_max_f32_e32 v14, v14, v14
	v_min_f32_e32 v53, v14, v52
	v_max_f32_e32 v14, v14, v52
	v_cndmask_b32_e32 v52, v14, v53, vcc
	v_and_b32_e32 v14, 0x7f800000, v52
	v_cmp_ne_u32_e64 s[24:25], s35, v14
                                        ; implicit-def: $vgpr14
	s_and_saveexec_b64 s[28:29], s[24:25]
	s_xor_b64 s[24:25], exec, s[28:29]
; %bb.771:                              ;   in Loop: Header=BB36_303 Depth=3
	v_bfe_u32 v14, v52, 16, 1
	v_add3_u32 v14, v52, v14, s8
                                        ; implicit-def: $vgpr52
; %bb.772:                              ;   in Loop: Header=BB36_303 Depth=3
	s_andn2_saveexec_b64 s[28:29], s[24:25]
; %bb.773:                              ;   in Loop: Header=BB36_303 Depth=3
	v_or_b32_e32 v14, 0x10000, v52
	v_cmp_eq_u32_sdwa s[24:25], v52, v3 src0_sel:WORD_0 src1_sel:DWORD
	s_nop 1
	v_cndmask_b32_e64 v14, v14, v52, s[24:25]
; %bb.774:                              ;   in Loop: Header=BB36_303 Depth=3
	s_or_b64 exec, exec, s[28:29]
	v_and_b32_e32 v15, 0xffff0000, v15
	v_and_b32_e32 v11, 0xffff0000, v11
	v_max_f32_e32 v11, v11, v11
	v_max_f32_e32 v15, v15, v15
	v_min_f32_e32 v52, v15, v11
	v_max_f32_e32 v11, v15, v11
	v_cndmask_b32_e32 v15, v11, v52, vcc
	v_and_b32_e32 v11, 0x7f800000, v15
	v_cmp_ne_u32_e32 vcc, s35, v11
                                        ; implicit-def: $vgpr11
	s_and_saveexec_b64 s[24:25], vcc
	s_xor_b64 s[24:25], exec, s[24:25]
; %bb.775:                              ;   in Loop: Header=BB36_303 Depth=3
	v_bfe_u32 v11, v15, 16, 1
	v_add3_u32 v11, v15, v11, s8
                                        ; implicit-def: $vgpr15
; %bb.776:                              ;   in Loop: Header=BB36_303 Depth=3
	s_andn2_saveexec_b64 s[24:25], s[24:25]
; %bb.777:                              ;   in Loop: Header=BB36_303 Depth=3
	v_or_b32_e32 v11, 0x10000, v15
	v_cmp_eq_u32_sdwa vcc, v15, v3 src0_sel:WORD_0 src1_sel:DWORD
	s_nop 1
	v_cndmask_b32_e32 v11, v11, v15, vcc
; %bb.778:                              ;   in Loop: Header=BB36_303 Depth=3
	s_or_b64 exec, exec, s[24:25]
	v_lshrrev_b32_e32 v15, 16, v24
	v_and_or_b32 v17, v17, s9, v15
	v_lshrrev_b32_e32 v15, 16, v39
	v_and_or_b32 v16, v16, s9, v15
	;; [unrolled: 2-line block ×9, first 2 shown]
	v_lshrrev_b32_e32 v15, 16, v30
	v_lshrrev_b32_e32 v12, 16, v12
	v_and_or_b32 v32, v32, s9, v15
	v_lshrrev_b32_e32 v15, 16, v49
	v_and_or_b32 v9, v9, s9, v12
	;; [unrolled: 2-line block ×5, first 2 shown]
	v_and_or_b32 v10, v10, s9, v12
	v_lshrrev_b32_e32 v12, 16, v14
	v_and_or_b32 v11, v11, s9, v12
	global_store_dwordx4 v[108:109], v[32:35], off
	global_store_dwordx4 v[108:109], v[20:23], off offset:1024
	global_store_dwordx4 v[108:109], v[16:19], off offset:2048
	global_store_dwordx4 v[108:109], v[8:11], off offset:3072
.LBB36_779:                             ;   in Loop: Header=BB36_303 Depth=3
	s_or_b64 exec, exec, s[26:27]
	v_lshlrev_b32_e32 v22, 12, v59
	v_cmp_ne_u32_e32 vcc, v7, v22
                                        ; implicit-def: $vgpr14
                                        ; implicit-def: $vgpr8
                                        ; implicit-def: $vgpr15
	s_mov_b64 s[56:57], exec
	s_and_b64 s[24:25], s[56:57], vcc
	v_mov_b32_e32 v59, v31
	s_mov_b64 exec, s[24:25]
	s_cbranch_execz .LBB36_894
; %bb.780:                              ;   in Loop: Header=BB36_303 Depth=3
	scratch_load_dword v10, off, s33 offset:344 ; 4-byte Folded Reload
	v_lshlrev_b32_e32 v8, 6, v73
	v_sub_u32_e32 v9, v7, v22
	s_mov_b64 s[26:27], 0
	s_waitcnt vmcnt(0)
	v_and_b32_e32 v10, 63, v10
	v_sub_u32_e32 v8, v10, v8
	v_ashrrev_i32_e32 v10, 31, v8
	v_lshrrev_b32_e32 v10, 26, v10
	v_add_u32_e32 v10, v8, v10
	v_ashrrev_i32_e32 v11, 6, v10
	v_and_b32_e32 v10, 0xffffffc0, v10
	v_sub_u32_e32 v23, v8, v10
	v_lshlrev_b32_e32 v8, 4, v23
	v_lshl_add_u32 v10, v11, 10, v8
	v_add_u32_e32 v8, v10, v22
	v_sub_u32_e32 v27, v9, v10
	v_ashrrev_i32_e32 v10, 31, v9
	v_lshrrev_b32_e32 v10, 22, v10
	v_add_u32_e32 v10, v9, v10
	v_and_b32_e32 v24, 0xfffffc00, v10
	v_sub_u32_e32 v25, v9, v24
	v_ashrrev_i32_e32 v12, 10, v10
	v_cmp_lt_i32_e64 s[24:25], 15, v25
	v_ashrrev_i32_e32 v9, 31, v8
	v_lshl_add_u64 v[16:17], v[8:9], 0, v[118:119]
	v_addc_co_u32_e64 v10, vcc, 0, v12, s[24:25]
	v_sub_u32_e32 v26, v10, v11
	v_cmp_lt_i32_e32 vcc, 15, v27
	s_and_saveexec_b64 s[58:59], vcc
	s_cbranch_execz .LBB36_857
; %bb.781:                              ;   in Loop: Header=BB36_303 Depth=3
	s_trap 2
	ds_read_b64 v[10:11], v0
	s_and_b32 s26, 0xffff, s68
	s_cmp_eq_u32 s26, 0
	v_lshl_add_u64 v[18:19], v[8:9], 0, v[0:1]
	s_mov_b64 s[54:55], 0
	s_waitcnt lgkmcnt(0)
	v_lshl_add_u64 v[20:21], v[10:11], 0, v[8:9]
	s_mov_b64 s[60:61], 0
	s_cselect_b64 s[26:27], -1, 0
                                        ; implicit-def: $sgpr52_sgpr53
	s_branch .LBB36_783
.LBB36_782:                             ;   in Loop: Header=BB36_783 Depth=4
	s_or_b64 exec, exec, s[28:29]
	v_cmp_gt_i32_e32 vcc, 16, v27
	s_or_b64 s[60:61], vcc, s[60:61]
	s_andn2_b64 s[28:29], s[52:53], exec
	s_and_b64 vcc, s[54:55], exec
	s_or_b64 s[52:53], s[28:29], vcc
	s_andn2_b64 exec, exec, s[60:61]
	s_cbranch_execz .LBB36_856
.LBB36_783:                             ;   Parent Loop BB36_47 Depth=1
                                        ;     Parent Loop BB36_300 Depth=2
                                        ;       Parent Loop BB36_303 Depth=3
                                        ; =>      This Loop Header: Depth=4
                                        ;           Child Loop BB36_784 Depth 5
                                        ;           Child Loop BB36_821 Depth 5
	s_add_i32 s28, s33, 0xc0
	s_mov_b32 s66, s28
	s_mov_b64 s[64:65], -1
	s_mov_b64 s[28:29], 0
.LBB36_784:                             ;   Parent Loop BB36_47 Depth=1
                                        ;     Parent Loop BB36_300 Depth=2
                                        ;       Parent Loop BB36_303 Depth=3
                                        ;         Parent Loop BB36_783 Depth=4
                                        ; =>        This Inner Loop Header: Depth=5
	s_cmp_eq_u32 s28, 1
	s_cselect_b64 vcc, -1, 0
	v_cndmask_b32_e32 v13, v19, v21, vcc
	v_cndmask_b32_e32 v12, v18, v20, vcc
	global_load_dwordx4 v[8:11], v[12:13], off nt
	s_cmp_eq_u32 s28, 0
	s_cselect_b64 s[28:29], -1, 0
	s_waitcnt vmcnt(0)
	scratch_store_dwordx4 off, v[8:11], s66
	s_nop 1
	v_lshl_add_u64 v[8:9], v[12:13], 0, s[88:89]
	v_cndmask_b32_e64 v19, v19, v9, s[28:29]
	v_cndmask_b32_e64 v18, v18, v8, s[28:29]
	v_cndmask_b32_e32 v21, v21, v9, vcc
	v_cndmask_b32_e32 v20, v20, v8, vcc
	s_mov_b64 s[28:29], 1
	s_and_b64 vcc, exec, s[64:65]
	s_mov_b64 s[64:65], 0
	s_mov_b32 s66, s97
	s_cbranch_vccnz .LBB36_784
; %bb.785:                              ;   in Loop: Header=BB36_783 Depth=4
	s_and_saveexec_b64 s[28:29], s[54:55]
	s_cbranch_execz .LBB36_819
; %bb.786:                              ;   in Loop: Header=BB36_783 Depth=4
	scratch_load_dwordx4 v[8:11], off, s33 offset:224
	scratch_load_dwordx4 v[12:15], off, s33 offset:240
	s_waitcnt vmcnt(1)
	v_lshlrev_b32_e32 v30, 16, v8
	s_waitcnt vmcnt(0)
	v_lshlrev_b32_e32 v32, 16, v12
	v_max_f32_e32 v32, v32, v32
	v_max_f32_e32 v30, v30, v30
	v_min_f32_e32 v33, v30, v32
	v_max_f32_e32 v30, v30, v32
	v_cndmask_b32_e64 v32, v30, v33, s[26:27]
	v_and_b32_e32 v30, 0x7f800000, v32
	v_cmp_ne_u32_e32 vcc, s35, v30
                                        ; implicit-def: $vgpr30
	s_and_saveexec_b64 s[54:55], vcc
	s_xor_b64 vcc, exec, s[54:55]
; %bb.787:                              ;   in Loop: Header=BB36_783 Depth=4
	v_bfe_u32 v30, v32, 16, 1
	v_add3_u32 v30, v32, v30, s8
                                        ; implicit-def: $vgpr32
; %bb.788:                              ;   in Loop: Header=BB36_783 Depth=4
	s_andn2_saveexec_b64 s[54:55], vcc
; %bb.789:                              ;   in Loop: Header=BB36_783 Depth=4
	v_or_b32_e32 v30, 0x10000, v32
	v_cmp_eq_u32_sdwa vcc, v32, v3 src0_sel:WORD_0 src1_sel:DWORD
	s_nop 1
	v_cndmask_b32_e32 v30, v30, v32, vcc
; %bb.790:                              ;   in Loop: Header=BB36_783 Depth=4
	s_or_b64 exec, exec, s[54:55]
	v_and_b32_e32 v8, 0xffff0000, v8
	v_and_b32_e32 v12, 0xffff0000, v12
	v_max_f32_e32 v12, v12, v12
	v_max_f32_e32 v8, v8, v8
	v_min_f32_e32 v32, v8, v12
	v_max_f32_e32 v8, v8, v12
	v_cndmask_b32_e64 v12, v8, v32, s[26:27]
	v_and_b32_e32 v8, 0x7f800000, v12
	v_cmp_ne_u32_e32 vcc, s35, v8
                                        ; implicit-def: $vgpr8
	s_and_saveexec_b64 s[54:55], vcc
	s_xor_b64 vcc, exec, s[54:55]
; %bb.791:                              ;   in Loop: Header=BB36_783 Depth=4
	v_bfe_u32 v8, v12, 16, 1
	v_add3_u32 v8, v12, v8, s8
                                        ; implicit-def: $vgpr12
; %bb.792:                              ;   in Loop: Header=BB36_783 Depth=4
	s_andn2_saveexec_b64 s[54:55], vcc
; %bb.793:                              ;   in Loop: Header=BB36_783 Depth=4
	v_or_b32_e32 v8, 0x10000, v12
	v_cmp_eq_u32_sdwa vcc, v12, v3 src0_sel:WORD_0 src1_sel:DWORD
	s_nop 1
	v_cndmask_b32_e32 v8, v8, v12, vcc
; %bb.794:                              ;   in Loop: Header=BB36_783 Depth=4
	s_or_b64 exec, exec, s[54:55]
	v_lshlrev_b32_e32 v12, 16, v9
	v_lshlrev_b32_e32 v32, 16, v13
	v_max_f32_e32 v32, v32, v32
	v_max_f32_e32 v12, v12, v12
	v_min_f32_e32 v33, v12, v32
	v_max_f32_e32 v12, v12, v32
	v_cndmask_b32_e64 v32, v12, v33, s[26:27]
	v_and_b32_e32 v12, 0x7f800000, v32
	v_cmp_ne_u32_e32 vcc, s35, v12
                                        ; implicit-def: $vgpr12
	s_and_saveexec_b64 s[54:55], vcc
	s_xor_b64 vcc, exec, s[54:55]
; %bb.795:                              ;   in Loop: Header=BB36_783 Depth=4
	v_bfe_u32 v12, v32, 16, 1
	v_add3_u32 v12, v32, v12, s8
                                        ; implicit-def: $vgpr32
; %bb.796:                              ;   in Loop: Header=BB36_783 Depth=4
	s_andn2_saveexec_b64 s[54:55], vcc
; %bb.797:                              ;   in Loop: Header=BB36_783 Depth=4
	v_or_b32_e32 v12, 0x10000, v32
	v_cmp_eq_u32_sdwa vcc, v32, v3 src0_sel:WORD_0 src1_sel:DWORD
	s_nop 1
	v_cndmask_b32_e32 v12, v12, v32, vcc
; %bb.798:                              ;   in Loop: Header=BB36_783 Depth=4
	s_or_b64 exec, exec, s[54:55]
	v_and_b32_e32 v9, 0xffff0000, v9
	v_and_b32_e32 v13, 0xffff0000, v13
	v_max_f32_e32 v13, v13, v13
	v_max_f32_e32 v9, v9, v9
	v_min_f32_e32 v32, v9, v13
	v_max_f32_e32 v9, v9, v13
	v_cndmask_b32_e64 v13, v9, v32, s[26:27]
	v_and_b32_e32 v9, 0x7f800000, v13
	v_cmp_ne_u32_e32 vcc, s35, v9
                                        ; implicit-def: $vgpr9
	s_and_saveexec_b64 s[54:55], vcc
	s_xor_b64 vcc, exec, s[54:55]
; %bb.799:                              ;   in Loop: Header=BB36_783 Depth=4
	v_bfe_u32 v9, v13, 16, 1
	v_add3_u32 v9, v13, v9, s8
                                        ; implicit-def: $vgpr13
; %bb.800:                              ;   in Loop: Header=BB36_783 Depth=4
	s_andn2_saveexec_b64 s[54:55], vcc
; %bb.801:                              ;   in Loop: Header=BB36_783 Depth=4
	v_or_b32_e32 v9, 0x10000, v13
	v_cmp_eq_u32_sdwa vcc, v13, v3 src0_sel:WORD_0 src1_sel:DWORD
	s_nop 1
	v_cndmask_b32_e32 v9, v9, v13, vcc
; %bb.802:                              ;   in Loop: Header=BB36_783 Depth=4
	s_or_b64 exec, exec, s[54:55]
	v_lshlrev_b32_e32 v13, 16, v10
	v_lshlrev_b32_e32 v32, 16, v14
	v_max_f32_e32 v32, v32, v32
	v_max_f32_e32 v13, v13, v13
	v_min_f32_e32 v33, v13, v32
	v_max_f32_e32 v13, v13, v32
	v_cndmask_b32_e64 v32, v13, v33, s[26:27]
	v_and_b32_e32 v13, 0x7f800000, v32
	v_cmp_ne_u32_e32 vcc, s35, v13
                                        ; implicit-def: $vgpr13
	s_and_saveexec_b64 s[54:55], vcc
	s_xor_b64 vcc, exec, s[54:55]
; %bb.803:                              ;   in Loop: Header=BB36_783 Depth=4
	v_bfe_u32 v13, v32, 16, 1
	v_add3_u32 v13, v32, v13, s8
                                        ; implicit-def: $vgpr32
; %bb.804:                              ;   in Loop: Header=BB36_783 Depth=4
	s_andn2_saveexec_b64 s[54:55], vcc
; %bb.805:                              ;   in Loop: Header=BB36_783 Depth=4
	v_or_b32_e32 v13, 0x10000, v32
	v_cmp_eq_u32_sdwa vcc, v32, v3 src0_sel:WORD_0 src1_sel:DWORD
	s_nop 1
	v_cndmask_b32_e32 v13, v13, v32, vcc
; %bb.806:                              ;   in Loop: Header=BB36_783 Depth=4
	s_or_b64 exec, exec, s[54:55]
	v_and_b32_e32 v10, 0xffff0000, v10
	v_and_b32_e32 v14, 0xffff0000, v14
	v_max_f32_e32 v14, v14, v14
	v_max_f32_e32 v10, v10, v10
	v_min_f32_e32 v32, v10, v14
	v_max_f32_e32 v10, v10, v14
	v_cndmask_b32_e64 v14, v10, v32, s[26:27]
	v_and_b32_e32 v10, 0x7f800000, v14
	v_cmp_ne_u32_e32 vcc, s35, v10
                                        ; implicit-def: $vgpr10
	s_and_saveexec_b64 s[54:55], vcc
	s_xor_b64 vcc, exec, s[54:55]
; %bb.807:                              ;   in Loop: Header=BB36_783 Depth=4
	v_bfe_u32 v10, v14, 16, 1
	v_add3_u32 v10, v14, v10, s8
                                        ; implicit-def: $vgpr14
; %bb.808:                              ;   in Loop: Header=BB36_783 Depth=4
	s_andn2_saveexec_b64 s[54:55], vcc
; %bb.809:                              ;   in Loop: Header=BB36_783 Depth=4
	v_or_b32_e32 v10, 0x10000, v14
	v_cmp_eq_u32_sdwa vcc, v14, v3 src0_sel:WORD_0 src1_sel:DWORD
	s_nop 1
	v_cndmask_b32_e32 v10, v10, v14, vcc
; %bb.810:                              ;   in Loop: Header=BB36_783 Depth=4
	s_or_b64 exec, exec, s[54:55]
	v_lshlrev_b32_e32 v14, 16, v11
	v_lshlrev_b32_e32 v32, 16, v15
	v_max_f32_e32 v32, v32, v32
	v_max_f32_e32 v14, v14, v14
	v_min_f32_e32 v33, v14, v32
	v_max_f32_e32 v14, v14, v32
	v_cndmask_b32_e64 v32, v14, v33, s[26:27]
	v_and_b32_e32 v14, 0x7f800000, v32
	v_cmp_ne_u32_e32 vcc, s35, v14
                                        ; implicit-def: $vgpr14
	s_and_saveexec_b64 s[54:55], vcc
	s_xor_b64 vcc, exec, s[54:55]
; %bb.811:                              ;   in Loop: Header=BB36_783 Depth=4
	v_bfe_u32 v14, v32, 16, 1
	v_add3_u32 v14, v32, v14, s8
                                        ; implicit-def: $vgpr32
; %bb.812:                              ;   in Loop: Header=BB36_783 Depth=4
	s_andn2_saveexec_b64 s[54:55], vcc
; %bb.813:                              ;   in Loop: Header=BB36_783 Depth=4
	v_or_b32_e32 v14, 0x10000, v32
	v_cmp_eq_u32_sdwa vcc, v32, v3 src0_sel:WORD_0 src1_sel:DWORD
	s_nop 1
	v_cndmask_b32_e32 v14, v14, v32, vcc
; %bb.814:                              ;   in Loop: Header=BB36_783 Depth=4
	s_or_b64 exec, exec, s[54:55]
	v_and_b32_e32 v11, 0xffff0000, v11
	v_and_b32_e32 v15, 0xffff0000, v15
	v_max_f32_e32 v15, v15, v15
	v_max_f32_e32 v11, v11, v11
	v_min_f32_e32 v32, v11, v15
	v_max_f32_e32 v11, v11, v15
	v_cndmask_b32_e64 v15, v11, v32, s[26:27]
	v_and_b32_e32 v11, 0x7f800000, v15
	v_cmp_ne_u32_e32 vcc, s35, v11
                                        ; implicit-def: $vgpr11
	s_and_saveexec_b64 s[54:55], vcc
	s_xor_b64 vcc, exec, s[54:55]
; %bb.815:                              ;   in Loop: Header=BB36_783 Depth=4
	v_bfe_u32 v11, v15, 16, 1
	v_add3_u32 v11, v15, v11, s8
                                        ; implicit-def: $vgpr15
; %bb.816:                              ;   in Loop: Header=BB36_783 Depth=4
	s_andn2_saveexec_b64 s[54:55], vcc
; %bb.817:                              ;   in Loop: Header=BB36_783 Depth=4
	v_or_b32_e32 v11, 0x10000, v15
	v_cmp_eq_u32_sdwa vcc, v15, v3 src0_sel:WORD_0 src1_sel:DWORD
	s_nop 1
	v_cndmask_b32_e32 v11, v11, v15, vcc
; %bb.818:                              ;   in Loop: Header=BB36_783 Depth=4
	s_or_b64 exec, exec, s[54:55]
	v_lshrrev_b32_e32 v12, 16, v12
	v_and_or_b32 v9, v9, s9, v12
	v_lshrrev_b32_e32 v12, 16, v30
	v_and_or_b32 v8, v8, s9, v12
	;; [unrolled: 2-line block ×4, first 2 shown]
	scratch_store_dwordx4 off, v[8:11], s33 offset:224
	global_store_dwordx4 v[16:17], v[8:11], off
	scratch_load_dwordx2 v[8:9], off, s33 offset:312 ; 8-byte Folded Reload
	s_waitcnt vmcnt(0)
	v_lshl_add_u64 v[16:17], v[8:9], 0, v[16:17]
.LBB36_819:                             ;   in Loop: Header=BB36_783 Depth=4
	s_or_b64 exec, exec, s[28:29]
	v_sub_u32_e32 v27, v27, v76
	v_lshl_add_u64 v[18:19], v[18:19], 0, v[92:93]
	v_lshl_add_u64 v[20:21], v[20:21], 0, v[92:93]
	v_cmp_lt_i32_e64 s[54:55], 15, v27
	s_and_saveexec_b64 s[64:65], s[54:55]
	s_cbranch_execz .LBB36_822
; %bb.820:                              ;   in Loop: Header=BB36_783 Depth=4
	s_add_i32 s28, s33, 0xe0
	s_mov_b32 s69, s28
	s_mov_b64 s[28:29], 0
	s_mov_b64 s[66:67], -1
.LBB36_821:                             ;   Parent Loop BB36_47 Depth=1
                                        ;     Parent Loop BB36_300 Depth=2
                                        ;       Parent Loop BB36_303 Depth=3
                                        ;         Parent Loop BB36_783 Depth=4
                                        ; =>        This Inner Loop Header: Depth=5
	s_cmp_eq_u32 s28, 1
	s_cselect_b64 vcc, -1, 0
	v_cndmask_b32_e32 v13, v19, v21, vcc
	v_cndmask_b32_e32 v12, v18, v20, vcc
	global_load_dwordx4 v[8:11], v[12:13], off nt
	s_cmp_eq_u32 s28, 0
	s_cselect_b64 s[28:29], -1, 0
	s_waitcnt vmcnt(0)
	scratch_store_dwordx4 off, v[8:11], s69
	s_nop 1
	v_lshl_add_u64 v[8:9], v[12:13], 0, s[88:89]
	v_cndmask_b32_e64 v19, v19, v9, s[28:29]
	v_cndmask_b32_e64 v18, v18, v8, s[28:29]
	v_cndmask_b32_e32 v21, v21, v9, vcc
	v_cndmask_b32_e32 v20, v20, v8, vcc
	s_mov_b64 s[28:29], 1
	s_and_b64 vcc, exec, s[66:67]
	s_mov_b64 s[66:67], 0
	s_mov_b32 s69, s96
	s_cbranch_vccnz .LBB36_821
.LBB36_822:                             ;   in Loop: Header=BB36_783 Depth=4
	s_or_b64 exec, exec, s[64:65]
	scratch_load_dwordx4 v[8:11], off, s33 offset:192
	scratch_load_dwordx4 v[12:15], off, s33 offset:208
	s_waitcnt vmcnt(1)
	v_lshlrev_b32_e32 v30, 16, v8
	s_waitcnt vmcnt(0)
	v_lshlrev_b32_e32 v32, 16, v12
	v_max_f32_e32 v32, v32, v32
	v_max_f32_e32 v30, v30, v30
	v_min_f32_e32 v33, v30, v32
	v_max_f32_e32 v30, v30, v32
	v_cndmask_b32_e64 v32, v30, v33, s[26:27]
	v_and_b32_e32 v30, 0x7f800000, v32
	v_cmp_ne_u32_e32 vcc, s35, v30
                                        ; implicit-def: $vgpr30
	s_and_saveexec_b64 s[28:29], vcc
	s_xor_b64 s[28:29], exec, s[28:29]
; %bb.823:                              ;   in Loop: Header=BB36_783 Depth=4
	v_bfe_u32 v30, v32, 16, 1
	v_add3_u32 v30, v32, v30, s8
                                        ; implicit-def: $vgpr32
; %bb.824:                              ;   in Loop: Header=BB36_783 Depth=4
	s_andn2_saveexec_b64 s[28:29], s[28:29]
; %bb.825:                              ;   in Loop: Header=BB36_783 Depth=4
	v_or_b32_e32 v30, 0x10000, v32
	v_cmp_eq_u32_sdwa vcc, v32, v3 src0_sel:WORD_0 src1_sel:DWORD
	s_nop 1
	v_cndmask_b32_e32 v30, v30, v32, vcc
; %bb.826:                              ;   in Loop: Header=BB36_783 Depth=4
	s_or_b64 exec, exec, s[28:29]
	v_and_b32_e32 v8, 0xffff0000, v8
	v_and_b32_e32 v12, 0xffff0000, v12
	v_max_f32_e32 v12, v12, v12
	v_max_f32_e32 v8, v8, v8
	v_min_f32_e32 v32, v8, v12
	v_max_f32_e32 v8, v8, v12
	v_cndmask_b32_e64 v12, v8, v32, s[26:27]
	v_and_b32_e32 v8, 0x7f800000, v12
	v_cmp_ne_u32_e32 vcc, s35, v8
                                        ; implicit-def: $vgpr8
	s_and_saveexec_b64 s[28:29], vcc
	s_xor_b64 s[28:29], exec, s[28:29]
; %bb.827:                              ;   in Loop: Header=BB36_783 Depth=4
	v_bfe_u32 v8, v12, 16, 1
	v_add3_u32 v8, v12, v8, s8
                                        ; implicit-def: $vgpr12
; %bb.828:                              ;   in Loop: Header=BB36_783 Depth=4
	s_andn2_saveexec_b64 s[28:29], s[28:29]
; %bb.829:                              ;   in Loop: Header=BB36_783 Depth=4
	v_or_b32_e32 v8, 0x10000, v12
	v_cmp_eq_u32_sdwa vcc, v12, v3 src0_sel:WORD_0 src1_sel:DWORD
	s_nop 1
	v_cndmask_b32_e32 v8, v8, v12, vcc
; %bb.830:                              ;   in Loop: Header=BB36_783 Depth=4
	s_or_b64 exec, exec, s[28:29]
	v_lshlrev_b32_e32 v12, 16, v9
	v_lshlrev_b32_e32 v32, 16, v13
	v_max_f32_e32 v32, v32, v32
	v_max_f32_e32 v12, v12, v12
	v_min_f32_e32 v33, v12, v32
	v_max_f32_e32 v12, v12, v32
	v_cndmask_b32_e64 v32, v12, v33, s[26:27]
	v_and_b32_e32 v12, 0x7f800000, v32
	v_cmp_ne_u32_e32 vcc, s35, v12
                                        ; implicit-def: $vgpr12
	s_and_saveexec_b64 s[28:29], vcc
	s_xor_b64 s[28:29], exec, s[28:29]
; %bb.831:                              ;   in Loop: Header=BB36_783 Depth=4
	v_bfe_u32 v12, v32, 16, 1
	v_add3_u32 v12, v32, v12, s8
                                        ; implicit-def: $vgpr32
; %bb.832:                              ;   in Loop: Header=BB36_783 Depth=4
	s_andn2_saveexec_b64 s[28:29], s[28:29]
; %bb.833:                              ;   in Loop: Header=BB36_783 Depth=4
	v_or_b32_e32 v12, 0x10000, v32
	v_cmp_eq_u32_sdwa vcc, v32, v3 src0_sel:WORD_0 src1_sel:DWORD
	s_nop 1
	v_cndmask_b32_e32 v12, v12, v32, vcc
; %bb.834:                              ;   in Loop: Header=BB36_783 Depth=4
	s_or_b64 exec, exec, s[28:29]
	v_and_b32_e32 v9, 0xffff0000, v9
	v_and_b32_e32 v13, 0xffff0000, v13
	v_max_f32_e32 v13, v13, v13
	v_max_f32_e32 v9, v9, v9
	v_min_f32_e32 v32, v9, v13
	v_max_f32_e32 v9, v9, v13
	v_cndmask_b32_e64 v13, v9, v32, s[26:27]
	v_and_b32_e32 v9, 0x7f800000, v13
	v_cmp_ne_u32_e32 vcc, s35, v9
                                        ; implicit-def: $vgpr9
	s_and_saveexec_b64 s[28:29], vcc
	s_xor_b64 s[28:29], exec, s[28:29]
; %bb.835:                              ;   in Loop: Header=BB36_783 Depth=4
	v_bfe_u32 v9, v13, 16, 1
	v_add3_u32 v9, v13, v9, s8
                                        ; implicit-def: $vgpr13
; %bb.836:                              ;   in Loop: Header=BB36_783 Depth=4
	s_andn2_saveexec_b64 s[28:29], s[28:29]
; %bb.837:                              ;   in Loop: Header=BB36_783 Depth=4
	v_or_b32_e32 v9, 0x10000, v13
	v_cmp_eq_u32_sdwa vcc, v13, v3 src0_sel:WORD_0 src1_sel:DWORD
	s_nop 1
	v_cndmask_b32_e32 v9, v9, v13, vcc
; %bb.838:                              ;   in Loop: Header=BB36_783 Depth=4
	s_or_b64 exec, exec, s[28:29]
	v_lshlrev_b32_e32 v13, 16, v10
	v_lshlrev_b32_e32 v32, 16, v14
	v_max_f32_e32 v32, v32, v32
	v_max_f32_e32 v13, v13, v13
	v_min_f32_e32 v33, v13, v32
	v_max_f32_e32 v13, v13, v32
	v_cndmask_b32_e64 v32, v13, v33, s[26:27]
	v_and_b32_e32 v13, 0x7f800000, v32
	v_cmp_ne_u32_e32 vcc, s35, v13
                                        ; implicit-def: $vgpr13
	s_and_saveexec_b64 s[28:29], vcc
	s_xor_b64 s[28:29], exec, s[28:29]
; %bb.839:                              ;   in Loop: Header=BB36_783 Depth=4
	v_bfe_u32 v13, v32, 16, 1
	v_add3_u32 v13, v32, v13, s8
                                        ; implicit-def: $vgpr32
; %bb.840:                              ;   in Loop: Header=BB36_783 Depth=4
	s_andn2_saveexec_b64 s[28:29], s[28:29]
; %bb.841:                              ;   in Loop: Header=BB36_783 Depth=4
	v_or_b32_e32 v13, 0x10000, v32
	v_cmp_eq_u32_sdwa vcc, v32, v3 src0_sel:WORD_0 src1_sel:DWORD
	s_nop 1
	v_cndmask_b32_e32 v13, v13, v32, vcc
; %bb.842:                              ;   in Loop: Header=BB36_783 Depth=4
	s_or_b64 exec, exec, s[28:29]
	v_and_b32_e32 v10, 0xffff0000, v10
	v_and_b32_e32 v14, 0xffff0000, v14
	v_max_f32_e32 v14, v14, v14
	v_max_f32_e32 v10, v10, v10
	v_min_f32_e32 v32, v10, v14
	v_max_f32_e32 v10, v10, v14
	v_cndmask_b32_e64 v14, v10, v32, s[26:27]
	v_and_b32_e32 v10, 0x7f800000, v14
	v_cmp_ne_u32_e32 vcc, s35, v10
                                        ; implicit-def: $vgpr10
	s_and_saveexec_b64 s[28:29], vcc
	s_xor_b64 s[28:29], exec, s[28:29]
; %bb.843:                              ;   in Loop: Header=BB36_783 Depth=4
	v_bfe_u32 v10, v14, 16, 1
	v_add3_u32 v10, v14, v10, s8
                                        ; implicit-def: $vgpr14
; %bb.844:                              ;   in Loop: Header=BB36_783 Depth=4
	s_andn2_saveexec_b64 s[28:29], s[28:29]
; %bb.845:                              ;   in Loop: Header=BB36_783 Depth=4
	v_or_b32_e32 v10, 0x10000, v14
	v_cmp_eq_u32_sdwa vcc, v14, v3 src0_sel:WORD_0 src1_sel:DWORD
	s_nop 1
	v_cndmask_b32_e32 v10, v10, v14, vcc
; %bb.846:                              ;   in Loop: Header=BB36_783 Depth=4
	s_or_b64 exec, exec, s[28:29]
	v_lshlrev_b32_e32 v14, 16, v11
	v_lshlrev_b32_e32 v32, 16, v15
	v_max_f32_e32 v32, v32, v32
	v_max_f32_e32 v14, v14, v14
	v_min_f32_e32 v33, v14, v32
	v_max_f32_e32 v14, v14, v32
	v_cndmask_b32_e64 v32, v14, v33, s[26:27]
	v_and_b32_e32 v14, 0x7f800000, v32
	v_cmp_ne_u32_e32 vcc, s35, v14
                                        ; implicit-def: $vgpr14
	s_and_saveexec_b64 s[28:29], vcc
	s_xor_b64 s[28:29], exec, s[28:29]
; %bb.847:                              ;   in Loop: Header=BB36_783 Depth=4
	v_bfe_u32 v14, v32, 16, 1
	v_add3_u32 v14, v32, v14, s8
                                        ; implicit-def: $vgpr32
; %bb.848:                              ;   in Loop: Header=BB36_783 Depth=4
	s_andn2_saveexec_b64 s[28:29], s[28:29]
; %bb.849:                              ;   in Loop: Header=BB36_783 Depth=4
	v_or_b32_e32 v14, 0x10000, v32
	v_cmp_eq_u32_sdwa vcc, v32, v3 src0_sel:WORD_0 src1_sel:DWORD
	s_nop 1
	v_cndmask_b32_e32 v14, v14, v32, vcc
; %bb.850:                              ;   in Loop: Header=BB36_783 Depth=4
	s_or_b64 exec, exec, s[28:29]
	v_and_b32_e32 v11, 0xffff0000, v11
	v_and_b32_e32 v15, 0xffff0000, v15
	v_max_f32_e32 v15, v15, v15
	v_max_f32_e32 v11, v11, v11
	v_min_f32_e32 v32, v11, v15
	v_max_f32_e32 v11, v11, v15
	v_cndmask_b32_e64 v15, v11, v32, s[26:27]
	v_and_b32_e32 v11, 0x7f800000, v15
	v_cmp_ne_u32_e32 vcc, s35, v11
                                        ; implicit-def: $vgpr11
	s_and_saveexec_b64 s[28:29], vcc
	s_xor_b64 s[28:29], exec, s[28:29]
; %bb.851:                              ;   in Loop: Header=BB36_783 Depth=4
	v_bfe_u32 v11, v15, 16, 1
	v_add3_u32 v11, v15, v11, s8
                                        ; implicit-def: $vgpr15
; %bb.852:                              ;   in Loop: Header=BB36_783 Depth=4
	s_andn2_saveexec_b64 s[28:29], s[28:29]
; %bb.853:                              ;   in Loop: Header=BB36_783 Depth=4
	v_or_b32_e32 v11, 0x10000, v15
	v_cmp_eq_u32_sdwa vcc, v15, v3 src0_sel:WORD_0 src1_sel:DWORD
	s_nop 1
	v_cndmask_b32_e32 v11, v11, v15, vcc
; %bb.854:                              ;   in Loop: Header=BB36_783 Depth=4
	s_or_b64 exec, exec, s[28:29]
	v_lshrrev_b32_e32 v12, 16, v12
	v_and_or_b32 v9, v9, s9, v12
	v_lshrrev_b32_e32 v12, 16, v30
	v_and_or_b32 v8, v8, s9, v12
	;; [unrolled: 2-line block ×4, first 2 shown]
	v_sub_u32_e32 v26, v26, v60
	scratch_store_dwordx4 off, v[8:11], s33 offset:192
	global_store_dwordx4 v[16:17], v[8:11], off
	v_lshl_add_u64 v[16:17], v[16:17], 0, s[88:89]
	s_and_saveexec_b64 s[28:29], s[54:55]
	s_cbranch_execz .LBB36_782
; %bb.855:                              ;   in Loop: Header=BB36_783 Depth=4
	v_lshl_add_u64 v[18:19], v[18:19], 0, v[92:93]
	v_lshl_add_u64 v[20:21], v[20:21], 0, v[92:93]
	;; [unrolled: 1-line block ×3, first 2 shown]
	v_sub_u32_e32 v27, v27, v76
	v_sub_u32_e32 v26, v26, v60
	s_branch .LBB36_782
.LBB36_856:                             ;   in Loop: Header=BB36_303 Depth=3
	s_or_b64 exec, exec, s[60:61]
	s_and_b64 s[26:27], s[52:53], exec
.LBB36_857:                             ;   in Loop: Header=BB36_303 Depth=3
	s_or_b64 exec, exec, s[58:59]
	s_and_saveexec_b64 s[28:29], s[26:27]
	s_cbranch_execz .LBB36_891
; %bb.858:                              ;   in Loop: Header=BB36_303 Depth=3
	scratch_load_dwordx4 v[8:11], off, s33 offset:224
	scratch_load_dwordx4 v[12:15], off, s33 offset:240
	s_and_b32 s26, 0xffff, s68
	s_cmp_eq_u32 s26, 0
	s_cselect_b64 vcc, -1, 0
	s_waitcnt vmcnt(1)
	v_lshlrev_b32_e32 v18, 16, v8
	s_waitcnt vmcnt(0)
	v_lshlrev_b32_e32 v19, 16, v12
	v_max_f32_e32 v19, v19, v19
	v_max_f32_e32 v18, v18, v18
	v_min_f32_e32 v20, v18, v19
	v_max_f32_e32 v18, v18, v19
	v_cndmask_b32_e32 v19, v18, v20, vcc
	v_and_b32_e32 v18, 0x7f800000, v19
	v_cmp_ne_u32_e64 s[26:27], s35, v18
                                        ; implicit-def: $vgpr18
	s_and_saveexec_b64 s[58:59], s[26:27]
	s_xor_b64 s[26:27], exec, s[58:59]
; %bb.859:                              ;   in Loop: Header=BB36_303 Depth=3
	v_bfe_u32 v18, v19, 16, 1
	v_add3_u32 v18, v19, v18, s8
                                        ; implicit-def: $vgpr19
; %bb.860:                              ;   in Loop: Header=BB36_303 Depth=3
	s_andn2_saveexec_b64 s[58:59], s[26:27]
; %bb.861:                              ;   in Loop: Header=BB36_303 Depth=3
	v_or_b32_e32 v18, 0x10000, v19
	v_cmp_eq_u32_sdwa s[26:27], v19, v3 src0_sel:WORD_0 src1_sel:DWORD
	s_nop 1
	v_cndmask_b32_e64 v18, v18, v19, s[26:27]
; %bb.862:                              ;   in Loop: Header=BB36_303 Depth=3
	s_or_b64 exec, exec, s[58:59]
	v_and_b32_e32 v8, 0xffff0000, v8
	v_and_b32_e32 v12, 0xffff0000, v12
	v_max_f32_e32 v12, v12, v12
	v_max_f32_e32 v8, v8, v8
	v_min_f32_e32 v19, v8, v12
	v_max_f32_e32 v8, v8, v12
	v_cndmask_b32_e32 v12, v8, v19, vcc
	v_and_b32_e32 v8, 0x7f800000, v12
	v_cmp_ne_u32_e64 s[26:27], s35, v8
                                        ; implicit-def: $vgpr8
	s_and_saveexec_b64 s[58:59], s[26:27]
	s_xor_b64 s[26:27], exec, s[58:59]
; %bb.863:                              ;   in Loop: Header=BB36_303 Depth=3
	v_bfe_u32 v8, v12, 16, 1
	v_add3_u32 v8, v12, v8, s8
                                        ; implicit-def: $vgpr12
; %bb.864:                              ;   in Loop: Header=BB36_303 Depth=3
	s_andn2_saveexec_b64 s[58:59], s[26:27]
; %bb.865:                              ;   in Loop: Header=BB36_303 Depth=3
	v_or_b32_e32 v8, 0x10000, v12
	v_cmp_eq_u32_sdwa s[26:27], v12, v3 src0_sel:WORD_0 src1_sel:DWORD
	s_nop 1
	v_cndmask_b32_e64 v8, v8, v12, s[26:27]
; %bb.866:                              ;   in Loop: Header=BB36_303 Depth=3
	s_or_b64 exec, exec, s[58:59]
	v_lshlrev_b32_e32 v12, 16, v9
	v_lshlrev_b32_e32 v19, 16, v13
	v_max_f32_e32 v19, v19, v19
	v_max_f32_e32 v12, v12, v12
	v_min_f32_e32 v20, v12, v19
	v_max_f32_e32 v12, v12, v19
	v_cndmask_b32_e32 v19, v12, v20, vcc
	v_and_b32_e32 v12, 0x7f800000, v19
	v_cmp_ne_u32_e64 s[26:27], s35, v12
                                        ; implicit-def: $vgpr12
	s_and_saveexec_b64 s[58:59], s[26:27]
	s_xor_b64 s[26:27], exec, s[58:59]
; %bb.867:                              ;   in Loop: Header=BB36_303 Depth=3
	v_bfe_u32 v12, v19, 16, 1
	v_add3_u32 v12, v19, v12, s8
                                        ; implicit-def: $vgpr19
; %bb.868:                              ;   in Loop: Header=BB36_303 Depth=3
	s_andn2_saveexec_b64 s[58:59], s[26:27]
; %bb.869:                              ;   in Loop: Header=BB36_303 Depth=3
	v_or_b32_e32 v12, 0x10000, v19
	v_cmp_eq_u32_sdwa s[26:27], v19, v3 src0_sel:WORD_0 src1_sel:DWORD
	s_nop 1
	v_cndmask_b32_e64 v12, v12, v19, s[26:27]
; %bb.870:                              ;   in Loop: Header=BB36_303 Depth=3
	s_or_b64 exec, exec, s[58:59]
	v_and_b32_e32 v9, 0xffff0000, v9
	v_and_b32_e32 v13, 0xffff0000, v13
	v_max_f32_e32 v13, v13, v13
	v_max_f32_e32 v9, v9, v9
	v_min_f32_e32 v19, v9, v13
	v_max_f32_e32 v9, v9, v13
	v_cndmask_b32_e32 v13, v9, v19, vcc
	v_and_b32_e32 v9, 0x7f800000, v13
	v_cmp_ne_u32_e64 s[26:27], s35, v9
                                        ; implicit-def: $vgpr9
	s_and_saveexec_b64 s[58:59], s[26:27]
	s_xor_b64 s[26:27], exec, s[58:59]
; %bb.871:                              ;   in Loop: Header=BB36_303 Depth=3
	v_bfe_u32 v9, v13, 16, 1
	v_add3_u32 v9, v13, v9, s8
                                        ; implicit-def: $vgpr13
; %bb.872:                              ;   in Loop: Header=BB36_303 Depth=3
	s_andn2_saveexec_b64 s[58:59], s[26:27]
; %bb.873:                              ;   in Loop: Header=BB36_303 Depth=3
	v_or_b32_e32 v9, 0x10000, v13
	v_cmp_eq_u32_sdwa s[26:27], v13, v3 src0_sel:WORD_0 src1_sel:DWORD
	s_nop 1
	v_cndmask_b32_e64 v9, v9, v13, s[26:27]
; %bb.874:                              ;   in Loop: Header=BB36_303 Depth=3
	s_or_b64 exec, exec, s[58:59]
	v_lshlrev_b32_e32 v13, 16, v10
	v_lshlrev_b32_e32 v19, 16, v14
	v_max_f32_e32 v19, v19, v19
	v_max_f32_e32 v13, v13, v13
	v_min_f32_e32 v20, v13, v19
	v_max_f32_e32 v13, v13, v19
	v_cndmask_b32_e32 v19, v13, v20, vcc
	v_and_b32_e32 v13, 0x7f800000, v19
	v_cmp_ne_u32_e64 s[26:27], s35, v13
                                        ; implicit-def: $vgpr13
	s_and_saveexec_b64 s[58:59], s[26:27]
	s_xor_b64 s[26:27], exec, s[58:59]
; %bb.875:                              ;   in Loop: Header=BB36_303 Depth=3
	v_bfe_u32 v13, v19, 16, 1
	v_add3_u32 v13, v19, v13, s8
                                        ; implicit-def: $vgpr19
; %bb.876:                              ;   in Loop: Header=BB36_303 Depth=3
	s_andn2_saveexec_b64 s[58:59], s[26:27]
; %bb.877:                              ;   in Loop: Header=BB36_303 Depth=3
	v_or_b32_e32 v13, 0x10000, v19
	v_cmp_eq_u32_sdwa s[26:27], v19, v3 src0_sel:WORD_0 src1_sel:DWORD
	s_nop 1
	v_cndmask_b32_e64 v13, v13, v19, s[26:27]
; %bb.878:                              ;   in Loop: Header=BB36_303 Depth=3
	s_or_b64 exec, exec, s[58:59]
	v_and_b32_e32 v10, 0xffff0000, v10
	v_and_b32_e32 v14, 0xffff0000, v14
	v_max_f32_e32 v14, v14, v14
	v_max_f32_e32 v10, v10, v10
	v_min_f32_e32 v19, v10, v14
	v_max_f32_e32 v10, v10, v14
	v_cndmask_b32_e32 v14, v10, v19, vcc
	v_and_b32_e32 v10, 0x7f800000, v14
	v_cmp_ne_u32_e64 s[26:27], s35, v10
                                        ; implicit-def: $vgpr10
	s_and_saveexec_b64 s[58:59], s[26:27]
	s_xor_b64 s[26:27], exec, s[58:59]
; %bb.879:                              ;   in Loop: Header=BB36_303 Depth=3
	v_bfe_u32 v10, v14, 16, 1
	v_add3_u32 v10, v14, v10, s8
                                        ; implicit-def: $vgpr14
; %bb.880:                              ;   in Loop: Header=BB36_303 Depth=3
	s_andn2_saveexec_b64 s[58:59], s[26:27]
; %bb.881:                              ;   in Loop: Header=BB36_303 Depth=3
	v_or_b32_e32 v10, 0x10000, v14
	v_cmp_eq_u32_sdwa s[26:27], v14, v3 src0_sel:WORD_0 src1_sel:DWORD
	s_nop 1
	v_cndmask_b32_e64 v10, v10, v14, s[26:27]
; %bb.882:                              ;   in Loop: Header=BB36_303 Depth=3
	s_or_b64 exec, exec, s[58:59]
	v_lshlrev_b32_e32 v14, 16, v11
	v_lshlrev_b32_e32 v19, 16, v15
	v_max_f32_e32 v19, v19, v19
	v_max_f32_e32 v14, v14, v14
	v_min_f32_e32 v20, v14, v19
	v_max_f32_e32 v14, v14, v19
	v_cndmask_b32_e32 v19, v14, v20, vcc
	v_and_b32_e32 v14, 0x7f800000, v19
	v_cmp_ne_u32_e64 s[26:27], s35, v14
                                        ; implicit-def: $vgpr14
	s_and_saveexec_b64 s[58:59], s[26:27]
	s_xor_b64 s[26:27], exec, s[58:59]
; %bb.883:                              ;   in Loop: Header=BB36_303 Depth=3
	v_bfe_u32 v14, v19, 16, 1
	v_add3_u32 v14, v19, v14, s8
                                        ; implicit-def: $vgpr19
; %bb.884:                              ;   in Loop: Header=BB36_303 Depth=3
	s_andn2_saveexec_b64 s[58:59], s[26:27]
; %bb.885:                              ;   in Loop: Header=BB36_303 Depth=3
	v_or_b32_e32 v14, 0x10000, v19
	v_cmp_eq_u32_sdwa s[26:27], v19, v3 src0_sel:WORD_0 src1_sel:DWORD
	s_nop 1
	v_cndmask_b32_e64 v14, v14, v19, s[26:27]
; %bb.886:                              ;   in Loop: Header=BB36_303 Depth=3
	s_or_b64 exec, exec, s[58:59]
	v_and_b32_e32 v11, 0xffff0000, v11
	v_and_b32_e32 v15, 0xffff0000, v15
	v_max_f32_e32 v15, v15, v15
	v_max_f32_e32 v11, v11, v11
	v_min_f32_e32 v19, v11, v15
	v_max_f32_e32 v11, v11, v15
	v_cndmask_b32_e32 v15, v11, v19, vcc
	v_and_b32_e32 v11, 0x7f800000, v15
	v_cmp_ne_u32_e32 vcc, s35, v11
                                        ; implicit-def: $vgpr11
	s_and_saveexec_b64 s[26:27], vcc
	s_xor_b64 s[26:27], exec, s[26:27]
; %bb.887:                              ;   in Loop: Header=BB36_303 Depth=3
	v_bfe_u32 v11, v15, 16, 1
	v_add3_u32 v11, v15, v11, s8
                                        ; implicit-def: $vgpr15
; %bb.888:                              ;   in Loop: Header=BB36_303 Depth=3
	s_andn2_saveexec_b64 s[26:27], s[26:27]
; %bb.889:                              ;   in Loop: Header=BB36_303 Depth=3
	v_or_b32_e32 v11, 0x10000, v15
	v_cmp_eq_u32_sdwa vcc, v15, v3 src0_sel:WORD_0 src1_sel:DWORD
	s_nop 1
	v_cndmask_b32_e32 v11, v11, v15, vcc
; %bb.890:                              ;   in Loop: Header=BB36_303 Depth=3
	s_or_b64 exec, exec, s[26:27]
	v_lshrrev_b32_e32 v12, 16, v12
	v_and_or_b32 v9, v9, s9, v12
	v_lshrrev_b32_e32 v12, 16, v18
	v_and_or_b32 v8, v8, s9, v12
	;; [unrolled: 2-line block ×4, first 2 shown]
	global_store_dwordx4 v[16:17], v[8:11], off
.LBB36_891:                             ;   in Loop: Header=BB36_303 Depth=3
	s_or_b64 exec, exec, s[28:29]
	s_nop 0
	v_and_b32_e32 v9, 14, v7
	v_cndmask_b32_e64 v7, v25, v9, s[24:25]
	v_cmp_ne_u32_e32 vcc, 0, v7
	s_mov_b64 s[28:29], s[46:47]
                                        ; implicit-def: $vgpr14
                                        ; implicit-def: $vgpr8
                                        ; implicit-def: $vgpr15
	s_and_saveexec_b64 s[26:27], vcc
	s_cbranch_execz .LBB36_893
; %bb.892:                              ;   in Loop: Header=BB36_303 Depth=3
	v_sub_u32_e32 v8, v25, v9
	v_cndmask_b32_e64 v8, 0, v8, s[24:25]
	v_cmp_lt_i32_e32 vcc, 0, v26
	v_add3_u32 v14, v24, v22, v8
	s_or_b64 s[28:29], s[46:47], exec
	v_cndmask_b32_e32 v8, 0, v60, vcc
	v_sub_u32_e32 v8, v8, v26
	v_lshl_add_u32 v8, v8, 6, v23
	v_ashrrev_i32_e32 v9, 31, v8
	v_lshrrev_b32_e32 v9, 26, v9
	v_add_u32_e32 v9, v8, v9
	v_and_b32_e32 v9, 0xffffffc0, v9
	v_sub_u32_e32 v15, v8, v9
.LBB36_893:                             ;   in Loop: Header=BB36_303 Depth=3
	s_or_b64 exec, exec, s[26:27]
	s_andn2_b64 s[24:25], s[46:47], exec
	s_and_b64 s[26:27], s[28:29], exec
	s_or_b64 s[46:47], s[24:25], s[26:27]
.LBB36_894:                             ;   in Loop: Header=BB36_303 Depth=3
	s_or_b64 exec, exec, s[56:57]
	s_and_saveexec_b64 s[56:57], s[46:47]
	s_cbranch_execz .LBB36_1122
.LBB36_895:                             ;   in Loop: Header=BB36_303 Depth=3
	v_ashrrev_i32_e32 v9, 31, v8
	v_lshrrev_b32_e32 v9, 26, v9
	v_add_u32_e32 v8, v8, v9
	v_ashrrev_i32_e32 v8, 6, v8
	v_lshlrev_b32_e32 v9, 11, v8
	v_lshlrev_b32_e32 v10, 1, v15
	v_add3_u32 v12, v14, v10, v9
	v_ashrrev_i32_e32 v9, 31, v7
	v_lshrrev_b32_e32 v9, 21, v9
	v_add_u32_e32 v9, v7, v9
	v_ashrrev_i32_e32 v16, 11, v9
	v_ashrrev_i32_e32 v13, 31, v12
	v_sub_u32_e32 v17, v16, v8
	v_lshl_add_u64 v[8:9], v[118:119], 0, v[12:13]
	v_cmp_lt_i32_e32 vcc, 0, v17
	v_mov_b32_e32 v100, 0
	s_mov_b64 s[24:25], 0
	v_mov_b32_e32 v97, 0
	v_mov_b32_e32 v86, 0
	;; [unrolled: 1-line block ×31, first 2 shown]
	s_and_saveexec_b64 s[26:27], vcc
	s_cbranch_execz .LBB36_1031
; %bb.896:                              ;   in Loop: Header=BB36_303 Depth=3
	s_trap 2
	ds_read_b64 v[18:19], v0
	s_and_b32 s24, s68, 0xff
	s_cmp_eq_u32 s24, 0
	v_lshl_add_u64 v[10:11], v[12:13], 0, v[0:1]
	s_mov_b64 s[58:59], 0
	s_waitcnt lgkmcnt(0)
	v_lshl_add_u64 v[12:13], v[18:19], 0, v[12:13]
	s_mov_b64 s[46:47], 0
	s_cselect_b64 vcc, -1, 0
                                        ; implicit-def: $sgpr28_sgpr29
                                        ; implicit-def: $vgpr44
                                        ; implicit-def: $vgpr113
                                        ; implicit-def: $vgpr102
                                        ; implicit-def: $vgpr99
                                        ; implicit-def: $vgpr87
                                        ; implicit-def: $vgpr30
                                        ; implicit-def: $vgpr82
                                        ; implicit-def: $vgpr71
                                        ; implicit-def: $vgpr68
                                        ; implicit-def: $vgpr65
                                        ; implicit-def: $vgpr53
                                        ; implicit-def: $vgpr50
                                        ; implicit-def: $vgpr49
                                        ; implicit-def: $vgpr48
                                        ; implicit-def: $vgpr39
                                        ; implicit-def: $vgpr38
                                        ; implicit-def: $vgpr18
                                        ; implicit-def: $vgpr19
                                        ; implicit-def: $vgpr20
                                        ; implicit-def: $vgpr21
                                        ; implicit-def: $vgpr22
                                        ; implicit-def: $vgpr23
                                        ; implicit-def: $vgpr24
                                        ; implicit-def: $vgpr25
                                        ; implicit-def: $vgpr26
                                        ; implicit-def: $vgpr27
                                        ; implicit-def: $vgpr32
                                        ; implicit-def: $vgpr33
                                        ; implicit-def: $vgpr34
                                        ; implicit-def: $vgpr35
                                        ; implicit-def: $vgpr36
                                        ; implicit-def: $vgpr37
	s_branch .LBB36_898
.LBB36_897:                             ;   in Loop: Header=BB36_898 Depth=4
	s_or_b64 exec, exec, s[60:61]
	flat_store_short_d16_hi v[8:9], v73 nt
	flat_store_short_d16_hi v[8:9], v62 offset:128 nt
	flat_store_short_d16_hi v[8:9], v43 offset:256 nt
	;; [unrolled: 1-line block ×15, first 2 shown]
	v_mov_b32_e32 v51, 0x800
	v_cndmask_b32_e64 v80, v51, v120, s[58:59]
	v_cndmask_b32_e64 v51, 0, v60, s[58:59]
	v_sub_u32_e32 v17, v17, v51
	v_cmp_gt_i32_e64 s[24:25], 1, v17
	s_or_b64 s[46:47], s[24:25], s[46:47]
	v_lshl_add_u64 v[54:55], v[10:11], 0, v[94:95]
	v_lshl_add_u64 v[66:67], v[12:13], 0, v[94:95]
	v_cndmask_b32_e64 v81, 0, v121, s[58:59]
	s_andn2_b64 s[24:25], s[28:29], exec
	s_and_b64 s[28:29], s[58:59], exec
	v_lshl_add_u64 v[8:9], v[8:9], 0, v[80:81]
	v_cndmask_b32_e64 v11, v11, v55, s[58:59]
	v_cndmask_b32_e64 v10, v10, v54, s[58:59]
	;; [unrolled: 1-line block ×4, first 2 shown]
	s_or_b64 s[28:29], s[24:25], s[28:29]
	s_andn2_b64 exec, exec, s[46:47]
	s_cbranch_execz .LBB36_1030
.LBB36_898:                             ;   Parent Loop BB36_47 Depth=1
                                        ;     Parent Loop BB36_300 Depth=2
                                        ;       Parent Loop BB36_303 Depth=3
                                        ; =>      This Inner Loop Header: Depth=4
	flat_load_ushort v73, v[10:11] nt
	flat_load_ushort v62, v[10:11] offset:128 nt
	flat_load_ushort v43, v[10:11] offset:256 nt
	;; [unrolled: 1-line block ×15, first 2 shown]
	flat_load_ushort v108, v[12:13] nt
	flat_load_ushort v63, v[12:13] offset:128 nt
	flat_load_ushort v59, v[12:13] offset:256 nt
	;; [unrolled: 1-line block ×15, first 2 shown]
	s_and_saveexec_b64 s[60:61], s[58:59]
	s_cbranch_execz .LBB36_964
; %bb.899:                              ;   in Loop: Header=BB36_898 Depth=4
	v_lshlrev_b32_e32 v116, 16, v44
	v_lshlrev_b32_e32 v117, 16, v18
	v_max_f32_e32 v117, v117, v117
	v_max_f32_e32 v116, v116, v116
	v_min_f32_e32 v44, v116, v117
	v_max_f32_e32 v116, v116, v117
	v_cndmask_b32_e32 v116, v116, v44, vcc
	v_and_b32_e32 v117, 0x7f800000, v116
	v_cmp_ne_u32_e64 s[24:25], s35, v117
                                        ; implicit-def: $vgpr44
	s_and_saveexec_b64 s[58:59], s[24:25]
	s_xor_b64 s[24:25], exec, s[58:59]
; %bb.900:                              ;   in Loop: Header=BB36_898 Depth=4
	v_bfe_u32 v117, v116, 16, 1
	v_add3_u32 v44, v116, v117, s8
                                        ; implicit-def: $vgpr116
; %bb.901:                              ;   in Loop: Header=BB36_898 Depth=4
	s_andn2_saveexec_b64 s[58:59], s[24:25]
; %bb.902:                              ;   in Loop: Header=BB36_898 Depth=4
	v_or_b32_e32 v117, 0x10000, v116
	v_cmp_eq_u32_sdwa s[24:25], v116, v3 src0_sel:WORD_0 src1_sel:DWORD
	s_nop 1
	v_cndmask_b32_e64 v44, v117, v116, s[24:25]
; %bb.903:                              ;   in Loop: Header=BB36_898 Depth=4
	s_or_b64 exec, exec, s[58:59]
	v_lshlrev_b32_e32 v113, 16, v113
	v_lshlrev_b32_e32 v116, 16, v19
	v_max_f32_e32 v116, v116, v116
	v_max_f32_e32 v113, v113, v113
	v_min_f32_e32 v117, v113, v116
	v_max_f32_e32 v113, v113, v116
	v_cndmask_b32_e32 v116, v113, v117, vcc
	v_and_b32_e32 v113, 0x7f800000, v116
	v_cmp_ne_u32_e64 s[24:25], s35, v113
                                        ; implicit-def: $vgpr113
	s_and_saveexec_b64 s[58:59], s[24:25]
	s_xor_b64 s[24:25], exec, s[58:59]
; %bb.904:                              ;   in Loop: Header=BB36_898 Depth=4
	v_bfe_u32 v113, v116, 16, 1
	v_add3_u32 v113, v116, v113, s8
                                        ; implicit-def: $vgpr116
; %bb.905:                              ;   in Loop: Header=BB36_898 Depth=4
	s_andn2_saveexec_b64 s[58:59], s[24:25]
; %bb.906:                              ;   in Loop: Header=BB36_898 Depth=4
	v_or_b32_e32 v113, 0x10000, v116
	v_cmp_eq_u32_sdwa s[24:25], v116, v3 src0_sel:WORD_0 src1_sel:DWORD
	s_nop 1
	v_cndmask_b32_e64 v113, v113, v116, s[24:25]
; %bb.907:                              ;   in Loop: Header=BB36_898 Depth=4
	s_or_b64 exec, exec, s[58:59]
	v_lshlrev_b32_e32 v102, 16, v102
	v_lshlrev_b32_e32 v116, 16, v20
	v_max_f32_e32 v116, v116, v116
	v_max_f32_e32 v102, v102, v102
	v_min_f32_e32 v117, v102, v116
	v_max_f32_e32 v102, v102, v116
	v_cndmask_b32_e32 v116, v102, v117, vcc
	v_and_b32_e32 v102, 0x7f800000, v116
	v_cmp_ne_u32_e64 s[24:25], s35, v102
                                        ; implicit-def: $vgpr102
	s_and_saveexec_b64 s[58:59], s[24:25]
	s_xor_b64 s[24:25], exec, s[58:59]
; %bb.908:                              ;   in Loop: Header=BB36_898 Depth=4
	v_bfe_u32 v102, v116, 16, 1
	v_add3_u32 v102, v116, v102, s8
                                        ; implicit-def: $vgpr116
; %bb.909:                              ;   in Loop: Header=BB36_898 Depth=4
	s_andn2_saveexec_b64 s[58:59], s[24:25]
; %bb.910:                              ;   in Loop: Header=BB36_898 Depth=4
	v_or_b32_e32 v102, 0x10000, v116
	v_cmp_eq_u32_sdwa s[24:25], v116, v3 src0_sel:WORD_0 src1_sel:DWORD
	s_nop 1
	v_cndmask_b32_e64 v102, v102, v116, s[24:25]
; %bb.911:                              ;   in Loop: Header=BB36_898 Depth=4
	s_or_b64 exec, exec, s[58:59]
	v_lshlrev_b32_e32 v99, 16, v99
	v_lshlrev_b32_e32 v116, 16, v21
	v_max_f32_e32 v116, v116, v116
	v_max_f32_e32 v99, v99, v99
	v_min_f32_e32 v117, v99, v116
	v_max_f32_e32 v99, v99, v116
	v_cndmask_b32_e32 v116, v99, v117, vcc
	v_and_b32_e32 v99, 0x7f800000, v116
	v_cmp_ne_u32_e64 s[24:25], s35, v99
                                        ; implicit-def: $vgpr99
	s_and_saveexec_b64 s[58:59], s[24:25]
	s_xor_b64 s[24:25], exec, s[58:59]
; %bb.912:                              ;   in Loop: Header=BB36_898 Depth=4
	v_bfe_u32 v99, v116, 16, 1
	v_add3_u32 v99, v116, v99, s8
                                        ; implicit-def: $vgpr116
; %bb.913:                              ;   in Loop: Header=BB36_898 Depth=4
	s_andn2_saveexec_b64 s[58:59], s[24:25]
; %bb.914:                              ;   in Loop: Header=BB36_898 Depth=4
	v_or_b32_e32 v99, 0x10000, v116
	v_cmp_eq_u32_sdwa s[24:25], v116, v3 src0_sel:WORD_0 src1_sel:DWORD
	s_nop 1
	v_cndmask_b32_e64 v99, v99, v116, s[24:25]
; %bb.915:                              ;   in Loop: Header=BB36_898 Depth=4
	s_or_b64 exec, exec, s[58:59]
	v_lshlrev_b32_e32 v87, 16, v87
	v_lshlrev_b32_e32 v116, 16, v22
	v_max_f32_e32 v116, v116, v116
	v_max_f32_e32 v87, v87, v87
	v_min_f32_e32 v117, v87, v116
	v_max_f32_e32 v87, v87, v116
	v_cndmask_b32_e32 v116, v87, v117, vcc
	v_and_b32_e32 v87, 0x7f800000, v116
	v_cmp_ne_u32_e64 s[24:25], s35, v87
                                        ; implicit-def: $vgpr87
	s_and_saveexec_b64 s[58:59], s[24:25]
	s_xor_b64 s[24:25], exec, s[58:59]
; %bb.916:                              ;   in Loop: Header=BB36_898 Depth=4
	v_bfe_u32 v87, v116, 16, 1
	v_add3_u32 v87, v116, v87, s8
                                        ; implicit-def: $vgpr116
; %bb.917:                              ;   in Loop: Header=BB36_898 Depth=4
	s_andn2_saveexec_b64 s[58:59], s[24:25]
; %bb.918:                              ;   in Loop: Header=BB36_898 Depth=4
	v_or_b32_e32 v87, 0x10000, v116
	v_cmp_eq_u32_sdwa s[24:25], v116, v3 src0_sel:WORD_0 src1_sel:DWORD
	s_nop 1
	v_cndmask_b32_e64 v87, v87, v116, s[24:25]
; %bb.919:                              ;   in Loop: Header=BB36_898 Depth=4
	s_or_b64 exec, exec, s[58:59]
	v_lshlrev_b32_e32 v30, 16, v30
	v_lshlrev_b32_e32 v116, 16, v23
	v_max_f32_e32 v116, v116, v116
	v_max_f32_e32 v30, v30, v30
	v_min_f32_e32 v117, v30, v116
	v_max_f32_e32 v30, v30, v116
	v_cndmask_b32_e32 v116, v30, v117, vcc
	v_and_b32_e32 v30, 0x7f800000, v116
	v_cmp_ne_u32_e64 s[24:25], s35, v30
                                        ; implicit-def: $vgpr30
	s_and_saveexec_b64 s[58:59], s[24:25]
	s_xor_b64 s[24:25], exec, s[58:59]
; %bb.920:                              ;   in Loop: Header=BB36_898 Depth=4
	v_bfe_u32 v30, v116, 16, 1
	v_add3_u32 v30, v116, v30, s8
                                        ; implicit-def: $vgpr116
; %bb.921:                              ;   in Loop: Header=BB36_898 Depth=4
	s_andn2_saveexec_b64 s[58:59], s[24:25]
; %bb.922:                              ;   in Loop: Header=BB36_898 Depth=4
	v_or_b32_e32 v30, 0x10000, v116
	v_cmp_eq_u32_sdwa s[24:25], v116, v3 src0_sel:WORD_0 src1_sel:DWORD
	s_nop 1
	v_cndmask_b32_e64 v30, v30, v116, s[24:25]
; %bb.923:                              ;   in Loop: Header=BB36_898 Depth=4
	s_or_b64 exec, exec, s[58:59]
	v_lshlrev_b32_e32 v82, 16, v82
	v_lshlrev_b32_e32 v116, 16, v24
	v_max_f32_e32 v116, v116, v116
	v_max_f32_e32 v82, v82, v82
	v_min_f32_e32 v117, v82, v116
	v_max_f32_e32 v82, v82, v116
	v_cndmask_b32_e32 v116, v82, v117, vcc
	v_and_b32_e32 v82, 0x7f800000, v116
	v_cmp_ne_u32_e64 s[24:25], s35, v82
                                        ; implicit-def: $vgpr82
	s_and_saveexec_b64 s[58:59], s[24:25]
	s_xor_b64 s[24:25], exec, s[58:59]
; %bb.924:                              ;   in Loop: Header=BB36_898 Depth=4
	v_bfe_u32 v82, v116, 16, 1
	v_add3_u32 v82, v116, v82, s8
                                        ; implicit-def: $vgpr116
; %bb.925:                              ;   in Loop: Header=BB36_898 Depth=4
	s_andn2_saveexec_b64 s[58:59], s[24:25]
; %bb.926:                              ;   in Loop: Header=BB36_898 Depth=4
	v_or_b32_e32 v82, 0x10000, v116
	v_cmp_eq_u32_sdwa s[24:25], v116, v3 src0_sel:WORD_0 src1_sel:DWORD
	s_nop 1
	v_cndmask_b32_e64 v82, v82, v116, s[24:25]
; %bb.927:                              ;   in Loop: Header=BB36_898 Depth=4
	s_or_b64 exec, exec, s[58:59]
	v_lshlrev_b32_e32 v71, 16, v71
	v_lshlrev_b32_e32 v116, 16, v25
	v_max_f32_e32 v116, v116, v116
	v_max_f32_e32 v71, v71, v71
	v_min_f32_e32 v117, v71, v116
	v_max_f32_e32 v71, v71, v116
	v_cndmask_b32_e32 v116, v71, v117, vcc
	v_and_b32_e32 v71, 0x7f800000, v116
	v_cmp_ne_u32_e64 s[24:25], s35, v71
                                        ; implicit-def: $vgpr71
	s_and_saveexec_b64 s[58:59], s[24:25]
	s_xor_b64 s[24:25], exec, s[58:59]
; %bb.928:                              ;   in Loop: Header=BB36_898 Depth=4
	v_bfe_u32 v71, v116, 16, 1
	v_add3_u32 v71, v116, v71, s8
                                        ; implicit-def: $vgpr116
; %bb.929:                              ;   in Loop: Header=BB36_898 Depth=4
	s_andn2_saveexec_b64 s[58:59], s[24:25]
; %bb.930:                              ;   in Loop: Header=BB36_898 Depth=4
	v_or_b32_e32 v71, 0x10000, v116
	v_cmp_eq_u32_sdwa s[24:25], v116, v3 src0_sel:WORD_0 src1_sel:DWORD
	s_nop 1
	v_cndmask_b32_e64 v71, v71, v116, s[24:25]
; %bb.931:                              ;   in Loop: Header=BB36_898 Depth=4
	s_or_b64 exec, exec, s[58:59]
	v_lshlrev_b32_e32 v68, 16, v68
	v_lshlrev_b32_e32 v116, 16, v26
	v_max_f32_e32 v116, v116, v116
	v_max_f32_e32 v68, v68, v68
	v_min_f32_e32 v117, v68, v116
	v_max_f32_e32 v68, v68, v116
	v_cndmask_b32_e32 v116, v68, v117, vcc
	v_and_b32_e32 v68, 0x7f800000, v116
	v_cmp_ne_u32_e64 s[24:25], s35, v68
                                        ; implicit-def: $vgpr68
	s_and_saveexec_b64 s[58:59], s[24:25]
	s_xor_b64 s[24:25], exec, s[58:59]
; %bb.932:                              ;   in Loop: Header=BB36_898 Depth=4
	v_bfe_u32 v68, v116, 16, 1
	v_add3_u32 v68, v116, v68, s8
                                        ; implicit-def: $vgpr116
; %bb.933:                              ;   in Loop: Header=BB36_898 Depth=4
	s_andn2_saveexec_b64 s[58:59], s[24:25]
; %bb.934:                              ;   in Loop: Header=BB36_898 Depth=4
	v_or_b32_e32 v68, 0x10000, v116
	v_cmp_eq_u32_sdwa s[24:25], v116, v3 src0_sel:WORD_0 src1_sel:DWORD
	s_nop 1
	v_cndmask_b32_e64 v68, v68, v116, s[24:25]
; %bb.935:                              ;   in Loop: Header=BB36_898 Depth=4
	s_or_b64 exec, exec, s[58:59]
	v_lshlrev_b32_e32 v65, 16, v65
	v_lshlrev_b32_e32 v116, 16, v27
	v_max_f32_e32 v116, v116, v116
	v_max_f32_e32 v65, v65, v65
	v_min_f32_e32 v117, v65, v116
	v_max_f32_e32 v65, v65, v116
	v_cndmask_b32_e32 v116, v65, v117, vcc
	v_and_b32_e32 v65, 0x7f800000, v116
	v_cmp_ne_u32_e64 s[24:25], s35, v65
                                        ; implicit-def: $vgpr65
	s_and_saveexec_b64 s[58:59], s[24:25]
	s_xor_b64 s[24:25], exec, s[58:59]
; %bb.936:                              ;   in Loop: Header=BB36_898 Depth=4
	v_bfe_u32 v65, v116, 16, 1
	v_add3_u32 v65, v116, v65, s8
                                        ; implicit-def: $vgpr116
; %bb.937:                              ;   in Loop: Header=BB36_898 Depth=4
	s_andn2_saveexec_b64 s[58:59], s[24:25]
; %bb.938:                              ;   in Loop: Header=BB36_898 Depth=4
	v_or_b32_e32 v65, 0x10000, v116
	v_cmp_eq_u32_sdwa s[24:25], v116, v3 src0_sel:WORD_0 src1_sel:DWORD
	s_nop 1
	v_cndmask_b32_e64 v65, v65, v116, s[24:25]
; %bb.939:                              ;   in Loop: Header=BB36_898 Depth=4
	s_or_b64 exec, exec, s[58:59]
	v_lshlrev_b32_e32 v53, 16, v53
	v_lshlrev_b32_e32 v116, 16, v32
	v_max_f32_e32 v116, v116, v116
	v_max_f32_e32 v53, v53, v53
	v_min_f32_e32 v117, v53, v116
	v_max_f32_e32 v53, v53, v116
	v_cndmask_b32_e32 v116, v53, v117, vcc
	v_and_b32_e32 v53, 0x7f800000, v116
	v_cmp_ne_u32_e64 s[24:25], s35, v53
                                        ; implicit-def: $vgpr53
	s_and_saveexec_b64 s[58:59], s[24:25]
	s_xor_b64 s[24:25], exec, s[58:59]
; %bb.940:                              ;   in Loop: Header=BB36_898 Depth=4
	v_bfe_u32 v53, v116, 16, 1
	v_add3_u32 v53, v116, v53, s8
                                        ; implicit-def: $vgpr116
; %bb.941:                              ;   in Loop: Header=BB36_898 Depth=4
	s_andn2_saveexec_b64 s[58:59], s[24:25]
; %bb.942:                              ;   in Loop: Header=BB36_898 Depth=4
	v_or_b32_e32 v53, 0x10000, v116
	v_cmp_eq_u32_sdwa s[24:25], v116, v3 src0_sel:WORD_0 src1_sel:DWORD
	s_nop 1
	v_cndmask_b32_e64 v53, v53, v116, s[24:25]
; %bb.943:                              ;   in Loop: Header=BB36_898 Depth=4
	s_or_b64 exec, exec, s[58:59]
	v_lshlrev_b32_e32 v50, 16, v50
	v_lshlrev_b32_e32 v116, 16, v33
	v_max_f32_e32 v116, v116, v116
	v_max_f32_e32 v50, v50, v50
	v_min_f32_e32 v117, v50, v116
	v_max_f32_e32 v50, v50, v116
	v_cndmask_b32_e32 v116, v50, v117, vcc
	v_and_b32_e32 v50, 0x7f800000, v116
	v_cmp_ne_u32_e64 s[24:25], s35, v50
                                        ; implicit-def: $vgpr50
	s_and_saveexec_b64 s[58:59], s[24:25]
	s_xor_b64 s[24:25], exec, s[58:59]
; %bb.944:                              ;   in Loop: Header=BB36_898 Depth=4
	v_bfe_u32 v50, v116, 16, 1
	v_add3_u32 v50, v116, v50, s8
                                        ; implicit-def: $vgpr116
; %bb.945:                              ;   in Loop: Header=BB36_898 Depth=4
	s_andn2_saveexec_b64 s[58:59], s[24:25]
; %bb.946:                              ;   in Loop: Header=BB36_898 Depth=4
	v_or_b32_e32 v50, 0x10000, v116
	v_cmp_eq_u32_sdwa s[24:25], v116, v3 src0_sel:WORD_0 src1_sel:DWORD
	s_nop 1
	v_cndmask_b32_e64 v50, v50, v116, s[24:25]
; %bb.947:                              ;   in Loop: Header=BB36_898 Depth=4
	s_or_b64 exec, exec, s[58:59]
	v_lshlrev_b32_e32 v49, 16, v49
	v_lshlrev_b32_e32 v116, 16, v34
	v_max_f32_e32 v116, v116, v116
	v_max_f32_e32 v49, v49, v49
	v_min_f32_e32 v117, v49, v116
	v_max_f32_e32 v49, v49, v116
	v_cndmask_b32_e32 v116, v49, v117, vcc
	v_and_b32_e32 v49, 0x7f800000, v116
	v_cmp_ne_u32_e64 s[24:25], s35, v49
                                        ; implicit-def: $vgpr49
	s_and_saveexec_b64 s[58:59], s[24:25]
	s_xor_b64 s[24:25], exec, s[58:59]
; %bb.948:                              ;   in Loop: Header=BB36_898 Depth=4
	v_bfe_u32 v49, v116, 16, 1
	v_add3_u32 v49, v116, v49, s8
                                        ; implicit-def: $vgpr116
; %bb.949:                              ;   in Loop: Header=BB36_898 Depth=4
	s_andn2_saveexec_b64 s[58:59], s[24:25]
; %bb.950:                              ;   in Loop: Header=BB36_898 Depth=4
	v_or_b32_e32 v49, 0x10000, v116
	v_cmp_eq_u32_sdwa s[24:25], v116, v3 src0_sel:WORD_0 src1_sel:DWORD
	s_nop 1
	v_cndmask_b32_e64 v49, v49, v116, s[24:25]
; %bb.951:                              ;   in Loop: Header=BB36_898 Depth=4
	s_or_b64 exec, exec, s[58:59]
	v_lshlrev_b32_e32 v48, 16, v48
	v_lshlrev_b32_e32 v116, 16, v35
	v_max_f32_e32 v116, v116, v116
	v_max_f32_e32 v48, v48, v48
	v_min_f32_e32 v117, v48, v116
	v_max_f32_e32 v48, v48, v116
	v_cndmask_b32_e32 v116, v48, v117, vcc
	v_and_b32_e32 v48, 0x7f800000, v116
	v_cmp_ne_u32_e64 s[24:25], s35, v48
                                        ; implicit-def: $vgpr48
	s_and_saveexec_b64 s[58:59], s[24:25]
	s_xor_b64 s[24:25], exec, s[58:59]
; %bb.952:                              ;   in Loop: Header=BB36_898 Depth=4
	v_bfe_u32 v48, v116, 16, 1
	v_add3_u32 v48, v116, v48, s8
                                        ; implicit-def: $vgpr116
; %bb.953:                              ;   in Loop: Header=BB36_898 Depth=4
	s_andn2_saveexec_b64 s[58:59], s[24:25]
; %bb.954:                              ;   in Loop: Header=BB36_898 Depth=4
	v_or_b32_e32 v48, 0x10000, v116
	v_cmp_eq_u32_sdwa s[24:25], v116, v3 src0_sel:WORD_0 src1_sel:DWORD
	s_nop 1
	v_cndmask_b32_e64 v48, v48, v116, s[24:25]
; %bb.955:                              ;   in Loop: Header=BB36_898 Depth=4
	s_or_b64 exec, exec, s[58:59]
	v_lshlrev_b32_e32 v39, 16, v39
	v_lshlrev_b32_e32 v116, 16, v36
	v_max_f32_e32 v116, v116, v116
	v_max_f32_e32 v39, v39, v39
	v_min_f32_e32 v117, v39, v116
	v_max_f32_e32 v39, v39, v116
	v_cndmask_b32_e32 v116, v39, v117, vcc
	v_and_b32_e32 v39, 0x7f800000, v116
	v_cmp_ne_u32_e64 s[24:25], s35, v39
                                        ; implicit-def: $vgpr39
	s_and_saveexec_b64 s[58:59], s[24:25]
	s_xor_b64 s[24:25], exec, s[58:59]
; %bb.956:                              ;   in Loop: Header=BB36_898 Depth=4
	v_bfe_u32 v39, v116, 16, 1
	v_add3_u32 v39, v116, v39, s8
                                        ; implicit-def: $vgpr116
; %bb.957:                              ;   in Loop: Header=BB36_898 Depth=4
	s_andn2_saveexec_b64 s[58:59], s[24:25]
; %bb.958:                              ;   in Loop: Header=BB36_898 Depth=4
	v_or_b32_e32 v39, 0x10000, v116
	v_cmp_eq_u32_sdwa s[24:25], v116, v3 src0_sel:WORD_0 src1_sel:DWORD
	s_nop 1
	v_cndmask_b32_e64 v39, v39, v116, s[24:25]
; %bb.959:                              ;   in Loop: Header=BB36_898 Depth=4
	s_or_b64 exec, exec, s[58:59]
	v_lshlrev_b32_e32 v38, 16, v38
	v_lshlrev_b32_e32 v116, 16, v37
	v_max_f32_e32 v116, v116, v116
	v_max_f32_e32 v38, v38, v38
	v_min_f32_e32 v117, v38, v116
	v_max_f32_e32 v38, v38, v116
	v_cndmask_b32_e32 v116, v38, v117, vcc
	v_and_b32_e32 v38, 0x7f800000, v116
	v_cmp_ne_u32_e64 s[24:25], s35, v38
                                        ; implicit-def: $vgpr38
	s_and_saveexec_b64 s[58:59], s[24:25]
	s_xor_b64 s[24:25], exec, s[58:59]
; %bb.960:                              ;   in Loop: Header=BB36_898 Depth=4
	v_bfe_u32 v38, v116, 16, 1
	v_add3_u32 v38, v116, v38, s8
                                        ; implicit-def: $vgpr116
; %bb.961:                              ;   in Loop: Header=BB36_898 Depth=4
	s_andn2_saveexec_b64 s[58:59], s[24:25]
; %bb.962:                              ;   in Loop: Header=BB36_898 Depth=4
	v_or_b32_e32 v38, 0x10000, v116
	v_cmp_eq_u32_sdwa s[24:25], v116, v3 src0_sel:WORD_0 src1_sel:DWORD
	s_nop 1
	v_cndmask_b32_e64 v38, v38, v116, s[24:25]
; %bb.963:                              ;   in Loop: Header=BB36_898 Depth=4
	s_or_b64 exec, exec, s[58:59]
	v_lshrrev_b32_e32 v44, 16, v44
	v_lshrrev_b32_e32 v39, 16, v39
	;; [unrolled: 1-line block ×16, first 2 shown]
	flat_store_short v[8:9], v44 nt
	flat_store_short v[8:9], v113 offset:128 nt
	flat_store_short v[8:9], v102 offset:256 nt
	;; [unrolled: 1-line block ×15, first 2 shown]
	v_lshl_add_u64 v[8:9], v[8:9], 0, v[120:121]
.LBB36_964:                             ;   in Loop: Header=BB36_898 Depth=4
	s_or_b64 exec, exec, s[60:61]
	v_sub_u32_e32 v17, v17, v60
	v_lshl_add_u64 v[10:11], v[10:11], 0, v[120:121]
	v_lshl_add_u64 v[12:13], v[12:13], 0, v[120:121]
	v_cmp_lt_i32_e64 s[58:59], 0, v17
	s_and_saveexec_b64 s[24:25], s[58:59]
	s_cbranch_execz .LBB36_966
; %bb.965:                              ;   in Loop: Header=BB36_898 Depth=4
	flat_load_ushort v44, v[10:11] nt
	flat_load_ushort v113, v[10:11] offset:128 nt
	flat_load_ushort v102, v[10:11] offset:256 nt
	;; [unrolled: 1-line block ×15, first 2 shown]
	flat_load_ushort v18, v[12:13] nt
	flat_load_ushort v19, v[12:13] offset:128 nt
	flat_load_ushort v20, v[12:13] offset:256 nt
	;; [unrolled: 1-line block ×15, first 2 shown]
	v_lshl_add_u64 v[10:11], v[10:11], 0, s[90:91]
	v_lshl_add_u64 v[12:13], v[12:13], 0, s[90:91]
.LBB36_966:                             ;   in Loop: Header=BB36_898 Depth=4
	s_or_b64 exec, exec, s[24:25]
	s_waitcnt vmcnt(0) lgkmcnt(0)
	v_lshlrev_b32_e32 v116, 16, v73
	v_lshlrev_b32_e32 v117, 16, v108
	v_max_f32_e32 v117, v117, v117
	v_max_f32_e32 v116, v116, v116
	v_min_f32_e32 v73, v116, v117
	v_max_f32_e32 v116, v116, v117
	v_cndmask_b32_e32 v116, v116, v73, vcc
	v_and_b32_e32 v117, 0x7f800000, v116
	v_cmp_ne_u32_e64 s[24:25], s35, v117
                                        ; implicit-def: $vgpr73
	s_and_saveexec_b64 s[60:61], s[24:25]
	s_xor_b64 s[24:25], exec, s[60:61]
; %bb.967:                              ;   in Loop: Header=BB36_898 Depth=4
	v_bfe_u32 v117, v116, 16, 1
	v_add3_u32 v73, v116, v117, s8
                                        ; implicit-def: $vgpr116
; %bb.968:                              ;   in Loop: Header=BB36_898 Depth=4
	s_andn2_saveexec_b64 s[60:61], s[24:25]
; %bb.969:                              ;   in Loop: Header=BB36_898 Depth=4
	v_or_b32_e32 v117, 0x10000, v116
	v_cmp_eq_u32_sdwa s[24:25], v116, v3 src0_sel:WORD_0 src1_sel:DWORD
	s_nop 1
	v_cndmask_b32_e64 v73, v117, v116, s[24:25]
; %bb.970:                              ;   in Loop: Header=BB36_898 Depth=4
	s_or_b64 exec, exec, s[60:61]
	v_lshlrev_b32_e32 v116, 16, v62
	v_lshlrev_b32_e32 v117, 16, v63
	v_max_f32_e32 v117, v117, v117
	v_max_f32_e32 v116, v116, v116
	v_min_f32_e32 v62, v116, v117
	v_max_f32_e32 v116, v116, v117
	v_cndmask_b32_e32 v116, v116, v62, vcc
	v_and_b32_e32 v117, 0x7f800000, v116
	v_cmp_ne_u32_e64 s[24:25], s35, v117
                                        ; implicit-def: $vgpr62
	s_and_saveexec_b64 s[60:61], s[24:25]
	s_xor_b64 s[24:25], exec, s[60:61]
; %bb.971:                              ;   in Loop: Header=BB36_898 Depth=4
	v_bfe_u32 v117, v116, 16, 1
	v_add3_u32 v62, v116, v117, s8
                                        ; implicit-def: $vgpr116
; %bb.972:                              ;   in Loop: Header=BB36_898 Depth=4
	s_andn2_saveexec_b64 s[60:61], s[24:25]
; %bb.973:                              ;   in Loop: Header=BB36_898 Depth=4
	v_or_b32_e32 v117, 0x10000, v116
	v_cmp_eq_u32_sdwa s[24:25], v116, v3 src0_sel:WORD_0 src1_sel:DWORD
	s_nop 1
	v_cndmask_b32_e64 v62, v117, v116, s[24:25]
; %bb.974:                              ;   in Loop: Header=BB36_898 Depth=4
	s_or_b64 exec, exec, s[60:61]
	v_lshlrev_b32_e32 v116, 16, v43
	v_lshlrev_b32_e32 v117, 16, v59
	v_max_f32_e32 v117, v117, v117
	v_max_f32_e32 v116, v116, v116
	v_min_f32_e32 v43, v116, v117
	v_max_f32_e32 v116, v116, v117
	v_cndmask_b32_e32 v116, v116, v43, vcc
	v_and_b32_e32 v117, 0x7f800000, v116
	v_cmp_ne_u32_e64 s[24:25], s35, v117
                                        ; implicit-def: $vgpr43
	s_and_saveexec_b64 s[60:61], s[24:25]
	s_xor_b64 s[24:25], exec, s[60:61]
; %bb.975:                              ;   in Loop: Header=BB36_898 Depth=4
	v_bfe_u32 v117, v116, 16, 1
	v_add3_u32 v43, v116, v117, s8
                                        ; implicit-def: $vgpr116
; %bb.976:                              ;   in Loop: Header=BB36_898 Depth=4
	s_andn2_saveexec_b64 s[60:61], s[24:25]
; %bb.977:                              ;   in Loop: Header=BB36_898 Depth=4
	v_or_b32_e32 v117, 0x10000, v116
	v_cmp_eq_u32_sdwa s[24:25], v116, v3 src0_sel:WORD_0 src1_sel:DWORD
	s_nop 1
	v_cndmask_b32_e64 v43, v117, v116, s[24:25]
; %bb.978:                              ;   in Loop: Header=BB36_898 Depth=4
	s_or_b64 exec, exec, s[60:61]
	v_lshlrev_b32_e32 v116, 16, v45
	v_lshlrev_b32_e32 v117, 16, v42
	v_max_f32_e32 v117, v117, v117
	v_max_f32_e32 v116, v116, v116
	v_min_f32_e32 v42, v116, v117
	v_max_f32_e32 v116, v116, v117
	v_cndmask_b32_e32 v116, v116, v42, vcc
	v_and_b32_e32 v117, 0x7f800000, v116
	v_cmp_ne_u32_e64 s[24:25], s35, v117
                                        ; implicit-def: $vgpr42
	s_and_saveexec_b64 s[60:61], s[24:25]
	s_xor_b64 s[24:25], exec, s[60:61]
; %bb.979:                              ;   in Loop: Header=BB36_898 Depth=4
	v_bfe_u32 v117, v116, 16, 1
	v_add3_u32 v42, v116, v117, s8
                                        ; implicit-def: $vgpr116
; %bb.980:                              ;   in Loop: Header=BB36_898 Depth=4
	s_andn2_saveexec_b64 s[60:61], s[24:25]
; %bb.981:                              ;   in Loop: Header=BB36_898 Depth=4
	v_or_b32_e32 v117, 0x10000, v116
	v_cmp_eq_u32_sdwa s[24:25], v116, v3 src0_sel:WORD_0 src1_sel:DWORD
	s_nop 1
	v_cndmask_b32_e64 v42, v117, v116, s[24:25]
; %bb.982:                              ;   in Loop: Header=BB36_898 Depth=4
	s_or_b64 exec, exec, s[60:61]
	v_lshlrev_b32_e32 v114, 16, v114
	v_lshlrev_b32_e32 v115, 16, v115
	v_max_f32_e32 v115, v115, v115
	v_max_f32_e32 v114, v114, v114
	v_min_f32_e32 v116, v114, v115
	v_max_f32_e32 v114, v114, v115
	v_cndmask_b32_e32 v115, v114, v116, vcc
	v_and_b32_e32 v114, 0x7f800000, v115
	v_cmp_ne_u32_e64 s[24:25], s35, v114
                                        ; implicit-def: $vgpr114
	s_and_saveexec_b64 s[60:61], s[24:25]
	s_xor_b64 s[24:25], exec, s[60:61]
; %bb.983:                              ;   in Loop: Header=BB36_898 Depth=4
	v_bfe_u32 v114, v115, 16, 1
	v_add3_u32 v114, v115, v114, s8
                                        ; implicit-def: $vgpr115
; %bb.984:                              ;   in Loop: Header=BB36_898 Depth=4
	s_andn2_saveexec_b64 s[60:61], s[24:25]
; %bb.985:                              ;   in Loop: Header=BB36_898 Depth=4
	v_or_b32_e32 v114, 0x10000, v115
	v_cmp_eq_u32_sdwa s[24:25], v115, v3 src0_sel:WORD_0 src1_sel:DWORD
	s_nop 1
	v_cndmask_b32_e64 v114, v114, v115, s[24:25]
; %bb.986:                              ;   in Loop: Header=BB36_898 Depth=4
	s_or_b64 exec, exec, s[60:61]
	v_lshlrev_b32_e32 v103, 16, v103
	v_lshlrev_b32_e32 v112, 16, v112
	v_max_f32_e32 v112, v112, v112
	v_max_f32_e32 v103, v103, v103
	v_min_f32_e32 v115, v103, v112
	v_max_f32_e32 v103, v103, v112
	v_cndmask_b32_e32 v112, v103, v115, vcc
	v_and_b32_e32 v103, 0x7f800000, v112
	v_cmp_ne_u32_e64 s[24:25], s35, v103
                                        ; implicit-def: $vgpr103
	s_and_saveexec_b64 s[60:61], s[24:25]
	s_xor_b64 s[24:25], exec, s[60:61]
; %bb.987:                              ;   in Loop: Header=BB36_898 Depth=4
	v_bfe_u32 v103, v112, 16, 1
	v_add3_u32 v103, v112, v103, s8
                                        ; implicit-def: $vgpr112
; %bb.988:                              ;   in Loop: Header=BB36_898 Depth=4
	s_andn2_saveexec_b64 s[60:61], s[24:25]
; %bb.989:                              ;   in Loop: Header=BB36_898 Depth=4
	v_or_b32_e32 v103, 0x10000, v112
	v_cmp_eq_u32_sdwa s[24:25], v112, v3 src0_sel:WORD_0 src1_sel:DWORD
	s_nop 1
	v_cndmask_b32_e64 v103, v103, v112, s[24:25]
; %bb.990:                              ;   in Loop: Header=BB36_898 Depth=4
	s_or_b64 exec, exec, s[60:61]
	v_lshlrev_b32_e32 v100, 16, v100
	v_lshlrev_b32_e32 v101, 16, v101
	v_max_f32_e32 v101, v101, v101
	v_max_f32_e32 v100, v100, v100
	v_min_f32_e32 v112, v100, v101
	v_max_f32_e32 v100, v100, v101
	v_cndmask_b32_e32 v101, v100, v112, vcc
	v_and_b32_e32 v100, 0x7f800000, v101
	v_cmp_ne_u32_e64 s[24:25], s35, v100
                                        ; implicit-def: $vgpr100
	s_and_saveexec_b64 s[60:61], s[24:25]
	s_xor_b64 s[24:25], exec, s[60:61]
; %bb.991:                              ;   in Loop: Header=BB36_898 Depth=4
	v_bfe_u32 v100, v101, 16, 1
	v_add3_u32 v100, v101, v100, s8
                                        ; implicit-def: $vgpr101
; %bb.992:                              ;   in Loop: Header=BB36_898 Depth=4
	s_andn2_saveexec_b64 s[60:61], s[24:25]
; %bb.993:                              ;   in Loop: Header=BB36_898 Depth=4
	v_or_b32_e32 v100, 0x10000, v101
	v_cmp_eq_u32_sdwa s[24:25], v101, v3 src0_sel:WORD_0 src1_sel:DWORD
	s_nop 1
	v_cndmask_b32_e64 v100, v100, v101, s[24:25]
; %bb.994:                              ;   in Loop: Header=BB36_898 Depth=4
	s_or_b64 exec, exec, s[60:61]
	v_lshlrev_b32_e32 v97, 16, v97
	v_lshlrev_b32_e32 v98, 16, v98
	v_max_f32_e32 v98, v98, v98
	v_max_f32_e32 v97, v97, v97
	v_min_f32_e32 v101, v97, v98
	v_max_f32_e32 v97, v97, v98
	v_cndmask_b32_e32 v98, v97, v101, vcc
	v_and_b32_e32 v97, 0x7f800000, v98
	v_cmp_ne_u32_e64 s[24:25], s35, v97
                                        ; implicit-def: $vgpr97
	s_and_saveexec_b64 s[60:61], s[24:25]
	s_xor_b64 s[24:25], exec, s[60:61]
; %bb.995:                              ;   in Loop: Header=BB36_898 Depth=4
	v_bfe_u32 v97, v98, 16, 1
	v_add3_u32 v97, v98, v97, s8
                                        ; implicit-def: $vgpr98
; %bb.996:                              ;   in Loop: Header=BB36_898 Depth=4
	s_andn2_saveexec_b64 s[60:61], s[24:25]
; %bb.997:                              ;   in Loop: Header=BB36_898 Depth=4
	v_or_b32_e32 v97, 0x10000, v98
	v_cmp_eq_u32_sdwa s[24:25], v98, v3 src0_sel:WORD_0 src1_sel:DWORD
	s_nop 1
	v_cndmask_b32_e64 v97, v97, v98, s[24:25]
; %bb.998:                              ;   in Loop: Header=BB36_898 Depth=4
	s_or_b64 exec, exec, s[60:61]
	v_lshlrev_b32_e32 v86, 16, v86
	v_lshlrev_b32_e32 v96, 16, v96
	v_max_f32_e32 v96, v96, v96
	v_max_f32_e32 v86, v86, v86
	v_min_f32_e32 v98, v86, v96
	v_max_f32_e32 v86, v86, v96
	v_cndmask_b32_e32 v96, v86, v98, vcc
	v_and_b32_e32 v86, 0x7f800000, v96
	v_cmp_ne_u32_e64 s[24:25], s35, v86
                                        ; implicit-def: $vgpr86
	s_and_saveexec_b64 s[60:61], s[24:25]
	s_xor_b64 s[24:25], exec, s[60:61]
; %bb.999:                              ;   in Loop: Header=BB36_898 Depth=4
	v_bfe_u32 v86, v96, 16, 1
	v_add3_u32 v86, v96, v86, s8
                                        ; implicit-def: $vgpr96
; %bb.1000:                             ;   in Loop: Header=BB36_898 Depth=4
	s_andn2_saveexec_b64 s[60:61], s[24:25]
; %bb.1001:                             ;   in Loop: Header=BB36_898 Depth=4
	v_or_b32_e32 v86, 0x10000, v96
	v_cmp_eq_u32_sdwa s[24:25], v96, v3 src0_sel:WORD_0 src1_sel:DWORD
	s_nop 1
	v_cndmask_b32_e64 v86, v86, v96, s[24:25]
; %bb.1002:                             ;   in Loop: Header=BB36_898 Depth=4
	s_or_b64 exec, exec, s[60:61]
	v_lshlrev_b32_e32 v84, 16, v84
	v_lshlrev_b32_e32 v85, 16, v85
	v_max_f32_e32 v85, v85, v85
	v_max_f32_e32 v84, v84, v84
	v_min_f32_e32 v96, v84, v85
	v_max_f32_e32 v84, v84, v85
	v_cndmask_b32_e32 v85, v84, v96, vcc
	v_and_b32_e32 v84, 0x7f800000, v85
	v_cmp_ne_u32_e64 s[24:25], s35, v84
                                        ; implicit-def: $vgpr84
	s_and_saveexec_b64 s[60:61], s[24:25]
	s_xor_b64 s[24:25], exec, s[60:61]
; %bb.1003:                             ;   in Loop: Header=BB36_898 Depth=4
	v_bfe_u32 v84, v85, 16, 1
	v_add3_u32 v84, v85, v84, s8
                                        ; implicit-def: $vgpr85
; %bb.1004:                             ;   in Loop: Header=BB36_898 Depth=4
	s_andn2_saveexec_b64 s[60:61], s[24:25]
; %bb.1005:                             ;   in Loop: Header=BB36_898 Depth=4
	v_or_b32_e32 v84, 0x10000, v85
	v_cmp_eq_u32_sdwa s[24:25], v85, v3 src0_sel:WORD_0 src1_sel:DWORD
	s_nop 1
	v_cndmask_b32_e64 v84, v84, v85, s[24:25]
; %bb.1006:                             ;   in Loop: Header=BB36_898 Depth=4
	s_or_b64 exec, exec, s[60:61]
	v_lshlrev_b32_e32 v81, 16, v81
	v_lshlrev_b32_e32 v83, 16, v83
	v_max_f32_e32 v83, v83, v83
	v_max_f32_e32 v81, v81, v81
	v_min_f32_e32 v85, v81, v83
	v_max_f32_e32 v81, v81, v83
	v_cndmask_b32_e32 v83, v81, v85, vcc
	v_and_b32_e32 v81, 0x7f800000, v83
	v_cmp_ne_u32_e64 s[24:25], s35, v81
                                        ; implicit-def: $vgpr81
	s_and_saveexec_b64 s[60:61], s[24:25]
	s_xor_b64 s[24:25], exec, s[60:61]
; %bb.1007:                             ;   in Loop: Header=BB36_898 Depth=4
	v_bfe_u32 v81, v83, 16, 1
	v_add3_u32 v81, v83, v81, s8
                                        ; implicit-def: $vgpr83
; %bb.1008:                             ;   in Loop: Header=BB36_898 Depth=4
	s_andn2_saveexec_b64 s[60:61], s[24:25]
; %bb.1009:                             ;   in Loop: Header=BB36_898 Depth=4
	v_or_b32_e32 v81, 0x10000, v83
	v_cmp_eq_u32_sdwa s[24:25], v83, v3 src0_sel:WORD_0 src1_sel:DWORD
	s_nop 1
	v_cndmask_b32_e64 v81, v81, v83, s[24:25]
; %bb.1010:                             ;   in Loop: Header=BB36_898 Depth=4
	s_or_b64 exec, exec, s[60:61]
	v_lshlrev_b32_e32 v70, 16, v70
	v_lshlrev_b32_e32 v80, 16, v80
	v_max_f32_e32 v80, v80, v80
	v_max_f32_e32 v70, v70, v70
	v_min_f32_e32 v83, v70, v80
	v_max_f32_e32 v70, v70, v80
	v_cndmask_b32_e32 v80, v70, v83, vcc
	v_and_b32_e32 v70, 0x7f800000, v80
	v_cmp_ne_u32_e64 s[24:25], s35, v70
                                        ; implicit-def: $vgpr70
	s_and_saveexec_b64 s[60:61], s[24:25]
	s_xor_b64 s[24:25], exec, s[60:61]
; %bb.1011:                             ;   in Loop: Header=BB36_898 Depth=4
	v_bfe_u32 v70, v80, 16, 1
	v_add3_u32 v70, v80, v70, s8
                                        ; implicit-def: $vgpr80
; %bb.1012:                             ;   in Loop: Header=BB36_898 Depth=4
	s_andn2_saveexec_b64 s[60:61], s[24:25]
; %bb.1013:                             ;   in Loop: Header=BB36_898 Depth=4
	v_or_b32_e32 v70, 0x10000, v80
	v_cmp_eq_u32_sdwa s[24:25], v80, v3 src0_sel:WORD_0 src1_sel:DWORD
	s_nop 1
	v_cndmask_b32_e64 v70, v70, v80, s[24:25]
; %bb.1014:                             ;   in Loop: Header=BB36_898 Depth=4
	s_or_b64 exec, exec, s[60:61]
	v_lshlrev_b32_e32 v67, 16, v67
	v_lshlrev_b32_e32 v69, 16, v69
	v_max_f32_e32 v69, v69, v69
	v_max_f32_e32 v67, v67, v67
	v_min_f32_e32 v80, v67, v69
	v_max_f32_e32 v67, v67, v69
	v_cndmask_b32_e32 v69, v67, v80, vcc
	v_and_b32_e32 v67, 0x7f800000, v69
	v_cmp_ne_u32_e64 s[24:25], s35, v67
                                        ; implicit-def: $vgpr67
	s_and_saveexec_b64 s[60:61], s[24:25]
	s_xor_b64 s[24:25], exec, s[60:61]
; %bb.1015:                             ;   in Loop: Header=BB36_898 Depth=4
	v_bfe_u32 v67, v69, 16, 1
	v_add3_u32 v67, v69, v67, s8
                                        ; implicit-def: $vgpr69
; %bb.1016:                             ;   in Loop: Header=BB36_898 Depth=4
	s_andn2_saveexec_b64 s[60:61], s[24:25]
; %bb.1017:                             ;   in Loop: Header=BB36_898 Depth=4
	v_or_b32_e32 v67, 0x10000, v69
	v_cmp_eq_u32_sdwa s[24:25], v69, v3 src0_sel:WORD_0 src1_sel:DWORD
	s_nop 1
	v_cndmask_b32_e64 v67, v67, v69, s[24:25]
; %bb.1018:                             ;   in Loop: Header=BB36_898 Depth=4
	s_or_b64 exec, exec, s[60:61]
	v_lshlrev_b32_e32 v64, 16, v64
	v_lshlrev_b32_e32 v66, 16, v66
	v_max_f32_e32 v66, v66, v66
	v_max_f32_e32 v64, v64, v64
	v_min_f32_e32 v69, v64, v66
	v_max_f32_e32 v64, v64, v66
	v_cndmask_b32_e32 v66, v64, v69, vcc
	v_and_b32_e32 v64, 0x7f800000, v66
	v_cmp_ne_u32_e64 s[24:25], s35, v64
                                        ; implicit-def: $vgpr64
	s_and_saveexec_b64 s[60:61], s[24:25]
	s_xor_b64 s[24:25], exec, s[60:61]
; %bb.1019:                             ;   in Loop: Header=BB36_898 Depth=4
	v_bfe_u32 v64, v66, 16, 1
	v_add3_u32 v64, v66, v64, s8
                                        ; implicit-def: $vgpr66
; %bb.1020:                             ;   in Loop: Header=BB36_898 Depth=4
	s_andn2_saveexec_b64 s[60:61], s[24:25]
; %bb.1021:                             ;   in Loop: Header=BB36_898 Depth=4
	v_or_b32_e32 v64, 0x10000, v66
	v_cmp_eq_u32_sdwa s[24:25], v66, v3 src0_sel:WORD_0 src1_sel:DWORD
	s_nop 1
	v_cndmask_b32_e64 v64, v64, v66, s[24:25]
; %bb.1022:                             ;   in Loop: Header=BB36_898 Depth=4
	s_or_b64 exec, exec, s[60:61]
	v_lshlrev_b32_e32 v54, 16, v54
	v_lshlrev_b32_e32 v55, 16, v55
	v_max_f32_e32 v55, v55, v55
	v_max_f32_e32 v54, v54, v54
	v_min_f32_e32 v66, v54, v55
	v_max_f32_e32 v54, v54, v55
	v_cndmask_b32_e32 v55, v54, v66, vcc
	v_and_b32_e32 v54, 0x7f800000, v55
	v_cmp_ne_u32_e64 s[24:25], s35, v54
                                        ; implicit-def: $vgpr54
	s_and_saveexec_b64 s[60:61], s[24:25]
	s_xor_b64 s[24:25], exec, s[60:61]
; %bb.1023:                             ;   in Loop: Header=BB36_898 Depth=4
	v_bfe_u32 v54, v55, 16, 1
	v_add3_u32 v54, v55, v54, s8
                                        ; implicit-def: $vgpr55
; %bb.1024:                             ;   in Loop: Header=BB36_898 Depth=4
	s_andn2_saveexec_b64 s[60:61], s[24:25]
; %bb.1025:                             ;   in Loop: Header=BB36_898 Depth=4
	v_or_b32_e32 v54, 0x10000, v55
	v_cmp_eq_u32_sdwa s[24:25], v55, v3 src0_sel:WORD_0 src1_sel:DWORD
	s_nop 1
	v_cndmask_b32_e64 v54, v54, v55, s[24:25]
; %bb.1026:                             ;   in Loop: Header=BB36_898 Depth=4
	s_or_b64 exec, exec, s[60:61]
	v_lshlrev_b32_e32 v51, 16, v51
	v_lshlrev_b32_e32 v52, 16, v52
	v_max_f32_e32 v52, v52, v52
	v_max_f32_e32 v51, v51, v51
	v_min_f32_e32 v55, v51, v52
	v_max_f32_e32 v51, v51, v52
	v_cndmask_b32_e32 v52, v51, v55, vcc
	v_and_b32_e32 v51, 0x7f800000, v52
	v_cmp_ne_u32_e64 s[24:25], s35, v51
                                        ; implicit-def: $vgpr51
	s_and_saveexec_b64 s[60:61], s[24:25]
	s_xor_b64 s[24:25], exec, s[60:61]
; %bb.1027:                             ;   in Loop: Header=BB36_898 Depth=4
	v_bfe_u32 v51, v52, 16, 1
	v_add3_u32 v51, v52, v51, s8
                                        ; implicit-def: $vgpr52
; %bb.1028:                             ;   in Loop: Header=BB36_898 Depth=4
	s_andn2_saveexec_b64 s[60:61], s[24:25]
	s_cbranch_execz .LBB36_897
; %bb.1029:                             ;   in Loop: Header=BB36_898 Depth=4
	v_or_b32_e32 v51, 0x10000, v52
	v_cmp_eq_u32_sdwa s[24:25], v52, v3 src0_sel:WORD_0 src1_sel:DWORD
	s_nop 1
	v_cndmask_b32_e64 v51, v51, v52, s[24:25]
	s_branch .LBB36_897
.LBB36_1030:                            ;   in Loop: Header=BB36_303 Depth=3
	s_or_b64 exec, exec, s[46:47]
	v_lshlrev_b32_e32 v100, 16, v44
	v_lshlrev_b32_e32 v101, 16, v18
	;; [unrolled: 1-line block ×32, first 2 shown]
	s_and_b64 s[24:25], s[28:29], exec
	v_mov_b32_e32 v59, v31
.LBB36_1031:                            ;   in Loop: Header=BB36_303 Depth=3
	s_or_b64 exec, exec, s[26:27]
	s_and_saveexec_b64 s[26:27], s[24:25]
	s_cbranch_execz .LBB36_1097
; %bb.1032:                             ;   in Loop: Header=BB36_303 Depth=3
	s_and_b32 s24, s68, 0xff
	s_cmp_eq_u32 s24, 0
	v_max_f32_e32 v12, v101, v101
	v_max_f32_e32 v13, v100, v100
	v_min_f32_e32 v26, v13, v12
	v_max_f32_e32 v12, v13, v12
	s_cselect_b64 vcc, -1, 0
	v_cndmask_b32_e32 v13, v12, v26, vcc
	v_and_b32_e32 v12, 0x7f800000, v13
	v_cmp_ne_u32_e64 s[24:25], s35, v12
                                        ; implicit-def: $vgpr12
	s_and_saveexec_b64 s[28:29], s[24:25]
	s_xor_b64 s[24:25], exec, s[28:29]
; %bb.1033:                             ;   in Loop: Header=BB36_303 Depth=3
	v_bfe_u32 v12, v13, 16, 1
	v_add3_u32 v12, v13, v12, s8
                                        ; implicit-def: $vgpr13
; %bb.1034:                             ;   in Loop: Header=BB36_303 Depth=3
	s_andn2_saveexec_b64 s[28:29], s[24:25]
; %bb.1035:                             ;   in Loop: Header=BB36_303 Depth=3
	v_or_b32_e32 v12, 0x10000, v13
	v_cmp_eq_u32_sdwa s[24:25], v13, v3 src0_sel:WORD_0 src1_sel:DWORD
	s_nop 1
	v_cndmask_b32_e64 v12, v12, v13, s[24:25]
; %bb.1036:                             ;   in Loop: Header=BB36_303 Depth=3
	s_or_b64 exec, exec, s[28:29]
	v_max_f32_e32 v13, v98, v98
	v_max_f32_e32 v26, v97, v97
	v_min_f32_e32 v32, v26, v13
	v_max_f32_e32 v13, v26, v13
	v_cndmask_b32_e32 v26, v13, v32, vcc
	v_and_b32_e32 v13, 0x7f800000, v26
	v_cmp_ne_u32_e64 s[24:25], s35, v13
                                        ; implicit-def: $vgpr13
	s_and_saveexec_b64 s[28:29], s[24:25]
	s_xor_b64 s[24:25], exec, s[28:29]
; %bb.1037:                             ;   in Loop: Header=BB36_303 Depth=3
	v_bfe_u32 v13, v26, 16, 1
	v_add3_u32 v13, v26, v13, s8
                                        ; implicit-def: $vgpr26
; %bb.1038:                             ;   in Loop: Header=BB36_303 Depth=3
	s_andn2_saveexec_b64 s[28:29], s[24:25]
; %bb.1039:                             ;   in Loop: Header=BB36_303 Depth=3
	v_or_b32_e32 v13, 0x10000, v26
	v_cmp_eq_u32_sdwa s[24:25], v26, v3 src0_sel:WORD_0 src1_sel:DWORD
	s_nop 1
	v_cndmask_b32_e64 v13, v13, v26, s[24:25]
; %bb.1040:                             ;   in Loop: Header=BB36_303 Depth=3
	s_or_b64 exec, exec, s[28:29]
	v_max_f32_e32 v26, v96, v96
	v_max_f32_e32 v32, v86, v86
	v_min_f32_e32 v33, v32, v26
	v_max_f32_e32 v26, v32, v26
	v_cndmask_b32_e32 v32, v26, v33, vcc
	v_and_b32_e32 v26, 0x7f800000, v32
	v_cmp_ne_u32_e64 s[24:25], s35, v26
                                        ; implicit-def: $vgpr26
	s_and_saveexec_b64 s[28:29], s[24:25]
	s_xor_b64 s[24:25], exec, s[28:29]
; %bb.1041:                             ;   in Loop: Header=BB36_303 Depth=3
	v_bfe_u32 v26, v32, 16, 1
	v_add3_u32 v26, v32, v26, s8
                                        ; implicit-def: $vgpr32
; %bb.1042:                             ;   in Loop: Header=BB36_303 Depth=3
	s_andn2_saveexec_b64 s[28:29], s[24:25]
; %bb.1043:                             ;   in Loop: Header=BB36_303 Depth=3
	v_or_b32_e32 v26, 0x10000, v32
	v_cmp_eq_u32_sdwa s[24:25], v32, v3 src0_sel:WORD_0 src1_sel:DWORD
	s_nop 1
	v_cndmask_b32_e64 v26, v26, v32, s[24:25]
; %bb.1044:                             ;   in Loop: Header=BB36_303 Depth=3
	s_or_b64 exec, exec, s[28:29]
	v_max_f32_e32 v32, v85, v85
	v_max_f32_e32 v33, v84, v84
	v_min_f32_e32 v34, v33, v32
	v_max_f32_e32 v32, v33, v32
	v_cndmask_b32_e32 v33, v32, v34, vcc
	v_and_b32_e32 v32, 0x7f800000, v33
	v_cmp_ne_u32_e64 s[24:25], s35, v32
                                        ; implicit-def: $vgpr32
	s_and_saveexec_b64 s[28:29], s[24:25]
	s_xor_b64 s[24:25], exec, s[28:29]
; %bb.1045:                             ;   in Loop: Header=BB36_303 Depth=3
	v_bfe_u32 v32, v33, 16, 1
	v_add3_u32 v32, v33, v32, s8
                                        ; implicit-def: $vgpr33
; %bb.1046:                             ;   in Loop: Header=BB36_303 Depth=3
	s_andn2_saveexec_b64 s[28:29], s[24:25]
; %bb.1047:                             ;   in Loop: Header=BB36_303 Depth=3
	v_or_b32_e32 v32, 0x10000, v33
	v_cmp_eq_u32_sdwa s[24:25], v33, v3 src0_sel:WORD_0 src1_sel:DWORD
	s_nop 1
	v_cndmask_b32_e64 v32, v32, v33, s[24:25]
; %bb.1048:                             ;   in Loop: Header=BB36_303 Depth=3
	s_or_b64 exec, exec, s[28:29]
	v_max_f32_e32 v33, v83, v83
	v_max_f32_e32 v34, v81, v81
	v_min_f32_e32 v35, v34, v33
	v_max_f32_e32 v33, v34, v33
	v_cndmask_b32_e32 v34, v33, v35, vcc
	v_and_b32_e32 v33, 0x7f800000, v34
	v_cmp_ne_u32_e64 s[24:25], s35, v33
                                        ; implicit-def: $vgpr33
	s_and_saveexec_b64 s[28:29], s[24:25]
	s_xor_b64 s[24:25], exec, s[28:29]
; %bb.1049:                             ;   in Loop: Header=BB36_303 Depth=3
	v_bfe_u32 v33, v34, 16, 1
	v_add3_u32 v33, v34, v33, s8
                                        ; implicit-def: $vgpr34
; %bb.1050:                             ;   in Loop: Header=BB36_303 Depth=3
	s_andn2_saveexec_b64 s[28:29], s[24:25]
; %bb.1051:                             ;   in Loop: Header=BB36_303 Depth=3
	v_or_b32_e32 v33, 0x10000, v34
	v_cmp_eq_u32_sdwa s[24:25], v34, v3 src0_sel:WORD_0 src1_sel:DWORD
	s_nop 1
	v_cndmask_b32_e64 v33, v33, v34, s[24:25]
; %bb.1052:                             ;   in Loop: Header=BB36_303 Depth=3
	s_or_b64 exec, exec, s[28:29]
	v_max_f32_e32 v34, v80, v80
	v_max_f32_e32 v35, v70, v70
	v_min_f32_e32 v36, v35, v34
	v_max_f32_e32 v34, v35, v34
	v_cndmask_b32_e32 v35, v34, v36, vcc
	v_and_b32_e32 v34, 0x7f800000, v35
	v_cmp_ne_u32_e64 s[24:25], s35, v34
                                        ; implicit-def: $vgpr34
	s_and_saveexec_b64 s[28:29], s[24:25]
	s_xor_b64 s[24:25], exec, s[28:29]
; %bb.1053:                             ;   in Loop: Header=BB36_303 Depth=3
	v_bfe_u32 v34, v35, 16, 1
	v_add3_u32 v34, v35, v34, s8
                                        ; implicit-def: $vgpr35
; %bb.1054:                             ;   in Loop: Header=BB36_303 Depth=3
	s_andn2_saveexec_b64 s[28:29], s[24:25]
; %bb.1055:                             ;   in Loop: Header=BB36_303 Depth=3
	v_or_b32_e32 v34, 0x10000, v35
	v_cmp_eq_u32_sdwa s[24:25], v35, v3 src0_sel:WORD_0 src1_sel:DWORD
	s_nop 1
	v_cndmask_b32_e64 v34, v34, v35, s[24:25]
; %bb.1056:                             ;   in Loop: Header=BB36_303 Depth=3
	s_or_b64 exec, exec, s[28:29]
	v_max_f32_e32 v35, v69, v69
	v_max_f32_e32 v36, v67, v67
	v_min_f32_e32 v37, v36, v35
	v_max_f32_e32 v35, v36, v35
	v_cndmask_b32_e32 v36, v35, v37, vcc
	v_and_b32_e32 v35, 0x7f800000, v36
	v_cmp_ne_u32_e64 s[24:25], s35, v35
                                        ; implicit-def: $vgpr35
	s_and_saveexec_b64 s[28:29], s[24:25]
	s_xor_b64 s[24:25], exec, s[28:29]
; %bb.1057:                             ;   in Loop: Header=BB36_303 Depth=3
	v_bfe_u32 v35, v36, 16, 1
	v_add3_u32 v35, v36, v35, s8
                                        ; implicit-def: $vgpr36
; %bb.1058:                             ;   in Loop: Header=BB36_303 Depth=3
	s_andn2_saveexec_b64 s[28:29], s[24:25]
; %bb.1059:                             ;   in Loop: Header=BB36_303 Depth=3
	v_or_b32_e32 v35, 0x10000, v36
	v_cmp_eq_u32_sdwa s[24:25], v36, v3 src0_sel:WORD_0 src1_sel:DWORD
	s_nop 1
	v_cndmask_b32_e64 v35, v35, v36, s[24:25]
; %bb.1060:                             ;   in Loop: Header=BB36_303 Depth=3
	s_or_b64 exec, exec, s[28:29]
	v_max_f32_e32 v36, v66, v66
	v_max_f32_e32 v37, v64, v64
	v_min_f32_e32 v38, v37, v36
	v_max_f32_e32 v36, v37, v36
	v_cndmask_b32_e32 v37, v36, v38, vcc
	v_and_b32_e32 v36, 0x7f800000, v37
	v_cmp_ne_u32_e64 s[24:25], s35, v36
                                        ; implicit-def: $vgpr36
	s_and_saveexec_b64 s[28:29], s[24:25]
	s_xor_b64 s[24:25], exec, s[28:29]
; %bb.1061:                             ;   in Loop: Header=BB36_303 Depth=3
	v_bfe_u32 v36, v37, 16, 1
	v_add3_u32 v36, v37, v36, s8
                                        ; implicit-def: $vgpr37
; %bb.1062:                             ;   in Loop: Header=BB36_303 Depth=3
	s_andn2_saveexec_b64 s[28:29], s[24:25]
; %bb.1063:                             ;   in Loop: Header=BB36_303 Depth=3
	v_or_b32_e32 v36, 0x10000, v37
	v_cmp_eq_u32_sdwa s[24:25], v37, v3 src0_sel:WORD_0 src1_sel:DWORD
	s_nop 1
	v_cndmask_b32_e64 v36, v36, v37, s[24:25]
; %bb.1064:                             ;   in Loop: Header=BB36_303 Depth=3
	s_or_b64 exec, exec, s[28:29]
	v_max_f32_e32 v37, v55, v55
	v_max_f32_e32 v38, v54, v54
	v_min_f32_e32 v39, v38, v37
	v_max_f32_e32 v37, v38, v37
	v_cndmask_b32_e32 v38, v37, v39, vcc
	v_and_b32_e32 v37, 0x7f800000, v38
	v_cmp_ne_u32_e64 s[24:25], s35, v37
                                        ; implicit-def: $vgpr37
	s_and_saveexec_b64 s[28:29], s[24:25]
	s_xor_b64 s[24:25], exec, s[28:29]
; %bb.1065:                             ;   in Loop: Header=BB36_303 Depth=3
	v_bfe_u32 v37, v38, 16, 1
	v_add3_u32 v37, v38, v37, s8
                                        ; implicit-def: $vgpr38
; %bb.1066:                             ;   in Loop: Header=BB36_303 Depth=3
	s_andn2_saveexec_b64 s[28:29], s[24:25]
; %bb.1067:                             ;   in Loop: Header=BB36_303 Depth=3
	v_or_b32_e32 v37, 0x10000, v38
	v_cmp_eq_u32_sdwa s[24:25], v38, v3 src0_sel:WORD_0 src1_sel:DWORD
	s_nop 1
	v_cndmask_b32_e64 v37, v37, v38, s[24:25]
; %bb.1068:                             ;   in Loop: Header=BB36_303 Depth=3
	s_or_b64 exec, exec, s[28:29]
	v_max_f32_e32 v38, v52, v52
	v_max_f32_e32 v39, v51, v51
	v_min_f32_e32 v48, v39, v38
	v_max_f32_e32 v38, v39, v38
	v_cndmask_b32_e32 v39, v38, v48, vcc
	v_and_b32_e32 v38, 0x7f800000, v39
	v_cmp_ne_u32_e64 s[24:25], s35, v38
                                        ; implicit-def: $vgpr38
	s_and_saveexec_b64 s[28:29], s[24:25]
	s_xor_b64 s[24:25], exec, s[28:29]
; %bb.1069:                             ;   in Loop: Header=BB36_303 Depth=3
	v_bfe_u32 v38, v39, 16, 1
	v_add3_u32 v38, v39, v38, s8
                                        ; implicit-def: $vgpr39
; %bb.1070:                             ;   in Loop: Header=BB36_303 Depth=3
	s_andn2_saveexec_b64 s[28:29], s[24:25]
; %bb.1071:                             ;   in Loop: Header=BB36_303 Depth=3
	v_or_b32_e32 v38, 0x10000, v39
	v_cmp_eq_u32_sdwa s[24:25], v39, v3 src0_sel:WORD_0 src1_sel:DWORD
	s_nop 1
	v_cndmask_b32_e64 v38, v38, v39, s[24:25]
; %bb.1072:                             ;   in Loop: Header=BB36_303 Depth=3
	s_or_b64 exec, exec, s[28:29]
	v_max_f32_e32 v30, v30, v30
	v_max_f32_e32 v27, v27, v27
	v_min_f32_e32 v39, v27, v30
	v_max_f32_e32 v27, v27, v30
	v_cndmask_b32_e32 v30, v27, v39, vcc
	v_and_b32_e32 v27, 0x7f800000, v30
	v_cmp_ne_u32_e64 s[24:25], s35, v27
                                        ; implicit-def: $vgpr27
	s_and_saveexec_b64 s[28:29], s[24:25]
	s_xor_b64 s[24:25], exec, s[28:29]
; %bb.1073:                             ;   in Loop: Header=BB36_303 Depth=3
	v_bfe_u32 v27, v30, 16, 1
	v_add3_u32 v27, v30, v27, s8
                                        ; implicit-def: $vgpr30
; %bb.1074:                             ;   in Loop: Header=BB36_303 Depth=3
	s_andn2_saveexec_b64 s[28:29], s[24:25]
; %bb.1075:                             ;   in Loop: Header=BB36_303 Depth=3
	v_or_b32_e32 v27, 0x10000, v30
	v_cmp_eq_u32_sdwa s[24:25], v30, v3 src0_sel:WORD_0 src1_sel:DWORD
	s_nop 1
	v_cndmask_b32_e64 v27, v27, v30, s[24:25]
; %bb.1076:                             ;   in Loop: Header=BB36_303 Depth=3
	s_or_b64 exec, exec, s[28:29]
	v_max_f32_e32 v25, v25, v25
	v_max_f32_e32 v24, v24, v24
	v_min_f32_e32 v30, v24, v25
	v_max_f32_e32 v24, v24, v25
	v_cndmask_b32_e32 v25, v24, v30, vcc
	v_and_b32_e32 v24, 0x7f800000, v25
	v_cmp_ne_u32_e64 s[24:25], s35, v24
                                        ; implicit-def: $vgpr24
	s_and_saveexec_b64 s[28:29], s[24:25]
	s_xor_b64 s[24:25], exec, s[28:29]
; %bb.1077:                             ;   in Loop: Header=BB36_303 Depth=3
	v_bfe_u32 v24, v25, 16, 1
	v_add3_u32 v24, v25, v24, s8
                                        ; implicit-def: $vgpr25
; %bb.1078:                             ;   in Loop: Header=BB36_303 Depth=3
	s_andn2_saveexec_b64 s[28:29], s[24:25]
; %bb.1079:                             ;   in Loop: Header=BB36_303 Depth=3
	v_or_b32_e32 v24, 0x10000, v25
	v_cmp_eq_u32_sdwa s[24:25], v25, v3 src0_sel:WORD_0 src1_sel:DWORD
	s_nop 1
	v_cndmask_b32_e64 v24, v24, v25, s[24:25]
; %bb.1080:                             ;   in Loop: Header=BB36_303 Depth=3
	s_or_b64 exec, exec, s[28:29]
	v_max_f32_e32 v23, v23, v23
	v_max_f32_e32 v22, v22, v22
	v_min_f32_e32 v25, v22, v23
	v_max_f32_e32 v22, v22, v23
	v_cndmask_b32_e32 v23, v22, v25, vcc
	v_and_b32_e32 v22, 0x7f800000, v23
	v_cmp_ne_u32_e64 s[24:25], s35, v22
                                        ; implicit-def: $vgpr22
	s_and_saveexec_b64 s[28:29], s[24:25]
	s_xor_b64 s[24:25], exec, s[28:29]
; %bb.1081:                             ;   in Loop: Header=BB36_303 Depth=3
	v_bfe_u32 v22, v23, 16, 1
	v_add3_u32 v22, v23, v22, s8
                                        ; implicit-def: $vgpr23
; %bb.1082:                             ;   in Loop: Header=BB36_303 Depth=3
	s_andn2_saveexec_b64 s[28:29], s[24:25]
; %bb.1083:                             ;   in Loop: Header=BB36_303 Depth=3
	v_or_b32_e32 v22, 0x10000, v23
	v_cmp_eq_u32_sdwa s[24:25], v23, v3 src0_sel:WORD_0 src1_sel:DWORD
	s_nop 1
	v_cndmask_b32_e64 v22, v22, v23, s[24:25]
; %bb.1084:                             ;   in Loop: Header=BB36_303 Depth=3
	s_or_b64 exec, exec, s[28:29]
	v_max_f32_e32 v21, v21, v21
	v_max_f32_e32 v20, v20, v20
	v_min_f32_e32 v23, v20, v21
	v_max_f32_e32 v20, v20, v21
	v_cndmask_b32_e32 v21, v20, v23, vcc
	v_and_b32_e32 v20, 0x7f800000, v21
	v_cmp_ne_u32_e64 s[24:25], s35, v20
                                        ; implicit-def: $vgpr20
	s_and_saveexec_b64 s[28:29], s[24:25]
	s_xor_b64 s[24:25], exec, s[28:29]
; %bb.1085:                             ;   in Loop: Header=BB36_303 Depth=3
	v_bfe_u32 v20, v21, 16, 1
	v_add3_u32 v20, v21, v20, s8
                                        ; implicit-def: $vgpr21
; %bb.1086:                             ;   in Loop: Header=BB36_303 Depth=3
	s_andn2_saveexec_b64 s[28:29], s[24:25]
; %bb.1087:                             ;   in Loop: Header=BB36_303 Depth=3
	v_or_b32_e32 v20, 0x10000, v21
	v_cmp_eq_u32_sdwa s[24:25], v21, v3 src0_sel:WORD_0 src1_sel:DWORD
	s_nop 1
	v_cndmask_b32_e64 v20, v20, v21, s[24:25]
; %bb.1088:                             ;   in Loop: Header=BB36_303 Depth=3
	s_or_b64 exec, exec, s[28:29]
	v_max_f32_e32 v19, v19, v19
	v_max_f32_e32 v18, v18, v18
	v_min_f32_e32 v21, v18, v19
	v_max_f32_e32 v18, v18, v19
	v_cndmask_b32_e32 v19, v18, v21, vcc
	v_and_b32_e32 v18, 0x7f800000, v19
	v_cmp_ne_u32_e64 s[24:25], s35, v18
                                        ; implicit-def: $vgpr18
	s_and_saveexec_b64 s[28:29], s[24:25]
	s_xor_b64 s[24:25], exec, s[28:29]
; %bb.1089:                             ;   in Loop: Header=BB36_303 Depth=3
	v_bfe_u32 v18, v19, 16, 1
	v_add3_u32 v18, v19, v18, s8
                                        ; implicit-def: $vgpr19
; %bb.1090:                             ;   in Loop: Header=BB36_303 Depth=3
	s_andn2_saveexec_b64 s[28:29], s[24:25]
; %bb.1091:                             ;   in Loop: Header=BB36_303 Depth=3
	v_or_b32_e32 v18, 0x10000, v19
	v_cmp_eq_u32_sdwa s[24:25], v19, v3 src0_sel:WORD_0 src1_sel:DWORD
	s_nop 1
	v_cndmask_b32_e64 v18, v18, v19, s[24:25]
; %bb.1092:                             ;   in Loop: Header=BB36_303 Depth=3
	s_or_b64 exec, exec, s[28:29]
	v_max_f32_e32 v11, v11, v11
	v_max_f32_e32 v10, v10, v10
	v_min_f32_e32 v19, v10, v11
	v_max_f32_e32 v10, v10, v11
	v_cndmask_b32_e32 v11, v10, v19, vcc
	v_and_b32_e32 v10, 0x7f800000, v11
	v_cmp_ne_u32_e32 vcc, s35, v10
                                        ; implicit-def: $vgpr10
	s_and_saveexec_b64 s[24:25], vcc
	s_xor_b64 s[24:25], exec, s[24:25]
; %bb.1093:                             ;   in Loop: Header=BB36_303 Depth=3
	v_bfe_u32 v10, v11, 16, 1
	v_add3_u32 v10, v11, v10, s8
                                        ; implicit-def: $vgpr11
; %bb.1094:                             ;   in Loop: Header=BB36_303 Depth=3
	s_andn2_saveexec_b64 s[24:25], s[24:25]
; %bb.1095:                             ;   in Loop: Header=BB36_303 Depth=3
	v_or_b32_e32 v10, 0x10000, v11
	v_cmp_eq_u32_sdwa vcc, v11, v3 src0_sel:WORD_0 src1_sel:DWORD
	s_nop 1
	v_cndmask_b32_e32 v10, v10, v11, vcc
; %bb.1096:                             ;   in Loop: Header=BB36_303 Depth=3
	s_or_b64 exec, exec, s[24:25]
	flat_store_short_d16_hi v[8:9], v12 nt
	flat_store_short_d16_hi v[8:9], v13 offset:128 nt
	flat_store_short_d16_hi v[8:9], v26 offset:256 nt
	;; [unrolled: 1-line block ×15, first 2 shown]
.LBB36_1097:                            ;   in Loop: Header=BB36_303 Depth=3
	s_or_b64 exec, exec, s[26:27]
	v_lshlrev_b32_e32 v8, 11, v16
	v_cmp_ne_u32_e32 vcc, v7, v8
	s_and_b64 exec, exec, vcc
	s_cbranch_execz .LBB36_1122
; %bb.1098:                             ;   in Loop: Header=BB36_303 Depth=3
	v_lshlrev_b32_e32 v9, 6, v17
	v_sub_u32_e32 v9, v15, v9
	v_ashrrev_i32_e32 v10, 31, v9
	v_lshrrev_b32_e32 v10, 26, v10
	v_add_u32_e32 v10, v9, v10
	v_and_b32_e32 v11, 0x7fffffc0, v10
	v_sub_u32_e32 v9, v9, v11
	v_lshlrev_b32_e32 v10, 1, v10
	v_and_b32_e32 v10, 0xffffff80, v10
	v_lshlrev_b32_e32 v9, 1, v9
	v_add3_u32 v8, v10, v9, v8
	v_sub_u32_e32 v7, v7, v8
	v_cmp_lt_i32_e32 vcc, 1, v7
	s_and_b64 exec, exec, vcc
	s_cbranch_execz .LBB36_1122
; %bb.1099:                             ;   in Loop: Header=BB36_303 Depth=3
	s_trap 2
	ds_read_b64 v[12:13], v0
	v_add_u32_e32 v14, v8, v14
	s_and_b32 s24, s68, 0xff
	v_ashrrev_i32_e32 v15, 31, v14
	s_cmp_eq_u32 s24, 0
	v_lshl_add_u64 v[8:9], v[118:119], 0, v[14:15]
	v_lshl_add_u64 v[10:11], v[14:15], 0, v[0:1]
	s_waitcnt lgkmcnt(0)
	v_lshl_add_u64 v[0:1], v[12:13], 0, v[14:15]
	s_mov_b64 s[60:61], 0
	s_mov_b64 s[46:47], 0
	s_cselect_b64 s[24:25], -1, 0
                                        ; implicit-def: $sgpr58_sgpr59
	s_branch .LBB36_1101
.LBB36_1100:                            ;   in Loop: Header=BB36_1101 Depth=4
	s_or_b64 exec, exec, s[26:27]
	v_lshrrev_b32_e32 v12, 16, v13
	scratch_store_short off, v12, s33 offset:192
	flat_store_short v[8:9], v12 nt
	scratch_load_dwordx2 v[18:19], off, s33 offset:256 ; 8-byte Folded Reload
	v_lshl_add_u64 v[12:13], v[10:11], 0, v[104:105]
	v_cndmask_b32_e64 v10, v10, v12, s[60:61]
	v_cndmask_b32_e64 v12, 0, v59, s[60:61]
	v_sub_u32_e32 v7, v7, v12
	v_cmp_gt_i32_e32 vcc, 2, v7
	v_mov_b32_e32 v16, 0x80
	s_or_b64 s[46:47], vcc, s[46:47]
	v_lshl_add_u64 v[14:15], v[0:1], 0, v[104:105]
	s_andn2_b64 s[26:27], s[58:59], exec
	s_and_b64 s[28:29], s[60:61], exec
	v_cndmask_b32_e64 v1, v1, v15, s[60:61]
	v_cndmask_b32_e64 v0, v0, v14, s[60:61]
	;; [unrolled: 1-line block ×3, first 2 shown]
	s_or_b64 s[58:59], s[26:27], s[28:29]
	s_waitcnt vmcnt(0)
	v_cndmask_b32_e64 v17, 0, v19, s[60:61]
	v_cndmask_b32_e64 v16, v16, v18, s[60:61]
	v_lshl_add_u64 v[8:9], v[8:9], 0, v[16:17]
	s_andn2_b64 exec, exec, s[46:47]
	s_cbranch_execz .LBB36_1116
.LBB36_1101:                            ;   Parent Loop BB36_47 Depth=1
                                        ;     Parent Loop BB36_300 Depth=2
                                        ;       Parent Loop BB36_303 Depth=3
                                        ; =>      This Loop Header: Depth=4
                                        ;           Child Loop BB36_1102 Depth 5
                                        ;           Child Loop BB36_1111 Depth 5
	s_add_i32 s26, s33, 0xc0
	s_mov_b32 s64, s26
	s_mov_b64 s[52:53], -1
	s_mov_b64 s[54:55], 0
.LBB36_1102:                            ;   Parent Loop BB36_47 Depth=1
                                        ;     Parent Loop BB36_300 Depth=2
                                        ;       Parent Loop BB36_303 Depth=3
                                        ;         Parent Loop BB36_1101 Depth=4
                                        ; =>        This Inner Loop Header: Depth=5
	s_cmp_eq_u32 s54, 1
	s_cselect_b64 vcc, -1, 0
	v_cndmask_b32_e32 v13, v11, v1, vcc
	v_cndmask_b32_e32 v12, v10, v0, vcc
	flat_load_ushort v14, v[12:13] nt
	s_cmp_eq_u32 s54, 0
	v_lshl_add_u64 v[12:13], v[12:13], 0, s[92:93]
	s_cselect_b64 s[26:27], -1, 0
	s_and_b64 s[28:29], exec, s[52:53]
	v_cndmask_b32_e64 v11, v11, v13, s[26:27]
	v_cndmask_b32_e64 v10, v10, v12, s[26:27]
	s_add_i32 s26, s33, 0xe0
	s_mov_b64 s[54:55], 1
	s_mov_b64 s[52:53], 0
	v_cndmask_b32_e32 v1, v1, v13, vcc
	v_cndmask_b32_e32 v0, v0, v12, vcc
	s_mov_b64 vcc, s[28:29]
	s_waitcnt vmcnt(0) lgkmcnt(0)
	scratch_store_short off, v14, s64
	s_mov_b32 s64, s26
	s_cbranch_vccnz .LBB36_1102
; %bb.1103:                             ;   in Loop: Header=BB36_1101 Depth=4
	s_and_saveexec_b64 s[26:27], s[60:61]
	s_cbranch_execz .LBB36_1109
; %bb.1104:                             ;   in Loop: Header=BB36_1101 Depth=4
	scratch_load_ushort v12, off, s33 offset:184
	scratch_load_ushort v13, off, s33 offset:186
	s_waitcnt vmcnt(1)
	v_lshlrev_b32_e32 v12, 16, v12
	s_waitcnt vmcnt(0)
	v_lshlrev_b32_e32 v13, 16, v13
	v_max_f32_e32 v13, v13, v13
	v_max_f32_e32 v12, v12, v12
	v_min_f32_e32 v14, v12, v13
	v_max_f32_e32 v12, v12, v13
	v_cndmask_b32_e64 v12, v12, v14, s[24:25]
	v_and_b32_e32 v13, 0x7f800000, v12
	v_cmp_ne_u32_e32 vcc, s35, v13
                                        ; implicit-def: $vgpr13
	s_and_saveexec_b64 s[28:29], vcc
	s_xor_b64 s[28:29], exec, s[28:29]
; %bb.1105:                             ;   in Loop: Header=BB36_1101 Depth=4
	v_bfe_u32 v13, v12, 16, 1
	v_add3_u32 v13, v12, v13, s8
                                        ; implicit-def: $vgpr12
; %bb.1106:                             ;   in Loop: Header=BB36_1101 Depth=4
	s_andn2_saveexec_b64 s[28:29], s[28:29]
; %bb.1107:                             ;   in Loop: Header=BB36_1101 Depth=4
	v_or_b32_e32 v13, 0x10000, v12
	v_cmp_eq_u32_sdwa vcc, v12, v3 src0_sel:WORD_0 src1_sel:DWORD
	s_nop 1
	v_cndmask_b32_e32 v13, v13, v12, vcc
; %bb.1108:                             ;   in Loop: Header=BB36_1101 Depth=4
	s_or_b64 exec, exec, s[28:29]
	v_lshrrev_b32_e32 v12, 16, v13
	scratch_store_short off, v12, s33 offset:184
	flat_store_short v[8:9], v12 nt
	scratch_load_dwordx2 v[12:13], off, s33 offset:256 ; 8-byte Folded Reload
	s_waitcnt vmcnt(0)
	v_lshl_add_u64 v[8:9], v[8:9], 0, v[12:13]
.LBB36_1109:                            ;   in Loop: Header=BB36_1101 Depth=4
	s_or_b64 exec, exec, s[26:27]
	v_sub_u32_e32 v7, v7, v59
	v_lshl_add_u64 v[10:11], v[10:11], 0, v[104:105]
	v_lshl_add_u64 v[0:1], v[0:1], 0, v[104:105]
	v_cmp_lt_i32_e64 s[60:61], 1, v7
	s_and_saveexec_b64 s[52:53], s[60:61]
	s_cbranch_execz .LBB36_1112
; %bb.1110:                             ;   in Loop: Header=BB36_1101 Depth=4
	s_add_i32 s26, s33, 0xb8
	s_mov_b32 s66, s26
	s_mov_b64 s[64:65], 0
	s_mov_b64 s[54:55], -1
.LBB36_1111:                            ;   Parent Loop BB36_47 Depth=1
                                        ;     Parent Loop BB36_300 Depth=2
                                        ;       Parent Loop BB36_303 Depth=3
                                        ;         Parent Loop BB36_1101 Depth=4
                                        ; =>        This Inner Loop Header: Depth=5
	s_cmp_eq_u32 s64, 1
	s_cselect_b64 vcc, -1, 0
	v_cndmask_b32_e32 v13, v11, v1, vcc
	v_cndmask_b32_e32 v12, v10, v0, vcc
	flat_load_ushort v14, v[12:13] nt
	s_cmp_eq_u32 s64, 0
	v_lshl_add_u64 v[12:13], v[12:13], 0, s[92:93]
	s_cselect_b64 s[26:27], -1, 0
	s_and_b64 s[28:29], exec, s[54:55]
	v_cndmask_b32_e64 v11, v11, v13, s[26:27]
	v_cndmask_b32_e64 v10, v10, v12, s[26:27]
	s_add_i32 s26, s33, 0xba
	s_mov_b64 s[64:65], 1
	s_mov_b64 s[54:55], 0
	v_cndmask_b32_e32 v1, v1, v13, vcc
	v_cndmask_b32_e32 v0, v0, v12, vcc
	s_mov_b64 vcc, s[28:29]
	s_waitcnt vmcnt(0) lgkmcnt(0)
	scratch_store_short off, v14, s66
	s_mov_b32 s66, s26
	s_cbranch_vccnz .LBB36_1111
.LBB36_1112:                            ;   in Loop: Header=BB36_1101 Depth=4
	s_or_b64 exec, exec, s[52:53]
	scratch_load_ushort v12, off, s33 offset:192
	scratch_load_ushort v13, off, s33 offset:224
	s_waitcnt vmcnt(0)
	v_lshlrev_b32_e32 v12, 16, v12
	v_lshlrev_b32_e32 v13, 16, v13
	v_max_f32_e32 v13, v13, v13
	v_max_f32_e32 v12, v12, v12
	v_min_f32_e32 v14, v12, v13
	v_max_f32_e32 v12, v12, v13
	v_cndmask_b32_e64 v12, v12, v14, s[24:25]
	v_and_b32_e32 v13, 0x7f800000, v12
	v_cmp_ne_u32_e32 vcc, s35, v13
                                        ; implicit-def: $vgpr13
	s_and_saveexec_b64 s[26:27], vcc
	s_xor_b64 s[26:27], exec, s[26:27]
; %bb.1113:                             ;   in Loop: Header=BB36_1101 Depth=4
	v_bfe_u32 v13, v12, 16, 1
	v_add3_u32 v13, v12, v13, s8
                                        ; implicit-def: $vgpr12
; %bb.1114:                             ;   in Loop: Header=BB36_1101 Depth=4
	s_andn2_saveexec_b64 s[26:27], s[26:27]
	s_cbranch_execz .LBB36_1100
; %bb.1115:                             ;   in Loop: Header=BB36_1101 Depth=4
	v_or_b32_e32 v13, 0x10000, v12
	v_cmp_eq_u32_sdwa vcc, v12, v3 src0_sel:WORD_0 src1_sel:DWORD
	s_nop 1
	v_cndmask_b32_e32 v13, v13, v12, vcc
	s_branch .LBB36_1100
.LBB36_1116:                            ;   in Loop: Header=BB36_303 Depth=3
	s_or_b64 exec, exec, s[46:47]
	s_and_b64 exec, exec, s[58:59]
	s_cbranch_execz .LBB36_1122
; %bb.1117:                             ;   in Loop: Header=BB36_303 Depth=3
	scratch_load_ushort v0, off, s33 offset:184
	scratch_load_ushort v1, off, s33 offset:186
	s_waitcnt vmcnt(0)
	v_lshlrev_b32_e32 v0, 16, v0
	v_lshlrev_b32_e32 v1, 16, v1
	v_max_f32_e32 v1, v1, v1
	v_max_f32_e32 v0, v0, v0
	v_min_f32_e32 v7, v0, v1
	v_max_f32_e32 v0, v0, v1
	v_cndmask_b32_e64 v0, v0, v7, s[24:25]
	v_and_b32_e32 v1, 0x7f800000, v0
	v_cmp_ne_u32_e32 vcc, s35, v1
                                        ; implicit-def: $vgpr1
	s_and_saveexec_b64 s[24:25], vcc
	s_xor_b64 s[24:25], exec, s[24:25]
; %bb.1118:                             ;   in Loop: Header=BB36_303 Depth=3
	v_bfe_u32 v1, v0, 16, 1
	v_add3_u32 v1, v0, v1, s8
                                        ; implicit-def: $vgpr0
; %bb.1119:                             ;   in Loop: Header=BB36_303 Depth=3
	s_andn2_saveexec_b64 s[24:25], s[24:25]
; %bb.1120:                             ;   in Loop: Header=BB36_303 Depth=3
	v_or_b32_e32 v1, 0x10000, v0
	v_cmp_eq_u32_sdwa vcc, v0, v3 src0_sel:WORD_0 src1_sel:DWORD
	s_nop 1
	v_cndmask_b32_e32 v1, v1, v0, vcc
; %bb.1121:                             ;   in Loop: Header=BB36_303 Depth=3
	s_or_b64 exec, exec, s[24:25]
	flat_store_short_d16_hi v[8:9], v1 nt
.LBB36_1122:                            ;   in Loop: Header=BB36_303 Depth=3
	s_or_b64 exec, exec, s[56:57]
	v_cmp_lt_i32_e64 s[24:25], 0, v2
	s_and_saveexec_b64 s[26:27], s[4:5]
	s_cbranch_execz .LBB36_378
.LBB36_1123:                            ;   in Loop: Header=BB36_303 Depth=3
	s_and_saveexec_b64 s[28:29], s[76:77]
	s_xor_b64 s[28:29], exec, s[28:29]
	s_cbranch_execz .LBB36_1138
; %bb.1124:                             ;   in Loop: Header=BB36_303 Depth=3
	s_and_saveexec_b64 s[46:47], s[12:13]
	s_cbranch_execz .LBB36_1137
; %bb.1125:                             ;   in Loop: Header=BB36_303 Depth=3
	s_mov_b64 s[58:59], exec
	v_mbcnt_lo_u32_b32 v0, s58, 0
	v_mbcnt_hi_u32_b32 v0, s59, v0
	v_cmp_eq_u32_e32 vcc, 0, v0
	s_waitcnt lgkmcnt(0)
	s_and_saveexec_b64 s[56:57], vcc
	s_cbranch_execz .LBB36_1127
; %bb.1126:                             ;   in Loop: Header=BB36_303 Depth=3
	s_bcnt1_i32_b64 s58, s[58:59]
	v_mov_b32_e32 v2, s58
	ds_add_u64 v0, v[2:3]
	s_trap 2
.LBB36_1127:                            ;   in Loop: Header=BB36_303 Depth=3
	s_or_b64 exec, exec, s[56:57]
	s_trap 2
	ds_read_b64 v[0:1], v0
	s_waitcnt lgkmcnt(0)
	v_lshl_add_u64 v[56:57], v[56:57], 0, v[60:61]
	v_cmp_lt_u64_e32 vcc, v[0:1], v[56:57]
	s_and_saveexec_b64 s[56:57], vcc
	s_cbranch_execz .LBB36_1136
; %bb.1128:                             ;   in Loop: Header=BB36_303 Depth=3
	s_mov_b32 s66, 0
	s_mov_b64 s[58:59], 0
                                        ; implicit-def: $sgpr60_sgpr61
                                        ; implicit-def: $sgpr52_sgpr53
	s_branch .LBB36_1130
.LBB36_1129:                            ;   in Loop: Header=BB36_1130 Depth=4
	s_or_b64 exec, exec, s[64:65]
	s_and_b64 vcc, exec, vcc
	s_or_b64 s[58:59], vcc, s[58:59]
	s_andn2_b64 s[60:61], s[60:61], exec
	s_and_b64 vcc, s[52:53], exec
	s_or_b64 s[60:61], s[60:61], vcc
	s_andn2_b64 exec, exec, s[58:59]
	s_cbranch_execz .LBB36_1134
.LBB36_1130:                            ;   Parent Loop BB36_47 Depth=1
                                        ;     Parent Loop BB36_300 Depth=2
                                        ;       Parent Loop BB36_303 Depth=3
                                        ; =>      This Inner Loop Header: Depth=4
	s_add_i32 s66, s66, 1
	s_cmpk_lg_i32 s66, 0x2710
	s_cselect_b64 s[54:55], -1, 0
	s_and_b64 vcc, exec, s[54:55]
	s_cbranch_vccz .LBB36_1132
; %bb.1131:                             ;   in Loop: Header=BB36_1130 Depth=4
	s_mov_b64 vcc, -1
	s_or_b64 s[52:53], s[52:53], exec
	s_and_saveexec_b64 s[64:65], s[54:55]
	s_cbranch_execz .LBB36_1129
	s_branch .LBB36_1133
.LBB36_1132:                            ;   in Loop: Header=BB36_1130 Depth=4
	s_trap 2
	ds_read_b64 v[0:1], v0
	s_andn2_b64 s[54:55], s[54:55], exec
	s_mov_b32 s66, 0
	s_waitcnt vmcnt(0) lgkmcnt(0)
	flat_load_dword v0, v[0:1] sc0 sc1
	s_waitcnt vmcnt(0) lgkmcnt(0)
	buffer_inv sc0 sc1
	v_cmp_eq_u32_e32 vcc, 0, v0
	s_and_b64 vcc, vcc, exec
	s_or_b64 s[54:55], s[54:55], vcc
	s_mov_b64 vcc, -1
	s_or_b64 s[52:53], s[52:53], exec
	s_and_saveexec_b64 s[64:65], s[54:55]
	s_cbranch_execz .LBB36_1129
.LBB36_1133:                            ;   in Loop: Header=BB36_1130 Depth=4
	s_sleep 1
	s_trap 2
	ds_read_b64 v[0:1], v0
	s_waitcnt lgkmcnt(0)
	s_andn2_b64 s[52:53], s[52:53], exec
	v_cmp_ge_u64_e32 vcc, v[0:1], v[56:57]
	s_orn2_b64 vcc, vcc, exec
	s_branch .LBB36_1129
.LBB36_1134:                            ;   in Loop: Header=BB36_303 Depth=3
	s_or_b64 exec, exec, s[58:59]
	s_and_saveexec_b64 s[58:59], s[60:61]
	s_xor_b64 s[58:59], exec, s[58:59]
	s_cbranch_execz .LBB36_1136
; %bb.1135:                             ;   in Loop: Header=BB36_303 Depth=3
	v_mov_b32_e32 v0, 1
	ds_write_b32 v0, v0
	s_trap 2
.LBB36_1136:                            ;   in Loop: Header=BB36_303 Depth=3
	s_or_b64 exec, exec, s[56:57]
	;;#ASMSTART
	s_wakeup
	;;#ASMEND
.LBB36_1137:                            ;   in Loop: Header=BB36_303 Depth=3
	s_or_b64 exec, exec, s[46:47]
.LBB36_1138:                            ;   in Loop: Header=BB36_303 Depth=3
	s_andn2_saveexec_b64 s[28:29], s[28:29]
	s_cbranch_execz .LBB36_1140
; %bb.1139:                             ;   in Loop: Header=BB36_303 Depth=3
	s_waitcnt lgkmcnt(0)
	s_barrier
.LBB36_1140:                            ;   in Loop: Header=BB36_303 Depth=3
	s_or_b64 exec, exec, s[28:29]
	s_or_b64 exec, exec, s[26:27]
                                        ; implicit-def: $vgpr0
	s_and_saveexec_b64 s[26:27], s[20:21]
	s_xor_b64 s[26:27], exec, s[26:27]
	s_cbranch_execnz .LBB36_379
.LBB36_1141:                            ;   in Loop: Header=BB36_303 Depth=3
	s_andn2_saveexec_b64 s[24:25], s[26:27]
	s_cbranch_execz .LBB36_1160
.LBB36_1142:                            ;   in Loop: Header=BB36_303 Depth=3
	s_and_saveexec_b64 s[26:27], s[76:77]
	s_xor_b64 s[26:27], exec, s[26:27]
	s_cbranch_execz .LBB36_1157
; %bb.1143:                             ;   in Loop: Header=BB36_303 Depth=3
	s_and_saveexec_b64 s[28:29], s[12:13]
	s_cbranch_execz .LBB36_1156
; %bb.1144:                             ;   in Loop: Header=BB36_303 Depth=3
	s_mov_b64 s[56:57], exec
	v_mbcnt_lo_u32_b32 v0, s56, 0
	v_mbcnt_hi_u32_b32 v0, s57, v0
	v_cmp_eq_u32_e32 vcc, 0, v0
	;;#ASMSTART
	s_waitcnt lgkmcnt(0) vmcnt(0)
	;;#ASMEND
	s_and_saveexec_b64 s[46:47], vcc
	s_cbranch_execz .LBB36_1146
; %bb.1145:                             ;   in Loop: Header=BB36_303 Depth=3
	s_bcnt1_i32_b64 s56, s[56:57]
	v_mov_b32_e32 v2, s56
	s_waitcnt lgkmcnt(0)
	ds_add_u64 v0, v[2:3]
	s_trap 2
.LBB36_1146:                            ;   in Loop: Header=BB36_303 Depth=3
	s_or_b64 exec, exec, s[46:47]
	s_trap 2
	ds_read_b64 v[0:1], v0
	s_waitcnt lgkmcnt(0)
	v_lshl_add_u64 v[56:57], v[56:57], 0, v[60:61]
	v_cmp_lt_u64_e32 vcc, v[0:1], v[56:57]
	s_and_saveexec_b64 s[46:47], vcc
	s_cbranch_execz .LBB36_1155
; %bb.1147:                             ;   in Loop: Header=BB36_303 Depth=3
	s_mov_b32 s64, 0
	s_mov_b64 s[56:57], 0
                                        ; implicit-def: $sgpr58_sgpr59
                                        ; implicit-def: $sgpr60_sgpr61
	s_branch .LBB36_1149
.LBB36_1148:                            ;   in Loop: Header=BB36_1149 Depth=4
	s_or_b64 exec, exec, s[54:55]
	s_and_b64 vcc, exec, vcc
	s_or_b64 s[56:57], vcc, s[56:57]
	s_andn2_b64 s[58:59], s[58:59], exec
	s_and_b64 vcc, s[60:61], exec
	s_or_b64 s[58:59], s[58:59], vcc
	s_andn2_b64 exec, exec, s[56:57]
	s_cbranch_execz .LBB36_1153
.LBB36_1149:                            ;   Parent Loop BB36_47 Depth=1
                                        ;     Parent Loop BB36_300 Depth=2
                                        ;       Parent Loop BB36_303 Depth=3
                                        ; =>      This Inner Loop Header: Depth=4
	s_add_i32 s64, s64, 1
	s_cmpk_lg_i32 s64, 0x2710
	s_cselect_b64 s[52:53], -1, 0
	s_and_b64 vcc, exec, s[52:53]
	s_cbranch_vccz .LBB36_1151
; %bb.1150:                             ;   in Loop: Header=BB36_1149 Depth=4
	s_mov_b64 vcc, -1
	s_or_b64 s[60:61], s[60:61], exec
	s_and_saveexec_b64 s[54:55], s[52:53]
	s_cbranch_execz .LBB36_1148
	s_branch .LBB36_1152
.LBB36_1151:                            ;   in Loop: Header=BB36_1149 Depth=4
	s_trap 2
	ds_read_b64 v[0:1], v0
	s_andn2_b64 s[52:53], s[52:53], exec
	s_mov_b32 s64, 0
	s_waitcnt vmcnt(0) lgkmcnt(0)
	flat_load_dword v0, v[0:1] sc0 sc1
	s_waitcnt vmcnt(0) lgkmcnt(0)
	buffer_inv sc0 sc1
	v_cmp_eq_u32_e32 vcc, 0, v0
	s_and_b64 vcc, vcc, exec
	s_or_b64 s[52:53], s[52:53], vcc
	s_mov_b64 vcc, -1
	s_or_b64 s[60:61], s[60:61], exec
	s_and_saveexec_b64 s[54:55], s[52:53]
	s_cbranch_execz .LBB36_1148
.LBB36_1152:                            ;   in Loop: Header=BB36_1149 Depth=4
	s_sleep 1
	s_trap 2
	ds_read_b64 v[0:1], v0
	s_waitcnt lgkmcnt(0)
	s_andn2_b64 s[60:61], s[60:61], exec
	v_cmp_ge_u64_e32 vcc, v[0:1], v[56:57]
	s_orn2_b64 vcc, vcc, exec
	s_branch .LBB36_1148
.LBB36_1153:                            ;   in Loop: Header=BB36_303 Depth=3
	s_or_b64 exec, exec, s[56:57]
	s_and_saveexec_b64 s[56:57], s[58:59]
	s_xor_b64 s[56:57], exec, s[56:57]
	s_cbranch_execz .LBB36_1155
; %bb.1154:                             ;   in Loop: Header=BB36_303 Depth=3
	v_mov_b32_e32 v0, 1
	ds_write_b32 v0, v0
	s_trap 2
.LBB36_1155:                            ;   in Loop: Header=BB36_303 Depth=3
	s_or_b64 exec, exec, s[46:47]
	;;#ASMSTART
	s_wakeup
	;;#ASMEND
.LBB36_1156:                            ;   in Loop: Header=BB36_303 Depth=3
	s_or_b64 exec, exec, s[28:29]
.LBB36_1157:                            ;   in Loop: Header=BB36_303 Depth=3
	s_andn2_saveexec_b64 s[26:27], s[26:27]
	s_cbranch_execz .LBB36_1159
; %bb.1158:                             ;   in Loop: Header=BB36_303 Depth=3
	;;#ASMSTART
	s_waitcnt lgkmcnt(0) vmcnt(0)
	;;#ASMEND
	s_barrier
.LBB36_1159:                            ;   in Loop: Header=BB36_303 Depth=3
	s_or_b64 exec, exec, s[26:27]
	v_and_b32_e32 v0, 16, v79
.LBB36_1160:                            ;   in Loop: Header=BB36_303 Depth=3
	s_or_b64 exec, exec, s[24:25]
	v_cmp_ne_u32_e32 vcc, 0, v0
	s_xor_b64 s[24:25], s[6:7], -1
	s_and_b64 s[26:27], vcc, s[24:25]
	s_and_saveexec_b64 s[24:25], s[26:27]
	s_cbranch_execz .LBB36_1162
; %bb.1161:                             ;   in Loop: Header=BB36_303 Depth=3
	scratch_load_dwordx2 v[0:1], off, s33 offset:296 ; 8-byte Folded Reload
	v_mov_b32_e32 v2, 1
	s_waitcnt vmcnt(0)
	flat_store_dword v[0:1], v2 sc0 sc1
.LBB36_1162:                            ;   in Loop: Header=BB36_303 Depth=3
	s_or_b64 exec, exec, s[24:25]
	v_and_b32_e32 v0, 48, v79
	v_cmp_ne_u32_e32 vcc, 0, v0
	s_and_saveexec_b64 s[24:25], vcc
	s_cbranch_execz .LBB36_302
; %bb.1163:                             ;   in Loop: Header=BB36_303 Depth=3
	v_lshl_add_u64 v[4:5], v[4:5], 0, 2
	flat_store_dwordx2 v[40:41], v[4:5] sc0 sc1
	s_branch .LBB36_302
.LBB36_1164:                            ;   in Loop: Header=BB36_300 Depth=2
	s_or_b64 exec, exec, s[42:43]
.LBB36_1165:                            ;   in Loop: Header=BB36_300 Depth=2
	s_or_b64 exec, exec, s[40:41]
	v_cmp_gt_i32_e32 vcc, 2, v0
	s_and_saveexec_b64 s[26:27], vcc
	s_cbranch_execz .LBB36_299
; %bb.1166:                             ;   in Loop: Header=BB36_300 Depth=2
	v_cmp_eq_u32_e64 s[40:41], 0, v0
	s_mov_b64 s[28:29], 0
	s_branch .LBB36_1168
.LBB36_1167:                            ;   in Loop: Header=BB36_1168 Depth=3
	s_or_b64 exec, exec, s[24:25]
	v_add_u32_e32 v58, v72, v58
	s_mov_b64 s[40:41], 0
	s_andn2_b64 exec, exec, s[28:29]
	s_cbranch_execz .LBB36_298
.LBB36_1168:                            ;   Parent Loop BB36_47 Depth=1
                                        ;     Parent Loop BB36_300 Depth=2
                                        ; =>    This Loop Header: Depth=3
                                        ;         Child Loop BB36_1174 Depth 4
                                        ;         Child Loop BB36_1202 Depth 4
	;; [unrolled: 1-line block ×3, first 2 shown]
	v_sub_u32_e32 v0, v6, v58
	v_min_i32_e32 v72, v72, v0
	v_and_b32_e32 v0, 12, v79
	v_cmp_ne_u32_e32 vcc, 0, v0
	s_and_saveexec_b64 s[42:43], vcc
	s_cbranch_execz .LBB36_1194
; %bb.1169:                             ;   in Loop: Header=BB36_1168 Depth=3
	v_and_b32_e32 v2, 8, v79
	s_waitcnt lgkmcnt(0)
	v_lshl_add_u64 v[8:9], v[46:47], 0, v[2:3]
	v_lshl_add_u64 v[0:1], v[4:5], 0, 2
	v_cmp_lt_u64_e32 vcc, v[8:9], v[0:1]
	s_and_saveexec_b64 s[44:45], vcc
	s_cbranch_execz .LBB36_1181
; %bb.1170:                             ;   in Loop: Header=BB36_1168 Depth=3
	v_and_b32_e32 v5, 64, v79
	s_mov_b32 s73, 0
	v_cmp_eq_u32_e32 vcc, 0, v5
	s_mov_b64 s[46:47], 0
                                        ; implicit-def: $sgpr56_sgpr57
                                        ; implicit-def: $sgpr58_sgpr59
                                        ; implicit-def: $sgpr60_sgpr61
	s_branch .LBB36_1174
.LBB36_1171:                            ;   in Loop: Header=BB36_1174 Depth=4
	s_waitcnt vmcnt(0) lgkmcnt(0)
	v_lshl_add_u64 v[8:9], v[46:47], 0, v[2:3]
	v_cmp_ge_u64_e64 s[24:25], v[8:9], v[0:1]
	s_or_b64 s[64:65], s[64:65], exec
	s_orn2_b64 s[54:55], s[24:25], exec
.LBB36_1172:                            ;   in Loop: Header=BB36_1174 Depth=4
	s_or_b64 exec, exec, s[68:69]
	s_andn2_b64 s[24:25], s[60:61], exec
	s_and_b64 s[60:61], s[64:65], exec
	s_or_b64 s[60:61], s[24:25], s[60:61]
	s_andn2_b64 s[24:25], s[58:59], exec
	s_and_b64 s[58:59], s[54:55], exec
	s_or_b64 s[58:59], s[24:25], s[58:59]
.LBB36_1173:                            ;   in Loop: Header=BB36_1174 Depth=4
	s_or_b64 exec, exec, s[52:53]
	s_and_b64 s[24:25], exec, s[58:59]
	s_or_b64 s[46:47], s[24:25], s[46:47]
	s_andn2_b64 s[24:25], s[56:57], exec
	s_and_b64 s[56:57], s[60:61], exec
	s_or_b64 s[56:57], s[24:25], s[56:57]
	s_andn2_b64 exec, exec, s[46:47]
	s_cbranch_execz .LBB36_1178
.LBB36_1174:                            ;   Parent Loop BB36_47 Depth=1
                                        ;     Parent Loop BB36_300 Depth=2
                                        ;       Parent Loop BB36_1168 Depth=3
                                        ; =>      This Inner Loop Header: Depth=4
	s_sleep 1
	s_waitcnt vmcnt(0) lgkmcnt(0)
	flat_load_dwordx2 v[46:47], v[40:41] sc0 sc1
	s_or_b64 s[60:61], s[60:61], exec
	s_or_b64 s[58:59], s[58:59], exec
                                        ; implicit-def: $vgpr5
	s_and_saveexec_b64 s[52:53], vcc
	s_cbranch_execz .LBB36_1173
; %bb.1175:                             ;   in Loop: Header=BB36_1174 Depth=4
	s_cmpk_lt_i32 s73, 0x270f
	s_cselect_b64 s[66:67], -1, 0
	s_cmpk_gt_i32 s73, 0x270e
	s_mov_b64 s[54:55], -1
	s_cbranch_scc0 .LBB36_1177
; %bb.1176:                             ;   in Loop: Header=BB36_1174 Depth=4
	s_trap 2
	ds_read_b64 v[8:9], v0
	s_andn2_b64 s[66:67], s[66:67], exec
	s_mov_b32 s73, 0
	s_mov_b64 s[64:65], 0
	s_waitcnt vmcnt(0) lgkmcnt(0)
	flat_load_dword v5, v[8:9] sc0 sc1
	s_waitcnt vmcnt(0) lgkmcnt(0)
	buffer_inv sc0 sc1
	v_cmp_eq_u32_e64 s[24:25], 0, v5
	s_and_b64 s[24:25], s[24:25], exec
	s_or_b64 s[66:67], s[66:67], s[24:25]
	s_and_saveexec_b64 s[68:69], s[66:67]
	s_cbranch_execz .LBB36_1172
	s_branch .LBB36_1171
.LBB36_1177:                            ;   in Loop: Header=BB36_1174 Depth=4
	s_add_i32 s73, s73, 1
	s_mov_b64 s[64:65], -1
                                        ; implicit-def: $vgpr5
	s_and_saveexec_b64 s[68:69], s[66:67]
	s_cbranch_execz .LBB36_1172
	s_branch .LBB36_1171
.LBB36_1178:                            ;   in Loop: Header=BB36_1168 Depth=3
	s_or_b64 exec, exec, s[46:47]
	s_xor_b64 s[24:25], s[56:57], -1
	s_and_saveexec_b64 s[46:47], s[24:25]
	s_xor_b64 s[24:25], exec, s[46:47]
	s_cbranch_execz .LBB36_1180
; %bb.1179:                             ;   in Loop: Header=BB36_1168 Depth=3
	v_or_b32_e32 v79, 64, v79
	s_waitcnt lgkmcnt(0)
	ds_write_b32 v0, v5
	s_trap 2
.LBB36_1180:                            ;   in Loop: Header=BB36_1168 Depth=3
	s_or_b64 exec, exec, s[24:25]
.LBB36_1181:                            ;   in Loop: Header=BB36_1168 Depth=3
	s_or_b64 exec, exec, s[44:45]
	v_and_b32_e32 v5, 0x108, v79
	v_cmp_ne_u32_e32 vcc, s34, v5
	;;#ASMSTART
	s_wakeup
	;;#ASMEND
                                        ; implicit-def: $vgpr8_vgpr9
	s_and_saveexec_b64 s[24:25], vcc
	s_xor_b64 s[24:25], exec, s[24:25]
; %bb.1182:                             ;   in Loop: Header=BB36_1168 Depth=3
	v_and_b32_e32 v8, 7, v4
	v_mov_b32_e32 v9, v3
                                        ; implicit-def: $vgpr4_vgpr5
; %bb.1183:                             ;   in Loop: Header=BB36_1168 Depth=3
	s_andn2_saveexec_b64 s[24:25], s[24:25]
	s_cbranch_execz .LBB36_1185
; %bb.1184:                             ;   in Loop: Header=BB36_1168 Depth=3
	scratch_load_dwordx4 v[10:13], off, s33 offset:280 ; 16-byte Folded Reload
	v_and_b32_e32 v8, 7, v4
	v_ashrrev_i32_e32 v73, 31, v72
	v_mov_b32_e32 v9, v3
	s_waitcnt vmcnt(0)
	v_mad_u64_u32 v[4:5], s[44:45], v8, 24, v[10:11]
	v_lshlrev_b64 v[10:11], 1, v[72:73]
	flat_store_dwordx2 v[4:5], v[10:11] offset:8
.LBB36_1185:                            ;   in Loop: Header=BB36_1168 Depth=3
	s_or_b64 exec, exec, s[24:25]
	v_and_b32_e32 v4, 0x100, v79
	v_cmp_ne_u32_e32 vcc, 0, v4
	s_mov_b64 s[24:25], -1
                                        ; implicit-def: $vgpr4_vgpr5
	s_and_saveexec_b64 s[44:45], vcc
	s_cbranch_execz .LBB36_1189
; %bb.1186:                             ;   in Loop: Header=BB36_1168 Depth=3
	scratch_load_dwordx4 v[10:13], off, s33 offset:280 ; 16-byte Folded Reload
	s_waitcnt vmcnt(0)
	v_mad_u64_u32 v[10:11], s[24:25], v8, 24, v[10:11]
	v_mov_b32_e32 v4, v11
	v_mad_u64_u32 v[4:5], s[24:25], v9, 24, v[4:5]
	v_mov_b32_e32 v11, v4
	flat_load_dword v4, v[10:11]
	s_waitcnt vmcnt(0) lgkmcnt(0)
	v_cmp_ne_u32_e32 vcc, 1, v4
	v_cmp_eq_u32_e64 s[24:25], 1, v4
                                        ; implicit-def: $vgpr4_vgpr5
	s_and_saveexec_b64 s[46:47], s[24:25]
	s_cbranch_execz .LBB36_1188
; %bb.1187:                             ;   in Loop: Header=BB36_1168 Depth=3
	flat_load_dword v4, v[10:11] offset:4 sc0 sc1
	s_waitcnt vmcnt(0) lgkmcnt(0)
	v_ashrrev_i32_e32 v5, 31, v4
	v_lshrrev_b64 v[4:5], 1, v[4:5]
.LBB36_1188:                            ;   in Loop: Header=BB36_1168 Depth=3
	s_or_b64 exec, exec, s[46:47]
	s_orn2_b64 s[24:25], vcc, exec
.LBB36_1189:                            ;   in Loop: Header=BB36_1168 Depth=3
	s_or_b64 exec, exec, s[44:45]
	s_and_saveexec_b64 s[44:45], s[24:25]
	s_cbranch_execz .LBB36_1191
; %bb.1190:                             ;   in Loop: Header=BB36_1168 Depth=3
	scratch_load_dwordx2 v[4:5], off, s33 offset:348 ; 8-byte Folded Reload
	scratch_load_dwordx2 v[10:11], off, s33 offset:372 ; 8-byte Folded Reload
	s_waitcnt vmcnt(0)
	v_mul_lo_u32 v7, v9, v4
	v_mul_lo_u32 v9, v8, v11
	v_mad_u64_u32 v[4:5], s[24:25], v8, v4, 0
	v_add3_u32 v5, v5, v9, v7
.LBB36_1191:                            ;   in Loop: Header=BB36_1168 Depth=3
	s_or_b64 exec, exec, s[44:45]
	scratch_load_dwordx2 v[8:9], off, s33 offset:264 ; 8-byte Folded Reload
	v_cmp_eq_u32_e32 vcc, 0, v2
	v_mov_b32_e32 v2, 0xc8
	v_mov_b32_e32 v7, 0x90
	v_cndmask_b32_e32 v2, v2, v7, vcc
	v_add_u32_e32 v2, v0, v2
	s_waitcnt vmcnt(0)
	v_lshl_add_u64 v[4:5], v[4:5], 1, v[8:9]
	ds_write_b64 v2, v[4:5] offset:584
	v_and_b32_e32 v2, 0x2000, v79
	v_cmp_ne_u32_e32 vcc, 0, v2
	s_and_saveexec_b64 s[24:25], vcc
	s_cbranch_execz .LBB36_1193
; %bb.1192:                             ;   in Loop: Header=BB36_1168 Depth=3
	ds_read_b64 v[4:5], v0 offset:872
	s_waitcnt lgkmcnt(0)
	v_lshl_add_u64 v[4:5], v[4:5], 0, 1
	ds_write_b64 v0, v[4:5] offset:872
.LBB36_1193:                            ;   in Loop: Header=BB36_1168 Depth=3
	s_or_b64 exec, exec, s[24:25]
	v_mov_b64_e32 v[4:5], v[0:1]
.LBB36_1194:                            ;   in Loop: Header=BB36_1168 Depth=3
	s_or_b64 exec, exec, s[42:43]
	s_xor_b64 s[24:25], s[40:41], -1
	s_and_b64 s[24:25], exec, s[24:25]
	s_or_b64 s[28:29], s[24:25], s[28:29]
	s_and_saveexec_b64 s[24:25], s[4:5]
	s_cbranch_execz .LBB36_1213
; %bb.1195:                             ;   in Loop: Header=BB36_1168 Depth=3
	s_and_saveexec_b64 s[40:41], s[76:77]
	s_xor_b64 s[40:41], exec, s[40:41]
	s_cbranch_execz .LBB36_1210
; %bb.1196:                             ;   in Loop: Header=BB36_1168 Depth=3
	s_and_saveexec_b64 s[42:43], s[12:13]
	s_cbranch_execz .LBB36_1209
; %bb.1197:                             ;   in Loop: Header=BB36_1168 Depth=3
	s_mov_b64 s[46:47], exec
	v_mbcnt_lo_u32_b32 v0, s46, 0
	v_mbcnt_hi_u32_b32 v0, s47, v0
	v_cmp_eq_u32_e32 vcc, 0, v0
	s_waitcnt lgkmcnt(0)
	s_and_saveexec_b64 s[44:45], vcc
	s_cbranch_execz .LBB36_1199
; %bb.1198:                             ;   in Loop: Header=BB36_1168 Depth=3
	s_bcnt1_i32_b64 s46, s[46:47]
	v_mov_b32_e32 v2, s46
	ds_add_u64 v0, v[2:3]
	s_trap 2
.LBB36_1199:                            ;   in Loop: Header=BB36_1168 Depth=3
	s_or_b64 exec, exec, s[44:45]
	s_trap 2
	ds_read_b64 v[0:1], v0
	s_waitcnt lgkmcnt(0)
	v_lshl_add_u64 v[56:57], v[56:57], 0, v[60:61]
	v_cmp_lt_u64_e32 vcc, v[0:1], v[56:57]
	s_and_saveexec_b64 s[44:45], vcc
	s_cbranch_execz .LBB36_1208
; %bb.1200:                             ;   in Loop: Header=BB36_1168 Depth=3
	s_mov_b32 s73, 0
	s_mov_b64 s[46:47], 0
                                        ; implicit-def: $sgpr56_sgpr57
                                        ; implicit-def: $sgpr58_sgpr59
	s_branch .LBB36_1202
.LBB36_1201:                            ;   in Loop: Header=BB36_1202 Depth=4
	s_or_b64 exec, exec, s[52:53]
	s_and_b64 s[60:61], exec, vcc
	s_or_b64 s[46:47], s[60:61], s[46:47]
	s_andn2_b64 s[56:57], s[56:57], exec
	s_and_b64 s[60:61], s[58:59], exec
	s_or_b64 s[56:57], s[56:57], s[60:61]
	s_andn2_b64 exec, exec, s[46:47]
	s_cbranch_execz .LBB36_1206
.LBB36_1202:                            ;   Parent Loop BB36_47 Depth=1
                                        ;     Parent Loop BB36_300 Depth=2
                                        ;       Parent Loop BB36_1168 Depth=3
                                        ; =>      This Inner Loop Header: Depth=4
	s_add_i32 s73, s73, 1
	s_cmpk_lg_i32 s73, 0x2710
	s_cselect_b64 s[60:61], -1, 0
	s_and_b64 vcc, exec, s[60:61]
	s_cbranch_vccz .LBB36_1204
; %bb.1203:                             ;   in Loop: Header=BB36_1202 Depth=4
	s_mov_b64 vcc, -1
	s_or_b64 s[58:59], s[58:59], exec
	s_and_saveexec_b64 s[52:53], s[60:61]
	s_cbranch_execz .LBB36_1201
	s_branch .LBB36_1205
.LBB36_1204:                            ;   in Loop: Header=BB36_1202 Depth=4
	s_trap 2
	ds_read_b64 v[0:1], v0
	s_andn2_b64 s[60:61], s[60:61], exec
	s_mov_b32 s73, 0
	s_waitcnt vmcnt(0) lgkmcnt(0)
	flat_load_dword v0, v[0:1] sc0 sc1
	s_waitcnt vmcnt(0) lgkmcnt(0)
	buffer_inv sc0 sc1
	v_cmp_eq_u32_e32 vcc, 0, v0
	s_and_b64 vcc, vcc, exec
	s_or_b64 s[60:61], s[60:61], vcc
	s_mov_b64 vcc, -1
	s_or_b64 s[58:59], s[58:59], exec
	s_and_saveexec_b64 s[52:53], s[60:61]
	s_cbranch_execz .LBB36_1201
.LBB36_1205:                            ;   in Loop: Header=BB36_1202 Depth=4
	s_sleep 1
	s_trap 2
	ds_read_b64 v[0:1], v0
	s_waitcnt lgkmcnt(0)
	s_andn2_b64 s[58:59], s[58:59], exec
	v_cmp_ge_u64_e32 vcc, v[0:1], v[56:57]
	s_orn2_b64 vcc, vcc, exec
	s_branch .LBB36_1201
.LBB36_1206:                            ;   in Loop: Header=BB36_1168 Depth=3
	s_or_b64 exec, exec, s[46:47]
	s_and_saveexec_b64 s[46:47], s[56:57]
	s_xor_b64 s[46:47], exec, s[46:47]
	s_cbranch_execz .LBB36_1208
; %bb.1207:                             ;   in Loop: Header=BB36_1168 Depth=3
	v_mov_b32_e32 v0, 1
	ds_write_b32 v0, v0
	s_trap 2
.LBB36_1208:                            ;   in Loop: Header=BB36_1168 Depth=3
	s_or_b64 exec, exec, s[44:45]
	;;#ASMSTART
	s_wakeup
	;;#ASMEND
.LBB36_1209:                            ;   in Loop: Header=BB36_1168 Depth=3
	s_or_b64 exec, exec, s[42:43]
.LBB36_1210:                            ;   in Loop: Header=BB36_1168 Depth=3
	s_andn2_saveexec_b64 s[40:41], s[40:41]
	s_cbranch_execz .LBB36_1212
; %bb.1211:                             ;   in Loop: Header=BB36_1168 Depth=3
	s_waitcnt lgkmcnt(0)
	s_barrier
.LBB36_1212:                            ;   in Loop: Header=BB36_1168 Depth=3
	s_or_b64 exec, exec, s[40:41]
.LBB36_1213:                            ;   in Loop: Header=BB36_1168 Depth=3
	s_or_b64 exec, exec, s[24:25]
                                        ; implicit-def: $vgpr0
	s_and_saveexec_b64 s[24:25], s[38:39]
	s_xor_b64 s[24:25], exec, s[24:25]
	s_cbranch_execz .LBB36_1225
; %bb.1214:                             ;   in Loop: Header=BB36_1168 Depth=3
	s_and_saveexec_b64 s[40:41], s[76:77]
	s_xor_b64 s[40:41], exec, s[40:41]
	s_cbranch_execz .LBB36_1230
; %bb.1215:                             ;   in Loop: Header=BB36_1168 Depth=3
	s_and_saveexec_b64 s[42:43], s[12:13]
	s_cbranch_execz .LBB36_1229
; %bb.1216:                             ;   in Loop: Header=BB36_1168 Depth=3
	s_mov_b64 s[46:47], exec
	v_mbcnt_lo_u32_b32 v0, s46, 0
	v_mbcnt_hi_u32_b32 v0, s47, v0
	v_cmp_eq_u32_e32 vcc, 0, v0
	;;#ASMSTART
	s_waitcnt lgkmcnt(0) vmcnt(0)
	;;#ASMEND
	s_and_saveexec_b64 s[44:45], vcc
	s_cbranch_execz .LBB36_1218
; %bb.1217:                             ;   in Loop: Header=BB36_1168 Depth=3
	s_bcnt1_i32_b64 s46, s[46:47]
	v_mov_b32_e32 v2, s46
	s_waitcnt lgkmcnt(0)
	ds_add_u64 v0, v[2:3]
	s_trap 2
.LBB36_1218:                            ;   in Loop: Header=BB36_1168 Depth=3
	s_or_b64 exec, exec, s[44:45]
	s_trap 2
	ds_read_b64 v[0:1], v0
	s_waitcnt lgkmcnt(0)
	v_lshl_add_u64 v[56:57], v[56:57], 0, v[60:61]
	v_cmp_lt_u64_e32 vcc, v[0:1], v[56:57]
	s_and_saveexec_b64 s[44:45], vcc
	s_cbranch_execz .LBB36_1228
; %bb.1219:                             ;   in Loop: Header=BB36_1168 Depth=3
	s_mov_b32 s73, 0
	s_mov_b64 s[46:47], 0
                                        ; implicit-def: $sgpr56_sgpr57
                                        ; implicit-def: $sgpr58_sgpr59
	s_branch .LBB36_1221
.LBB36_1220:                            ;   in Loop: Header=BB36_1221 Depth=4
	s_or_b64 exec, exec, s[52:53]
	s_and_b64 s[60:61], exec, vcc
	s_or_b64 s[46:47], s[60:61], s[46:47]
	s_andn2_b64 s[56:57], s[56:57], exec
	s_and_b64 s[60:61], s[58:59], exec
	s_or_b64 s[56:57], s[56:57], s[60:61]
	s_andn2_b64 exec, exec, s[46:47]
	s_cbranch_execz .LBB36_1226
.LBB36_1221:                            ;   Parent Loop BB36_47 Depth=1
                                        ;     Parent Loop BB36_300 Depth=2
                                        ;       Parent Loop BB36_1168 Depth=3
                                        ; =>      This Inner Loop Header: Depth=4
	s_add_i32 s73, s73, 1
	s_cmpk_lg_i32 s73, 0x2710
	s_cselect_b64 s[60:61], -1, 0
	s_and_b64 vcc, exec, s[60:61]
	s_cbranch_vccz .LBB36_1223
; %bb.1222:                             ;   in Loop: Header=BB36_1221 Depth=4
	s_mov_b64 vcc, -1
	s_or_b64 s[58:59], s[58:59], exec
	s_and_saveexec_b64 s[52:53], s[60:61]
	s_cbranch_execz .LBB36_1220
	s_branch .LBB36_1224
.LBB36_1223:                            ;   in Loop: Header=BB36_1221 Depth=4
	s_trap 2
	ds_read_b64 v[0:1], v0
	s_andn2_b64 s[60:61], s[60:61], exec
	s_mov_b32 s73, 0
	s_waitcnt vmcnt(0) lgkmcnt(0)
	flat_load_dword v0, v[0:1] sc0 sc1
	s_waitcnt vmcnt(0) lgkmcnt(0)
	buffer_inv sc0 sc1
	v_cmp_eq_u32_e32 vcc, 0, v0
	s_and_b64 vcc, vcc, exec
	s_or_b64 s[60:61], s[60:61], vcc
	s_mov_b64 vcc, -1
	s_or_b64 s[58:59], s[58:59], exec
	s_and_saveexec_b64 s[52:53], s[60:61]
	s_cbranch_execz .LBB36_1220
.LBB36_1224:                            ;   in Loop: Header=BB36_1221 Depth=4
	s_sleep 1
	s_trap 2
	ds_read_b64 v[0:1], v0
	s_waitcnt lgkmcnt(0)
	s_andn2_b64 s[58:59], s[58:59], exec
	v_cmp_ge_u64_e32 vcc, v[0:1], v[56:57]
	s_orn2_b64 vcc, vcc, exec
	s_branch .LBB36_1220
.LBB36_1225:                            ;   in Loop: Header=BB36_1168 Depth=3
	s_andn2_saveexec_b64 s[24:25], s[24:25]
	s_cbranch_execnz .LBB36_1233
	s_branch .LBB36_1236
.LBB36_1226:                            ;   in Loop: Header=BB36_1168 Depth=3
	s_or_b64 exec, exec, s[46:47]
	s_and_saveexec_b64 s[46:47], s[56:57]
	s_xor_b64 s[46:47], exec, s[46:47]
	s_cbranch_execz .LBB36_1228
; %bb.1227:                             ;   in Loop: Header=BB36_1168 Depth=3
	v_mov_b32_e32 v0, 1
	ds_write_b32 v0, v0
	s_trap 2
.LBB36_1228:                            ;   in Loop: Header=BB36_1168 Depth=3
	s_or_b64 exec, exec, s[44:45]
	;;#ASMSTART
	s_wakeup
	;;#ASMEND
.LBB36_1229:                            ;   in Loop: Header=BB36_1168 Depth=3
	s_or_b64 exec, exec, s[42:43]
.LBB36_1230:                            ;   in Loop: Header=BB36_1168 Depth=3
	s_andn2_saveexec_b64 s[40:41], s[40:41]
	s_cbranch_execz .LBB36_1232
; %bb.1231:                             ;   in Loop: Header=BB36_1168 Depth=3
	;;#ASMSTART
	s_waitcnt lgkmcnt(0) vmcnt(0)
	;;#ASMEND
	s_barrier
.LBB36_1232:                            ;   in Loop: Header=BB36_1168 Depth=3
	s_or_b64 exec, exec, s[40:41]
	v_and_b32_e32 v0, 16, v79
	s_andn2_saveexec_b64 s[24:25], s[24:25]
	s_cbranch_execz .LBB36_1236
.LBB36_1233:                            ;   in Loop: Header=BB36_1168 Depth=3
	s_trap 2
	ds_read_b32 v1, v0
	v_cmp_lt_i32_e32 vcc, 0, v72
	v_and_b32_e32 v2, 16, v79
	v_and_b32_e32 v0, 16, v79
	s_waitcnt lgkmcnt(0)
	v_readfirstlane_b32 s40, v1
	s_cmp_eq_u32 s40, 0
	s_cselect_b64 s[40:41], -1, 0
	s_and_b64 s[40:41], vcc, s[40:41]
	v_cmp_ne_u32_e32 vcc, 0, v2
	s_and_b64 s[42:43], vcc, s[40:41]
	s_and_saveexec_b64 s[40:41], s[42:43]
	s_cbranch_execz .LBB36_1235
; %bb.1234:                             ;   in Loop: Header=BB36_1168 Depth=3
	v_mov_b32_e32 v0, 1
	buffer_wbl2 sc1
	s_waitcnt vmcnt(0)
	buffer_inv sc1
.LBB36_1235:                            ;   in Loop: Header=BB36_1168 Depth=3
	s_or_b64 exec, exec, s[40:41]
.LBB36_1236:                            ;   in Loop: Header=BB36_1168 Depth=3
	s_or_b64 exec, exec, s[24:25]
	v_cmp_ne_u32_e32 vcc, 0, v0
	s_xor_b64 s[24:25], s[6:7], -1
	s_and_b64 s[40:41], vcc, s[24:25]
	s_and_saveexec_b64 s[24:25], s[40:41]
	s_cbranch_execz .LBB36_1238
; %bb.1237:                             ;   in Loop: Header=BB36_1168 Depth=3
	scratch_load_dwordx2 v[0:1], off, s33 offset:296 ; 8-byte Folded Reload
	v_mov_b32_e32 v2, 1
	s_waitcnt vmcnt(0)
	flat_store_dword v[0:1], v2 sc0 sc1
.LBB36_1238:                            ;   in Loop: Header=BB36_1168 Depth=3
	s_or_b64 exec, exec, s[24:25]
	v_and_b32_e32 v0, 48, v79
	v_cmp_ne_u32_e32 vcc, 0, v0
	s_and_saveexec_b64 s[24:25], vcc
	s_cbranch_execz .LBB36_1167
; %bb.1239:                             ;   in Loop: Header=BB36_1168 Depth=3
	v_lshl_add_u64 v[4:5], v[4:5], 0, 2
	flat_store_dwordx2 v[40:41], v[4:5] sc0 sc1
	s_branch .LBB36_1167
.LBB36_1240:                            ;   in Loop: Header=BB36_47 Depth=1
	scratch_load_dwordx2 v[8:9], off, s33 offset:420 ; 8-byte Folded Reload
	v_mov_b32_e32 v86, 0
	s_waitcnt vmcnt(0)
	v_mul_lo_u32 v2, v9, s80
	v_mul_lo_u32 v6, v8, s81
	v_mad_u64_u32 v[0:1], s[24:25], v8, s80, 0
	v_add3_u32 v1, v1, v6, v2
	scratch_load_dwordx2 v[6:7], off, s33 offset:404 ; 8-byte Folded Reload
	v_mov_b32_e32 v2, 0
	s_waitcnt vmcnt(0)
	v_sub_co_u32_e32 v6, vcc, v6, v0
	s_nop 1
	v_subb_co_u32_e32 v7, vcc, v7, v1, vcc
	v_cmp_lt_i64_e32 vcc, v[8:9], v[6:7]
	s_nop 1
	v_cndmask_b32_e32 v6, v6, v8, vcc
	v_max_i32_e32 v44, 0, v6
	v_add_u32_e32 v7, 31, v44
	v_ashrrev_i32_e32 v8, 31, v7
	v_lshrrev_b32_e32 v8, 27, v8
	v_add_u32_e32 v7, v7, v8
	v_ashrrev_i32_e32 v7, 5, v7
	v_lshlrev_b32_e32 v7, 4, v7
	v_cmp_lt_i32_e32 vcc, 0, v6
	v_max_i32_e32 v84, s87, v7
	s_and_b64 s[24:25], s[48:49], vcc
	s_and_saveexec_b64 s[52:53], s[24:25]
	s_cbranch_execz .LBB36_2256
; %bb.1241:                             ;   in Loop: Header=BB36_47 Depth=1
	scratch_load_dwordx2 v[6:7], off, s33 offset:380 ; 8-byte Folded Reload
	s_mov_b32 s86, 1
	s_mov_b64 s[64:65], -1
	v_mov_b32_e32 v86, 0
	s_mov_b64 s[54:55], 0
	s_waitcnt vmcnt(0)
	v_lshl_add_u64 v[0:1], v[0:1], 0, v[6:7]
	v_lshlrev_b64 v[96:97], 1, v[0:1]
	s_branch .LBB36_1243
.LBB36_1242:                            ;   in Loop: Header=BB36_1243 Depth=2
	s_or_b64 exec, exec, s[24:25]
	v_add_u32_e32 v86, v84, v86
	v_cmp_ge_i32_e32 vcc, v86, v44
	s_xor_b64 s[24:25], s[64:65], -1
	s_or_b64 s[24:25], s[24:25], vcc
	s_and_b64 s[24:25], exec, s[24:25]
	s_or_b64 s[54:55], s[24:25], s[54:55]
	s_mov_b64 s[64:65], 0
	v_mov_b32_e32 v2, s86
	s_mov_b32 s86, 2
	s_andn2_b64 exec, exec, s[54:55]
	s_cbranch_execz .LBB36_2331
.LBB36_1243:                            ;   Parent Loop BB36_47 Depth=1
                                        ; =>  This Loop Header: Depth=2
                                        ;       Child Loop BB36_1251 Depth 3
                                        ;       Child Loop BB36_1279 Depth 3
	;; [unrolled: 1-line block ×9, first 2 shown]
                                        ;         Child Loop BB36_1617 Depth 4
                                        ;       Child Loop BB36_1625 Depth 3
                                        ;       Child Loop BB36_1757 Depth 3
                                        ;         Child Loop BB36_1762 Depth 4
                                        ;       Child Loop BB36_2218 Depth 3
                                        ;       Child Loop BB36_2241 Depth 3
	s_and_saveexec_b64 s[24:25], s[0:1]
	s_cbranch_execz .LBB36_1245
; %bb.1244:                             ;   in Loop: Header=BB36_1243 Depth=2
	s_trap 2
	ds_read2_b64 v[6:9], v0 offset1:1
	ds_read_b64 v[0:1], v0
	v_ashrrev_i32_e32 v87, 31, v86
	v_lshlrev_b64 v[10:11], 1, v[86:87]
	s_waitcnt lgkmcnt(0)
	v_lshl_add_u64 v[6:7], v[6:7], 0, v[96:97]
	v_lshl_add_u64 v[6:7], v[6:7], 0, v[10:11]
	ds_write_b64 v0, v[6:7]
	v_lshl_add_u64 v[6:7], v[8:9], 0, v[96:97]
	v_lshl_add_u64 v[6:7], v[6:7], 0, v[10:11]
	ds_write_b64 v0, v[6:7]
	v_lshl_add_u64 v[6:7], v[0:1], 0, v[96:97]
	v_lshl_add_u64 v[6:7], v[6:7], 0, v[10:11]
	v_cmp_ne_u64_e32 vcc, 0, v[0:1]
	s_nop 1
	v_cndmask_b32_e32 v1, 0, v7, vcc
	v_cndmask_b32_e32 v0, 0, v6, vcc
	ds_write_b64 v0, v[0:1]
.LBB36_1245:                            ;   in Loop: Header=BB36_1243 Depth=2
	s_or_b64 exec, exec, s[24:25]
	v_sub_u32_e32 v0, v44, v86
	v_min_i32_e32 v84, v84, v0
	v_and_b32_e32 v0, 12, v79
	v_cmp_ne_u32_e32 vcc, 0, v0
	s_and_saveexec_b64 s[26:27], vcc
	s_cbranch_execz .LBB36_1271
; %bb.1246:                             ;   in Loop: Header=BB36_1243 Depth=2
	v_and_b32_e32 v2, 8, v79
	s_waitcnt lgkmcnt(0)
	v_lshl_add_u64 v[6:7], v[46:47], 0, v[2:3]
	v_lshl_add_u64 v[0:1], v[4:5], 0, 2
	v_cmp_lt_u64_e32 vcc, v[6:7], v[0:1]
	s_and_saveexec_b64 s[28:29], vcc
	s_cbranch_execz .LBB36_1258
; %bb.1247:                             ;   in Loop: Header=BB36_1243 Depth=2
	v_and_b32_e32 v5, 64, v79
	s_mov_b32 s73, 0
	v_cmp_eq_u32_e32 vcc, 0, v5
	s_mov_b64 s[40:41], 0
                                        ; implicit-def: $sgpr42_sgpr43
                                        ; implicit-def: $sgpr44_sgpr45
                                        ; implicit-def: $sgpr46_sgpr47
	s_branch .LBB36_1251
.LBB36_1248:                            ;   in Loop: Header=BB36_1251 Depth=3
	s_waitcnt vmcnt(0) lgkmcnt(0)
	v_lshl_add_u64 v[6:7], v[46:47], 0, v[2:3]
	v_cmp_ge_u64_e64 s[24:25], v[6:7], v[0:1]
	s_or_b64 s[60:61], s[60:61], exec
	s_orn2_b64 s[58:59], s[24:25], exec
.LBB36_1249:                            ;   in Loop: Header=BB36_1251 Depth=3
	s_or_b64 exec, exec, s[68:69]
	s_andn2_b64 s[24:25], s[46:47], exec
	s_and_b64 s[46:47], s[60:61], exec
	s_or_b64 s[46:47], s[24:25], s[46:47]
	s_andn2_b64 s[24:25], s[44:45], exec
	s_and_b64 s[44:45], s[58:59], exec
	s_or_b64 s[44:45], s[24:25], s[44:45]
.LBB36_1250:                            ;   in Loop: Header=BB36_1251 Depth=3
	s_or_b64 exec, exec, s[56:57]
	s_and_b64 s[24:25], exec, s[44:45]
	s_or_b64 s[40:41], s[24:25], s[40:41]
	s_andn2_b64 s[24:25], s[42:43], exec
	s_and_b64 s[42:43], s[46:47], exec
	s_or_b64 s[42:43], s[24:25], s[42:43]
	s_andn2_b64 exec, exec, s[40:41]
	s_cbranch_execz .LBB36_1255
.LBB36_1251:                            ;   Parent Loop BB36_47 Depth=1
                                        ;     Parent Loop BB36_1243 Depth=2
                                        ; =>    This Inner Loop Header: Depth=3
	s_sleep 1
	s_waitcnt vmcnt(0) lgkmcnt(0)
	flat_load_dwordx2 v[46:47], v[40:41] sc0 sc1
	s_or_b64 s[46:47], s[46:47], exec
	s_or_b64 s[44:45], s[44:45], exec
                                        ; implicit-def: $vgpr5
	s_and_saveexec_b64 s[56:57], vcc
	s_cbranch_execz .LBB36_1250
; %bb.1252:                             ;   in Loop: Header=BB36_1251 Depth=3
	s_cmpk_lt_i32 s73, 0x270f
	s_cselect_b64 s[66:67], -1, 0
	s_cmpk_gt_i32 s73, 0x270e
	s_mov_b64 s[58:59], -1
	s_cbranch_scc0 .LBB36_1254
; %bb.1253:                             ;   in Loop: Header=BB36_1251 Depth=3
	s_trap 2
	ds_read_b64 v[6:7], v0
	s_andn2_b64 s[66:67], s[66:67], exec
	s_mov_b32 s73, 0
	s_mov_b64 s[60:61], 0
	s_waitcnt vmcnt(0) lgkmcnt(0)
	flat_load_dword v5, v[6:7] sc0 sc1
	s_waitcnt vmcnt(0) lgkmcnt(0)
	buffer_inv sc0 sc1
	v_cmp_eq_u32_e64 s[24:25], 0, v5
	s_and_b64 s[24:25], s[24:25], exec
	s_or_b64 s[66:67], s[66:67], s[24:25]
	s_and_saveexec_b64 s[68:69], s[66:67]
	s_cbranch_execz .LBB36_1249
	s_branch .LBB36_1248
.LBB36_1254:                            ;   in Loop: Header=BB36_1251 Depth=3
	s_add_i32 s73, s73, 1
	s_mov_b64 s[60:61], -1
                                        ; implicit-def: $vgpr5
	s_and_saveexec_b64 s[68:69], s[66:67]
	s_cbranch_execz .LBB36_1249
	s_branch .LBB36_1248
.LBB36_1255:                            ;   in Loop: Header=BB36_1243 Depth=2
	s_or_b64 exec, exec, s[40:41]
	s_xor_b64 s[24:25], s[42:43], -1
	s_and_saveexec_b64 s[40:41], s[24:25]
	s_xor_b64 s[24:25], exec, s[40:41]
	s_cbranch_execz .LBB36_1257
; %bb.1256:                             ;   in Loop: Header=BB36_1243 Depth=2
	v_or_b32_e32 v79, 64, v79
	s_waitcnt lgkmcnt(0)
	ds_write_b32 v0, v5
	s_trap 2
.LBB36_1257:                            ;   in Loop: Header=BB36_1243 Depth=2
	s_or_b64 exec, exec, s[24:25]
.LBB36_1258:                            ;   in Loop: Header=BB36_1243 Depth=2
	s_or_b64 exec, exec, s[28:29]
	v_and_b32_e32 v5, 0x108, v79
	v_cmp_ne_u32_e32 vcc, s34, v5
	v_and_b32_e32 v4, 7, v4
	;;#ASMSTART
	s_wakeup
	;;#ASMEND
	s_and_saveexec_b64 s[24:25], vcc
	s_xor_b64 s[24:25], exec, s[24:25]
                                        ; implicit-def: $vgpr5
; %bb.1259:                             ;   in Loop: Header=BB36_1243 Depth=2
	v_mov_b32_e32 v5, v3
; %bb.1260:                             ;   in Loop: Header=BB36_1243 Depth=2
	s_andn2_saveexec_b64 s[24:25], s[24:25]
	s_cbranch_execz .LBB36_1262
; %bb.1261:                             ;   in Loop: Header=BB36_1243 Depth=2
	scratch_load_dwordx4 v[6:9], off, s33 offset:280 ; 16-byte Folded Reload
	v_ashrrev_i32_e32 v85, 31, v84
	v_mov_b32_e32 v5, v3
	s_waitcnt vmcnt(0)
	v_lshlrev_b64 v[8:9], 1, v[84:85]
	v_mad_u64_u32 v[6:7], s[28:29], v4, 24, v[6:7]
	flat_store_dwordx2 v[6:7], v[8:9] offset:8
.LBB36_1262:                            ;   in Loop: Header=BB36_1243 Depth=2
	s_or_b64 exec, exec, s[24:25]
	v_and_b32_e32 v6, 0x100, v79
	v_cmp_ne_u32_e32 vcc, 0, v6
	s_mov_b64 s[24:25], -1
                                        ; implicit-def: $vgpr8_vgpr9
	s_and_saveexec_b64 s[28:29], vcc
	s_cbranch_execz .LBB36_1266
; %bb.1263:                             ;   in Loop: Header=BB36_1243 Depth=2
	scratch_load_dwordx4 v[6:9], off, s33 offset:280 ; 16-byte Folded Reload
                                        ; implicit-def: $vgpr8_vgpr9
	s_waitcnt vmcnt(0)
	v_mad_u64_u32 v[10:11], s[24:25], v4, 24, v[6:7]
	v_mov_b32_e32 v6, v11
	v_mad_u64_u32 v[6:7], s[24:25], v5, 24, v[6:7]
	v_mov_b32_e32 v11, v6
	flat_load_dword v6, v[10:11]
	s_waitcnt vmcnt(0) lgkmcnt(0)
	v_cmp_ne_u32_e32 vcc, 1, v6
	v_cmp_eq_u32_e64 s[24:25], 1, v6
	s_and_saveexec_b64 s[40:41], s[24:25]
	s_cbranch_execz .LBB36_1265
; %bb.1264:                             ;   in Loop: Header=BB36_1243 Depth=2
	flat_load_dword v6, v[10:11] offset:4 sc0 sc1
	s_waitcnt vmcnt(0) lgkmcnt(0)
	v_ashrrev_i32_e32 v7, 31, v6
	v_lshrrev_b64 v[8:9], 1, v[6:7]
.LBB36_1265:                            ;   in Loop: Header=BB36_1243 Depth=2
	s_or_b64 exec, exec, s[40:41]
	s_orn2_b64 s[24:25], vcc, exec
.LBB36_1266:                            ;   in Loop: Header=BB36_1243 Depth=2
	s_or_b64 exec, exec, s[28:29]
	s_and_saveexec_b64 s[28:29], s[24:25]
	s_cbranch_execz .LBB36_1268
; %bb.1267:                             ;   in Loop: Header=BB36_1243 Depth=2
	scratch_load_dwordx2 v[6:7], off, s33 offset:348 ; 8-byte Folded Reload
	s_waitcnt vmcnt(0)
	v_mov_b32_e32 v8, v6
	scratch_load_dwordx2 v[6:7], off, s33 offset:372 ; 8-byte Folded Reload
	v_mul_lo_u32 v5, v5, v8
	v_mad_u64_u32 v[8:9], s[24:25], v4, v8, 0
	s_waitcnt vmcnt(0)
	v_mul_lo_u32 v6, v4, v7
	v_add3_u32 v9, v9, v6, v5
.LBB36_1268:                            ;   in Loop: Header=BB36_1243 Depth=2
	s_or_b64 exec, exec, s[28:29]
	v_cmp_eq_u32_e32 vcc, 0, v2
	v_mov_b32_e32 v2, 0x90
	v_mov_b32_e32 v4, 0xd0
	v_cndmask_b32_e32 v2, v4, v2, vcc
	scratch_load_dwordx2 v[4:5], off, s33 offset:264 ; 8-byte Folded Reload
	v_add_u32_e32 v2, v0, v2
	s_waitcnt vmcnt(0)
	v_lshl_add_u64 v[4:5], v[8:9], 1, v[4:5]
	ds_write_b64 v2, v[4:5] offset:584
	v_and_b32_e32 v2, 0x2000, v79
	v_cmp_ne_u32_e32 vcc, 0, v2
	s_and_saveexec_b64 s[24:25], vcc
	s_cbranch_execz .LBB36_1270
; %bb.1269:                             ;   in Loop: Header=BB36_1243 Depth=2
	ds_read_b64 v[4:5], v0 offset:872
	s_waitcnt lgkmcnt(0)
	v_lshl_add_u64 v[4:5], v[4:5], 0, 1
	ds_write_b64 v0, v[4:5] offset:872
.LBB36_1270:                            ;   in Loop: Header=BB36_1243 Depth=2
	s_or_b64 exec, exec, s[24:25]
	v_mov_b64_e32 v[4:5], v[0:1]
.LBB36_1271:                            ;   in Loop: Header=BB36_1243 Depth=2
	s_or_b64 exec, exec, s[26:27]
	s_and_saveexec_b64 s[24:25], s[4:5]
	s_cbranch_execz .LBB36_1290
; %bb.1272:                             ;   in Loop: Header=BB36_1243 Depth=2
	s_and_saveexec_b64 s[26:27], s[76:77]
	s_xor_b64 s[26:27], exec, s[26:27]
	s_cbranch_execz .LBB36_1287
; %bb.1273:                             ;   in Loop: Header=BB36_1243 Depth=2
	s_and_saveexec_b64 s[28:29], s[12:13]
	s_cbranch_execz .LBB36_1286
; %bb.1274:                             ;   in Loop: Header=BB36_1243 Depth=2
	s_mov_b64 s[42:43], exec
	v_mbcnt_lo_u32_b32 v0, s42, 0
	v_mbcnt_hi_u32_b32 v0, s43, v0
	v_cmp_eq_u32_e32 vcc, 0, v0
	s_waitcnt lgkmcnt(0)
	s_and_saveexec_b64 s[40:41], vcc
	s_cbranch_execz .LBB36_1276
; %bb.1275:                             ;   in Loop: Header=BB36_1243 Depth=2
	s_bcnt1_i32_b64 s42, s[42:43]
	v_mov_b32_e32 v2, s42
	ds_add_u64 v0, v[2:3]
	s_trap 2
.LBB36_1276:                            ;   in Loop: Header=BB36_1243 Depth=2
	s_or_b64 exec, exec, s[40:41]
	s_trap 2
	ds_read_b64 v[0:1], v0
	s_waitcnt lgkmcnt(0)
	v_lshl_add_u64 v[56:57], v[56:57], 0, v[60:61]
	v_cmp_lt_u64_e32 vcc, v[0:1], v[56:57]
	s_and_saveexec_b64 s[40:41], vcc
	s_cbranch_execz .LBB36_1285
; %bb.1277:                             ;   in Loop: Header=BB36_1243 Depth=2
	s_mov_b32 s73, 0
	s_mov_b64 s[42:43], 0
                                        ; implicit-def: $sgpr44_sgpr45
                                        ; implicit-def: $sgpr46_sgpr47
	s_branch .LBB36_1279
.LBB36_1278:                            ;   in Loop: Header=BB36_1279 Depth=3
	s_or_b64 exec, exec, s[58:59]
	s_and_b64 s[56:57], exec, s[60:61]
	s_or_b64 s[42:43], s[56:57], s[42:43]
	s_andn2_b64 s[44:45], s[44:45], exec
	s_and_b64 s[56:57], s[46:47], exec
	s_or_b64 s[44:45], s[44:45], s[56:57]
	s_andn2_b64 exec, exec, s[42:43]
	s_cbranch_execz .LBB36_1283
.LBB36_1279:                            ;   Parent Loop BB36_47 Depth=1
                                        ;     Parent Loop BB36_1243 Depth=2
                                        ; =>    This Inner Loop Header: Depth=3
	s_add_i32 s73, s73, 1
	s_cmpk_lg_i32 s73, 0x2710
	s_cselect_b64 s[56:57], -1, 0
	s_and_b64 vcc, exec, s[56:57]
	s_cbranch_vccz .LBB36_1281
; %bb.1280:                             ;   in Loop: Header=BB36_1279 Depth=3
	s_mov_b64 s[60:61], -1
	s_or_b64 s[46:47], s[46:47], exec
	s_and_saveexec_b64 s[58:59], s[56:57]
	s_cbranch_execz .LBB36_1278
	s_branch .LBB36_1282
.LBB36_1281:                            ;   in Loop: Header=BB36_1279 Depth=3
	s_trap 2
	ds_read_b64 v[0:1], v0
	s_andn2_b64 s[56:57], s[56:57], exec
	s_mov_b32 s73, 0
	s_waitcnt lgkmcnt(0)
	flat_load_dword v0, v[0:1] sc0 sc1
	s_waitcnt vmcnt(0) lgkmcnt(0)
	buffer_inv sc0 sc1
	v_cmp_eq_u32_e32 vcc, 0, v0
	s_and_b64 s[58:59], vcc, exec
	s_or_b64 s[56:57], s[56:57], s[58:59]
	s_mov_b64 s[60:61], -1
	s_or_b64 s[46:47], s[46:47], exec
	s_and_saveexec_b64 s[58:59], s[56:57]
	s_cbranch_execz .LBB36_1278
.LBB36_1282:                            ;   in Loop: Header=BB36_1279 Depth=3
	s_sleep 1
	s_trap 2
	ds_read_b64 v[0:1], v0
	s_waitcnt lgkmcnt(0)
	s_andn2_b64 s[46:47], s[46:47], exec
	v_cmp_ge_u64_e32 vcc, v[0:1], v[56:57]
	s_orn2_b64 s[60:61], vcc, exec
	s_branch .LBB36_1278
.LBB36_1283:                            ;   in Loop: Header=BB36_1243 Depth=2
	s_or_b64 exec, exec, s[42:43]
	s_and_saveexec_b64 s[42:43], s[44:45]
	s_xor_b64 s[42:43], exec, s[42:43]
	s_cbranch_execz .LBB36_1285
; %bb.1284:                             ;   in Loop: Header=BB36_1243 Depth=2
	v_mov_b32_e32 v0, 1
	ds_write_b32 v0, v0
	s_trap 2
.LBB36_1285:                            ;   in Loop: Header=BB36_1243 Depth=2
	s_or_b64 exec, exec, s[40:41]
	;;#ASMSTART
	s_wakeup
	;;#ASMEND
.LBB36_1286:                            ;   in Loop: Header=BB36_1243 Depth=2
	s_or_b64 exec, exec, s[28:29]
.LBB36_1287:                            ;   in Loop: Header=BB36_1243 Depth=2
	s_andn2_saveexec_b64 s[26:27], s[26:27]
	s_cbranch_execz .LBB36_1289
; %bb.1288:                             ;   in Loop: Header=BB36_1243 Depth=2
	s_waitcnt lgkmcnt(0)
	s_barrier
.LBB36_1289:                            ;   in Loop: Header=BB36_1243 Depth=2
	s_or_b64 exec, exec, s[26:27]
.LBB36_1290:                            ;   in Loop: Header=BB36_1243 Depth=2
	s_or_b64 exec, exec, s[24:25]
	s_trap 2
	ds_read_b32 v6, v0
	v_and_b32_e32 v0, 0x4000, v79
	v_cmp_ne_u32_e32 vcc, 0, v0
	s_xor_b64 s[24:25], s[2:3], -1
	s_and_b64 s[26:27], s[24:25], vcc
	s_and_saveexec_b64 s[24:25], s[26:27]
	s_cbranch_execz .LBB36_1309
; %bb.1291:                             ;   in Loop: Header=BB36_1243 Depth=2
	s_and_saveexec_b64 s[26:27], s[76:77]
	s_xor_b64 s[26:27], exec, s[26:27]
	s_cbranch_execz .LBB36_1306
; %bb.1292:                             ;   in Loop: Header=BB36_1243 Depth=2
	s_and_saveexec_b64 s[28:29], s[12:13]
	s_cbranch_execz .LBB36_1305
; %bb.1293:                             ;   in Loop: Header=BB36_1243 Depth=2
	s_mov_b64 s[42:43], exec
	v_mbcnt_lo_u32_b32 v0, s42, 0
	v_mbcnt_hi_u32_b32 v0, s43, v0
	v_cmp_eq_u32_e32 vcc, 0, v0
	s_waitcnt lgkmcnt(0)
	s_and_saveexec_b64 s[40:41], vcc
	s_cbranch_execz .LBB36_1295
; %bb.1294:                             ;   in Loop: Header=BB36_1243 Depth=2
	s_bcnt1_i32_b64 s42, s[42:43]
	v_mov_b32_e32 v2, s42
	ds_add_u64 v0, v[2:3]
	s_trap 2
.LBB36_1295:                            ;   in Loop: Header=BB36_1243 Depth=2
	s_or_b64 exec, exec, s[40:41]
	s_trap 2
	ds_read_b64 v[0:1], v0
	s_waitcnt lgkmcnt(0)
	v_lshl_add_u64 v[56:57], v[56:57], 0, v[60:61]
	v_cmp_lt_u64_e32 vcc, v[0:1], v[56:57]
	s_and_saveexec_b64 s[40:41], vcc
	s_cbranch_execz .LBB36_1304
; %bb.1296:                             ;   in Loop: Header=BB36_1243 Depth=2
	s_mov_b32 s73, 0
	s_mov_b64 s[42:43], 0
                                        ; implicit-def: $sgpr44_sgpr45
                                        ; implicit-def: $sgpr46_sgpr47
	s_branch .LBB36_1298
.LBB36_1297:                            ;   in Loop: Header=BB36_1298 Depth=3
	s_or_b64 exec, exec, s[58:59]
	s_and_b64 s[56:57], exec, s[60:61]
	s_or_b64 s[42:43], s[56:57], s[42:43]
	s_andn2_b64 s[44:45], s[44:45], exec
	s_and_b64 s[56:57], s[46:47], exec
	s_or_b64 s[44:45], s[44:45], s[56:57]
	s_andn2_b64 exec, exec, s[42:43]
	s_cbranch_execz .LBB36_1302
.LBB36_1298:                            ;   Parent Loop BB36_47 Depth=1
                                        ;     Parent Loop BB36_1243 Depth=2
                                        ; =>    This Inner Loop Header: Depth=3
	s_add_i32 s73, s73, 1
	s_cmpk_lg_i32 s73, 0x2710
	s_cselect_b64 s[56:57], -1, 0
	s_and_b64 vcc, exec, s[56:57]
	s_cbranch_vccz .LBB36_1300
; %bb.1299:                             ;   in Loop: Header=BB36_1298 Depth=3
	s_mov_b64 s[60:61], -1
	s_or_b64 s[46:47], s[46:47], exec
	s_and_saveexec_b64 s[58:59], s[56:57]
	s_cbranch_execz .LBB36_1297
	s_branch .LBB36_1301
.LBB36_1300:                            ;   in Loop: Header=BB36_1298 Depth=3
	s_trap 2
	ds_read_b64 v[0:1], v0
	s_andn2_b64 s[56:57], s[56:57], exec
	s_mov_b32 s73, 0
	s_waitcnt lgkmcnt(0)
	flat_load_dword v0, v[0:1] sc0 sc1
	s_waitcnt vmcnt(0) lgkmcnt(0)
	buffer_inv sc0 sc1
	v_cmp_eq_u32_e32 vcc, 0, v0
	s_and_b64 s[58:59], vcc, exec
	s_or_b64 s[56:57], s[56:57], s[58:59]
	s_mov_b64 s[60:61], -1
	s_or_b64 s[46:47], s[46:47], exec
	s_and_saveexec_b64 s[58:59], s[56:57]
	s_cbranch_execz .LBB36_1297
.LBB36_1301:                            ;   in Loop: Header=BB36_1298 Depth=3
	s_sleep 1
	s_trap 2
	ds_read_b64 v[0:1], v0
	s_waitcnt lgkmcnt(0)
	s_andn2_b64 s[46:47], s[46:47], exec
	v_cmp_ge_u64_e32 vcc, v[0:1], v[56:57]
	s_orn2_b64 s[60:61], vcc, exec
	s_branch .LBB36_1297
.LBB36_1302:                            ;   in Loop: Header=BB36_1243 Depth=2
	s_or_b64 exec, exec, s[42:43]
	s_and_saveexec_b64 s[42:43], s[44:45]
	s_xor_b64 s[42:43], exec, s[42:43]
	s_cbranch_execz .LBB36_1304
; %bb.1303:                             ;   in Loop: Header=BB36_1243 Depth=2
	v_mov_b32_e32 v0, 1
	ds_write_b32 v0, v0
	s_trap 2
.LBB36_1304:                            ;   in Loop: Header=BB36_1243 Depth=2
	s_or_b64 exec, exec, s[40:41]
	;;#ASMSTART
	s_wakeup
	;;#ASMEND
.LBB36_1305:                            ;   in Loop: Header=BB36_1243 Depth=2
	s_or_b64 exec, exec, s[28:29]
.LBB36_1306:                            ;   in Loop: Header=BB36_1243 Depth=2
	s_andn2_saveexec_b64 s[26:27], s[26:27]
	s_cbranch_execz .LBB36_1308
; %bb.1307:                             ;   in Loop: Header=BB36_1243 Depth=2
	s_waitcnt lgkmcnt(0)
	s_barrier
.LBB36_1308:                            ;   in Loop: Header=BB36_1243 Depth=2
	s_or_b64 exec, exec, s[26:27]
.LBB36_1309:                            ;   in Loop: Header=BB36_1243 Depth=2
	s_or_b64 exec, exec, s[24:25]
	s_trap 2
	ds_read_b64 v[100:101], v0
	s_waitcnt lgkmcnt(0)
	v_cmp_eq_u64_e32 vcc, 0, v[100:101]
	s_cbranch_vccnz .LBB36_1318
; %bb.1310:                             ;   in Loop: Header=BB36_1243 Depth=2
	s_trap 2
	ds_read_b64 v[98:99], v0
	s_waitcnt lgkmcnt(0)
	v_cmp_eq_u64_e32 vcc, 0, v[98:99]
	s_cbranch_vccnz .LBB36_1318
; %bb.1311:                             ;   in Loop: Header=BB36_1243 Depth=2
	s_trap 2
	ds_read_b64 v[0:1], v0
	v_cmp_eq_u32_e32 vcc, 0, v6
	s_waitcnt lgkmcnt(0)
	v_readfirstlane_b32 s73, v0
	v_cndmask_b32_e32 v6, 0, v84, vcc
	v_cmp_ne_u64_e32 vcc, 0, v[0:1]
	s_cbranch_vccz .LBB36_1319
; %bb.1312:                             ;   in Loop: Header=BB36_1243 Depth=2
	s_trap 2
	ds_read_b64 v[102:103], v0
	s_mov_b64 s[26:27], -1
	s_and_saveexec_b64 s[24:25], s[18:19]
	s_cbranch_execz .LBB36_1314
; %bb.1313:                             ;   in Loop: Header=BB36_1243 Depth=2
	ds_read_b32 v2, v0 offset:720
	s_waitcnt lgkmcnt(0)
	v_and_b32_e32 v2, 15, v2
	v_cmp_eq_u32_e32 vcc, 0, v2
	s_orn2_b64 s[26:27], vcc, exec
.LBB36_1314:                            ;   in Loop: Header=BB36_1243 Depth=2
	s_or_b64 exec, exec, s[24:25]
	s_and_saveexec_b64 s[24:25], s[18:19]
	s_cbranch_execz .LBB36_1316
; %bb.1315:                             ;   in Loop: Header=BB36_1243 Depth=2
	ds_read_b32 v2, v0 offset:784
	s_waitcnt lgkmcnt(0)
	v_and_b32_e32 v2, 15, v2
	v_cmp_eq_u32_e32 vcc, 0, v2
	s_and_b64 s[28:29], s[26:27], vcc
	s_andn2_b64 s[26:27], s[26:27], exec
	s_and_b64 s[28:29], s[28:29], exec
	s_or_b64 s[26:27], s[26:27], s[28:29]
.LBB36_1316:                            ;   in Loop: Header=BB36_1243 Depth=2
	s_or_b64 exec, exec, s[24:25]
	s_xor_b64 s[26:27], s[26:27], -1
	v_cndmask_b32_e64 v2, 0, 1, s[26:27]
	v_lshlrev_b32_e32 v7, 1, v6
	s_mov_b64 s[24:25], -1
	v_mov_b32_e32 v18, 0
	v_cmp_ne_u32_e32 vcc, 0, v2
	s_cbranch_vccz .LBB36_1321
; %bb.1317:                             ;   in Loop: Header=BB36_1243 Depth=2
	scratch_load_dword v19, off, s33 offset:344 ; 4-byte Folded Reload
	s_and_saveexec_b64 s[40:41], s[24:25]
	s_cbranch_execnz .LBB36_1622
	s_branch .LBB36_1764
.LBB36_1318:                            ;   in Loop: Header=BB36_1243 Depth=2
	s_mov_b64 s[24:25], 0
	s_and_saveexec_b64 s[26:27], s[4:5]
	s_cbranch_execz .LBB36_2229
	s_branch .LBB36_2211
.LBB36_1319:                            ;   in Loop: Header=BB36_1243 Depth=2
	s_cbranch_execnz .LBB36_1765
.LBB36_1320:                            ;   in Loop: Header=BB36_1243 Depth=2
	v_cmp_lt_i32_e64 s[24:25], 0, v6
	s_and_saveexec_b64 s[26:27], s[4:5]
	s_cbranch_execnz .LBB36_2211
	s_branch .LBB36_2229
.LBB36_1321:                            ;   in Loop: Header=BB36_1243 Depth=2
	v_ashrrev_i32_e32 v2, 31, v7
	v_lshrrev_b32_e32 v2, 20, v2
	v_add_u32_e32 v2, v7, v2
	v_ashrrev_i32_e32 v85, 12, v2
	scratch_load_dword v2, off, s33 offset:344 ; 4-byte Folded Reload
	s_waitcnt vmcnt(0)
	v_lshrrev_b32_e32 v2, 6, v2
	v_sub_u32_e32 v2, v85, v2
	v_cmp_lt_i32_e32 vcc, 0, v2
	s_and_saveexec_b64 s[26:27], vcc
	s_cbranch_execz .LBB36_1581
; %bb.1322:                             ;   in Loop: Header=BB36_1243 Depth=2
	s_trap 2
	scratch_load_dwordx2 v[10:11], off, s33 offset:304 ; 8-byte Folded Reload
	ds_read_b64 v[8:9], v0
	s_and_b32 s74, s73, 1
	s_cmp_eq_u64 s[74:75], 0
	s_mov_b64 s[28:29], 0
	s_cselect_b64 vcc, -1, 0
	s_waitcnt vmcnt(0) lgkmcnt(1)
	v_lshl_add_u64 v[112:113], v[102:103], 0, v[10:11]
	v_lshl_add_u64 v[114:115], v[98:99], 0, v[10:11]
	;; [unrolled: 1-line block ×4, first 2 shown]
	s_waitcnt lgkmcnt(0)
	v_lshl_add_u64 v[72:73], v[8:9], 0, v[10:11]
	s_branch .LBB36_1324
.LBB36_1323:                            ;   in Loop: Header=BB36_1324 Depth=3
	s_or_b64 exec, exec, s[40:41]
	v_or_b32_sdwa v65, v33, v24 dst_sel:DWORD dst_unused:UNUSED_PAD src0_sel:DWORD src1_sel:WORD_1
	v_lshrrev_b32_e32 v24, 16, v35
	v_and_or_b32 v9, v9, s9, v24
	v_lshrrev_b32_e32 v24, 16, v30
	v_and_or_b32 v8, v8, s9, v24
	v_lshrrev_b32_e32 v24, 16, v48
	v_and_or_b32 v10, v10, s9, v24
	v_lshrrev_b32_e32 v24, 16, v49
	v_and_or_b32 v11, v11, s9, v24
	v_or_b32_sdwa v64, v32, v39 dst_sel:DWORD dst_unused:UNUSED_PAD src0_sel:DWORD src1_sel:WORD_1
	v_or_b32_sdwa v66, v34, v25 dst_sel:DWORD dst_unused:UNUSED_PAD src0_sel:DWORD src1_sel:WORD_1
	v_or_b32_sdwa v67, v27, v26 dst_sel:DWORD dst_unused:UNUSED_PAD src0_sel:DWORD src1_sel:WORD_1
	v_or_b32_sdwa v13, v13, v36 dst_sel:DWORD dst_unused:UNUSED_PAD src0_sel:DWORD src1_sel:WORD_1
	v_or_b32_sdwa v12, v12, v55 dst_sel:DWORD dst_unused:UNUSED_PAD src0_sel:DWORD src1_sel:WORD_1
	v_or_b32_sdwa v14, v14, v37 dst_sel:DWORD dst_unused:UNUSED_PAD src0_sel:DWORD src1_sel:WORD_1
	v_or_b32_sdwa v15, v15, v38 dst_sel:DWORD dst_unused:UNUSED_PAD src0_sel:DWORD src1_sel:WORD_1
	v_or_b32_sdwa v17, v17, v52 dst_sel:DWORD dst_unused:UNUSED_PAD src0_sel:DWORD src1_sel:WORD_1
	v_or_b32_sdwa v16, v16, v71 dst_sel:DWORD dst_unused:UNUSED_PAD src0_sel:DWORD src1_sel:WORD_1
	v_or_b32_sdwa v18, v18, v53 dst_sel:DWORD dst_unused:UNUSED_PAD src0_sel:DWORD src1_sel:WORD_1
	v_or_b32_sdwa v19, v19, v54 dst_sel:DWORD dst_unused:UNUSED_PAD src0_sel:DWORD src1_sel:WORD_1
	v_or_b32_sdwa v21, v21, v68 dst_sel:DWORD dst_unused:UNUSED_PAD src0_sel:DWORD src1_sel:WORD_1
	v_or_b32_sdwa v20, v20, v87 dst_sel:DWORD dst_unused:UNUSED_PAD src0_sel:DWORD src1_sel:WORD_1
	v_or_b32_sdwa v22, v22, v69 dst_sel:DWORD dst_unused:UNUSED_PAD src0_sel:DWORD src1_sel:WORD_1
	v_or_b32_sdwa v23, v23, v70 dst_sel:DWORD dst_unused:UNUSED_PAD src0_sel:DWORD src1_sel:WORD_1
	global_store_dwordx4 v[114:115], v[8:11], off offset:3072
	global_store_dwordx4 v[118:119], v[20:23], off
	global_store_dwordx4 v[118:119], v[16:19], off offset:1024
	global_store_dwordx4 v[118:119], v[12:15], off offset:2048
	;; [unrolled: 1-line block ×3, first 2 shown]
	scratch_load_dwordx2 v[8:9], off, s33 offset:320 ; 8-byte Folded Reload
	v_sub_u32_e32 v2, v2, v60
	v_cmp_gt_i32_e64 s[24:25], 1, v2
	s_or_b64 s[28:29], s[24:25], s[28:29]
	s_waitcnt vmcnt(0)
	v_lshl_add_u64 v[58:59], v[58:59], 0, v[8:9]
	v_lshl_add_u64 v[72:73], v[72:73], 0, v[8:9]
	;; [unrolled: 1-line block ×5, first 2 shown]
	s_andn2_b64 exec, exec, s[28:29]
	s_cbranch_execz .LBB36_1580
.LBB36_1324:                            ;   Parent Loop BB36_47 Depth=1
                                        ;     Parent Loop BB36_1243 Depth=2
                                        ; =>    This Inner Loop Header: Depth=3
	global_load_dwordx4 v[68:71], v[58:59], off nt
	global_load_dwordx4 v[52:55], v[58:59], off offset:1024 nt
	global_load_dwordx4 v[80:83], v[72:73], off nt
	global_load_dwordx4 v[20:23], v[112:113], off nt
	global_load_dwordx4 v[16:19], v[112:113], off offset:1024 nt
	global_load_dwordx4 v[36:39], v[58:59], off offset:2048 nt
	;; [unrolled: 1-line block ×8, first 2 shown]
	s_waitcnt vmcnt(11)
	v_lshlrev_b32_e32 v30, 16, v68
	v_max_f32_e32 v30, v30, v30
	s_waitcnt vmcnt(9)
	v_lshlrev_b32_e32 v87, 16, v80
	v_max_f32_e32 v87, v87, v87
	v_min_f32_e32 v116, v30, v87
	v_max_f32_e32 v30, v30, v87
	v_cndmask_b32_e32 v30, v30, v116, vcc
	v_and_b32_e32 v87, 0x7f800000, v30
	v_cmp_ne_u32_e64 s[24:25], s35, v87
                                        ; implicit-def: $vgpr87
	s_and_saveexec_b64 s[40:41], s[24:25]
	s_xor_b64 s[24:25], exec, s[40:41]
; %bb.1325:                             ;   in Loop: Header=BB36_1324 Depth=3
	v_bfe_u32 v87, v30, 16, 1
	v_add3_u32 v87, v30, v87, s8
                                        ; implicit-def: $vgpr30
; %bb.1326:                             ;   in Loop: Header=BB36_1324 Depth=3
	s_andn2_saveexec_b64 s[40:41], s[24:25]
; %bb.1327:                             ;   in Loop: Header=BB36_1324 Depth=3
	v_or_b32_e32 v87, 0x10000, v30
	v_cmp_eq_u32_sdwa s[24:25], v30, v3 src0_sel:WORD_0 src1_sel:DWORD
	s_nop 1
	v_cndmask_b32_e64 v87, v87, v30, s[24:25]
; %bb.1328:                             ;   in Loop: Header=BB36_1324 Depth=3
	s_or_b64 exec, exec, s[40:41]
	v_and_b32_e32 v30, 0xffff0000, v68
	v_and_b32_e32 v68, 0xffff0000, v80
	v_max_f32_e32 v68, v68, v68
	v_max_f32_e32 v30, v30, v30
	v_min_f32_e32 v80, v30, v68
	v_max_f32_e32 v30, v30, v68
	v_cndmask_b32_e32 v30, v30, v80, vcc
	v_and_b32_e32 v68, 0x7f800000, v30
	v_cmp_ne_u32_e64 s[24:25], s35, v68
                                        ; implicit-def: $vgpr80
	s_and_saveexec_b64 s[40:41], s[24:25]
	s_xor_b64 s[24:25], exec, s[40:41]
; %bb.1329:                             ;   in Loop: Header=BB36_1324 Depth=3
	v_bfe_u32 v68, v30, 16, 1
	v_add3_u32 v80, v30, v68, s8
                                        ; implicit-def: $vgpr30
; %bb.1330:                             ;   in Loop: Header=BB36_1324 Depth=3
	s_andn2_saveexec_b64 s[40:41], s[24:25]
; %bb.1331:                             ;   in Loop: Header=BB36_1324 Depth=3
	v_or_b32_e32 v68, 0x10000, v30
	v_cmp_eq_u32_sdwa s[24:25], v30, v3 src0_sel:WORD_0 src1_sel:DWORD
	s_nop 1
	v_cndmask_b32_e64 v80, v68, v30, s[24:25]
; %bb.1332:                             ;   in Loop: Header=BB36_1324 Depth=3
	s_or_b64 exec, exec, s[40:41]
	v_lshlrev_b32_e32 v30, 16, v69
	v_lshlrev_b32_e32 v68, 16, v81
	v_max_f32_e32 v68, v68, v68
	v_max_f32_e32 v30, v30, v30
	v_min_f32_e32 v116, v30, v68
	v_max_f32_e32 v30, v30, v68
	v_cndmask_b32_e32 v30, v30, v116, vcc
	v_and_b32_e32 v68, 0x7f800000, v30
	v_cmp_ne_u32_e64 s[24:25], s35, v68
                                        ; implicit-def: $vgpr68
	s_and_saveexec_b64 s[40:41], s[24:25]
	s_xor_b64 s[24:25], exec, s[40:41]
; %bb.1333:                             ;   in Loop: Header=BB36_1324 Depth=3
	v_bfe_u32 v68, v30, 16, 1
	v_add3_u32 v68, v30, v68, s8
                                        ; implicit-def: $vgpr30
; %bb.1334:                             ;   in Loop: Header=BB36_1324 Depth=3
	s_andn2_saveexec_b64 s[40:41], s[24:25]
; %bb.1335:                             ;   in Loop: Header=BB36_1324 Depth=3
	v_or_b32_e32 v68, 0x10000, v30
	v_cmp_eq_u32_sdwa s[24:25], v30, v3 src0_sel:WORD_0 src1_sel:DWORD
	s_nop 1
	v_cndmask_b32_e64 v68, v68, v30, s[24:25]
; %bb.1336:                             ;   in Loop: Header=BB36_1324 Depth=3
	s_or_b64 exec, exec, s[40:41]
	v_and_b32_e32 v30, 0xffff0000, v69
	v_and_b32_e32 v69, 0xffff0000, v81
	v_max_f32_e32 v69, v69, v69
	v_max_f32_e32 v30, v30, v30
	v_min_f32_e32 v81, v30, v69
	v_max_f32_e32 v30, v30, v69
	v_cndmask_b32_e32 v30, v30, v81, vcc
	v_and_b32_e32 v69, 0x7f800000, v30
	v_cmp_ne_u32_e64 s[24:25], s35, v69
                                        ; implicit-def: $vgpr81
	s_and_saveexec_b64 s[40:41], s[24:25]
	s_xor_b64 s[24:25], exec, s[40:41]
; %bb.1337:                             ;   in Loop: Header=BB36_1324 Depth=3
	v_bfe_u32 v69, v30, 16, 1
	v_add3_u32 v81, v30, v69, s8
                                        ; implicit-def: $vgpr30
; %bb.1338:                             ;   in Loop: Header=BB36_1324 Depth=3
	s_andn2_saveexec_b64 s[40:41], s[24:25]
; %bb.1339:                             ;   in Loop: Header=BB36_1324 Depth=3
	v_or_b32_e32 v69, 0x10000, v30
	v_cmp_eq_u32_sdwa s[24:25], v30, v3 src0_sel:WORD_0 src1_sel:DWORD
	s_nop 1
	v_cndmask_b32_e64 v81, v69, v30, s[24:25]
; %bb.1340:                             ;   in Loop: Header=BB36_1324 Depth=3
	s_or_b64 exec, exec, s[40:41]
	v_lshlrev_b32_e32 v30, 16, v70
	v_lshlrev_b32_e32 v69, 16, v82
	v_max_f32_e32 v69, v69, v69
	v_max_f32_e32 v30, v30, v30
	v_min_f32_e32 v116, v30, v69
	v_max_f32_e32 v30, v30, v69
	v_cndmask_b32_e32 v30, v30, v116, vcc
	v_and_b32_e32 v69, 0x7f800000, v30
	v_cmp_ne_u32_e64 s[24:25], s35, v69
                                        ; implicit-def: $vgpr69
	s_and_saveexec_b64 s[40:41], s[24:25]
	s_xor_b64 s[24:25], exec, s[40:41]
; %bb.1341:                             ;   in Loop: Header=BB36_1324 Depth=3
	v_bfe_u32 v69, v30, 16, 1
	v_add3_u32 v69, v30, v69, s8
                                        ; implicit-def: $vgpr30
; %bb.1342:                             ;   in Loop: Header=BB36_1324 Depth=3
	s_andn2_saveexec_b64 s[40:41], s[24:25]
; %bb.1343:                             ;   in Loop: Header=BB36_1324 Depth=3
	v_or_b32_e32 v69, 0x10000, v30
	v_cmp_eq_u32_sdwa s[24:25], v30, v3 src0_sel:WORD_0 src1_sel:DWORD
	s_nop 1
	v_cndmask_b32_e64 v69, v69, v30, s[24:25]
; %bb.1344:                             ;   in Loop: Header=BB36_1324 Depth=3
	s_or_b64 exec, exec, s[40:41]
	v_and_b32_e32 v30, 0xffff0000, v70
	v_and_b32_e32 v70, 0xffff0000, v82
	v_max_f32_e32 v70, v70, v70
	v_max_f32_e32 v30, v30, v30
	v_min_f32_e32 v82, v30, v70
	v_max_f32_e32 v30, v30, v70
	v_cndmask_b32_e32 v30, v30, v82, vcc
	v_and_b32_e32 v70, 0x7f800000, v30
	v_cmp_ne_u32_e64 s[24:25], s35, v70
                                        ; implicit-def: $vgpr82
	s_and_saveexec_b64 s[40:41], s[24:25]
	s_xor_b64 s[24:25], exec, s[40:41]
; %bb.1345:                             ;   in Loop: Header=BB36_1324 Depth=3
	v_bfe_u32 v70, v30, 16, 1
	v_add3_u32 v82, v30, v70, s8
                                        ; implicit-def: $vgpr30
; %bb.1346:                             ;   in Loop: Header=BB36_1324 Depth=3
	s_andn2_saveexec_b64 s[40:41], s[24:25]
; %bb.1347:                             ;   in Loop: Header=BB36_1324 Depth=3
	v_or_b32_e32 v70, 0x10000, v30
	v_cmp_eq_u32_sdwa s[24:25], v30, v3 src0_sel:WORD_0 src1_sel:DWORD
	s_nop 1
	v_cndmask_b32_e64 v82, v70, v30, s[24:25]
; %bb.1348:                             ;   in Loop: Header=BB36_1324 Depth=3
	s_or_b64 exec, exec, s[40:41]
	v_lshlrev_b32_e32 v30, 16, v71
	v_lshlrev_b32_e32 v70, 16, v83
	v_max_f32_e32 v70, v70, v70
	v_max_f32_e32 v30, v30, v30
	v_min_f32_e32 v116, v30, v70
	v_max_f32_e32 v30, v30, v70
	v_cndmask_b32_e32 v30, v30, v116, vcc
	v_and_b32_e32 v70, 0x7f800000, v30
	v_cmp_ne_u32_e64 s[24:25], s35, v70
                                        ; implicit-def: $vgpr70
	s_and_saveexec_b64 s[40:41], s[24:25]
	s_xor_b64 s[24:25], exec, s[40:41]
; %bb.1349:                             ;   in Loop: Header=BB36_1324 Depth=3
	v_bfe_u32 v70, v30, 16, 1
	v_add3_u32 v70, v30, v70, s8
                                        ; implicit-def: $vgpr30
; %bb.1350:                             ;   in Loop: Header=BB36_1324 Depth=3
	s_andn2_saveexec_b64 s[40:41], s[24:25]
; %bb.1351:                             ;   in Loop: Header=BB36_1324 Depth=3
	v_or_b32_e32 v70, 0x10000, v30
	v_cmp_eq_u32_sdwa s[24:25], v30, v3 src0_sel:WORD_0 src1_sel:DWORD
	s_nop 1
	v_cndmask_b32_e64 v70, v70, v30, s[24:25]
; %bb.1352:                             ;   in Loop: Header=BB36_1324 Depth=3
	s_or_b64 exec, exec, s[40:41]
	v_and_b32_e32 v30, 0xffff0000, v71
	v_and_b32_e32 v71, 0xffff0000, v83
	v_max_f32_e32 v71, v71, v71
	v_max_f32_e32 v30, v30, v30
	v_min_f32_e32 v83, v30, v71
	v_max_f32_e32 v30, v30, v71
	v_cndmask_b32_e32 v30, v30, v83, vcc
	v_and_b32_e32 v71, 0x7f800000, v30
	v_cmp_ne_u32_e64 s[24:25], s35, v71
                                        ; implicit-def: $vgpr83
	s_and_saveexec_b64 s[40:41], s[24:25]
	s_xor_b64 s[24:25], exec, s[40:41]
; %bb.1353:                             ;   in Loop: Header=BB36_1324 Depth=3
	v_bfe_u32 v71, v30, 16, 1
	v_add3_u32 v83, v30, v71, s8
                                        ; implicit-def: $vgpr30
; %bb.1354:                             ;   in Loop: Header=BB36_1324 Depth=3
	s_andn2_saveexec_b64 s[40:41], s[24:25]
; %bb.1355:                             ;   in Loop: Header=BB36_1324 Depth=3
	v_or_b32_e32 v71, 0x10000, v30
	v_cmp_eq_u32_sdwa s[24:25], v30, v3 src0_sel:WORD_0 src1_sel:DWORD
	s_nop 1
	v_cndmask_b32_e64 v83, v71, v30, s[24:25]
; %bb.1356:                             ;   in Loop: Header=BB36_1324 Depth=3
	s_or_b64 exec, exec, s[40:41]
	v_lshlrev_b32_e32 v30, 16, v52
	s_waitcnt vmcnt(2)
	v_lshlrev_b32_e32 v71, 16, v64
	v_max_f32_e32 v71, v71, v71
	v_max_f32_e32 v30, v30, v30
	v_min_f32_e32 v116, v30, v71
	v_max_f32_e32 v30, v30, v71
	v_cndmask_b32_e32 v30, v30, v116, vcc
	v_and_b32_e32 v71, 0x7f800000, v30
	v_cmp_ne_u32_e64 s[24:25], s35, v71
                                        ; implicit-def: $vgpr71
	s_and_saveexec_b64 s[40:41], s[24:25]
	s_xor_b64 s[24:25], exec, s[40:41]
; %bb.1357:                             ;   in Loop: Header=BB36_1324 Depth=3
	v_bfe_u32 v71, v30, 16, 1
	v_add3_u32 v71, v30, v71, s8
                                        ; implicit-def: $vgpr30
; %bb.1358:                             ;   in Loop: Header=BB36_1324 Depth=3
	s_andn2_saveexec_b64 s[40:41], s[24:25]
; %bb.1359:                             ;   in Loop: Header=BB36_1324 Depth=3
	v_or_b32_e32 v71, 0x10000, v30
	v_cmp_eq_u32_sdwa s[24:25], v30, v3 src0_sel:WORD_0 src1_sel:DWORD
	s_nop 1
	v_cndmask_b32_e64 v71, v71, v30, s[24:25]
; %bb.1360:                             ;   in Loop: Header=BB36_1324 Depth=3
	s_or_b64 exec, exec, s[40:41]
	v_and_b32_e32 v30, 0xffff0000, v52
	v_and_b32_e32 v52, 0xffff0000, v64
	v_max_f32_e32 v52, v52, v52
	v_max_f32_e32 v30, v30, v30
	v_min_f32_e32 v64, v30, v52
	v_max_f32_e32 v30, v30, v52
	v_cndmask_b32_e32 v30, v30, v64, vcc
	v_and_b32_e32 v52, 0x7f800000, v30
	v_cmp_ne_u32_e64 s[24:25], s35, v52
                                        ; implicit-def: $vgpr64
	s_and_saveexec_b64 s[40:41], s[24:25]
	s_xor_b64 s[24:25], exec, s[40:41]
; %bb.1361:                             ;   in Loop: Header=BB36_1324 Depth=3
	v_bfe_u32 v52, v30, 16, 1
	v_add3_u32 v64, v30, v52, s8
                                        ; implicit-def: $vgpr30
; %bb.1362:                             ;   in Loop: Header=BB36_1324 Depth=3
	s_andn2_saveexec_b64 s[40:41], s[24:25]
; %bb.1363:                             ;   in Loop: Header=BB36_1324 Depth=3
	v_or_b32_e32 v52, 0x10000, v30
	v_cmp_eq_u32_sdwa s[24:25], v30, v3 src0_sel:WORD_0 src1_sel:DWORD
	s_nop 1
	v_cndmask_b32_e64 v64, v52, v30, s[24:25]
; %bb.1364:                             ;   in Loop: Header=BB36_1324 Depth=3
	s_or_b64 exec, exec, s[40:41]
	v_lshlrev_b32_e32 v30, 16, v53
	v_lshlrev_b32_e32 v52, 16, v65
	v_max_f32_e32 v52, v52, v52
	v_max_f32_e32 v30, v30, v30
	v_min_f32_e32 v116, v30, v52
	v_max_f32_e32 v30, v30, v52
	v_cndmask_b32_e32 v30, v30, v116, vcc
	v_and_b32_e32 v52, 0x7f800000, v30
	v_cmp_ne_u32_e64 s[24:25], s35, v52
                                        ; implicit-def: $vgpr52
	s_and_saveexec_b64 s[40:41], s[24:25]
	s_xor_b64 s[24:25], exec, s[40:41]
; %bb.1365:                             ;   in Loop: Header=BB36_1324 Depth=3
	v_bfe_u32 v52, v30, 16, 1
	v_add3_u32 v52, v30, v52, s8
                                        ; implicit-def: $vgpr30
; %bb.1366:                             ;   in Loop: Header=BB36_1324 Depth=3
	s_andn2_saveexec_b64 s[40:41], s[24:25]
; %bb.1367:                             ;   in Loop: Header=BB36_1324 Depth=3
	v_or_b32_e32 v52, 0x10000, v30
	v_cmp_eq_u32_sdwa s[24:25], v30, v3 src0_sel:WORD_0 src1_sel:DWORD
	s_nop 1
	v_cndmask_b32_e64 v52, v52, v30, s[24:25]
; %bb.1368:                             ;   in Loop: Header=BB36_1324 Depth=3
	s_or_b64 exec, exec, s[40:41]
	v_and_b32_e32 v30, 0xffff0000, v53
	v_and_b32_e32 v53, 0xffff0000, v65
	v_max_f32_e32 v53, v53, v53
	v_max_f32_e32 v30, v30, v30
	v_min_f32_e32 v65, v30, v53
	v_max_f32_e32 v30, v30, v53
	v_cndmask_b32_e32 v30, v30, v65, vcc
	v_and_b32_e32 v53, 0x7f800000, v30
	v_cmp_ne_u32_e64 s[24:25], s35, v53
                                        ; implicit-def: $vgpr65
	s_and_saveexec_b64 s[40:41], s[24:25]
	s_xor_b64 s[24:25], exec, s[40:41]
; %bb.1369:                             ;   in Loop: Header=BB36_1324 Depth=3
	v_bfe_u32 v53, v30, 16, 1
	v_add3_u32 v65, v30, v53, s8
                                        ; implicit-def: $vgpr30
; %bb.1370:                             ;   in Loop: Header=BB36_1324 Depth=3
	s_andn2_saveexec_b64 s[40:41], s[24:25]
; %bb.1371:                             ;   in Loop: Header=BB36_1324 Depth=3
	v_or_b32_e32 v53, 0x10000, v30
	v_cmp_eq_u32_sdwa s[24:25], v30, v3 src0_sel:WORD_0 src1_sel:DWORD
	s_nop 1
	v_cndmask_b32_e64 v65, v53, v30, s[24:25]
; %bb.1372:                             ;   in Loop: Header=BB36_1324 Depth=3
	s_or_b64 exec, exec, s[40:41]
	v_lshlrev_b32_e32 v30, 16, v54
	v_lshlrev_b32_e32 v53, 16, v66
	v_max_f32_e32 v53, v53, v53
	v_max_f32_e32 v30, v30, v30
	v_min_f32_e32 v116, v30, v53
	v_max_f32_e32 v30, v30, v53
	v_cndmask_b32_e32 v30, v30, v116, vcc
	v_and_b32_e32 v53, 0x7f800000, v30
	v_cmp_ne_u32_e64 s[24:25], s35, v53
                                        ; implicit-def: $vgpr53
	s_and_saveexec_b64 s[40:41], s[24:25]
	s_xor_b64 s[24:25], exec, s[40:41]
; %bb.1373:                             ;   in Loop: Header=BB36_1324 Depth=3
	v_bfe_u32 v53, v30, 16, 1
	v_add3_u32 v53, v30, v53, s8
                                        ; implicit-def: $vgpr30
; %bb.1374:                             ;   in Loop: Header=BB36_1324 Depth=3
	s_andn2_saveexec_b64 s[40:41], s[24:25]
; %bb.1375:                             ;   in Loop: Header=BB36_1324 Depth=3
	v_or_b32_e32 v53, 0x10000, v30
	v_cmp_eq_u32_sdwa s[24:25], v30, v3 src0_sel:WORD_0 src1_sel:DWORD
	s_nop 1
	v_cndmask_b32_e64 v53, v53, v30, s[24:25]
; %bb.1376:                             ;   in Loop: Header=BB36_1324 Depth=3
	s_or_b64 exec, exec, s[40:41]
	v_and_b32_e32 v30, 0xffff0000, v54
	v_and_b32_e32 v54, 0xffff0000, v66
	v_max_f32_e32 v54, v54, v54
	v_max_f32_e32 v30, v30, v30
	v_min_f32_e32 v66, v30, v54
	v_max_f32_e32 v30, v30, v54
	v_cndmask_b32_e32 v30, v30, v66, vcc
	v_and_b32_e32 v54, 0x7f800000, v30
	v_cmp_ne_u32_e64 s[24:25], s35, v54
                                        ; implicit-def: $vgpr66
	s_and_saveexec_b64 s[40:41], s[24:25]
	s_xor_b64 s[24:25], exec, s[40:41]
; %bb.1377:                             ;   in Loop: Header=BB36_1324 Depth=3
	v_bfe_u32 v54, v30, 16, 1
	v_add3_u32 v66, v30, v54, s8
                                        ; implicit-def: $vgpr30
; %bb.1378:                             ;   in Loop: Header=BB36_1324 Depth=3
	s_andn2_saveexec_b64 s[40:41], s[24:25]
; %bb.1379:                             ;   in Loop: Header=BB36_1324 Depth=3
	v_or_b32_e32 v54, 0x10000, v30
	v_cmp_eq_u32_sdwa s[24:25], v30, v3 src0_sel:WORD_0 src1_sel:DWORD
	s_nop 1
	v_cndmask_b32_e64 v66, v54, v30, s[24:25]
; %bb.1380:                             ;   in Loop: Header=BB36_1324 Depth=3
	s_or_b64 exec, exec, s[40:41]
	v_lshlrev_b32_e32 v30, 16, v55
	v_lshlrev_b32_e32 v54, 16, v67
	v_max_f32_e32 v54, v54, v54
	v_max_f32_e32 v30, v30, v30
	v_min_f32_e32 v116, v30, v54
	v_max_f32_e32 v30, v30, v54
	v_cndmask_b32_e32 v30, v30, v116, vcc
	v_and_b32_e32 v54, 0x7f800000, v30
	v_cmp_ne_u32_e64 s[24:25], s35, v54
                                        ; implicit-def: $vgpr54
	s_and_saveexec_b64 s[40:41], s[24:25]
	s_xor_b64 s[24:25], exec, s[40:41]
; %bb.1381:                             ;   in Loop: Header=BB36_1324 Depth=3
	v_bfe_u32 v54, v30, 16, 1
	v_add3_u32 v54, v30, v54, s8
                                        ; implicit-def: $vgpr30
; %bb.1382:                             ;   in Loop: Header=BB36_1324 Depth=3
	s_andn2_saveexec_b64 s[40:41], s[24:25]
; %bb.1383:                             ;   in Loop: Header=BB36_1324 Depth=3
	v_or_b32_e32 v54, 0x10000, v30
	v_cmp_eq_u32_sdwa s[24:25], v30, v3 src0_sel:WORD_0 src1_sel:DWORD
	s_nop 1
	v_cndmask_b32_e64 v54, v54, v30, s[24:25]
; %bb.1384:                             ;   in Loop: Header=BB36_1324 Depth=3
	s_or_b64 exec, exec, s[40:41]
	v_and_b32_e32 v30, 0xffff0000, v55
	v_and_b32_e32 v55, 0xffff0000, v67
	v_max_f32_e32 v55, v55, v55
	v_max_f32_e32 v30, v30, v30
	v_min_f32_e32 v67, v30, v55
	v_max_f32_e32 v30, v30, v55
	v_cndmask_b32_e32 v30, v30, v67, vcc
	v_and_b32_e32 v55, 0x7f800000, v30
	v_cmp_ne_u32_e64 s[24:25], s35, v55
                                        ; implicit-def: $vgpr67
	s_and_saveexec_b64 s[40:41], s[24:25]
	s_xor_b64 s[24:25], exec, s[40:41]
; %bb.1385:                             ;   in Loop: Header=BB36_1324 Depth=3
	v_bfe_u32 v55, v30, 16, 1
	v_add3_u32 v67, v30, v55, s8
                                        ; implicit-def: $vgpr30
; %bb.1386:                             ;   in Loop: Header=BB36_1324 Depth=3
	s_andn2_saveexec_b64 s[40:41], s[24:25]
; %bb.1387:                             ;   in Loop: Header=BB36_1324 Depth=3
	v_or_b32_e32 v55, 0x10000, v30
	v_cmp_eq_u32_sdwa s[24:25], v30, v3 src0_sel:WORD_0 src1_sel:DWORD
	s_nop 1
	v_cndmask_b32_e64 v67, v55, v30, s[24:25]
; %bb.1388:                             ;   in Loop: Header=BB36_1324 Depth=3
	s_or_b64 exec, exec, s[40:41]
	v_lshlrev_b32_e32 v30, 16, v36
	s_waitcnt vmcnt(1)
	v_lshlrev_b32_e32 v55, 16, v48
	v_max_f32_e32 v55, v55, v55
	v_max_f32_e32 v30, v30, v30
	v_min_f32_e32 v116, v30, v55
	v_max_f32_e32 v30, v30, v55
	v_cndmask_b32_e32 v30, v30, v116, vcc
	v_and_b32_e32 v55, 0x7f800000, v30
	v_cmp_ne_u32_e64 s[24:25], s35, v55
                                        ; implicit-def: $vgpr55
	s_and_saveexec_b64 s[40:41], s[24:25]
	s_xor_b64 s[24:25], exec, s[40:41]
; %bb.1389:                             ;   in Loop: Header=BB36_1324 Depth=3
	v_bfe_u32 v55, v30, 16, 1
	v_add3_u32 v55, v30, v55, s8
                                        ; implicit-def: $vgpr30
; %bb.1390:                             ;   in Loop: Header=BB36_1324 Depth=3
	s_andn2_saveexec_b64 s[40:41], s[24:25]
; %bb.1391:                             ;   in Loop: Header=BB36_1324 Depth=3
	v_or_b32_e32 v55, 0x10000, v30
	v_cmp_eq_u32_sdwa s[24:25], v30, v3 src0_sel:WORD_0 src1_sel:DWORD
	s_nop 1
	v_cndmask_b32_e64 v55, v55, v30, s[24:25]
; %bb.1392:                             ;   in Loop: Header=BB36_1324 Depth=3
	s_or_b64 exec, exec, s[40:41]
	v_and_b32_e32 v30, 0xffff0000, v36
	v_and_b32_e32 v36, 0xffff0000, v48
	v_max_f32_e32 v36, v36, v36
	v_max_f32_e32 v30, v30, v30
	v_min_f32_e32 v48, v30, v36
	v_max_f32_e32 v30, v30, v36
	v_cndmask_b32_e32 v36, v30, v48, vcc
	v_and_b32_e32 v30, 0x7f800000, v36
	v_cmp_ne_u32_e64 s[24:25], s35, v30
                                        ; implicit-def: $vgpr30
	s_and_saveexec_b64 s[40:41], s[24:25]
	s_xor_b64 s[24:25], exec, s[40:41]
; %bb.1393:                             ;   in Loop: Header=BB36_1324 Depth=3
	v_bfe_u32 v30, v36, 16, 1
	v_add3_u32 v30, v36, v30, s8
                                        ; implicit-def: $vgpr36
; %bb.1394:                             ;   in Loop: Header=BB36_1324 Depth=3
	s_andn2_saveexec_b64 s[40:41], s[24:25]
; %bb.1395:                             ;   in Loop: Header=BB36_1324 Depth=3
	v_or_b32_e32 v30, 0x10000, v36
	v_cmp_eq_u32_sdwa s[24:25], v36, v3 src0_sel:WORD_0 src1_sel:DWORD
	s_nop 1
	v_cndmask_b32_e64 v30, v30, v36, s[24:25]
; %bb.1396:                             ;   in Loop: Header=BB36_1324 Depth=3
	s_or_b64 exec, exec, s[40:41]
	v_lshlrev_b32_e32 v36, 16, v37
	v_lshlrev_b32_e32 v48, 16, v49
	v_max_f32_e32 v48, v48, v48
	v_max_f32_e32 v36, v36, v36
	v_min_f32_e32 v116, v36, v48
	v_max_f32_e32 v36, v36, v48
	v_cndmask_b32_e32 v48, v36, v116, vcc
	v_and_b32_e32 v36, 0x7f800000, v48
	v_cmp_ne_u32_e64 s[24:25], s35, v36
                                        ; implicit-def: $vgpr36
	s_and_saveexec_b64 s[40:41], s[24:25]
	s_xor_b64 s[24:25], exec, s[40:41]
; %bb.1397:                             ;   in Loop: Header=BB36_1324 Depth=3
	v_bfe_u32 v36, v48, 16, 1
	v_add3_u32 v36, v48, v36, s8
                                        ; implicit-def: $vgpr48
; %bb.1398:                             ;   in Loop: Header=BB36_1324 Depth=3
	s_andn2_saveexec_b64 s[40:41], s[24:25]
; %bb.1399:                             ;   in Loop: Header=BB36_1324 Depth=3
	v_or_b32_e32 v36, 0x10000, v48
	v_cmp_eq_u32_sdwa s[24:25], v48, v3 src0_sel:WORD_0 src1_sel:DWORD
	s_nop 1
	v_cndmask_b32_e64 v36, v36, v48, s[24:25]
; %bb.1400:                             ;   in Loop: Header=BB36_1324 Depth=3
	s_or_b64 exec, exec, s[40:41]
	v_and_b32_e32 v37, 0xffff0000, v37
	v_and_b32_e32 v48, 0xffff0000, v49
	v_max_f32_e32 v48, v48, v48
	v_max_f32_e32 v37, v37, v37
	v_min_f32_e32 v49, v37, v48
	v_max_f32_e32 v37, v37, v48
	v_cndmask_b32_e32 v37, v37, v49, vcc
	v_and_b32_e32 v48, 0x7f800000, v37
	v_cmp_ne_u32_e64 s[24:25], s35, v48
                                        ; implicit-def: $vgpr48
	s_and_saveexec_b64 s[40:41], s[24:25]
	s_xor_b64 s[24:25], exec, s[40:41]
; %bb.1401:                             ;   in Loop: Header=BB36_1324 Depth=3
	v_bfe_u32 v48, v37, 16, 1
	v_add3_u32 v48, v37, v48, s8
                                        ; implicit-def: $vgpr37
; %bb.1402:                             ;   in Loop: Header=BB36_1324 Depth=3
	s_andn2_saveexec_b64 s[40:41], s[24:25]
; %bb.1403:                             ;   in Loop: Header=BB36_1324 Depth=3
	v_or_b32_e32 v48, 0x10000, v37
	v_cmp_eq_u32_sdwa s[24:25], v37, v3 src0_sel:WORD_0 src1_sel:DWORD
	s_nop 1
	v_cndmask_b32_e64 v48, v48, v37, s[24:25]
; %bb.1404:                             ;   in Loop: Header=BB36_1324 Depth=3
	s_or_b64 exec, exec, s[40:41]
	v_lshlrev_b32_e32 v37, 16, v38
	v_lshlrev_b32_e32 v49, 16, v50
	v_max_f32_e32 v49, v49, v49
	v_max_f32_e32 v37, v37, v37
	v_min_f32_e32 v116, v37, v49
	v_max_f32_e32 v37, v37, v49
	v_cndmask_b32_e32 v49, v37, v116, vcc
	v_and_b32_e32 v37, 0x7f800000, v49
	v_cmp_ne_u32_e64 s[24:25], s35, v37
                                        ; implicit-def: $vgpr37
	s_and_saveexec_b64 s[40:41], s[24:25]
	s_xor_b64 s[24:25], exec, s[40:41]
; %bb.1405:                             ;   in Loop: Header=BB36_1324 Depth=3
	v_bfe_u32 v37, v49, 16, 1
	v_add3_u32 v37, v49, v37, s8
                                        ; implicit-def: $vgpr49
; %bb.1406:                             ;   in Loop: Header=BB36_1324 Depth=3
	s_andn2_saveexec_b64 s[40:41], s[24:25]
; %bb.1407:                             ;   in Loop: Header=BB36_1324 Depth=3
	v_or_b32_e32 v37, 0x10000, v49
	v_cmp_eq_u32_sdwa s[24:25], v49, v3 src0_sel:WORD_0 src1_sel:DWORD
	s_nop 1
	v_cndmask_b32_e64 v37, v37, v49, s[24:25]
; %bb.1408:                             ;   in Loop: Header=BB36_1324 Depth=3
	s_or_b64 exec, exec, s[40:41]
	v_and_b32_e32 v38, 0xffff0000, v38
	v_and_b32_e32 v49, 0xffff0000, v50
	v_max_f32_e32 v49, v49, v49
	v_max_f32_e32 v38, v38, v38
	v_min_f32_e32 v50, v38, v49
	v_max_f32_e32 v38, v38, v49
	v_cndmask_b32_e32 v38, v38, v50, vcc
	v_and_b32_e32 v49, 0x7f800000, v38
	v_cmp_ne_u32_e64 s[24:25], s35, v49
                                        ; implicit-def: $vgpr49
	s_and_saveexec_b64 s[40:41], s[24:25]
	s_xor_b64 s[24:25], exec, s[40:41]
; %bb.1409:                             ;   in Loop: Header=BB36_1324 Depth=3
	v_bfe_u32 v49, v38, 16, 1
	v_add3_u32 v49, v38, v49, s8
                                        ; implicit-def: $vgpr38
; %bb.1410:                             ;   in Loop: Header=BB36_1324 Depth=3
	s_andn2_saveexec_b64 s[40:41], s[24:25]
; %bb.1411:                             ;   in Loop: Header=BB36_1324 Depth=3
	v_or_b32_e32 v49, 0x10000, v38
	v_cmp_eq_u32_sdwa s[24:25], v38, v3 src0_sel:WORD_0 src1_sel:DWORD
	s_nop 1
	v_cndmask_b32_e64 v49, v49, v38, s[24:25]
; %bb.1412:                             ;   in Loop: Header=BB36_1324 Depth=3
	s_or_b64 exec, exec, s[40:41]
	v_lshlrev_b32_e32 v38, 16, v39
	v_lshlrev_b32_e32 v50, 16, v51
	v_max_f32_e32 v50, v50, v50
	v_max_f32_e32 v38, v38, v38
	v_min_f32_e32 v116, v38, v50
	v_max_f32_e32 v38, v38, v50
	v_cndmask_b32_e32 v50, v38, v116, vcc
	v_and_b32_e32 v38, 0x7f800000, v50
	v_cmp_ne_u32_e64 s[24:25], s35, v38
                                        ; implicit-def: $vgpr38
	s_and_saveexec_b64 s[40:41], s[24:25]
	s_xor_b64 s[24:25], exec, s[40:41]
; %bb.1413:                             ;   in Loop: Header=BB36_1324 Depth=3
	v_bfe_u32 v38, v50, 16, 1
	v_add3_u32 v38, v50, v38, s8
                                        ; implicit-def: $vgpr50
; %bb.1414:                             ;   in Loop: Header=BB36_1324 Depth=3
	s_andn2_saveexec_b64 s[40:41], s[24:25]
; %bb.1415:                             ;   in Loop: Header=BB36_1324 Depth=3
	v_or_b32_e32 v38, 0x10000, v50
	v_cmp_eq_u32_sdwa s[24:25], v50, v3 src0_sel:WORD_0 src1_sel:DWORD
	s_nop 1
	v_cndmask_b32_e64 v38, v38, v50, s[24:25]
; %bb.1416:                             ;   in Loop: Header=BB36_1324 Depth=3
	s_or_b64 exec, exec, s[40:41]
	v_and_b32_e32 v39, 0xffff0000, v39
	v_and_b32_e32 v50, 0xffff0000, v51
	v_max_f32_e32 v50, v50, v50
	v_max_f32_e32 v39, v39, v39
	v_min_f32_e32 v51, v39, v50
	v_max_f32_e32 v39, v39, v50
	v_cndmask_b32_e32 v39, v39, v51, vcc
	v_and_b32_e32 v50, 0x7f800000, v39
	v_cmp_ne_u32_e64 s[24:25], s35, v50
                                        ; implicit-def: $vgpr50
	s_and_saveexec_b64 s[40:41], s[24:25]
	s_xor_b64 s[24:25], exec, s[40:41]
; %bb.1417:                             ;   in Loop: Header=BB36_1324 Depth=3
	v_bfe_u32 v50, v39, 16, 1
	v_add3_u32 v50, v39, v50, s8
                                        ; implicit-def: $vgpr39
; %bb.1418:                             ;   in Loop: Header=BB36_1324 Depth=3
	s_andn2_saveexec_b64 s[40:41], s[24:25]
; %bb.1419:                             ;   in Loop: Header=BB36_1324 Depth=3
	v_or_b32_e32 v50, 0x10000, v39
	v_cmp_eq_u32_sdwa s[24:25], v39, v3 src0_sel:WORD_0 src1_sel:DWORD
	s_nop 1
	v_cndmask_b32_e64 v50, v50, v39, s[24:25]
; %bb.1420:                             ;   in Loop: Header=BB36_1324 Depth=3
	s_or_b64 exec, exec, s[40:41]
	v_lshlrev_b32_e32 v39, 16, v24
	s_waitcnt vmcnt(0)
	v_lshlrev_b32_e32 v51, 16, v32
	v_max_f32_e32 v51, v51, v51
	v_max_f32_e32 v39, v39, v39
	v_min_f32_e32 v116, v39, v51
	v_max_f32_e32 v39, v39, v51
	v_cndmask_b32_e32 v51, v39, v116, vcc
	v_and_b32_e32 v39, 0x7f800000, v51
	v_cmp_ne_u32_e64 s[24:25], s35, v39
                                        ; implicit-def: $vgpr39
	s_and_saveexec_b64 s[40:41], s[24:25]
	s_xor_b64 s[24:25], exec, s[40:41]
; %bb.1421:                             ;   in Loop: Header=BB36_1324 Depth=3
	v_bfe_u32 v39, v51, 16, 1
	v_add3_u32 v39, v51, v39, s8
                                        ; implicit-def: $vgpr51
; %bb.1422:                             ;   in Loop: Header=BB36_1324 Depth=3
	s_andn2_saveexec_b64 s[40:41], s[24:25]
; %bb.1423:                             ;   in Loop: Header=BB36_1324 Depth=3
	v_or_b32_e32 v39, 0x10000, v51
	v_cmp_eq_u32_sdwa s[24:25], v51, v3 src0_sel:WORD_0 src1_sel:DWORD
	s_nop 1
	v_cndmask_b32_e64 v39, v39, v51, s[24:25]
; %bb.1424:                             ;   in Loop: Header=BB36_1324 Depth=3
	s_or_b64 exec, exec, s[40:41]
	v_and_b32_e32 v24, 0xffff0000, v24
	v_and_b32_e32 v32, 0xffff0000, v32
	v_max_f32_e32 v32, v32, v32
	v_max_f32_e32 v24, v24, v24
	v_min_f32_e32 v51, v24, v32
	v_max_f32_e32 v24, v24, v32
	v_cndmask_b32_e32 v24, v24, v51, vcc
	v_and_b32_e32 v32, 0x7f800000, v24
	v_cmp_ne_u32_e64 s[24:25], s35, v32
                                        ; implicit-def: $vgpr32
	s_and_saveexec_b64 s[40:41], s[24:25]
	s_xor_b64 s[24:25], exec, s[40:41]
; %bb.1425:                             ;   in Loop: Header=BB36_1324 Depth=3
	v_bfe_u32 v32, v24, 16, 1
	v_add3_u32 v32, v24, v32, s8
                                        ; implicit-def: $vgpr24
; %bb.1426:                             ;   in Loop: Header=BB36_1324 Depth=3
	s_andn2_saveexec_b64 s[40:41], s[24:25]
; %bb.1427:                             ;   in Loop: Header=BB36_1324 Depth=3
	v_or_b32_e32 v32, 0x10000, v24
	v_cmp_eq_u32_sdwa s[24:25], v24, v3 src0_sel:WORD_0 src1_sel:DWORD
	s_nop 1
	v_cndmask_b32_e64 v32, v32, v24, s[24:25]
; %bb.1428:                             ;   in Loop: Header=BB36_1324 Depth=3
	s_or_b64 exec, exec, s[40:41]
	v_lshlrev_b32_e32 v24, 16, v25
	v_lshlrev_b32_e32 v51, 16, v33
	v_max_f32_e32 v51, v51, v51
	v_max_f32_e32 v24, v24, v24
	v_min_f32_e32 v116, v24, v51
	v_max_f32_e32 v24, v24, v51
	v_cndmask_b32_e32 v51, v24, v116, vcc
	v_and_b32_e32 v24, 0x7f800000, v51
	v_cmp_ne_u32_e64 s[24:25], s35, v24
                                        ; implicit-def: $vgpr24
	s_and_saveexec_b64 s[40:41], s[24:25]
	s_xor_b64 s[24:25], exec, s[40:41]
; %bb.1429:                             ;   in Loop: Header=BB36_1324 Depth=3
	v_bfe_u32 v24, v51, 16, 1
	v_add3_u32 v24, v51, v24, s8
                                        ; implicit-def: $vgpr51
; %bb.1430:                             ;   in Loop: Header=BB36_1324 Depth=3
	s_andn2_saveexec_b64 s[40:41], s[24:25]
; %bb.1431:                             ;   in Loop: Header=BB36_1324 Depth=3
	v_or_b32_e32 v24, 0x10000, v51
	v_cmp_eq_u32_sdwa s[24:25], v51, v3 src0_sel:WORD_0 src1_sel:DWORD
	s_nop 1
	v_cndmask_b32_e64 v24, v24, v51, s[24:25]
; %bb.1432:                             ;   in Loop: Header=BB36_1324 Depth=3
	s_or_b64 exec, exec, s[40:41]
	v_and_b32_e32 v25, 0xffff0000, v25
	v_and_b32_e32 v33, 0xffff0000, v33
	v_max_f32_e32 v33, v33, v33
	v_max_f32_e32 v25, v25, v25
	v_min_f32_e32 v51, v25, v33
	v_max_f32_e32 v25, v25, v33
	v_cndmask_b32_e32 v25, v25, v51, vcc
	v_and_b32_e32 v33, 0x7f800000, v25
	v_cmp_ne_u32_e64 s[24:25], s35, v33
                                        ; implicit-def: $vgpr33
	s_and_saveexec_b64 s[40:41], s[24:25]
	s_xor_b64 s[24:25], exec, s[40:41]
; %bb.1433:                             ;   in Loop: Header=BB36_1324 Depth=3
	v_bfe_u32 v33, v25, 16, 1
	v_add3_u32 v33, v25, v33, s8
                                        ; implicit-def: $vgpr25
; %bb.1434:                             ;   in Loop: Header=BB36_1324 Depth=3
	s_andn2_saveexec_b64 s[40:41], s[24:25]
; %bb.1435:                             ;   in Loop: Header=BB36_1324 Depth=3
	v_or_b32_e32 v33, 0x10000, v25
	v_cmp_eq_u32_sdwa s[24:25], v25, v3 src0_sel:WORD_0 src1_sel:DWORD
	s_nop 1
	v_cndmask_b32_e64 v33, v33, v25, s[24:25]
; %bb.1436:                             ;   in Loop: Header=BB36_1324 Depth=3
	s_or_b64 exec, exec, s[40:41]
	v_lshlrev_b32_e32 v25, 16, v26
	v_lshlrev_b32_e32 v51, 16, v34
	v_max_f32_e32 v51, v51, v51
	v_max_f32_e32 v25, v25, v25
	v_min_f32_e32 v116, v25, v51
	v_max_f32_e32 v25, v25, v51
	v_cndmask_b32_e32 v51, v25, v116, vcc
	v_and_b32_e32 v25, 0x7f800000, v51
	v_cmp_ne_u32_e64 s[24:25], s35, v25
                                        ; implicit-def: $vgpr25
	s_and_saveexec_b64 s[40:41], s[24:25]
	s_xor_b64 s[24:25], exec, s[40:41]
; %bb.1437:                             ;   in Loop: Header=BB36_1324 Depth=3
	v_bfe_u32 v25, v51, 16, 1
	v_add3_u32 v25, v51, v25, s8
                                        ; implicit-def: $vgpr51
; %bb.1438:                             ;   in Loop: Header=BB36_1324 Depth=3
	s_andn2_saveexec_b64 s[40:41], s[24:25]
; %bb.1439:                             ;   in Loop: Header=BB36_1324 Depth=3
	v_or_b32_e32 v25, 0x10000, v51
	v_cmp_eq_u32_sdwa s[24:25], v51, v3 src0_sel:WORD_0 src1_sel:DWORD
	s_nop 1
	v_cndmask_b32_e64 v25, v25, v51, s[24:25]
; %bb.1440:                             ;   in Loop: Header=BB36_1324 Depth=3
	s_or_b64 exec, exec, s[40:41]
	v_and_b32_e32 v26, 0xffff0000, v26
	v_and_b32_e32 v34, 0xffff0000, v34
	v_max_f32_e32 v34, v34, v34
	v_max_f32_e32 v26, v26, v26
	v_min_f32_e32 v51, v26, v34
	v_max_f32_e32 v26, v26, v34
	v_cndmask_b32_e32 v26, v26, v51, vcc
	v_and_b32_e32 v34, 0x7f800000, v26
	v_cmp_ne_u32_e64 s[24:25], s35, v34
                                        ; implicit-def: $vgpr34
	s_and_saveexec_b64 s[40:41], s[24:25]
	s_xor_b64 s[24:25], exec, s[40:41]
; %bb.1441:                             ;   in Loop: Header=BB36_1324 Depth=3
	v_bfe_u32 v34, v26, 16, 1
	v_add3_u32 v34, v26, v34, s8
                                        ; implicit-def: $vgpr26
; %bb.1442:                             ;   in Loop: Header=BB36_1324 Depth=3
	s_andn2_saveexec_b64 s[40:41], s[24:25]
; %bb.1443:                             ;   in Loop: Header=BB36_1324 Depth=3
	v_or_b32_e32 v34, 0x10000, v26
	v_cmp_eq_u32_sdwa s[24:25], v26, v3 src0_sel:WORD_0 src1_sel:DWORD
	s_nop 1
	v_cndmask_b32_e64 v34, v34, v26, s[24:25]
; %bb.1444:                             ;   in Loop: Header=BB36_1324 Depth=3
	s_or_b64 exec, exec, s[40:41]
	v_lshlrev_b32_e32 v26, 16, v27
	v_lshlrev_b32_e32 v51, 16, v35
	v_max_f32_e32 v51, v51, v51
	v_max_f32_e32 v26, v26, v26
	v_min_f32_e32 v116, v26, v51
	v_max_f32_e32 v26, v26, v51
	v_cndmask_b32_e32 v51, v26, v116, vcc
	v_and_b32_e32 v26, 0x7f800000, v51
	v_cmp_ne_u32_e64 s[24:25], s35, v26
                                        ; implicit-def: $vgpr26
	s_and_saveexec_b64 s[40:41], s[24:25]
	s_xor_b64 s[24:25], exec, s[40:41]
; %bb.1445:                             ;   in Loop: Header=BB36_1324 Depth=3
	v_bfe_u32 v26, v51, 16, 1
	v_add3_u32 v26, v51, v26, s8
                                        ; implicit-def: $vgpr51
; %bb.1446:                             ;   in Loop: Header=BB36_1324 Depth=3
	s_andn2_saveexec_b64 s[40:41], s[24:25]
; %bb.1447:                             ;   in Loop: Header=BB36_1324 Depth=3
	v_or_b32_e32 v26, 0x10000, v51
	v_cmp_eq_u32_sdwa s[24:25], v51, v3 src0_sel:WORD_0 src1_sel:DWORD
	s_nop 1
	v_cndmask_b32_e64 v26, v26, v51, s[24:25]
; %bb.1448:                             ;   in Loop: Header=BB36_1324 Depth=3
	s_or_b64 exec, exec, s[40:41]
	v_and_b32_e32 v27, 0xffff0000, v27
	v_and_b32_e32 v35, 0xffff0000, v35
	v_max_f32_e32 v35, v35, v35
	v_max_f32_e32 v27, v27, v27
	v_min_f32_e32 v51, v27, v35
	v_max_f32_e32 v27, v27, v35
	v_cndmask_b32_e32 v35, v27, v51, vcc
	v_and_b32_e32 v27, 0x7f800000, v35
	v_cmp_ne_u32_e64 s[24:25], s35, v27
                                        ; implicit-def: $vgpr27
	s_and_saveexec_b64 s[40:41], s[24:25]
	s_xor_b64 s[24:25], exec, s[40:41]
; %bb.1449:                             ;   in Loop: Header=BB36_1324 Depth=3
	v_bfe_u32 v27, v35, 16, 1
	v_add3_u32 v27, v35, v27, s8
                                        ; implicit-def: $vgpr35
; %bb.1450:                             ;   in Loop: Header=BB36_1324 Depth=3
	s_andn2_saveexec_b64 s[40:41], s[24:25]
; %bb.1451:                             ;   in Loop: Header=BB36_1324 Depth=3
	v_or_b32_e32 v27, 0x10000, v35
	v_cmp_eq_u32_sdwa s[24:25], v35, v3 src0_sel:WORD_0 src1_sel:DWORD
	s_nop 1
	v_cndmask_b32_e64 v27, v27, v35, s[24:25]
; %bb.1452:                             ;   in Loop: Header=BB36_1324 Depth=3
	s_or_b64 exec, exec, s[40:41]
	v_and_b32_e32 v35, 0xffff0000, v87
	v_lshlrev_b32_e32 v51, 16, v20
	v_max_f32_e32 v35, v35, v35
	v_max_f32_e32 v51, v51, v51
	v_min_f32_e32 v116, v35, v51
	v_max_f32_e32 v35, v35, v51
	v_cndmask_b32_e32 v51, v35, v116, vcc
	v_and_b32_e32 v35, 0x7f800000, v51
	v_cmp_ne_u32_e64 s[24:25], s35, v35
                                        ; implicit-def: $vgpr35
	s_and_saveexec_b64 s[40:41], s[24:25]
	s_xor_b64 s[24:25], exec, s[40:41]
; %bb.1453:                             ;   in Loop: Header=BB36_1324 Depth=3
	v_bfe_u32 v35, v51, 16, 1
	v_add3_u32 v35, v51, v35, s8
                                        ; implicit-def: $vgpr51
; %bb.1454:                             ;   in Loop: Header=BB36_1324 Depth=3
	s_andn2_saveexec_b64 s[40:41], s[24:25]
; %bb.1455:                             ;   in Loop: Header=BB36_1324 Depth=3
	v_or_b32_e32 v35, 0x10000, v51
	v_cmp_eq_u32_sdwa s[24:25], v51, v3 src0_sel:WORD_0 src1_sel:DWORD
	s_nop 1
	v_cndmask_b32_e64 v35, v35, v51, s[24:25]
; %bb.1456:                             ;   in Loop: Header=BB36_1324 Depth=3
	s_or_b64 exec, exec, s[40:41]
	v_and_b32_e32 v51, 0xffff0000, v20
	v_and_b32_e32 v20, 0xffff0000, v80
	v_max_f32_e32 v51, v51, v51
	v_max_f32_e32 v80, v20, v20
	v_min_f32_e32 v116, v80, v51
	v_max_f32_e32 v51, v80, v51
	v_cndmask_b32_e32 v80, v51, v116, vcc
	v_and_b32_e32 v51, 0x7f800000, v80
	v_cmp_ne_u32_e64 s[24:25], s35, v51
                                        ; implicit-def: $vgpr51
	s_and_saveexec_b64 s[40:41], s[24:25]
	s_xor_b64 s[24:25], exec, s[40:41]
; %bb.1457:                             ;   in Loop: Header=BB36_1324 Depth=3
	v_bfe_u32 v51, v80, 16, 1
	v_add3_u32 v51, v80, v51, s8
                                        ; implicit-def: $vgpr80
; %bb.1458:                             ;   in Loop: Header=BB36_1324 Depth=3
	s_andn2_saveexec_b64 s[40:41], s[24:25]
; %bb.1459:                             ;   in Loop: Header=BB36_1324 Depth=3
	v_or_b32_e32 v51, 0x10000, v80
	v_cmp_eq_u32_sdwa s[24:25], v80, v3 src0_sel:WORD_0 src1_sel:DWORD
	s_nop 1
	v_cndmask_b32_e64 v51, v51, v80, s[24:25]
; %bb.1460:                             ;   in Loop: Header=BB36_1324 Depth=3
	s_or_b64 exec, exec, s[40:41]
	v_and_b32_e32 v80, 0xffff0000, v68
	v_lshlrev_b32_e32 v116, 16, v21
	v_max_f32_e32 v80, v80, v80
	v_max_f32_e32 v116, v116, v116
	v_min_f32_e32 v117, v80, v116
	v_max_f32_e32 v80, v80, v116
	v_cndmask_b32_e32 v116, v80, v117, vcc
	v_and_b32_e32 v80, 0x7f800000, v116
	v_cmp_ne_u32_e64 s[24:25], s35, v80
                                        ; implicit-def: $vgpr80
	s_and_saveexec_b64 s[40:41], s[24:25]
	s_xor_b64 s[24:25], exec, s[40:41]
; %bb.1461:                             ;   in Loop: Header=BB36_1324 Depth=3
	v_bfe_u32 v80, v116, 16, 1
	v_add3_u32 v80, v116, v80, s8
                                        ; implicit-def: $vgpr116
; %bb.1462:                             ;   in Loop: Header=BB36_1324 Depth=3
	s_andn2_saveexec_b64 s[40:41], s[24:25]
; %bb.1463:                             ;   in Loop: Header=BB36_1324 Depth=3
	v_or_b32_e32 v80, 0x10000, v116
	v_cmp_eq_u32_sdwa s[24:25], v116, v3 src0_sel:WORD_0 src1_sel:DWORD
	s_nop 1
	v_cndmask_b32_e64 v80, v80, v116, s[24:25]
; %bb.1464:                             ;   in Loop: Header=BB36_1324 Depth=3
	s_or_b64 exec, exec, s[40:41]
	v_and_b32_e32 v116, 0xffff0000, v21
	v_and_b32_e32 v21, 0xffff0000, v81
	v_max_f32_e32 v81, v116, v116
	v_max_f32_e32 v116, v21, v21
	v_min_f32_e32 v117, v116, v81
	v_max_f32_e32 v81, v116, v81
	v_cndmask_b32_e32 v116, v81, v117, vcc
	v_and_b32_e32 v81, 0x7f800000, v116
	v_cmp_ne_u32_e64 s[24:25], s35, v81
                                        ; implicit-def: $vgpr81
	s_and_saveexec_b64 s[40:41], s[24:25]
	s_xor_b64 s[24:25], exec, s[40:41]
; %bb.1465:                             ;   in Loop: Header=BB36_1324 Depth=3
	v_bfe_u32 v81, v116, 16, 1
	v_add3_u32 v81, v116, v81, s8
                                        ; implicit-def: $vgpr116
; %bb.1466:                             ;   in Loop: Header=BB36_1324 Depth=3
	s_andn2_saveexec_b64 s[40:41], s[24:25]
; %bb.1467:                             ;   in Loop: Header=BB36_1324 Depth=3
	v_or_b32_e32 v81, 0x10000, v116
	v_cmp_eq_u32_sdwa s[24:25], v116, v3 src0_sel:WORD_0 src1_sel:DWORD
	s_nop 1
	v_cndmask_b32_e64 v81, v81, v116, s[24:25]
; %bb.1468:                             ;   in Loop: Header=BB36_1324 Depth=3
	s_or_b64 exec, exec, s[40:41]
	v_and_b32_e32 v116, 0xffff0000, v69
	v_lshlrev_b32_e32 v117, 16, v22
	v_max_f32_e32 v116, v116, v116
	v_max_f32_e32 v117, v117, v117
	v_min_f32_e32 v42, v116, v117
	v_max_f32_e32 v116, v116, v117
	v_cndmask_b32_e32 v116, v116, v42, vcc
	v_and_b32_e32 v117, 0x7f800000, v116
	v_cmp_ne_u32_e64 s[24:25], s35, v117
                                        ; implicit-def: $vgpr42
	s_and_saveexec_b64 s[40:41], s[24:25]
	s_xor_b64 s[24:25], exec, s[40:41]
; %bb.1469:                             ;   in Loop: Header=BB36_1324 Depth=3
	v_bfe_u32 v117, v116, 16, 1
	v_add3_u32 v42, v116, v117, s8
                                        ; implicit-def: $vgpr116
; %bb.1470:                             ;   in Loop: Header=BB36_1324 Depth=3
	s_andn2_saveexec_b64 s[40:41], s[24:25]
; %bb.1471:                             ;   in Loop: Header=BB36_1324 Depth=3
	v_or_b32_e32 v117, 0x10000, v116
	v_cmp_eq_u32_sdwa s[24:25], v116, v3 src0_sel:WORD_0 src1_sel:DWORD
	s_nop 1
	v_cndmask_b32_e64 v42, v117, v116, s[24:25]
; %bb.1472:                             ;   in Loop: Header=BB36_1324 Depth=3
	s_or_b64 exec, exec, s[40:41]
	v_and_b32_e32 v116, 0xffff0000, v22
	v_and_b32_e32 v22, 0xffff0000, v82
	v_max_f32_e32 v82, v116, v116
	v_max_f32_e32 v116, v22, v22
	v_min_f32_e32 v117, v116, v82
	v_max_f32_e32 v82, v116, v82
	v_cndmask_b32_e32 v116, v82, v117, vcc
	v_and_b32_e32 v82, 0x7f800000, v116
	v_cmp_ne_u32_e64 s[24:25], s35, v82
                                        ; implicit-def: $vgpr82
	s_and_saveexec_b64 s[40:41], s[24:25]
	s_xor_b64 s[24:25], exec, s[40:41]
; %bb.1473:                             ;   in Loop: Header=BB36_1324 Depth=3
	v_bfe_u32 v82, v116, 16, 1
	v_add3_u32 v82, v116, v82, s8
                                        ; implicit-def: $vgpr116
; %bb.1474:                             ;   in Loop: Header=BB36_1324 Depth=3
	s_andn2_saveexec_b64 s[40:41], s[24:25]
; %bb.1475:                             ;   in Loop: Header=BB36_1324 Depth=3
	v_or_b32_e32 v82, 0x10000, v116
	v_cmp_eq_u32_sdwa s[24:25], v116, v3 src0_sel:WORD_0 src1_sel:DWORD
	s_nop 1
	v_cndmask_b32_e64 v82, v82, v116, s[24:25]
; %bb.1476:                             ;   in Loop: Header=BB36_1324 Depth=3
	s_or_b64 exec, exec, s[40:41]
	v_and_b32_e32 v116, 0xffff0000, v70
	v_lshlrev_b32_e32 v117, 16, v23
	v_max_f32_e32 v116, v116, v116
	v_max_f32_e32 v117, v117, v117
	v_min_f32_e32 v43, v116, v117
	v_max_f32_e32 v116, v116, v117
	v_cndmask_b32_e32 v117, v116, v43, vcc
	v_and_b32_e32 v116, 0x7f800000, v117
	v_cmp_ne_u32_e64 s[24:25], s35, v116
                                        ; implicit-def: $vgpr116
	s_and_saveexec_b64 s[40:41], s[24:25]
	s_xor_b64 s[24:25], exec, s[40:41]
; %bb.1477:                             ;   in Loop: Header=BB36_1324 Depth=3
	v_bfe_u32 v116, v117, 16, 1
	v_add3_u32 v116, v117, v116, s8
                                        ; implicit-def: $vgpr117
; %bb.1478:                             ;   in Loop: Header=BB36_1324 Depth=3
	s_andn2_saveexec_b64 s[40:41], s[24:25]
; %bb.1479:                             ;   in Loop: Header=BB36_1324 Depth=3
	v_or_b32_e32 v116, 0x10000, v117
	v_cmp_eq_u32_sdwa s[24:25], v117, v3 src0_sel:WORD_0 src1_sel:DWORD
	s_nop 1
	v_cndmask_b32_e64 v116, v116, v117, s[24:25]
; %bb.1480:                             ;   in Loop: Header=BB36_1324 Depth=3
	s_or_b64 exec, exec, s[40:41]
	v_and_b32_e32 v117, 0xffff0000, v23
	v_and_b32_e32 v23, 0xffff0000, v83
	v_max_f32_e32 v83, v117, v117
	v_max_f32_e32 v117, v23, v23
	v_min_f32_e32 v43, v117, v83
	v_max_f32_e32 v83, v117, v83
	v_cndmask_b32_e32 v117, v83, v43, vcc
	v_and_b32_e32 v83, 0x7f800000, v117
	v_cmp_ne_u32_e64 s[24:25], s35, v83
                                        ; implicit-def: $vgpr83
	s_and_saveexec_b64 s[40:41], s[24:25]
	s_xor_b64 s[24:25], exec, s[40:41]
; %bb.1481:                             ;   in Loop: Header=BB36_1324 Depth=3
	v_bfe_u32 v83, v117, 16, 1
	v_add3_u32 v83, v117, v83, s8
                                        ; implicit-def: $vgpr117
; %bb.1482:                             ;   in Loop: Header=BB36_1324 Depth=3
	s_andn2_saveexec_b64 s[40:41], s[24:25]
; %bb.1483:                             ;   in Loop: Header=BB36_1324 Depth=3
	v_or_b32_e32 v83, 0x10000, v117
	v_cmp_eq_u32_sdwa s[24:25], v117, v3 src0_sel:WORD_0 src1_sel:DWORD
	s_nop 1
	v_cndmask_b32_e64 v83, v83, v117, s[24:25]
; %bb.1484:                             ;   in Loop: Header=BB36_1324 Depth=3
	s_or_b64 exec, exec, s[40:41]
	v_lshrrev_b32_e32 v80, 16, v80
	v_lshrrev_b32_e32 v35, 16, v35
	v_and_or_b32 v81, v81, s9, v80
	v_and_or_b32 v80, v51, s9, v35
	v_lshrrev_b32_e32 v35, 16, v42
	v_and_or_b32 v82, v82, s9, v35
	v_lshrrev_b32_e32 v35, 16, v116
	v_and_or_b32 v83, v83, s9, v35
	v_and_b32_e32 v35, 0xffff0000, v71
	v_lshlrev_b32_e32 v51, 16, v16
	v_max_f32_e32 v35, v35, v35
	v_max_f32_e32 v51, v51, v51
	global_store_dwordx4 v[114:115], v[80:83], off
	s_nop 1
	v_min_f32_e32 v80, v35, v51
	v_max_f32_e32 v35, v35, v51
	v_cndmask_b32_e32 v51, v35, v80, vcc
	v_and_b32_e32 v35, 0x7f800000, v51
	v_cmp_ne_u32_e64 s[24:25], s35, v35
                                        ; implicit-def: $vgpr35
	s_and_saveexec_b64 s[40:41], s[24:25]
	s_xor_b64 s[24:25], exec, s[40:41]
; %bb.1485:                             ;   in Loop: Header=BB36_1324 Depth=3
	v_bfe_u32 v35, v51, 16, 1
	v_add3_u32 v35, v51, v35, s8
                                        ; implicit-def: $vgpr51
; %bb.1486:                             ;   in Loop: Header=BB36_1324 Depth=3
	s_andn2_saveexec_b64 s[40:41], s[24:25]
; %bb.1487:                             ;   in Loop: Header=BB36_1324 Depth=3
	v_or_b32_e32 v35, 0x10000, v51
	v_cmp_eq_u32_sdwa s[24:25], v51, v3 src0_sel:WORD_0 src1_sel:DWORD
	s_nop 1
	v_cndmask_b32_e64 v35, v35, v51, s[24:25]
; %bb.1488:                             ;   in Loop: Header=BB36_1324 Depth=3
	s_or_b64 exec, exec, s[40:41]
	v_and_b32_e32 v51, 0xffff0000, v16
	v_and_b32_e32 v16, 0xffff0000, v64
	v_max_f32_e32 v51, v51, v51
	v_max_f32_e32 v64, v16, v16
	v_min_f32_e32 v80, v64, v51
	v_max_f32_e32 v51, v64, v51
	v_cndmask_b32_e32 v64, v51, v80, vcc
	v_and_b32_e32 v51, 0x7f800000, v64
	v_cmp_ne_u32_e64 s[24:25], s35, v51
                                        ; implicit-def: $vgpr51
	s_and_saveexec_b64 s[40:41], s[24:25]
	s_xor_b64 s[24:25], exec, s[40:41]
; %bb.1489:                             ;   in Loop: Header=BB36_1324 Depth=3
	v_bfe_u32 v51, v64, 16, 1
	v_add3_u32 v51, v64, v51, s8
                                        ; implicit-def: $vgpr64
; %bb.1490:                             ;   in Loop: Header=BB36_1324 Depth=3
	s_andn2_saveexec_b64 s[40:41], s[24:25]
; %bb.1491:                             ;   in Loop: Header=BB36_1324 Depth=3
	v_or_b32_e32 v51, 0x10000, v64
	v_cmp_eq_u32_sdwa s[24:25], v64, v3 src0_sel:WORD_0 src1_sel:DWORD
	s_nop 1
	v_cndmask_b32_e64 v51, v51, v64, s[24:25]
; %bb.1492:                             ;   in Loop: Header=BB36_1324 Depth=3
	s_or_b64 exec, exec, s[40:41]
	v_and_b32_e32 v64, 0xffff0000, v52
	v_lshlrev_b32_e32 v80, 16, v17
	v_max_f32_e32 v64, v64, v64
	v_max_f32_e32 v80, v80, v80
	v_min_f32_e32 v81, v64, v80
	v_max_f32_e32 v64, v64, v80
	v_cndmask_b32_e32 v80, v64, v81, vcc
	v_and_b32_e32 v64, 0x7f800000, v80
	v_cmp_ne_u32_e64 s[24:25], s35, v64
                                        ; implicit-def: $vgpr64
	s_and_saveexec_b64 s[40:41], s[24:25]
	s_xor_b64 s[24:25], exec, s[40:41]
; %bb.1493:                             ;   in Loop: Header=BB36_1324 Depth=3
	v_bfe_u32 v64, v80, 16, 1
	v_add3_u32 v64, v80, v64, s8
                                        ; implicit-def: $vgpr80
; %bb.1494:                             ;   in Loop: Header=BB36_1324 Depth=3
	s_andn2_saveexec_b64 s[40:41], s[24:25]
; %bb.1495:                             ;   in Loop: Header=BB36_1324 Depth=3
	v_or_b32_e32 v64, 0x10000, v80
	v_cmp_eq_u32_sdwa s[24:25], v80, v3 src0_sel:WORD_0 src1_sel:DWORD
	s_nop 1
	v_cndmask_b32_e64 v64, v64, v80, s[24:25]
; %bb.1496:                             ;   in Loop: Header=BB36_1324 Depth=3
	s_or_b64 exec, exec, s[40:41]
	v_and_b32_e32 v80, 0xffff0000, v17
	v_and_b32_e32 v17, 0xffff0000, v65
	v_max_f32_e32 v65, v80, v80
	v_max_f32_e32 v80, v17, v17
	v_min_f32_e32 v81, v80, v65
	v_max_f32_e32 v65, v80, v65
	v_cndmask_b32_e32 v80, v65, v81, vcc
	v_and_b32_e32 v65, 0x7f800000, v80
	v_cmp_ne_u32_e64 s[24:25], s35, v65
                                        ; implicit-def: $vgpr65
	s_and_saveexec_b64 s[40:41], s[24:25]
	s_xor_b64 s[24:25], exec, s[40:41]
; %bb.1497:                             ;   in Loop: Header=BB36_1324 Depth=3
	v_bfe_u32 v65, v80, 16, 1
	v_add3_u32 v65, v80, v65, s8
                                        ; implicit-def: $vgpr80
; %bb.1498:                             ;   in Loop: Header=BB36_1324 Depth=3
	s_andn2_saveexec_b64 s[40:41], s[24:25]
; %bb.1499:                             ;   in Loop: Header=BB36_1324 Depth=3
	v_or_b32_e32 v65, 0x10000, v80
	v_cmp_eq_u32_sdwa s[24:25], v80, v3 src0_sel:WORD_0 src1_sel:DWORD
	s_nop 1
	v_cndmask_b32_e64 v65, v65, v80, s[24:25]
; %bb.1500:                             ;   in Loop: Header=BB36_1324 Depth=3
	s_or_b64 exec, exec, s[40:41]
	v_and_b32_e32 v80, 0xffff0000, v53
	v_lshlrev_b32_e32 v81, 16, v18
	v_max_f32_e32 v80, v80, v80
	v_max_f32_e32 v81, v81, v81
	v_min_f32_e32 v82, v80, v81
	v_max_f32_e32 v80, v80, v81
	v_cndmask_b32_e32 v81, v80, v82, vcc
	v_and_b32_e32 v80, 0x7f800000, v81
	v_cmp_ne_u32_e64 s[24:25], s35, v80
                                        ; implicit-def: $vgpr80
	s_and_saveexec_b64 s[40:41], s[24:25]
	s_xor_b64 s[24:25], exec, s[40:41]
; %bb.1501:                             ;   in Loop: Header=BB36_1324 Depth=3
	v_bfe_u32 v80, v81, 16, 1
	v_add3_u32 v80, v81, v80, s8
                                        ; implicit-def: $vgpr81
; %bb.1502:                             ;   in Loop: Header=BB36_1324 Depth=3
	s_andn2_saveexec_b64 s[40:41], s[24:25]
; %bb.1503:                             ;   in Loop: Header=BB36_1324 Depth=3
	v_or_b32_e32 v80, 0x10000, v81
	v_cmp_eq_u32_sdwa s[24:25], v81, v3 src0_sel:WORD_0 src1_sel:DWORD
	s_nop 1
	v_cndmask_b32_e64 v80, v80, v81, s[24:25]
; %bb.1504:                             ;   in Loop: Header=BB36_1324 Depth=3
	s_or_b64 exec, exec, s[40:41]
	v_and_b32_e32 v81, 0xffff0000, v18
	v_and_b32_e32 v18, 0xffff0000, v66
	v_max_f32_e32 v66, v81, v81
	v_max_f32_e32 v81, v18, v18
	v_min_f32_e32 v82, v81, v66
	v_max_f32_e32 v66, v81, v66
	v_cndmask_b32_e32 v81, v66, v82, vcc
	v_and_b32_e32 v66, 0x7f800000, v81
	v_cmp_ne_u32_e64 s[24:25], s35, v66
                                        ; implicit-def: $vgpr66
	s_and_saveexec_b64 s[40:41], s[24:25]
	s_xor_b64 s[24:25], exec, s[40:41]
; %bb.1505:                             ;   in Loop: Header=BB36_1324 Depth=3
	v_bfe_u32 v66, v81, 16, 1
	v_add3_u32 v66, v81, v66, s8
                                        ; implicit-def: $vgpr81
; %bb.1506:                             ;   in Loop: Header=BB36_1324 Depth=3
	s_andn2_saveexec_b64 s[40:41], s[24:25]
; %bb.1507:                             ;   in Loop: Header=BB36_1324 Depth=3
	v_or_b32_e32 v66, 0x10000, v81
	v_cmp_eq_u32_sdwa s[24:25], v81, v3 src0_sel:WORD_0 src1_sel:DWORD
	s_nop 1
	v_cndmask_b32_e64 v66, v66, v81, s[24:25]
; %bb.1508:                             ;   in Loop: Header=BB36_1324 Depth=3
	s_or_b64 exec, exec, s[40:41]
	v_and_b32_e32 v81, 0xffff0000, v54
	v_lshlrev_b32_e32 v82, 16, v19
	v_max_f32_e32 v81, v81, v81
	v_max_f32_e32 v82, v82, v82
	v_min_f32_e32 v83, v81, v82
	v_max_f32_e32 v81, v81, v82
	v_cndmask_b32_e32 v82, v81, v83, vcc
	v_and_b32_e32 v81, 0x7f800000, v82
	v_cmp_ne_u32_e64 s[24:25], s35, v81
                                        ; implicit-def: $vgpr81
	s_and_saveexec_b64 s[40:41], s[24:25]
	s_xor_b64 s[24:25], exec, s[40:41]
; %bb.1509:                             ;   in Loop: Header=BB36_1324 Depth=3
	v_bfe_u32 v81, v82, 16, 1
	v_add3_u32 v81, v82, v81, s8
                                        ; implicit-def: $vgpr82
; %bb.1510:                             ;   in Loop: Header=BB36_1324 Depth=3
	s_andn2_saveexec_b64 s[40:41], s[24:25]
; %bb.1511:                             ;   in Loop: Header=BB36_1324 Depth=3
	v_or_b32_e32 v81, 0x10000, v82
	v_cmp_eq_u32_sdwa s[24:25], v82, v3 src0_sel:WORD_0 src1_sel:DWORD
	s_nop 1
	v_cndmask_b32_e64 v81, v81, v82, s[24:25]
; %bb.1512:                             ;   in Loop: Header=BB36_1324 Depth=3
	s_or_b64 exec, exec, s[40:41]
	v_and_b32_e32 v82, 0xffff0000, v19
	v_and_b32_e32 v19, 0xffff0000, v67
	v_max_f32_e32 v67, v82, v82
	v_max_f32_e32 v82, v19, v19
	v_min_f32_e32 v83, v82, v67
	v_max_f32_e32 v67, v82, v67
	v_cndmask_b32_e32 v82, v67, v83, vcc
	v_and_b32_e32 v67, 0x7f800000, v82
	v_cmp_ne_u32_e64 s[24:25], s35, v67
                                        ; implicit-def: $vgpr67
	s_and_saveexec_b64 s[40:41], s[24:25]
	s_xor_b64 s[24:25], exec, s[40:41]
; %bb.1513:                             ;   in Loop: Header=BB36_1324 Depth=3
	v_bfe_u32 v67, v82, 16, 1
	v_add3_u32 v67, v82, v67, s8
                                        ; implicit-def: $vgpr82
; %bb.1514:                             ;   in Loop: Header=BB36_1324 Depth=3
	s_andn2_saveexec_b64 s[40:41], s[24:25]
; %bb.1515:                             ;   in Loop: Header=BB36_1324 Depth=3
	v_or_b32_e32 v67, 0x10000, v82
	v_cmp_eq_u32_sdwa s[24:25], v82, v3 src0_sel:WORD_0 src1_sel:DWORD
	s_nop 1
	v_cndmask_b32_e64 v67, v67, v82, s[24:25]
; %bb.1516:                             ;   in Loop: Header=BB36_1324 Depth=3
	s_or_b64 exec, exec, s[40:41]
	v_lshrrev_b32_e32 v64, 16, v64
	v_lshrrev_b32_e32 v35, 16, v35
	v_and_or_b32 v65, v65, s9, v64
	v_and_or_b32 v64, v51, s9, v35
	v_lshrrev_b32_e32 v35, 16, v80
	v_and_or_b32 v66, v66, s9, v35
	v_lshrrev_b32_e32 v35, 16, v81
	v_and_or_b32 v67, v67, s9, v35
	v_and_b32_e32 v35, 0xffff0000, v55
	v_lshlrev_b32_e32 v51, 16, v12
	v_max_f32_e32 v35, v35, v35
	v_max_f32_e32 v51, v51, v51
	global_store_dwordx4 v[114:115], v[64:67], off offset:1024
	s_nop 1
	v_min_f32_e32 v64, v35, v51
	v_max_f32_e32 v35, v35, v51
	v_cndmask_b32_e32 v51, v35, v64, vcc
	v_and_b32_e32 v35, 0x7f800000, v51
	v_cmp_ne_u32_e64 s[24:25], s35, v35
                                        ; implicit-def: $vgpr35
	s_and_saveexec_b64 s[40:41], s[24:25]
	s_xor_b64 s[24:25], exec, s[40:41]
; %bb.1517:                             ;   in Loop: Header=BB36_1324 Depth=3
	v_bfe_u32 v35, v51, 16, 1
	v_add3_u32 v35, v51, v35, s8
                                        ; implicit-def: $vgpr51
; %bb.1518:                             ;   in Loop: Header=BB36_1324 Depth=3
	s_andn2_saveexec_b64 s[40:41], s[24:25]
; %bb.1519:                             ;   in Loop: Header=BB36_1324 Depth=3
	v_or_b32_e32 v35, 0x10000, v51
	v_cmp_eq_u32_sdwa s[24:25], v51, v3 src0_sel:WORD_0 src1_sel:DWORD
	s_nop 1
	v_cndmask_b32_e64 v35, v35, v51, s[24:25]
; %bb.1520:                             ;   in Loop: Header=BB36_1324 Depth=3
	s_or_b64 exec, exec, s[40:41]
	v_and_b32_e32 v51, 0xffff0000, v12
	v_and_b32_e32 v12, 0xffff0000, v30
	v_max_f32_e32 v30, v51, v51
	v_max_f32_e32 v51, v12, v12
	v_min_f32_e32 v64, v51, v30
	v_max_f32_e32 v30, v51, v30
	v_cndmask_b32_e32 v51, v30, v64, vcc
	v_and_b32_e32 v30, 0x7f800000, v51
	v_cmp_ne_u32_e64 s[24:25], s35, v30
                                        ; implicit-def: $vgpr30
	s_and_saveexec_b64 s[40:41], s[24:25]
	s_xor_b64 s[24:25], exec, s[40:41]
; %bb.1521:                             ;   in Loop: Header=BB36_1324 Depth=3
	v_bfe_u32 v30, v51, 16, 1
	v_add3_u32 v30, v51, v30, s8
                                        ; implicit-def: $vgpr51
; %bb.1522:                             ;   in Loop: Header=BB36_1324 Depth=3
	s_andn2_saveexec_b64 s[40:41], s[24:25]
; %bb.1523:                             ;   in Loop: Header=BB36_1324 Depth=3
	v_or_b32_e32 v30, 0x10000, v51
	v_cmp_eq_u32_sdwa s[24:25], v51, v3 src0_sel:WORD_0 src1_sel:DWORD
	s_nop 1
	v_cndmask_b32_e64 v30, v30, v51, s[24:25]
; %bb.1524:                             ;   in Loop: Header=BB36_1324 Depth=3
	s_or_b64 exec, exec, s[40:41]
	v_and_b32_e32 v51, 0xffff0000, v36
	v_lshlrev_b32_e32 v64, 16, v13
	v_max_f32_e32 v51, v51, v51
	v_max_f32_e32 v64, v64, v64
	v_min_f32_e32 v65, v51, v64
	v_max_f32_e32 v51, v51, v64
	v_cndmask_b32_e32 v64, v51, v65, vcc
	v_and_b32_e32 v51, 0x7f800000, v64
	v_cmp_ne_u32_e64 s[24:25], s35, v51
                                        ; implicit-def: $vgpr51
	s_and_saveexec_b64 s[40:41], s[24:25]
	s_xor_b64 s[24:25], exec, s[40:41]
; %bb.1525:                             ;   in Loop: Header=BB36_1324 Depth=3
	v_bfe_u32 v51, v64, 16, 1
	v_add3_u32 v51, v64, v51, s8
                                        ; implicit-def: $vgpr64
; %bb.1526:                             ;   in Loop: Header=BB36_1324 Depth=3
	s_andn2_saveexec_b64 s[40:41], s[24:25]
; %bb.1527:                             ;   in Loop: Header=BB36_1324 Depth=3
	v_or_b32_e32 v51, 0x10000, v64
	v_cmp_eq_u32_sdwa s[24:25], v64, v3 src0_sel:WORD_0 src1_sel:DWORD
	s_nop 1
	v_cndmask_b32_e64 v51, v51, v64, s[24:25]
; %bb.1528:                             ;   in Loop: Header=BB36_1324 Depth=3
	s_or_b64 exec, exec, s[40:41]
	v_and_b32_e32 v64, 0xffff0000, v13
	v_and_b32_e32 v13, 0xffff0000, v48
	v_max_f32_e32 v48, v64, v64
	v_max_f32_e32 v64, v13, v13
	v_min_f32_e32 v65, v64, v48
	v_max_f32_e32 v48, v64, v48
	v_cndmask_b32_e32 v64, v48, v65, vcc
	v_and_b32_e32 v48, 0x7f800000, v64
	v_cmp_ne_u32_e64 s[24:25], s35, v48
                                        ; implicit-def: $vgpr48
	s_and_saveexec_b64 s[40:41], s[24:25]
	s_xor_b64 s[24:25], exec, s[40:41]
; %bb.1529:                             ;   in Loop: Header=BB36_1324 Depth=3
	v_bfe_u32 v48, v64, 16, 1
	v_add3_u32 v48, v64, v48, s8
                                        ; implicit-def: $vgpr64
; %bb.1530:                             ;   in Loop: Header=BB36_1324 Depth=3
	s_andn2_saveexec_b64 s[40:41], s[24:25]
; %bb.1531:                             ;   in Loop: Header=BB36_1324 Depth=3
	v_or_b32_e32 v48, 0x10000, v64
	v_cmp_eq_u32_sdwa s[24:25], v64, v3 src0_sel:WORD_0 src1_sel:DWORD
	s_nop 1
	v_cndmask_b32_e64 v48, v48, v64, s[24:25]
; %bb.1532:                             ;   in Loop: Header=BB36_1324 Depth=3
	s_or_b64 exec, exec, s[40:41]
	v_and_b32_e32 v64, 0xffff0000, v37
	v_lshlrev_b32_e32 v65, 16, v14
	v_max_f32_e32 v64, v64, v64
	v_max_f32_e32 v65, v65, v65
	v_min_f32_e32 v66, v64, v65
	v_max_f32_e32 v64, v64, v65
	v_cndmask_b32_e32 v65, v64, v66, vcc
	v_and_b32_e32 v64, 0x7f800000, v65
	v_cmp_ne_u32_e64 s[24:25], s35, v64
                                        ; implicit-def: $vgpr64
	s_and_saveexec_b64 s[40:41], s[24:25]
	s_xor_b64 s[24:25], exec, s[40:41]
; %bb.1533:                             ;   in Loop: Header=BB36_1324 Depth=3
	v_bfe_u32 v64, v65, 16, 1
	v_add3_u32 v64, v65, v64, s8
                                        ; implicit-def: $vgpr65
; %bb.1534:                             ;   in Loop: Header=BB36_1324 Depth=3
	s_andn2_saveexec_b64 s[40:41], s[24:25]
; %bb.1535:                             ;   in Loop: Header=BB36_1324 Depth=3
	v_or_b32_e32 v64, 0x10000, v65
	v_cmp_eq_u32_sdwa s[24:25], v65, v3 src0_sel:WORD_0 src1_sel:DWORD
	s_nop 1
	v_cndmask_b32_e64 v64, v64, v65, s[24:25]
; %bb.1536:                             ;   in Loop: Header=BB36_1324 Depth=3
	s_or_b64 exec, exec, s[40:41]
	v_and_b32_e32 v65, 0xffff0000, v14
	v_and_b32_e32 v14, 0xffff0000, v49
	v_max_f32_e32 v49, v65, v65
	v_max_f32_e32 v65, v14, v14
	v_min_f32_e32 v66, v65, v49
	v_max_f32_e32 v49, v65, v49
	v_cndmask_b32_e32 v65, v49, v66, vcc
	v_and_b32_e32 v49, 0x7f800000, v65
	v_cmp_ne_u32_e64 s[24:25], s35, v49
                                        ; implicit-def: $vgpr49
	s_and_saveexec_b64 s[40:41], s[24:25]
	s_xor_b64 s[24:25], exec, s[40:41]
; %bb.1537:                             ;   in Loop: Header=BB36_1324 Depth=3
	v_bfe_u32 v49, v65, 16, 1
	v_add3_u32 v49, v65, v49, s8
                                        ; implicit-def: $vgpr65
; %bb.1538:                             ;   in Loop: Header=BB36_1324 Depth=3
	s_andn2_saveexec_b64 s[40:41], s[24:25]
; %bb.1539:                             ;   in Loop: Header=BB36_1324 Depth=3
	v_or_b32_e32 v49, 0x10000, v65
	v_cmp_eq_u32_sdwa s[24:25], v65, v3 src0_sel:WORD_0 src1_sel:DWORD
	s_nop 1
	v_cndmask_b32_e64 v49, v49, v65, s[24:25]
; %bb.1540:                             ;   in Loop: Header=BB36_1324 Depth=3
	s_or_b64 exec, exec, s[40:41]
	v_and_b32_e32 v65, 0xffff0000, v38
	v_lshlrev_b32_e32 v66, 16, v15
	v_max_f32_e32 v65, v65, v65
	v_max_f32_e32 v66, v66, v66
	v_min_f32_e32 v67, v65, v66
	v_max_f32_e32 v65, v65, v66
	v_cndmask_b32_e32 v66, v65, v67, vcc
	v_and_b32_e32 v65, 0x7f800000, v66
	v_cmp_ne_u32_e64 s[24:25], s35, v65
                                        ; implicit-def: $vgpr65
	s_and_saveexec_b64 s[40:41], s[24:25]
	s_xor_b64 s[24:25], exec, s[40:41]
; %bb.1541:                             ;   in Loop: Header=BB36_1324 Depth=3
	v_bfe_u32 v65, v66, 16, 1
	v_add3_u32 v65, v66, v65, s8
                                        ; implicit-def: $vgpr66
; %bb.1542:                             ;   in Loop: Header=BB36_1324 Depth=3
	s_andn2_saveexec_b64 s[40:41], s[24:25]
; %bb.1543:                             ;   in Loop: Header=BB36_1324 Depth=3
	v_or_b32_e32 v65, 0x10000, v66
	v_cmp_eq_u32_sdwa s[24:25], v66, v3 src0_sel:WORD_0 src1_sel:DWORD
	s_nop 1
	v_cndmask_b32_e64 v65, v65, v66, s[24:25]
; %bb.1544:                             ;   in Loop: Header=BB36_1324 Depth=3
	s_or_b64 exec, exec, s[40:41]
	v_and_b32_e32 v66, 0xffff0000, v15
	v_and_b32_e32 v15, 0xffff0000, v50
	v_max_f32_e32 v50, v66, v66
	v_max_f32_e32 v66, v15, v15
	v_min_f32_e32 v67, v66, v50
	v_max_f32_e32 v50, v66, v50
	v_cndmask_b32_e32 v66, v50, v67, vcc
	v_and_b32_e32 v50, 0x7f800000, v66
	v_cmp_ne_u32_e64 s[24:25], s35, v50
                                        ; implicit-def: $vgpr50
	s_and_saveexec_b64 s[40:41], s[24:25]
	s_xor_b64 s[24:25], exec, s[40:41]
; %bb.1545:                             ;   in Loop: Header=BB36_1324 Depth=3
	v_bfe_u32 v50, v66, 16, 1
	v_add3_u32 v50, v66, v50, s8
                                        ; implicit-def: $vgpr66
; %bb.1546:                             ;   in Loop: Header=BB36_1324 Depth=3
	s_andn2_saveexec_b64 s[40:41], s[24:25]
; %bb.1547:                             ;   in Loop: Header=BB36_1324 Depth=3
	v_or_b32_e32 v50, 0x10000, v66
	v_cmp_eq_u32_sdwa s[24:25], v66, v3 src0_sel:WORD_0 src1_sel:DWORD
	s_nop 1
	v_cndmask_b32_e64 v50, v50, v66, s[24:25]
; %bb.1548:                             ;   in Loop: Header=BB36_1324 Depth=3
	s_or_b64 exec, exec, s[40:41]
	v_lshrrev_b32_e32 v35, 16, v35
	v_and_or_b32 v80, v30, s9, v35
	v_lshrrev_b32_e32 v30, 16, v64
	v_and_or_b32 v82, v49, s9, v30
	;; [unrolled: 2-line block ×3, first 2 shown]
	v_and_b32_e32 v30, 0xffff0000, v39
	v_lshlrev_b32_e32 v35, 16, v8
	v_lshrrev_b32_e32 v51, 16, v51
	v_max_f32_e32 v30, v30, v30
	v_max_f32_e32 v35, v35, v35
	v_and_or_b32 v81, v48, s9, v51
	v_min_f32_e32 v48, v30, v35
	v_max_f32_e32 v30, v30, v35
	v_cndmask_b32_e32 v35, v30, v48, vcc
	v_and_b32_e32 v30, 0x7f800000, v35
	v_cmp_ne_u32_e64 s[24:25], s35, v30
	global_store_dwordx4 v[114:115], v[80:83], off offset:2048
                                        ; implicit-def: $vgpr30
	s_and_saveexec_b64 s[40:41], s[24:25]
	s_xor_b64 s[24:25], exec, s[40:41]
; %bb.1549:                             ;   in Loop: Header=BB36_1324 Depth=3
	v_bfe_u32 v30, v35, 16, 1
	v_add3_u32 v30, v35, v30, s8
                                        ; implicit-def: $vgpr35
; %bb.1550:                             ;   in Loop: Header=BB36_1324 Depth=3
	s_andn2_saveexec_b64 s[40:41], s[24:25]
; %bb.1551:                             ;   in Loop: Header=BB36_1324 Depth=3
	v_or_b32_e32 v30, 0x10000, v35
	v_cmp_eq_u32_sdwa s[24:25], v35, v3 src0_sel:WORD_0 src1_sel:DWORD
	s_nop 1
	v_cndmask_b32_e64 v30, v30, v35, s[24:25]
; %bb.1552:                             ;   in Loop: Header=BB36_1324 Depth=3
	s_or_b64 exec, exec, s[40:41]
	v_and_b32_e32 v8, 0xffff0000, v8
	v_and_b32_e32 v32, 0xffff0000, v32
	v_max_f32_e32 v8, v8, v8
	v_max_f32_e32 v35, v32, v32
	v_min_f32_e32 v48, v35, v8
	v_max_f32_e32 v8, v35, v8
	v_cndmask_b32_e32 v35, v8, v48, vcc
	v_and_b32_e32 v8, 0x7f800000, v35
	v_cmp_ne_u32_e64 s[24:25], s35, v8
                                        ; implicit-def: $vgpr8
	s_and_saveexec_b64 s[40:41], s[24:25]
	s_xor_b64 s[24:25], exec, s[40:41]
; %bb.1553:                             ;   in Loop: Header=BB36_1324 Depth=3
	v_bfe_u32 v8, v35, 16, 1
	v_add3_u32 v8, v35, v8, s8
                                        ; implicit-def: $vgpr35
; %bb.1554:                             ;   in Loop: Header=BB36_1324 Depth=3
	s_andn2_saveexec_b64 s[40:41], s[24:25]
; %bb.1555:                             ;   in Loop: Header=BB36_1324 Depth=3
	v_or_b32_e32 v8, 0x10000, v35
	v_cmp_eq_u32_sdwa s[24:25], v35, v3 src0_sel:WORD_0 src1_sel:DWORD
	s_nop 1
	v_cndmask_b32_e64 v8, v8, v35, s[24:25]
; %bb.1556:                             ;   in Loop: Header=BB36_1324 Depth=3
	s_or_b64 exec, exec, s[40:41]
	v_and_b32_e32 v35, 0xffff0000, v24
	v_lshlrev_b32_e32 v48, 16, v9
	v_max_f32_e32 v35, v35, v35
	v_max_f32_e32 v48, v48, v48
	v_min_f32_e32 v49, v35, v48
	v_max_f32_e32 v35, v35, v48
	v_cndmask_b32_e32 v48, v35, v49, vcc
	v_and_b32_e32 v35, 0x7f800000, v48
	v_cmp_ne_u32_e64 s[24:25], s35, v35
                                        ; implicit-def: $vgpr35
	s_and_saveexec_b64 s[40:41], s[24:25]
	s_xor_b64 s[24:25], exec, s[40:41]
; %bb.1557:                             ;   in Loop: Header=BB36_1324 Depth=3
	v_bfe_u32 v35, v48, 16, 1
	v_add3_u32 v35, v48, v35, s8
                                        ; implicit-def: $vgpr48
; %bb.1558:                             ;   in Loop: Header=BB36_1324 Depth=3
	s_andn2_saveexec_b64 s[40:41], s[24:25]
; %bb.1559:                             ;   in Loop: Header=BB36_1324 Depth=3
	v_or_b32_e32 v35, 0x10000, v48
	v_cmp_eq_u32_sdwa s[24:25], v48, v3 src0_sel:WORD_0 src1_sel:DWORD
	s_nop 1
	v_cndmask_b32_e64 v35, v35, v48, s[24:25]
; %bb.1560:                             ;   in Loop: Header=BB36_1324 Depth=3
	s_or_b64 exec, exec, s[40:41]
	v_and_b32_e32 v9, 0xffff0000, v9
	v_and_b32_e32 v33, 0xffff0000, v33
	v_max_f32_e32 v9, v9, v9
	v_max_f32_e32 v48, v33, v33
	v_min_f32_e32 v49, v48, v9
	v_max_f32_e32 v9, v48, v9
	v_cndmask_b32_e32 v48, v9, v49, vcc
	v_and_b32_e32 v9, 0x7f800000, v48
	v_cmp_ne_u32_e64 s[24:25], s35, v9
                                        ; implicit-def: $vgpr9
	s_and_saveexec_b64 s[40:41], s[24:25]
	s_xor_b64 s[24:25], exec, s[40:41]
; %bb.1561:                             ;   in Loop: Header=BB36_1324 Depth=3
	v_bfe_u32 v9, v48, 16, 1
	v_add3_u32 v9, v48, v9, s8
                                        ; implicit-def: $vgpr48
; %bb.1562:                             ;   in Loop: Header=BB36_1324 Depth=3
	s_andn2_saveexec_b64 s[40:41], s[24:25]
; %bb.1563:                             ;   in Loop: Header=BB36_1324 Depth=3
	v_or_b32_e32 v9, 0x10000, v48
	v_cmp_eq_u32_sdwa s[24:25], v48, v3 src0_sel:WORD_0 src1_sel:DWORD
	s_nop 1
	v_cndmask_b32_e64 v9, v9, v48, s[24:25]
; %bb.1564:                             ;   in Loop: Header=BB36_1324 Depth=3
	s_or_b64 exec, exec, s[40:41]
	v_and_b32_e32 v48, 0xffff0000, v25
	v_lshlrev_b32_e32 v49, 16, v10
	v_max_f32_e32 v48, v48, v48
	v_max_f32_e32 v49, v49, v49
	v_min_f32_e32 v50, v48, v49
	v_max_f32_e32 v48, v48, v49
	v_cndmask_b32_e32 v49, v48, v50, vcc
	v_and_b32_e32 v48, 0x7f800000, v49
	v_cmp_ne_u32_e64 s[24:25], s35, v48
                                        ; implicit-def: $vgpr48
	s_and_saveexec_b64 s[40:41], s[24:25]
	s_xor_b64 s[24:25], exec, s[40:41]
; %bb.1565:                             ;   in Loop: Header=BB36_1324 Depth=3
	v_bfe_u32 v48, v49, 16, 1
	v_add3_u32 v48, v49, v48, s8
                                        ; implicit-def: $vgpr49
; %bb.1566:                             ;   in Loop: Header=BB36_1324 Depth=3
	s_andn2_saveexec_b64 s[40:41], s[24:25]
; %bb.1567:                             ;   in Loop: Header=BB36_1324 Depth=3
	v_or_b32_e32 v48, 0x10000, v49
	v_cmp_eq_u32_sdwa s[24:25], v49, v3 src0_sel:WORD_0 src1_sel:DWORD
	s_nop 1
	v_cndmask_b32_e64 v48, v48, v49, s[24:25]
; %bb.1568:                             ;   in Loop: Header=BB36_1324 Depth=3
	s_or_b64 exec, exec, s[40:41]
	v_and_b32_e32 v10, 0xffff0000, v10
	v_and_b32_e32 v34, 0xffff0000, v34
	v_max_f32_e32 v10, v10, v10
	v_max_f32_e32 v49, v34, v34
	v_min_f32_e32 v50, v49, v10
	v_max_f32_e32 v10, v49, v10
	v_cndmask_b32_e32 v49, v10, v50, vcc
	v_and_b32_e32 v10, 0x7f800000, v49
	v_cmp_ne_u32_e64 s[24:25], s35, v10
                                        ; implicit-def: $vgpr10
	s_and_saveexec_b64 s[40:41], s[24:25]
	s_xor_b64 s[24:25], exec, s[40:41]
; %bb.1569:                             ;   in Loop: Header=BB36_1324 Depth=3
	v_bfe_u32 v10, v49, 16, 1
	v_add3_u32 v10, v49, v10, s8
                                        ; implicit-def: $vgpr49
; %bb.1570:                             ;   in Loop: Header=BB36_1324 Depth=3
	s_andn2_saveexec_b64 s[40:41], s[24:25]
; %bb.1571:                             ;   in Loop: Header=BB36_1324 Depth=3
	v_or_b32_e32 v10, 0x10000, v49
	v_cmp_eq_u32_sdwa s[24:25], v49, v3 src0_sel:WORD_0 src1_sel:DWORD
	s_nop 1
	v_cndmask_b32_e64 v10, v10, v49, s[24:25]
; %bb.1572:                             ;   in Loop: Header=BB36_1324 Depth=3
	s_or_b64 exec, exec, s[40:41]
	v_and_b32_e32 v49, 0xffff0000, v26
	v_lshlrev_b32_e32 v50, 16, v11
	v_max_f32_e32 v49, v49, v49
	v_max_f32_e32 v50, v50, v50
	v_min_f32_e32 v51, v49, v50
	v_max_f32_e32 v49, v49, v50
	v_cndmask_b32_e32 v50, v49, v51, vcc
	v_and_b32_e32 v49, 0x7f800000, v50
	v_cmp_ne_u32_e64 s[24:25], s35, v49
                                        ; implicit-def: $vgpr49
	s_and_saveexec_b64 s[40:41], s[24:25]
	s_xor_b64 s[24:25], exec, s[40:41]
; %bb.1573:                             ;   in Loop: Header=BB36_1324 Depth=3
	v_bfe_u32 v49, v50, 16, 1
	v_add3_u32 v49, v50, v49, s8
                                        ; implicit-def: $vgpr50
; %bb.1574:                             ;   in Loop: Header=BB36_1324 Depth=3
	s_andn2_saveexec_b64 s[40:41], s[24:25]
; %bb.1575:                             ;   in Loop: Header=BB36_1324 Depth=3
	v_or_b32_e32 v49, 0x10000, v50
	v_cmp_eq_u32_sdwa s[24:25], v50, v3 src0_sel:WORD_0 src1_sel:DWORD
	s_nop 1
	v_cndmask_b32_e64 v49, v49, v50, s[24:25]
; %bb.1576:                             ;   in Loop: Header=BB36_1324 Depth=3
	s_or_b64 exec, exec, s[40:41]
	v_and_b32_e32 v11, 0xffff0000, v11
	v_and_b32_e32 v27, 0xffff0000, v27
	v_max_f32_e32 v11, v11, v11
	v_max_f32_e32 v50, v27, v27
	v_min_f32_e32 v51, v50, v11
	v_max_f32_e32 v11, v50, v11
	v_cndmask_b32_e32 v50, v11, v51, vcc
	v_and_b32_e32 v11, 0x7f800000, v50
	v_cmp_ne_u32_e64 s[24:25], s35, v11
                                        ; implicit-def: $vgpr11
	s_and_saveexec_b64 s[40:41], s[24:25]
	s_xor_b64 s[24:25], exec, s[40:41]
; %bb.1577:                             ;   in Loop: Header=BB36_1324 Depth=3
	v_bfe_u32 v11, v50, 16, 1
	v_add3_u32 v11, v50, v11, s8
                                        ; implicit-def: $vgpr50
; %bb.1578:                             ;   in Loop: Header=BB36_1324 Depth=3
	s_andn2_saveexec_b64 s[40:41], s[24:25]
	s_cbranch_execz .LBB36_1323
; %bb.1579:                             ;   in Loop: Header=BB36_1324 Depth=3
	v_or_b32_e32 v11, 0x10000, v50
	v_cmp_eq_u32_sdwa s[24:25], v50, v3 src0_sel:WORD_0 src1_sel:DWORD
	s_nop 1
	v_cndmask_b32_e64 v11, v11, v50, s[24:25]
	s_branch .LBB36_1323
.LBB36_1580:                            ;   in Loop: Header=BB36_1243 Depth=2
	s_or_b64 exec, exec, s[28:29]
	scratch_load_dwordx2 v[42:43], off, s33 offset:412 ; 8-byte Folded Reload
	v_mov_b32_e32 v59, v31
.LBB36_1581:                            ;   in Loop: Header=BB36_1243 Depth=2
	s_or_b64 exec, exec, s[26:27]
	v_lshlrev_b32_e32 v30, 12, v85
	v_cmp_ne_u32_e32 vcc, v7, v30
	s_mov_b64 s[24:25], 0
	v_mov_b32_e32 v18, 0
                                        ; implicit-def: $vgpr19
	s_and_saveexec_b64 s[66:67], vcc
	s_cbranch_execz .LBB36_1621
; %bb.1582:                             ;   in Loop: Header=BB36_1243 Depth=2
	scratch_load_dword v9, off, s33 offset:344 ; 4-byte Folded Reload
	v_lshlrev_b32_e32 v2, 6, v2
	v_sub_u32_e32 v8, v7, v30
	s_waitcnt vmcnt(0)
	v_and_b32_e32 v9, 63, v9
	v_sub_u32_e32 v2, v9, v2
	v_ashrrev_i32_e32 v9, 31, v2
	v_lshrrev_b32_e32 v9, 26, v9
	v_add_u32_e32 v9, v2, v9
	v_ashrrev_i32_e32 v10, 6, v9
	v_and_b32_e32 v9, 0xffffffc0, v9
	v_sub_u32_e32 v34, v2, v9
	v_ashrrev_i32_e32 v9, 31, v8
	v_lshrrev_b32_e32 v9, 22, v9
	v_add_u32_e32 v9, v8, v9
	v_and_b32_e32 v35, 0xfffffc00, v9
	v_lshlrev_b32_e32 v2, 4, v34
	v_sub_u32_e32 v36, v8, v35
	v_lshl_add_u32 v2, v10, 10, v2
	v_ashrrev_i32_e32 v11, 10, v9
	v_cmp_lt_i32_e64 s[24:25], 15, v36
	v_sub_u32_e32 v38, v8, v2
	s_nop 0
	v_addc_co_u32_e64 v8, vcc, 0, v11, s[24:25]
	v_sub_u32_e32 v37, v8, v10
	v_cmp_lt_i32_e32 vcc, 15, v38
	s_and_saveexec_b64 s[68:69], vcc
	s_cbranch_execz .LBB36_1620
; %bb.1583:                             ;   in Loop: Header=BB36_1243 Depth=2
	s_trap 2
	ds_read_b64 v[10:11], v0
	v_add_u32_e32 v8, v2, v30
	s_and_b32 s74, s73, 1
	v_ashrrev_i32_e32 v9, 31, v8
	s_cmp_eq_u64 s[74:75], 0
	s_waitcnt lgkmcnt(1)
	v_lshl_add_u64 v[20:21], v[8:9], 0, v[102:103]
	v_lshl_add_u64 v[22:23], v[8:9], 0, v[98:99]
	;; [unrolled: 1-line block ×4, first 2 shown]
	s_waitcnt lgkmcnt(0)
	v_lshl_add_u64 v[32:33], v[10:11], 0, v[8:9]
	s_mov_b64 s[70:71], 0
	s_cselect_b64 s[26:27], -1, 0
.LBB36_1584:                            ;   Parent Loop BB36_47 Depth=1
                                        ;     Parent Loop BB36_1243 Depth=2
                                        ; =>    This Loop Header: Depth=3
                                        ;         Child Loop BB36_1617 Depth 4
	global_load_dwordx4 v[12:15], v[32:33], off nt
	global_load_dwordx4 v[16:19], v[26:27], off nt
	;; [unrolled: 1-line block ×3, first 2 shown]
	s_waitcnt vmcnt(2)
	v_lshlrev_b32_e32 v2, 16, v12
	s_waitcnt vmcnt(1)
	v_lshlrev_b32_e32 v39, 16, v16
	v_max_f32_e32 v2, v2, v2
	v_max_f32_e32 v39, v39, v39
	v_min_f32_e32 v48, v39, v2
	v_max_f32_e32 v2, v39, v2
	v_cndmask_b32_e64 v2, v2, v48, s[26:27]
	v_and_b32_e32 v39, 0x7f800000, v2
	v_cmp_ne_u32_e32 vcc, s35, v39
                                        ; implicit-def: $vgpr39
	s_and_saveexec_b64 s[28:29], vcc
	s_xor_b64 s[28:29], exec, s[28:29]
; %bb.1585:                             ;   in Loop: Header=BB36_1584 Depth=3
	v_bfe_u32 v39, v2, 16, 1
	v_add3_u32 v39, v2, v39, s8
                                        ; implicit-def: $vgpr2
; %bb.1586:                             ;   in Loop: Header=BB36_1584 Depth=3
	s_andn2_saveexec_b64 s[28:29], s[28:29]
; %bb.1587:                             ;   in Loop: Header=BB36_1584 Depth=3
	v_or_b32_e32 v39, 0x10000, v2
	v_cmp_eq_u32_sdwa vcc, v2, v3 src0_sel:WORD_0 src1_sel:DWORD
	s_nop 1
	v_cndmask_b32_e32 v39, v39, v2, vcc
; %bb.1588:                             ;   in Loop: Header=BB36_1584 Depth=3
	s_or_b64 exec, exec, s[28:29]
	v_and_b32_e32 v2, 0xffff0000, v12
	v_and_b32_e32 v12, 0xffff0000, v16
	v_max_f32_e32 v2, v2, v2
	v_max_f32_e32 v12, v12, v12
	v_min_f32_e32 v16, v12, v2
	v_max_f32_e32 v2, v12, v2
	v_cndmask_b32_e64 v12, v2, v16, s[26:27]
	v_and_b32_e32 v2, 0x7f800000, v12
	v_cmp_ne_u32_e32 vcc, s35, v2
                                        ; implicit-def: $vgpr2
	s_and_saveexec_b64 s[28:29], vcc
	s_xor_b64 s[28:29], exec, s[28:29]
; %bb.1589:                             ;   in Loop: Header=BB36_1584 Depth=3
	v_bfe_u32 v2, v12, 16, 1
	v_add3_u32 v2, v12, v2, s8
                                        ; implicit-def: $vgpr12
; %bb.1590:                             ;   in Loop: Header=BB36_1584 Depth=3
	s_andn2_saveexec_b64 s[28:29], s[28:29]
; %bb.1591:                             ;   in Loop: Header=BB36_1584 Depth=3
	v_or_b32_e32 v2, 0x10000, v12
	v_cmp_eq_u32_sdwa vcc, v12, v3 src0_sel:WORD_0 src1_sel:DWORD
	s_nop 1
	v_cndmask_b32_e32 v2, v2, v12, vcc
; %bb.1592:                             ;   in Loop: Header=BB36_1584 Depth=3
	s_or_b64 exec, exec, s[28:29]
	v_lshlrev_b32_e32 v12, 16, v13
	v_lshlrev_b32_e32 v16, 16, v17
	v_max_f32_e32 v12, v12, v12
	v_max_f32_e32 v16, v16, v16
	v_min_f32_e32 v48, v16, v12
	v_max_f32_e32 v12, v16, v12
	v_cndmask_b32_e64 v12, v12, v48, s[26:27]
	v_and_b32_e32 v16, 0x7f800000, v12
	v_cmp_ne_u32_e32 vcc, s35, v16
                                        ; implicit-def: $vgpr16
	s_and_saveexec_b64 s[28:29], vcc
	s_xor_b64 s[28:29], exec, s[28:29]
; %bb.1593:                             ;   in Loop: Header=BB36_1584 Depth=3
	v_bfe_u32 v16, v12, 16, 1
	v_add3_u32 v16, v12, v16, s8
                                        ; implicit-def: $vgpr12
; %bb.1594:                             ;   in Loop: Header=BB36_1584 Depth=3
	s_andn2_saveexec_b64 s[28:29], s[28:29]
; %bb.1595:                             ;   in Loop: Header=BB36_1584 Depth=3
	v_or_b32_e32 v16, 0x10000, v12
	v_cmp_eq_u32_sdwa vcc, v12, v3 src0_sel:WORD_0 src1_sel:DWORD
	s_nop 1
	v_cndmask_b32_e32 v16, v16, v12, vcc
; %bb.1596:                             ;   in Loop: Header=BB36_1584 Depth=3
	s_or_b64 exec, exec, s[28:29]
	v_and_b32_e32 v12, 0xffff0000, v17
	v_and_b32_e32 v13, 0xffff0000, v13
	v_max_f32_e32 v13, v13, v13
	v_max_f32_e32 v12, v12, v12
	v_min_f32_e32 v17, v12, v13
	v_max_f32_e32 v12, v12, v13
	v_cndmask_b32_e64 v13, v12, v17, s[26:27]
	v_and_b32_e32 v12, 0x7f800000, v13
	v_cmp_ne_u32_e32 vcc, s35, v12
                                        ; implicit-def: $vgpr12
	s_and_saveexec_b64 s[28:29], vcc
	s_xor_b64 s[28:29], exec, s[28:29]
; %bb.1597:                             ;   in Loop: Header=BB36_1584 Depth=3
	v_bfe_u32 v12, v13, 16, 1
	v_add3_u32 v12, v13, v12, s8
                                        ; implicit-def: $vgpr13
; %bb.1598:                             ;   in Loop: Header=BB36_1584 Depth=3
	s_andn2_saveexec_b64 s[28:29], s[28:29]
; %bb.1599:                             ;   in Loop: Header=BB36_1584 Depth=3
	v_or_b32_e32 v12, 0x10000, v13
	v_cmp_eq_u32_sdwa vcc, v13, v3 src0_sel:WORD_0 src1_sel:DWORD
	s_nop 1
	v_cndmask_b32_e32 v12, v12, v13, vcc
; %bb.1600:                             ;   in Loop: Header=BB36_1584 Depth=3
	s_or_b64 exec, exec, s[28:29]
	v_lshlrev_b32_e32 v13, 16, v14
	v_lshlrev_b32_e32 v17, 16, v18
	v_max_f32_e32 v13, v13, v13
	v_max_f32_e32 v17, v17, v17
	v_min_f32_e32 v48, v17, v13
	v_max_f32_e32 v13, v17, v13
	v_cndmask_b32_e64 v13, v13, v48, s[26:27]
	v_and_b32_e32 v17, 0x7f800000, v13
	v_cmp_ne_u32_e32 vcc, s35, v17
                                        ; implicit-def: $vgpr17
	s_and_saveexec_b64 s[28:29], vcc
	s_xor_b64 s[28:29], exec, s[28:29]
; %bb.1601:                             ;   in Loop: Header=BB36_1584 Depth=3
	v_bfe_u32 v17, v13, 16, 1
	v_add3_u32 v17, v13, v17, s8
                                        ; implicit-def: $vgpr13
; %bb.1602:                             ;   in Loop: Header=BB36_1584 Depth=3
	s_andn2_saveexec_b64 s[28:29], s[28:29]
; %bb.1603:                             ;   in Loop: Header=BB36_1584 Depth=3
	v_or_b32_e32 v17, 0x10000, v13
	v_cmp_eq_u32_sdwa vcc, v13, v3 src0_sel:WORD_0 src1_sel:DWORD
	s_nop 1
	v_cndmask_b32_e32 v17, v17, v13, vcc
; %bb.1604:                             ;   in Loop: Header=BB36_1584 Depth=3
	s_or_b64 exec, exec, s[28:29]
	v_and_b32_e32 v13, 0xffff0000, v18
	v_and_b32_e32 v14, 0xffff0000, v14
	v_max_f32_e32 v14, v14, v14
	v_max_f32_e32 v13, v13, v13
	v_min_f32_e32 v18, v13, v14
	v_max_f32_e32 v13, v13, v14
	v_cndmask_b32_e64 v13, v13, v18, s[26:27]
	v_and_b32_e32 v14, 0x7f800000, v13
	v_cmp_ne_u32_e32 vcc, s35, v14
                                        ; implicit-def: $vgpr18
	s_and_saveexec_b64 s[28:29], vcc
	s_xor_b64 s[28:29], exec, s[28:29]
; %bb.1605:                             ;   in Loop: Header=BB36_1584 Depth=3
	v_bfe_u32 v14, v13, 16, 1
	v_add3_u32 v18, v13, v14, s8
                                        ; implicit-def: $vgpr13
; %bb.1606:                             ;   in Loop: Header=BB36_1584 Depth=3
	s_andn2_saveexec_b64 s[28:29], s[28:29]
; %bb.1607:                             ;   in Loop: Header=BB36_1584 Depth=3
	v_or_b32_e32 v14, 0x10000, v13
	v_cmp_eq_u32_sdwa vcc, v13, v3 src0_sel:WORD_0 src1_sel:DWORD
	s_nop 1
	v_cndmask_b32_e32 v18, v14, v13, vcc
; %bb.1608:                             ;   in Loop: Header=BB36_1584 Depth=3
	s_or_b64 exec, exec, s[28:29]
	v_lshlrev_b32_e32 v13, 16, v15
	v_lshlrev_b32_e32 v14, 16, v19
	v_max_f32_e32 v13, v13, v13
	v_max_f32_e32 v14, v14, v14
	v_min_f32_e32 v48, v14, v13
	v_max_f32_e32 v13, v14, v13
	v_cndmask_b32_e64 v13, v13, v48, s[26:27]
	v_and_b32_e32 v14, 0x7f800000, v13
	v_cmp_ne_u32_e32 vcc, s35, v14
                                        ; implicit-def: $vgpr14
	s_and_saveexec_b64 s[28:29], vcc
	s_xor_b64 s[28:29], exec, s[28:29]
; %bb.1609:                             ;   in Loop: Header=BB36_1584 Depth=3
	v_bfe_u32 v14, v13, 16, 1
	v_add3_u32 v14, v13, v14, s8
                                        ; implicit-def: $vgpr13
; %bb.1610:                             ;   in Loop: Header=BB36_1584 Depth=3
	s_andn2_saveexec_b64 s[28:29], s[28:29]
; %bb.1611:                             ;   in Loop: Header=BB36_1584 Depth=3
	v_or_b32_e32 v14, 0x10000, v13
	v_cmp_eq_u32_sdwa vcc, v13, v3 src0_sel:WORD_0 src1_sel:DWORD
	s_nop 1
	v_cndmask_b32_e32 v14, v14, v13, vcc
; %bb.1612:                             ;   in Loop: Header=BB36_1584 Depth=3
	s_or_b64 exec, exec, s[28:29]
	v_and_b32_e32 v13, 0xffff0000, v19
	v_and_b32_e32 v15, 0xffff0000, v15
	v_max_f32_e32 v15, v15, v15
	v_max_f32_e32 v13, v13, v13
	v_min_f32_e32 v19, v13, v15
	v_max_f32_e32 v13, v13, v15
	v_cndmask_b32_e64 v13, v13, v19, s[26:27]
	v_and_b32_e32 v15, 0x7f800000, v13
	v_cmp_ne_u32_e32 vcc, s35, v15
                                        ; implicit-def: $vgpr15
	s_and_saveexec_b64 s[28:29], vcc
	s_xor_b64 s[28:29], exec, s[28:29]
; %bb.1613:                             ;   in Loop: Header=BB36_1584 Depth=3
	v_bfe_u32 v15, v13, 16, 1
	v_add3_u32 v15, v13, v15, s8
                                        ; implicit-def: $vgpr13
; %bb.1614:                             ;   in Loop: Header=BB36_1584 Depth=3
	s_andn2_saveexec_b64 s[28:29], s[28:29]
; %bb.1615:                             ;   in Loop: Header=BB36_1584 Depth=3
	v_or_b32_e32 v15, 0x10000, v13
	v_cmp_eq_u32_sdwa vcc, v13, v3 src0_sel:WORD_0 src1_sel:DWORD
	s_nop 1
	v_cndmask_b32_e32 v15, v15, v13, vcc
; %bb.1616:                             ;   in Loop: Header=BB36_1584 Depth=3
	s_or_b64 exec, exec, s[28:29]
	v_and_b32_e32 v48, 0xffff0000, v2
	v_or_b32_sdwa v2, v48, v39 dst_sel:DWORD dst_unused:UNUSED_PAD src0_sel:DWORD src1_sel:WORD_1
	s_waitcnt vmcnt(0)
	v_and_b32_e32 v50, 0xffff0000, v8
	v_and_b32_e32 v39, 0xffff0000, v39
	v_lshlrev_b32_e32 v8, 16, v8
	v_max_f32_e32 v39, v39, v39
	v_max_f32_e32 v8, v8, v8
	v_min_f32_e32 v51, v39, v8
	v_max_f32_e32 v8, v39, v8
	v_cndmask_b32_e64 v8, v8, v51, s[26:27]
	v_and_b32_e32 v39, 0x7f800000, v8
	v_cmp_eq_u32_e32 vcc, s35, v39
	v_bfe_u32 v39, v8, 16, 1
	v_cmp_eq_u32_sdwa s[28:29], v8, v3 src0_sel:WORD_0 src1_sel:DWORD
	v_or_b32_e32 v51, 0x10000, v8
	v_max_f32_e32 v48, v48, v48
	v_max_f32_e32 v50, v50, v50
	v_add3_u32 v39, v8, v39, s8
	v_cndmask_b32_e64 v8, v51, v8, s[28:29]
	v_min_f32_e32 v51, v48, v50
	v_max_f32_e32 v48, v48, v50
	v_cndmask_b32_e64 v48, v48, v51, s[26:27]
	v_and_b32_e32 v50, 0x7f800000, v48
	v_and_b32_e32 v19, 0xffff0000, v12
	v_cmp_eq_u32_e64 s[28:29], s35, v50
	v_bfe_u32 v50, v48, 16, 1
	v_cmp_eq_u32_sdwa s[40:41], v48, v3 src0_sel:WORD_0 src1_sel:DWORD
	v_or_b32_e32 v51, 0x10000, v48
	v_or_b32_sdwa v13, v19, v16 dst_sel:DWORD dst_unused:UNUSED_PAD src0_sel:DWORD src1_sel:WORD_1
	v_add3_u32 v50, v48, v50, s8
	v_cndmask_b32_e64 v48, v51, v48, s[40:41]
	v_and_b32_e32 v51, 0xffff0000, v9
	v_and_b32_e32 v16, 0xffff0000, v16
	v_lshlrev_b32_e32 v9, 16, v9
	v_max_f32_e32 v16, v16, v16
	v_max_f32_e32 v9, v9, v9
	v_min_f32_e32 v52, v16, v9
	v_max_f32_e32 v9, v16, v9
	v_cndmask_b32_e64 v9, v9, v52, s[26:27]
	v_and_b32_e32 v16, 0x7f800000, v9
	v_cmp_eq_u32_e64 s[40:41], s35, v16
	v_bfe_u32 v16, v9, 16, 1
	v_cmp_eq_u32_sdwa s[42:43], v9, v3 src0_sel:WORD_0 src1_sel:DWORD
	v_or_b32_e32 v52, 0x10000, v9
	v_max_f32_e32 v19, v19, v19
	v_max_f32_e32 v51, v51, v51
	v_add3_u32 v16, v9, v16, s8
	v_cndmask_b32_e64 v9, v52, v9, s[42:43]
	v_min_f32_e32 v52, v19, v51
	v_max_f32_e32 v19, v19, v51
	v_cndmask_b32_e64 v19, v19, v52, s[26:27]
	v_and_b32_e32 v51, 0x7f800000, v19
	v_and_b32_e32 v18, 0xffff0000, v18
	v_cmp_eq_u32_e64 s[42:43], s35, v51
	v_bfe_u32 v51, v19, 16, 1
	v_cmp_eq_u32_sdwa s[44:45], v19, v3 src0_sel:WORD_0 src1_sel:DWORD
	v_or_b32_e32 v52, 0x10000, v19
	v_or_b32_sdwa v12, v18, v17 dst_sel:DWORD dst_unused:UNUSED_PAD src0_sel:DWORD src1_sel:WORD_1
	v_add3_u32 v51, v19, v51, s8
	v_cndmask_b32_e64 v19, v52, v19, s[44:45]
	v_and_b32_e32 v52, 0xffff0000, v10
	v_and_b32_e32 v17, 0xffff0000, v17
	v_lshlrev_b32_e32 v10, 16, v10
	v_max_f32_e32 v17, v17, v17
	v_max_f32_e32 v10, v10, v10
	v_min_f32_e32 v53, v17, v10
	v_max_f32_e32 v10, v17, v10
	v_cndmask_b32_e64 v10, v10, v53, s[26:27]
	v_and_b32_e32 v17, 0x7f800000, v10
	v_cmp_eq_u32_e64 s[44:45], s35, v17
	;; [unrolled: 29-line block ×3, first 2 shown]
	v_bfe_u32 v14, v11, 16, 1
	v_cmp_eq_u32_sdwa s[58:59], v11, v3 src0_sel:WORD_0 src1_sel:DWORD
	v_or_b32_e32 v54, 0x10000, v11
	v_max_f32_e32 v49, v49, v49
	v_max_f32_e32 v53, v53, v53
	v_add3_u32 v14, v11, v14, s8
	v_cndmask_b32_e64 v11, v54, v11, s[58:59]
	v_min_f32_e32 v54, v49, v53
	v_max_f32_e32 v49, v49, v53
	v_cndmask_b32_e64 v49, v49, v54, s[26:27]
	v_and_b32_e32 v53, 0x7f800000, v49
	v_cmp_eq_u32_e64 s[58:59], s35, v53
	v_bfe_u32 v53, v49, 16, 1
	v_cmp_eq_u32_sdwa s[60:61], v49, v3 src0_sel:WORD_0 src1_sel:DWORD
	v_or_b32_e32 v54, 0x10000, v49
	v_add3_u32 v53, v49, v53, s8
	v_cndmask_b32_e64 v49, v54, v49, s[60:61]
	v_cndmask_b32_e32 v8, v39, v8, vcc
	v_cndmask_b32_e64 v9, v16, v9, s[40:41]
	v_cndmask_b32_e64 v10, v17, v10, s[44:45]
	;; [unrolled: 1-line block ×7, first 2 shown]
	v_lshrrev_b32_e32 v9, 16, v9
	v_lshrrev_b32_e32 v8, 16, v8
	;; [unrolled: 1-line block ×4, first 2 shown]
	v_and_or_b32 v9, v16, s9, v9
	v_and_or_b32 v8, v39, s9, v8
	;; [unrolled: 1-line block ×4, first 2 shown]
	s_mov_b64 s[40:41], 0
	s_mov_b64 s[28:29], -1
.LBB36_1617:                            ;   Parent Loop BB36_47 Depth=1
                                        ;     Parent Loop BB36_1243 Depth=2
                                        ;       Parent Loop BB36_1584 Depth=3
                                        ; =>      This Inner Loop Header: Depth=4
	v_cndmask_b32_e64 v14, 0, 1, s[28:29]
	v_cmp_ne_u32_e32 vcc, 1, v14
	s_cmp_eq_u32 s40, 1
	v_cndmask_b32_e64 v17, v13, v9, s[28:29]
	v_cndmask_b32_e64 v16, v2, v8, s[28:29]
	;; [unrolled: 1-line block ×4, first 2 shown]
	v_cndmask_b32_e32 v49, v23, v25, vcc
	v_cndmask_b32_e32 v48, v22, v24, vcc
	s_cselect_b64 vcc, -1, 0
	global_store_dwordx4 v[48:49], v[16:19], off
	s_cmp_eq_u32 s40, 0
	s_mov_b64 s[40:41], 1
	v_cndmask_b32_e32 v17, v23, v25, vcc
	v_cndmask_b32_e32 v16, v22, v24, vcc
	v_lshl_add_u64 v[16:17], v[16:17], 0, s[88:89]
	v_cndmask_b32_e32 v25, v25, v17, vcc
	v_cndmask_b32_e32 v24, v24, v16, vcc
	s_cselect_b64 vcc, -1, 0
	v_cndmask_b32_e32 v23, v23, v17, vcc
	v_cndmask_b32_e32 v22, v22, v16, vcc
	s_and_b64 vcc, exec, s[28:29]
	s_mov_b64 s[28:29], 0
	s_cbranch_vccnz .LBB36_1617
; %bb.1618:                             ;   in Loop: Header=BB36_1584 Depth=3
	scratch_load_dwordx2 v[8:9], off, s33 offset:312 ; 8-byte Folded Reload
	v_sub_u32_e32 v38, v38, v76
	v_cmp_gt_i32_e32 vcc, 16, v38
	v_lshl_add_u64 v[22:23], v[22:23], 0, v[92:93]
	v_lshl_add_u64 v[24:25], v[24:25], 0, v[92:93]
	s_or_b64 s[70:71], vcc, s[70:71]
	v_sub_u32_e32 v37, v37, v60
	s_waitcnt vmcnt(0)
	v_lshl_add_u64 v[26:27], v[26:27], 0, v[8:9]
	v_lshl_add_u64 v[32:33], v[32:33], 0, v[8:9]
	;; [unrolled: 1-line block ×3, first 2 shown]
	s_andn2_b64 exec, exec, s[70:71]
	s_cbranch_execnz .LBB36_1584
; %bb.1619:                             ;   in Loop: Header=BB36_1243 Depth=2
	s_or_b64 exec, exec, s[70:71]
.LBB36_1620:                            ;   in Loop: Header=BB36_1243 Depth=2
	s_or_b64 exec, exec, s[68:69]
	v_and_b32_e32 v2, 14, v7
	v_sub_u32_e32 v7, v36, v2
	v_cndmask_b32_e64 v7, 0, v7, s[24:25]
	v_cmp_lt_i32_e32 vcc, 0, v37
	v_add3_u32 v18, v35, v30, v7
	v_cndmask_b32_e64 v7, v36, v2, s[24:25]
	v_cndmask_b32_e32 v2, 0, v60, vcc
	v_sub_u32_e32 v2, v2, v37
	v_cmp_ne_u32_e32 vcc, 0, v7
	v_lshl_add_u32 v19, v2, 6, v34
	s_and_b64 s[24:25], vcc, exec
.LBB36_1621:                            ;   in Loop: Header=BB36_1243 Depth=2
	s_or_b64 exec, exec, s[66:67]
	s_and_saveexec_b64 s[40:41], s[24:25]
	s_cbranch_execz .LBB36_1764
.LBB36_1622:                            ;   in Loop: Header=BB36_1243 Depth=2
	s_waitcnt vmcnt(0)
	v_ashrrev_i32_e32 v2, 31, v19
	v_ashrrev_i32_e32 v9, 31, v7
	v_lshrrev_b32_e32 v2, 26, v2
	v_lshrrev_b32_e32 v9, 21, v9
	v_add_u32_e32 v8, v19, v2
	v_add_u32_e32 v9, v7, v9
	v_ashrrev_i32_e32 v2, 6, v8
	v_ashrrev_i32_e32 v21, 11, v9
	v_sub_u32_e32 v20, v21, v2
	v_cmp_lt_i32_e32 vcc, 0, v20
	s_and_saveexec_b64 s[26:27], vcc
	s_cbranch_execz .LBB36_1754
; %bb.1623:                             ;   in Loop: Header=BB36_1243 Depth=2
	v_and_b32_e32 v8, 0x7fffffc0, v8
	s_trap 2
	ds_read_b64 v[14:15], v0
	v_sub_u32_e32 v8, v19, v8
	v_lshlrev_b32_e32 v8, 1, v8
	v_lshlrev_b32_e32 v9, 11, v2
	v_add3_u32 v16, v8, v18, v9
	s_and_b32 s74, s73, 1
	v_ashrrev_i32_e32 v17, 31, v16
	s_cmp_eq_u64 s[74:75], 0
	s_waitcnt lgkmcnt(1)
	v_lshl_add_u64 v[22:23], v[102:103], 0, s[50:51]
	v_lshl_add_u64 v[8:9], v[16:17], 0, v[98:99]
	;; [unrolled: 1-line block ×4, first 2 shown]
	s_waitcnt lgkmcnt(0)
	v_lshl_add_u64 v[14:15], v[14:15], 0, v[16:17]
	s_mov_b64 s[28:29], 0
	s_cselect_b64 s[24:25], -1, 0
	v_lshl_add_u64 v[16:17], v[22:23], 0, v[16:17]
	s_branch .LBB36_1625
.LBB36_1624:                            ;   in Loop: Header=BB36_1625 Depth=3
	s_or_b64 exec, exec, s[42:43]
	flat_store_short_d16_hi v[8:9], v24 offset:1920 nt
	flat_store_short_d16_hi v[10:11], v23 nt
	flat_store_short_d16_hi v[10:11], v25 offset:128 nt
	flat_store_short_d16_hi v[10:11], v27 offset:256 nt
	;; [unrolled: 1-line block ×15, first 2 shown]
	scratch_load_dwordx2 v[22:23], off, s33 offset:272 ; 8-byte Folded Reload
	v_sub_u32_e32 v20, v20, v60
	v_cmp_gt_i32_e32 vcc, 1, v20
	s_or_b64 s[28:29], vcc, s[28:29]
	v_lshl_add_u64 v[16:17], v[16:17], 0, v[120:121]
	s_waitcnt vmcnt(0)
	v_lshl_add_u64 v[12:13], v[12:13], 0, v[22:23]
	v_lshl_add_u64 v[14:15], v[14:15], 0, v[22:23]
	;; [unrolled: 1-line block ×4, first 2 shown]
	s_andn2_b64 exec, exec, s[28:29]
	s_cbranch_execz .LBB36_1753
.LBB36_1625:                            ;   Parent Loop BB36_47 Depth=1
                                        ;     Parent Loop BB36_1243 Depth=2
                                        ; =>    This Inner Loop Header: Depth=3
	v_add_co_u32_e32 v22, vcc, 0xfffff880, v16
	s_nop 1
	v_addc_co_u32_e32 v23, vcc, -1, v17, vcc
	flat_load_ushort v68, v[22:23] nt
	v_add_co_u32_e32 v22, vcc, 0xfffff900, v16
	s_nop 1
	v_addc_co_u32_e32 v23, vcc, -1, v17, vcc
	flat_load_ushort v66, v[22:23] nt
	;; [unrolled: 4-line block ×15, first 2 shown]
	flat_load_ushort v52, v[12:13] offset:1024 nt
	flat_load_ushort v55, v[12:13] offset:1152 nt
	flat_load_ushort v65, v[12:13] offset:1280 nt
	flat_load_ushort v67, v[12:13] offset:1408 nt
	flat_load_ushort v69, v[12:13] offset:1536 nt
	flat_load_ushort v70, v[12:13] offset:1664 nt
	flat_load_ushort v71, v[12:13] offset:1792 nt
	flat_load_ushort v80, v[12:13] offset:1920 nt
	flat_load_ushort v22, v[16:17] nt
	flat_load_ushort v25, v[12:13] offset:128 nt
	flat_load_ushort v27, v[12:13] offset:256 nt
	flat_load_ushort v33, v[12:13] offset:384 nt
	flat_load_ushort v35, v[12:13] offset:512 nt
	flat_load_ushort v37, v[12:13] offset:640 nt
	flat_load_ushort v48, v[12:13] offset:768 nt
	flat_load_ushort v50, v[12:13] offset:896 nt
	flat_load_ushort v23, v[12:13] nt
	flat_load_ushort v117, v[14:15] offset:128 nt
	flat_load_ushort v116, v[14:15] offset:256 nt
	flat_load_ushort v43, v[14:15] offset:384 nt
	flat_load_ushort v42, v[14:15] offset:512 nt
	flat_load_ushort v119, v[14:15] offset:640 nt
	flat_load_ushort v118, v[14:15] offset:768 nt
	flat_load_ushort v115, v[14:15] offset:896 nt
	;; [unrolled: 8-line block ×3, first 2 shown]
	flat_load_ushort v81, v[14:15] offset:1920 nt
	s_waitcnt vmcnt(0) lgkmcnt(0)
	v_lshlrev_b32_e32 v23, 16, v23
	v_max_f32_e32 v23, v23, v23
	v_lshlrev_b32_e32 v45, 16, v45
	v_max_f32_e32 v45, v45, v45
	v_min_f32_e32 v58, v23, v45
	v_max_f32_e32 v23, v23, v45
	v_cndmask_b32_e64 v45, v23, v58, s[24:25]
	v_and_b32_e32 v23, 0x7f800000, v45
	v_cmp_ne_u32_e32 vcc, s35, v23
                                        ; implicit-def: $vgpr23
	s_and_saveexec_b64 s[42:43], vcc
	s_xor_b64 s[42:43], exec, s[42:43]
; %bb.1626:                             ;   in Loop: Header=BB36_1625 Depth=3
	v_bfe_u32 v23, v45, 16, 1
	v_add3_u32 v23, v45, v23, s8
                                        ; implicit-def: $vgpr45
; %bb.1627:                             ;   in Loop: Header=BB36_1625 Depth=3
	s_andn2_saveexec_b64 s[42:43], s[42:43]
; %bb.1628:                             ;   in Loop: Header=BB36_1625 Depth=3
	v_or_b32_e32 v23, 0x10000, v45
	v_cmp_eq_u32_sdwa vcc, v45, v3 src0_sel:WORD_0 src1_sel:DWORD
	s_nop 1
	v_cndmask_b32_e32 v23, v23, v45, vcc
; %bb.1629:                             ;   in Loop: Header=BB36_1625 Depth=3
	s_or_b64 exec, exec, s[42:43]
	v_lshlrev_b32_e32 v25, 16, v25
	v_lshlrev_b32_e32 v117, 16, v117
	v_max_f32_e32 v117, v117, v117
	v_max_f32_e32 v25, v25, v25
	v_min_f32_e32 v45, v25, v117
	v_max_f32_e32 v25, v25, v117
	v_cndmask_b32_e64 v117, v25, v45, s[24:25]
	v_and_b32_e32 v25, 0x7f800000, v117
	v_cmp_ne_u32_e32 vcc, s35, v25
                                        ; implicit-def: $vgpr25
	s_and_saveexec_b64 s[42:43], vcc
	s_xor_b64 s[42:43], exec, s[42:43]
; %bb.1630:                             ;   in Loop: Header=BB36_1625 Depth=3
	v_bfe_u32 v25, v117, 16, 1
	v_add3_u32 v25, v117, v25, s8
                                        ; implicit-def: $vgpr117
; %bb.1631:                             ;   in Loop: Header=BB36_1625 Depth=3
	s_andn2_saveexec_b64 s[42:43], s[42:43]
; %bb.1632:                             ;   in Loop: Header=BB36_1625 Depth=3
	v_or_b32_e32 v25, 0x10000, v117
	v_cmp_eq_u32_sdwa vcc, v117, v3 src0_sel:WORD_0 src1_sel:DWORD
	s_nop 1
	v_cndmask_b32_e32 v25, v25, v117, vcc
; %bb.1633:                             ;   in Loop: Header=BB36_1625 Depth=3
	s_or_b64 exec, exec, s[42:43]
	v_lshlrev_b32_e32 v27, 16, v27
	v_lshlrev_b32_e32 v116, 16, v116
	v_max_f32_e32 v116, v116, v116
	v_max_f32_e32 v27, v27, v27
	v_min_f32_e32 v117, v27, v116
	v_max_f32_e32 v27, v27, v116
	v_cndmask_b32_e64 v116, v27, v117, s[24:25]
	v_and_b32_e32 v27, 0x7f800000, v116
	v_cmp_ne_u32_e32 vcc, s35, v27
                                        ; implicit-def: $vgpr27
	s_and_saveexec_b64 s[42:43], vcc
	s_xor_b64 s[42:43], exec, s[42:43]
; %bb.1634:                             ;   in Loop: Header=BB36_1625 Depth=3
	v_bfe_u32 v27, v116, 16, 1
	v_add3_u32 v27, v116, v27, s8
                                        ; implicit-def: $vgpr116
; %bb.1635:                             ;   in Loop: Header=BB36_1625 Depth=3
	s_andn2_saveexec_b64 s[42:43], s[42:43]
; %bb.1636:                             ;   in Loop: Header=BB36_1625 Depth=3
	v_or_b32_e32 v27, 0x10000, v116
	v_cmp_eq_u32_sdwa vcc, v116, v3 src0_sel:WORD_0 src1_sel:DWORD
	s_nop 1
	v_cndmask_b32_e32 v27, v27, v116, vcc
; %bb.1637:                             ;   in Loop: Header=BB36_1625 Depth=3
	s_or_b64 exec, exec, s[42:43]
	v_lshlrev_b32_e32 v33, 16, v33
	v_lshlrev_b32_e32 v116, 16, v43
	v_max_f32_e32 v116, v116, v116
	v_max_f32_e32 v33, v33, v33
	v_min_f32_e32 v117, v33, v116
	v_max_f32_e32 v33, v33, v116
	v_cndmask_b32_e64 v116, v33, v117, s[24:25]
	v_and_b32_e32 v33, 0x7f800000, v116
	v_cmp_ne_u32_e32 vcc, s35, v33
                                        ; implicit-def: $vgpr33
	s_and_saveexec_b64 s[42:43], vcc
	s_xor_b64 s[42:43], exec, s[42:43]
; %bb.1638:                             ;   in Loop: Header=BB36_1625 Depth=3
	v_bfe_u32 v33, v116, 16, 1
	v_add3_u32 v33, v116, v33, s8
                                        ; implicit-def: $vgpr116
; %bb.1639:                             ;   in Loop: Header=BB36_1625 Depth=3
	s_andn2_saveexec_b64 s[42:43], s[42:43]
; %bb.1640:                             ;   in Loop: Header=BB36_1625 Depth=3
	v_or_b32_e32 v33, 0x10000, v116
	v_cmp_eq_u32_sdwa vcc, v116, v3 src0_sel:WORD_0 src1_sel:DWORD
	s_nop 1
	v_cndmask_b32_e32 v33, v33, v116, vcc
; %bb.1641:                             ;   in Loop: Header=BB36_1625 Depth=3
	s_or_b64 exec, exec, s[42:43]
	v_lshlrev_b32_e32 v35, 16, v35
	v_lshlrev_b32_e32 v116, 16, v42
	v_max_f32_e32 v116, v116, v116
	v_max_f32_e32 v35, v35, v35
	v_min_f32_e32 v117, v35, v116
	v_max_f32_e32 v35, v35, v116
	v_cndmask_b32_e64 v116, v35, v117, s[24:25]
	v_and_b32_e32 v35, 0x7f800000, v116
	v_cmp_ne_u32_e32 vcc, s35, v35
                                        ; implicit-def: $vgpr35
	s_and_saveexec_b64 s[42:43], vcc
	s_xor_b64 s[42:43], exec, s[42:43]
; %bb.1642:                             ;   in Loop: Header=BB36_1625 Depth=3
	v_bfe_u32 v35, v116, 16, 1
	v_add3_u32 v35, v116, v35, s8
                                        ; implicit-def: $vgpr116
; %bb.1643:                             ;   in Loop: Header=BB36_1625 Depth=3
	s_andn2_saveexec_b64 s[42:43], s[42:43]
; %bb.1644:                             ;   in Loop: Header=BB36_1625 Depth=3
	v_or_b32_e32 v35, 0x10000, v116
	v_cmp_eq_u32_sdwa vcc, v116, v3 src0_sel:WORD_0 src1_sel:DWORD
	s_nop 1
	v_cndmask_b32_e32 v35, v35, v116, vcc
; %bb.1645:                             ;   in Loop: Header=BB36_1625 Depth=3
	s_or_b64 exec, exec, s[42:43]
	v_lshlrev_b32_e32 v37, 16, v37
	v_lshlrev_b32_e32 v116, 16, v119
	v_max_f32_e32 v116, v116, v116
	v_max_f32_e32 v37, v37, v37
	v_min_f32_e32 v117, v37, v116
	v_max_f32_e32 v37, v37, v116
	v_cndmask_b32_e64 v116, v37, v117, s[24:25]
	v_and_b32_e32 v37, 0x7f800000, v116
	v_cmp_ne_u32_e32 vcc, s35, v37
                                        ; implicit-def: $vgpr37
	s_and_saveexec_b64 s[42:43], vcc
	s_xor_b64 s[42:43], exec, s[42:43]
; %bb.1646:                             ;   in Loop: Header=BB36_1625 Depth=3
	v_bfe_u32 v37, v116, 16, 1
	v_add3_u32 v37, v116, v37, s8
                                        ; implicit-def: $vgpr116
; %bb.1647:                             ;   in Loop: Header=BB36_1625 Depth=3
	s_andn2_saveexec_b64 s[42:43], s[42:43]
; %bb.1648:                             ;   in Loop: Header=BB36_1625 Depth=3
	v_or_b32_e32 v37, 0x10000, v116
	v_cmp_eq_u32_sdwa vcc, v116, v3 src0_sel:WORD_0 src1_sel:DWORD
	s_nop 1
	v_cndmask_b32_e32 v37, v37, v116, vcc
; %bb.1649:                             ;   in Loop: Header=BB36_1625 Depth=3
	s_or_b64 exec, exec, s[42:43]
	v_lshlrev_b32_e32 v48, 16, v48
	v_lshlrev_b32_e32 v116, 16, v118
	v_max_f32_e32 v116, v116, v116
	v_max_f32_e32 v48, v48, v48
	v_min_f32_e32 v117, v48, v116
	v_max_f32_e32 v48, v48, v116
	v_cndmask_b32_e64 v116, v48, v117, s[24:25]
	v_and_b32_e32 v48, 0x7f800000, v116
	v_cmp_ne_u32_e32 vcc, s35, v48
                                        ; implicit-def: $vgpr48
	s_and_saveexec_b64 s[42:43], vcc
	s_xor_b64 s[42:43], exec, s[42:43]
; %bb.1650:                             ;   in Loop: Header=BB36_1625 Depth=3
	v_bfe_u32 v48, v116, 16, 1
	v_add3_u32 v48, v116, v48, s8
                                        ; implicit-def: $vgpr116
; %bb.1651:                             ;   in Loop: Header=BB36_1625 Depth=3
	s_andn2_saveexec_b64 s[42:43], s[42:43]
; %bb.1652:                             ;   in Loop: Header=BB36_1625 Depth=3
	v_or_b32_e32 v48, 0x10000, v116
	v_cmp_eq_u32_sdwa vcc, v116, v3 src0_sel:WORD_0 src1_sel:DWORD
	s_nop 1
	v_cndmask_b32_e32 v48, v48, v116, vcc
; %bb.1653:                             ;   in Loop: Header=BB36_1625 Depth=3
	s_or_b64 exec, exec, s[42:43]
	v_lshlrev_b32_e32 v50, 16, v50
	v_lshlrev_b32_e32 v115, 16, v115
	v_max_f32_e32 v115, v115, v115
	v_max_f32_e32 v50, v50, v50
	v_min_f32_e32 v116, v50, v115
	v_max_f32_e32 v50, v50, v115
	v_cndmask_b32_e64 v115, v50, v116, s[24:25]
	v_and_b32_e32 v50, 0x7f800000, v115
	v_cmp_ne_u32_e32 vcc, s35, v50
                                        ; implicit-def: $vgpr50
	s_and_saveexec_b64 s[42:43], vcc
	s_xor_b64 s[42:43], exec, s[42:43]
; %bb.1654:                             ;   in Loop: Header=BB36_1625 Depth=3
	v_bfe_u32 v50, v115, 16, 1
	v_add3_u32 v50, v115, v50, s8
                                        ; implicit-def: $vgpr115
; %bb.1655:                             ;   in Loop: Header=BB36_1625 Depth=3
	s_andn2_saveexec_b64 s[42:43], s[42:43]
; %bb.1656:                             ;   in Loop: Header=BB36_1625 Depth=3
	v_or_b32_e32 v50, 0x10000, v115
	v_cmp_eq_u32_sdwa vcc, v115, v3 src0_sel:WORD_0 src1_sel:DWORD
	s_nop 1
	v_cndmask_b32_e32 v50, v50, v115, vcc
; %bb.1657:                             ;   in Loop: Header=BB36_1625 Depth=3
	s_or_b64 exec, exec, s[42:43]
	v_lshlrev_b32_e32 v52, 16, v52
	v_lshlrev_b32_e32 v114, 16, v114
	v_max_f32_e32 v114, v114, v114
	v_max_f32_e32 v52, v52, v52
	v_min_f32_e32 v115, v52, v114
	v_max_f32_e32 v52, v52, v114
	v_cndmask_b32_e64 v114, v52, v115, s[24:25]
	v_and_b32_e32 v52, 0x7f800000, v114
	v_cmp_ne_u32_e32 vcc, s35, v52
                                        ; implicit-def: $vgpr52
	s_and_saveexec_b64 s[42:43], vcc
	s_xor_b64 s[42:43], exec, s[42:43]
; %bb.1658:                             ;   in Loop: Header=BB36_1625 Depth=3
	v_bfe_u32 v52, v114, 16, 1
	v_add3_u32 v52, v114, v52, s8
                                        ; implicit-def: $vgpr114
; %bb.1659:                             ;   in Loop: Header=BB36_1625 Depth=3
	s_andn2_saveexec_b64 s[42:43], s[42:43]
; %bb.1660:                             ;   in Loop: Header=BB36_1625 Depth=3
	v_or_b32_e32 v52, 0x10000, v114
	v_cmp_eq_u32_sdwa vcc, v114, v3 src0_sel:WORD_0 src1_sel:DWORD
	s_nop 1
	v_cndmask_b32_e32 v52, v52, v114, vcc
; %bb.1661:                             ;   in Loop: Header=BB36_1625 Depth=3
	s_or_b64 exec, exec, s[42:43]
	v_lshlrev_b32_e32 v55, 16, v55
	v_lshlrev_b32_e32 v113, 16, v113
	v_max_f32_e32 v113, v113, v113
	v_max_f32_e32 v55, v55, v55
	v_min_f32_e32 v114, v55, v113
	v_max_f32_e32 v55, v55, v113
	v_cndmask_b32_e64 v113, v55, v114, s[24:25]
	v_and_b32_e32 v55, 0x7f800000, v113
	v_cmp_ne_u32_e32 vcc, s35, v55
                                        ; implicit-def: $vgpr55
	s_and_saveexec_b64 s[42:43], vcc
	s_xor_b64 s[42:43], exec, s[42:43]
; %bb.1662:                             ;   in Loop: Header=BB36_1625 Depth=3
	v_bfe_u32 v55, v113, 16, 1
	v_add3_u32 v55, v113, v55, s8
                                        ; implicit-def: $vgpr113
; %bb.1663:                             ;   in Loop: Header=BB36_1625 Depth=3
	s_andn2_saveexec_b64 s[42:43], s[42:43]
; %bb.1664:                             ;   in Loop: Header=BB36_1625 Depth=3
	v_or_b32_e32 v55, 0x10000, v113
	v_cmp_eq_u32_sdwa vcc, v113, v3 src0_sel:WORD_0 src1_sel:DWORD
	s_nop 1
	v_cndmask_b32_e32 v55, v55, v113, vcc
; %bb.1665:                             ;   in Loop: Header=BB36_1625 Depth=3
	s_or_b64 exec, exec, s[42:43]
	v_lshlrev_b32_e32 v65, 16, v65
	v_lshlrev_b32_e32 v112, 16, v112
	v_max_f32_e32 v112, v112, v112
	v_max_f32_e32 v65, v65, v65
	v_min_f32_e32 v113, v65, v112
	v_max_f32_e32 v65, v65, v112
	v_cndmask_b32_e64 v112, v65, v113, s[24:25]
	v_and_b32_e32 v65, 0x7f800000, v112
	v_cmp_ne_u32_e32 vcc, s35, v65
                                        ; implicit-def: $vgpr65
	s_and_saveexec_b64 s[42:43], vcc
	s_xor_b64 s[42:43], exec, s[42:43]
; %bb.1666:                             ;   in Loop: Header=BB36_1625 Depth=3
	v_bfe_u32 v65, v112, 16, 1
	v_add3_u32 v65, v112, v65, s8
                                        ; implicit-def: $vgpr112
; %bb.1667:                             ;   in Loop: Header=BB36_1625 Depth=3
	s_andn2_saveexec_b64 s[42:43], s[42:43]
; %bb.1668:                             ;   in Loop: Header=BB36_1625 Depth=3
	v_or_b32_e32 v65, 0x10000, v112
	v_cmp_eq_u32_sdwa vcc, v112, v3 src0_sel:WORD_0 src1_sel:DWORD
	s_nop 1
	v_cndmask_b32_e32 v65, v65, v112, vcc
; %bb.1669:                             ;   in Loop: Header=BB36_1625 Depth=3
	s_or_b64 exec, exec, s[42:43]
	v_lshlrev_b32_e32 v67, 16, v67
	v_lshlrev_b32_e32 v87, 16, v87
	v_max_f32_e32 v87, v87, v87
	v_max_f32_e32 v67, v67, v67
	v_min_f32_e32 v112, v67, v87
	v_max_f32_e32 v67, v67, v87
	v_cndmask_b32_e64 v87, v67, v112, s[24:25]
	v_and_b32_e32 v67, 0x7f800000, v87
	v_cmp_ne_u32_e32 vcc, s35, v67
                                        ; implicit-def: $vgpr67
	s_and_saveexec_b64 s[42:43], vcc
	s_xor_b64 s[42:43], exec, s[42:43]
; %bb.1670:                             ;   in Loop: Header=BB36_1625 Depth=3
	v_bfe_u32 v67, v87, 16, 1
	v_add3_u32 v67, v87, v67, s8
                                        ; implicit-def: $vgpr87
; %bb.1671:                             ;   in Loop: Header=BB36_1625 Depth=3
	s_andn2_saveexec_b64 s[42:43], s[42:43]
; %bb.1672:                             ;   in Loop: Header=BB36_1625 Depth=3
	v_or_b32_e32 v67, 0x10000, v87
	v_cmp_eq_u32_sdwa vcc, v87, v3 src0_sel:WORD_0 src1_sel:DWORD
	s_nop 1
	v_cndmask_b32_e32 v67, v67, v87, vcc
; %bb.1673:                             ;   in Loop: Header=BB36_1625 Depth=3
	s_or_b64 exec, exec, s[42:43]
	v_lshlrev_b32_e32 v69, 16, v69
	v_lshlrev_b32_e32 v85, 16, v85
	v_max_f32_e32 v85, v85, v85
	v_max_f32_e32 v69, v69, v69
	v_min_f32_e32 v87, v69, v85
	v_max_f32_e32 v69, v69, v85
	v_cndmask_b32_e64 v85, v69, v87, s[24:25]
	v_and_b32_e32 v69, 0x7f800000, v85
	v_cmp_ne_u32_e32 vcc, s35, v69
                                        ; implicit-def: $vgpr69
	s_and_saveexec_b64 s[42:43], vcc
	s_xor_b64 s[42:43], exec, s[42:43]
; %bb.1674:                             ;   in Loop: Header=BB36_1625 Depth=3
	v_bfe_u32 v69, v85, 16, 1
	v_add3_u32 v69, v85, v69, s8
                                        ; implicit-def: $vgpr85
; %bb.1675:                             ;   in Loop: Header=BB36_1625 Depth=3
	s_andn2_saveexec_b64 s[42:43], s[42:43]
; %bb.1676:                             ;   in Loop: Header=BB36_1625 Depth=3
	v_or_b32_e32 v69, 0x10000, v85
	v_cmp_eq_u32_sdwa vcc, v85, v3 src0_sel:WORD_0 src1_sel:DWORD
	s_nop 1
	v_cndmask_b32_e32 v69, v69, v85, vcc
; %bb.1677:                             ;   in Loop: Header=BB36_1625 Depth=3
	s_or_b64 exec, exec, s[42:43]
	v_lshlrev_b32_e32 v70, 16, v70
	v_lshlrev_b32_e32 v83, 16, v83
	v_max_f32_e32 v83, v83, v83
	v_max_f32_e32 v70, v70, v70
	v_min_f32_e32 v85, v70, v83
	v_max_f32_e32 v70, v70, v83
	v_cndmask_b32_e64 v83, v70, v85, s[24:25]
	v_and_b32_e32 v70, 0x7f800000, v83
	v_cmp_ne_u32_e32 vcc, s35, v70
                                        ; implicit-def: $vgpr70
	s_and_saveexec_b64 s[42:43], vcc
	s_xor_b64 s[42:43], exec, s[42:43]
; %bb.1678:                             ;   in Loop: Header=BB36_1625 Depth=3
	v_bfe_u32 v70, v83, 16, 1
	v_add3_u32 v70, v83, v70, s8
                                        ; implicit-def: $vgpr83
; %bb.1679:                             ;   in Loop: Header=BB36_1625 Depth=3
	s_andn2_saveexec_b64 s[42:43], s[42:43]
; %bb.1680:                             ;   in Loop: Header=BB36_1625 Depth=3
	v_or_b32_e32 v70, 0x10000, v83
	v_cmp_eq_u32_sdwa vcc, v83, v3 src0_sel:WORD_0 src1_sel:DWORD
	s_nop 1
	v_cndmask_b32_e32 v70, v70, v83, vcc
; %bb.1681:                             ;   in Loop: Header=BB36_1625 Depth=3
	s_or_b64 exec, exec, s[42:43]
	v_lshlrev_b32_e32 v71, 16, v71
	v_lshlrev_b32_e32 v82, 16, v82
	v_max_f32_e32 v82, v82, v82
	v_max_f32_e32 v71, v71, v71
	v_min_f32_e32 v83, v71, v82
	v_max_f32_e32 v71, v71, v82
	v_cndmask_b32_e64 v82, v71, v83, s[24:25]
	v_and_b32_e32 v71, 0x7f800000, v82
	v_cmp_ne_u32_e32 vcc, s35, v71
                                        ; implicit-def: $vgpr71
	s_and_saveexec_b64 s[42:43], vcc
	s_xor_b64 s[42:43], exec, s[42:43]
; %bb.1682:                             ;   in Loop: Header=BB36_1625 Depth=3
	v_bfe_u32 v71, v82, 16, 1
	v_add3_u32 v71, v82, v71, s8
                                        ; implicit-def: $vgpr82
; %bb.1683:                             ;   in Loop: Header=BB36_1625 Depth=3
	s_andn2_saveexec_b64 s[42:43], s[42:43]
; %bb.1684:                             ;   in Loop: Header=BB36_1625 Depth=3
	v_or_b32_e32 v71, 0x10000, v82
	v_cmp_eq_u32_sdwa vcc, v82, v3 src0_sel:WORD_0 src1_sel:DWORD
	s_nop 1
	v_cndmask_b32_e32 v71, v71, v82, vcc
; %bb.1685:                             ;   in Loop: Header=BB36_1625 Depth=3
	s_or_b64 exec, exec, s[42:43]
	v_lshlrev_b32_e32 v80, 16, v80
	v_lshlrev_b32_e32 v81, 16, v81
	v_max_f32_e32 v81, v81, v81
	v_max_f32_e32 v80, v80, v80
	v_min_f32_e32 v82, v80, v81
	v_max_f32_e32 v80, v80, v81
	v_cndmask_b32_e64 v81, v80, v82, s[24:25]
	v_and_b32_e32 v80, 0x7f800000, v81
	v_cmp_ne_u32_e32 vcc, s35, v80
                                        ; implicit-def: $vgpr80
	s_and_saveexec_b64 s[42:43], vcc
	s_xor_b64 s[42:43], exec, s[42:43]
; %bb.1686:                             ;   in Loop: Header=BB36_1625 Depth=3
	v_bfe_u32 v80, v81, 16, 1
	v_add3_u32 v80, v81, v80, s8
                                        ; implicit-def: $vgpr81
; %bb.1687:                             ;   in Loop: Header=BB36_1625 Depth=3
	s_andn2_saveexec_b64 s[42:43], s[42:43]
; %bb.1688:                             ;   in Loop: Header=BB36_1625 Depth=3
	v_or_b32_e32 v80, 0x10000, v81
	v_cmp_eq_u32_sdwa vcc, v81, v3 src0_sel:WORD_0 src1_sel:DWORD
	s_nop 1
	v_cndmask_b32_e32 v80, v80, v81, vcc
; %bb.1689:                             ;   in Loop: Header=BB36_1625 Depth=3
	s_or_b64 exec, exec, s[42:43]
	v_and_b32_e32 v81, 0xffff0000, v23
	v_lshlrev_b32_e32 v68, 16, v68
	v_max_f32_e32 v81, v81, v81
	v_max_f32_e32 v68, v68, v68
	v_min_f32_e32 v82, v81, v68
	v_max_f32_e32 v68, v81, v68
	v_cndmask_b32_e64 v68, v68, v82, s[24:25]
	v_and_b32_e32 v81, 0x7f800000, v68
	v_cmp_ne_u32_e32 vcc, s35, v81
                                        ; implicit-def: $vgpr81
	s_and_saveexec_b64 s[42:43], vcc
	s_xor_b64 s[42:43], exec, s[42:43]
; %bb.1690:                             ;   in Loop: Header=BB36_1625 Depth=3
	v_bfe_u32 v81, v68, 16, 1
	v_add3_u32 v81, v68, v81, s8
                                        ; implicit-def: $vgpr68
; %bb.1691:                             ;   in Loop: Header=BB36_1625 Depth=3
	s_andn2_saveexec_b64 s[42:43], s[42:43]
; %bb.1692:                             ;   in Loop: Header=BB36_1625 Depth=3
	v_or_b32_e32 v81, 0x10000, v68
	v_cmp_eq_u32_sdwa vcc, v68, v3 src0_sel:WORD_0 src1_sel:DWORD
	s_nop 1
	v_cndmask_b32_e32 v81, v81, v68, vcc
; %bb.1693:                             ;   in Loop: Header=BB36_1625 Depth=3
	s_or_b64 exec, exec, s[42:43]
	v_and_b32_e32 v68, 0xffff0000, v25
	v_lshlrev_b32_e32 v66, 16, v66
	v_max_f32_e32 v68, v68, v68
	v_max_f32_e32 v66, v66, v66
	flat_store_short_d16_hi v[8:9], v81 nt
	v_min_f32_e32 v81, v68, v66
	v_max_f32_e32 v66, v68, v66
	v_cndmask_b32_e64 v66, v66, v81, s[24:25]
	v_and_b32_e32 v68, 0x7f800000, v66
	v_cmp_ne_u32_e32 vcc, s35, v68
                                        ; implicit-def: $vgpr68
	s_and_saveexec_b64 s[42:43], vcc
	s_xor_b64 s[42:43], exec, s[42:43]
; %bb.1694:                             ;   in Loop: Header=BB36_1625 Depth=3
	v_bfe_u32 v68, v66, 16, 1
	v_add3_u32 v68, v66, v68, s8
                                        ; implicit-def: $vgpr66
; %bb.1695:                             ;   in Loop: Header=BB36_1625 Depth=3
	s_andn2_saveexec_b64 s[42:43], s[42:43]
; %bb.1696:                             ;   in Loop: Header=BB36_1625 Depth=3
	v_or_b32_e32 v68, 0x10000, v66
	v_cmp_eq_u32_sdwa vcc, v66, v3 src0_sel:WORD_0 src1_sel:DWORD
	s_nop 1
	v_cndmask_b32_e32 v68, v68, v66, vcc
; %bb.1697:                             ;   in Loop: Header=BB36_1625 Depth=3
	s_or_b64 exec, exec, s[42:43]
	v_and_b32_e32 v66, 0xffff0000, v27
	v_lshlrev_b32_e32 v64, 16, v64
	v_max_f32_e32 v66, v66, v66
	v_max_f32_e32 v64, v64, v64
	flat_store_short_d16_hi v[8:9], v68 offset:128 nt
	v_min_f32_e32 v68, v66, v64
	v_max_f32_e32 v64, v66, v64
	v_cndmask_b32_e64 v64, v64, v68, s[24:25]
	v_and_b32_e32 v66, 0x7f800000, v64
	v_cmp_ne_u32_e32 vcc, s35, v66
                                        ; implicit-def: $vgpr66
	s_and_saveexec_b64 s[42:43], vcc
	s_xor_b64 s[42:43], exec, s[42:43]
; %bb.1698:                             ;   in Loop: Header=BB36_1625 Depth=3
	v_bfe_u32 v66, v64, 16, 1
	v_add3_u32 v66, v64, v66, s8
                                        ; implicit-def: $vgpr64
; %bb.1699:                             ;   in Loop: Header=BB36_1625 Depth=3
	s_andn2_saveexec_b64 s[42:43], s[42:43]
; %bb.1700:                             ;   in Loop: Header=BB36_1625 Depth=3
	v_or_b32_e32 v66, 0x10000, v64
	v_cmp_eq_u32_sdwa vcc, v64, v3 src0_sel:WORD_0 src1_sel:DWORD
	s_nop 1
	v_cndmask_b32_e32 v66, v66, v64, vcc
; %bb.1701:                             ;   in Loop: Header=BB36_1625 Depth=3
	s_or_b64 exec, exec, s[42:43]
	v_and_b32_e32 v64, 0xffff0000, v33
	v_lshlrev_b32_e32 v54, 16, v54
	v_max_f32_e32 v64, v64, v64
	v_max_f32_e32 v54, v54, v54
	flat_store_short_d16_hi v[8:9], v66 offset:256 nt
	v_min_f32_e32 v66, v64, v54
	v_max_f32_e32 v54, v64, v54
	v_cndmask_b32_e64 v54, v54, v66, s[24:25]
	v_and_b32_e32 v64, 0x7f800000, v54
	v_cmp_ne_u32_e32 vcc, s35, v64
                                        ; implicit-def: $vgpr64
	s_and_saveexec_b64 s[42:43], vcc
	s_xor_b64 s[42:43], exec, s[42:43]
; %bb.1702:                             ;   in Loop: Header=BB36_1625 Depth=3
	v_bfe_u32 v64, v54, 16, 1
	v_add3_u32 v64, v54, v64, s8
                                        ; implicit-def: $vgpr54
; %bb.1703:                             ;   in Loop: Header=BB36_1625 Depth=3
	s_andn2_saveexec_b64 s[42:43], s[42:43]
; %bb.1704:                             ;   in Loop: Header=BB36_1625 Depth=3
	v_or_b32_e32 v64, 0x10000, v54
	v_cmp_eq_u32_sdwa vcc, v54, v3 src0_sel:WORD_0 src1_sel:DWORD
	s_nop 1
	v_cndmask_b32_e32 v64, v64, v54, vcc
; %bb.1705:                             ;   in Loop: Header=BB36_1625 Depth=3
	s_or_b64 exec, exec, s[42:43]
	v_and_b32_e32 v54, 0xffff0000, v35
	v_lshlrev_b32_e32 v53, 16, v53
	v_max_f32_e32 v54, v54, v54
	v_max_f32_e32 v53, v53, v53
	flat_store_short_d16_hi v[8:9], v64 offset:384 nt
	v_min_f32_e32 v64, v54, v53
	v_max_f32_e32 v53, v54, v53
	v_cndmask_b32_e64 v53, v53, v64, s[24:25]
	v_and_b32_e32 v54, 0x7f800000, v53
	v_cmp_ne_u32_e32 vcc, s35, v54
                                        ; implicit-def: $vgpr54
	s_and_saveexec_b64 s[42:43], vcc
	s_xor_b64 s[42:43], exec, s[42:43]
; %bb.1706:                             ;   in Loop: Header=BB36_1625 Depth=3
	v_bfe_u32 v54, v53, 16, 1
	v_add3_u32 v54, v53, v54, s8
                                        ; implicit-def: $vgpr53
; %bb.1707:                             ;   in Loop: Header=BB36_1625 Depth=3
	s_andn2_saveexec_b64 s[42:43], s[42:43]
; %bb.1708:                             ;   in Loop: Header=BB36_1625 Depth=3
	v_or_b32_e32 v54, 0x10000, v53
	v_cmp_eq_u32_sdwa vcc, v53, v3 src0_sel:WORD_0 src1_sel:DWORD
	s_nop 1
	v_cndmask_b32_e32 v54, v54, v53, vcc
; %bb.1709:                             ;   in Loop: Header=BB36_1625 Depth=3
	s_or_b64 exec, exec, s[42:43]
	v_and_b32_e32 v53, 0xffff0000, v37
	v_lshlrev_b32_e32 v51, 16, v51
	v_max_f32_e32 v53, v53, v53
	v_max_f32_e32 v51, v51, v51
	flat_store_short_d16_hi v[8:9], v54 offset:512 nt
	v_min_f32_e32 v54, v53, v51
	v_max_f32_e32 v51, v53, v51
	v_cndmask_b32_e64 v51, v51, v54, s[24:25]
	v_and_b32_e32 v53, 0x7f800000, v51
	v_cmp_ne_u32_e32 vcc, s35, v53
                                        ; implicit-def: $vgpr53
	s_and_saveexec_b64 s[42:43], vcc
	s_xor_b64 s[42:43], exec, s[42:43]
; %bb.1710:                             ;   in Loop: Header=BB36_1625 Depth=3
	v_bfe_u32 v53, v51, 16, 1
	v_add3_u32 v53, v51, v53, s8
                                        ; implicit-def: $vgpr51
; %bb.1711:                             ;   in Loop: Header=BB36_1625 Depth=3
	s_andn2_saveexec_b64 s[42:43], s[42:43]
; %bb.1712:                             ;   in Loop: Header=BB36_1625 Depth=3
	v_or_b32_e32 v53, 0x10000, v51
	v_cmp_eq_u32_sdwa vcc, v51, v3 src0_sel:WORD_0 src1_sel:DWORD
	s_nop 1
	v_cndmask_b32_e32 v53, v53, v51, vcc
; %bb.1713:                             ;   in Loop: Header=BB36_1625 Depth=3
	s_or_b64 exec, exec, s[42:43]
	v_and_b32_e32 v51, 0xffff0000, v48
	v_lshlrev_b32_e32 v49, 16, v49
	v_max_f32_e32 v51, v51, v51
	v_max_f32_e32 v49, v49, v49
	flat_store_short_d16_hi v[8:9], v53 offset:640 nt
	v_min_f32_e32 v53, v51, v49
	v_max_f32_e32 v49, v51, v49
	v_cndmask_b32_e64 v49, v49, v53, s[24:25]
	v_and_b32_e32 v51, 0x7f800000, v49
	v_cmp_ne_u32_e32 vcc, s35, v51
                                        ; implicit-def: $vgpr51
	s_and_saveexec_b64 s[42:43], vcc
	s_xor_b64 s[42:43], exec, s[42:43]
; %bb.1714:                             ;   in Loop: Header=BB36_1625 Depth=3
	v_bfe_u32 v51, v49, 16, 1
	v_add3_u32 v51, v49, v51, s8
                                        ; implicit-def: $vgpr49
; %bb.1715:                             ;   in Loop: Header=BB36_1625 Depth=3
	s_andn2_saveexec_b64 s[42:43], s[42:43]
; %bb.1716:                             ;   in Loop: Header=BB36_1625 Depth=3
	v_or_b32_e32 v51, 0x10000, v49
	v_cmp_eq_u32_sdwa vcc, v49, v3 src0_sel:WORD_0 src1_sel:DWORD
	s_nop 1
	v_cndmask_b32_e32 v51, v51, v49, vcc
; %bb.1717:                             ;   in Loop: Header=BB36_1625 Depth=3
	s_or_b64 exec, exec, s[42:43]
	v_and_b32_e32 v49, 0xffff0000, v50
	v_lshlrev_b32_e32 v39, 16, v39
	v_max_f32_e32 v49, v49, v49
	v_max_f32_e32 v39, v39, v39
	flat_store_short_d16_hi v[8:9], v51 offset:768 nt
	v_min_f32_e32 v51, v49, v39
	v_max_f32_e32 v39, v49, v39
	v_cndmask_b32_e64 v39, v39, v51, s[24:25]
	v_and_b32_e32 v49, 0x7f800000, v39
	v_cmp_ne_u32_e32 vcc, s35, v49
                                        ; implicit-def: $vgpr49
	s_and_saveexec_b64 s[42:43], vcc
	s_xor_b64 s[42:43], exec, s[42:43]
; %bb.1718:                             ;   in Loop: Header=BB36_1625 Depth=3
	v_bfe_u32 v49, v39, 16, 1
	v_add3_u32 v49, v39, v49, s8
                                        ; implicit-def: $vgpr39
; %bb.1719:                             ;   in Loop: Header=BB36_1625 Depth=3
	s_andn2_saveexec_b64 s[42:43], s[42:43]
; %bb.1720:                             ;   in Loop: Header=BB36_1625 Depth=3
	v_or_b32_e32 v49, 0x10000, v39
	v_cmp_eq_u32_sdwa vcc, v39, v3 src0_sel:WORD_0 src1_sel:DWORD
	s_nop 1
	v_cndmask_b32_e32 v49, v49, v39, vcc
; %bb.1721:                             ;   in Loop: Header=BB36_1625 Depth=3
	s_or_b64 exec, exec, s[42:43]
	v_and_b32_e32 v39, 0xffff0000, v52
	v_lshlrev_b32_e32 v38, 16, v38
	v_max_f32_e32 v39, v39, v39
	v_max_f32_e32 v38, v38, v38
	flat_store_short_d16_hi v[8:9], v49 offset:896 nt
	v_min_f32_e32 v49, v39, v38
	v_max_f32_e32 v38, v39, v38
	v_cndmask_b32_e64 v38, v38, v49, s[24:25]
	v_and_b32_e32 v39, 0x7f800000, v38
	v_cmp_ne_u32_e32 vcc, s35, v39
                                        ; implicit-def: $vgpr39
	s_and_saveexec_b64 s[42:43], vcc
	s_xor_b64 s[42:43], exec, s[42:43]
; %bb.1722:                             ;   in Loop: Header=BB36_1625 Depth=3
	v_bfe_u32 v39, v38, 16, 1
	v_add3_u32 v39, v38, v39, s8
                                        ; implicit-def: $vgpr38
; %bb.1723:                             ;   in Loop: Header=BB36_1625 Depth=3
	s_andn2_saveexec_b64 s[42:43], s[42:43]
; %bb.1724:                             ;   in Loop: Header=BB36_1625 Depth=3
	v_or_b32_e32 v39, 0x10000, v38
	v_cmp_eq_u32_sdwa vcc, v38, v3 src0_sel:WORD_0 src1_sel:DWORD
	s_nop 1
	v_cndmask_b32_e32 v39, v39, v38, vcc
; %bb.1725:                             ;   in Loop: Header=BB36_1625 Depth=3
	s_or_b64 exec, exec, s[42:43]
	v_and_b32_e32 v38, 0xffff0000, v55
	v_lshlrev_b32_e32 v36, 16, v36
	v_max_f32_e32 v38, v38, v38
	v_max_f32_e32 v36, v36, v36
	flat_store_short_d16_hi v[8:9], v39 offset:1024 nt
	v_min_f32_e32 v39, v38, v36
	v_max_f32_e32 v36, v38, v36
	v_cndmask_b32_e64 v36, v36, v39, s[24:25]
	v_and_b32_e32 v38, 0x7f800000, v36
	v_cmp_ne_u32_e32 vcc, s35, v38
                                        ; implicit-def: $vgpr38
	s_and_saveexec_b64 s[42:43], vcc
	s_xor_b64 s[42:43], exec, s[42:43]
; %bb.1726:                             ;   in Loop: Header=BB36_1625 Depth=3
	v_bfe_u32 v38, v36, 16, 1
	v_add3_u32 v38, v36, v38, s8
                                        ; implicit-def: $vgpr36
; %bb.1727:                             ;   in Loop: Header=BB36_1625 Depth=3
	s_andn2_saveexec_b64 s[42:43], s[42:43]
; %bb.1728:                             ;   in Loop: Header=BB36_1625 Depth=3
	v_or_b32_e32 v38, 0x10000, v36
	v_cmp_eq_u32_sdwa vcc, v36, v3 src0_sel:WORD_0 src1_sel:DWORD
	s_nop 1
	v_cndmask_b32_e32 v38, v38, v36, vcc
; %bb.1729:                             ;   in Loop: Header=BB36_1625 Depth=3
	s_or_b64 exec, exec, s[42:43]
	v_and_b32_e32 v36, 0xffff0000, v65
	v_lshlrev_b32_e32 v34, 16, v34
	v_max_f32_e32 v36, v36, v36
	v_max_f32_e32 v34, v34, v34
	flat_store_short_d16_hi v[8:9], v38 offset:1152 nt
	v_min_f32_e32 v38, v36, v34
	v_max_f32_e32 v34, v36, v34
	v_cndmask_b32_e64 v34, v34, v38, s[24:25]
	v_and_b32_e32 v36, 0x7f800000, v34
	v_cmp_ne_u32_e32 vcc, s35, v36
                                        ; implicit-def: $vgpr36
	s_and_saveexec_b64 s[42:43], vcc
	s_xor_b64 s[42:43], exec, s[42:43]
; %bb.1730:                             ;   in Loop: Header=BB36_1625 Depth=3
	v_bfe_u32 v36, v34, 16, 1
	v_add3_u32 v36, v34, v36, s8
                                        ; implicit-def: $vgpr34
; %bb.1731:                             ;   in Loop: Header=BB36_1625 Depth=3
	s_andn2_saveexec_b64 s[42:43], s[42:43]
; %bb.1732:                             ;   in Loop: Header=BB36_1625 Depth=3
	v_or_b32_e32 v36, 0x10000, v34
	v_cmp_eq_u32_sdwa vcc, v34, v3 src0_sel:WORD_0 src1_sel:DWORD
	s_nop 1
	v_cndmask_b32_e32 v36, v36, v34, vcc
; %bb.1733:                             ;   in Loop: Header=BB36_1625 Depth=3
	s_or_b64 exec, exec, s[42:43]
	v_and_b32_e32 v34, 0xffff0000, v67
	v_lshlrev_b32_e32 v32, 16, v32
	v_max_f32_e32 v34, v34, v34
	v_max_f32_e32 v32, v32, v32
	flat_store_short_d16_hi v[8:9], v36 offset:1280 nt
	v_min_f32_e32 v36, v34, v32
	v_max_f32_e32 v32, v34, v32
	v_cndmask_b32_e64 v32, v32, v36, s[24:25]
	v_and_b32_e32 v34, 0x7f800000, v32
	v_cmp_ne_u32_e32 vcc, s35, v34
                                        ; implicit-def: $vgpr34
	s_and_saveexec_b64 s[42:43], vcc
	s_xor_b64 s[42:43], exec, s[42:43]
; %bb.1734:                             ;   in Loop: Header=BB36_1625 Depth=3
	v_bfe_u32 v34, v32, 16, 1
	v_add3_u32 v34, v32, v34, s8
                                        ; implicit-def: $vgpr32
; %bb.1735:                             ;   in Loop: Header=BB36_1625 Depth=3
	s_andn2_saveexec_b64 s[42:43], s[42:43]
; %bb.1736:                             ;   in Loop: Header=BB36_1625 Depth=3
	v_or_b32_e32 v34, 0x10000, v32
	v_cmp_eq_u32_sdwa vcc, v32, v3 src0_sel:WORD_0 src1_sel:DWORD
	s_nop 1
	v_cndmask_b32_e32 v34, v34, v32, vcc
; %bb.1737:                             ;   in Loop: Header=BB36_1625 Depth=3
	s_or_b64 exec, exec, s[42:43]
	v_and_b32_e32 v32, 0xffff0000, v69
	v_lshlrev_b32_e32 v30, 16, v30
	v_max_f32_e32 v32, v32, v32
	v_max_f32_e32 v30, v30, v30
	flat_store_short_d16_hi v[8:9], v34 offset:1408 nt
	v_min_f32_e32 v34, v32, v30
	v_max_f32_e32 v30, v32, v30
	v_cndmask_b32_e64 v30, v30, v34, s[24:25]
	v_and_b32_e32 v32, 0x7f800000, v30
	v_cmp_ne_u32_e32 vcc, s35, v32
                                        ; implicit-def: $vgpr32
	s_and_saveexec_b64 s[42:43], vcc
	s_xor_b64 s[42:43], exec, s[42:43]
; %bb.1738:                             ;   in Loop: Header=BB36_1625 Depth=3
	v_bfe_u32 v32, v30, 16, 1
	v_add3_u32 v32, v30, v32, s8
                                        ; implicit-def: $vgpr30
; %bb.1739:                             ;   in Loop: Header=BB36_1625 Depth=3
	s_andn2_saveexec_b64 s[42:43], s[42:43]
; %bb.1740:                             ;   in Loop: Header=BB36_1625 Depth=3
	v_or_b32_e32 v32, 0x10000, v30
	v_cmp_eq_u32_sdwa vcc, v30, v3 src0_sel:WORD_0 src1_sel:DWORD
	s_nop 1
	v_cndmask_b32_e32 v32, v32, v30, vcc
; %bb.1741:                             ;   in Loop: Header=BB36_1625 Depth=3
	s_or_b64 exec, exec, s[42:43]
	v_and_b32_e32 v30, 0xffff0000, v70
	v_lshlrev_b32_e32 v26, 16, v26
	v_max_f32_e32 v30, v30, v30
	v_max_f32_e32 v26, v26, v26
	flat_store_short_d16_hi v[8:9], v32 offset:1536 nt
	v_min_f32_e32 v32, v30, v26
	v_max_f32_e32 v26, v30, v26
	v_cndmask_b32_e64 v26, v26, v32, s[24:25]
	v_and_b32_e32 v30, 0x7f800000, v26
	v_cmp_ne_u32_e32 vcc, s35, v30
                                        ; implicit-def: $vgpr30
	s_and_saveexec_b64 s[42:43], vcc
	s_xor_b64 s[42:43], exec, s[42:43]
; %bb.1742:                             ;   in Loop: Header=BB36_1625 Depth=3
	v_bfe_u32 v30, v26, 16, 1
	v_add3_u32 v30, v26, v30, s8
                                        ; implicit-def: $vgpr26
; %bb.1743:                             ;   in Loop: Header=BB36_1625 Depth=3
	s_andn2_saveexec_b64 s[42:43], s[42:43]
; %bb.1744:                             ;   in Loop: Header=BB36_1625 Depth=3
	v_or_b32_e32 v30, 0x10000, v26
	v_cmp_eq_u32_sdwa vcc, v26, v3 src0_sel:WORD_0 src1_sel:DWORD
	s_nop 1
	v_cndmask_b32_e32 v30, v30, v26, vcc
; %bb.1745:                             ;   in Loop: Header=BB36_1625 Depth=3
	s_or_b64 exec, exec, s[42:43]
	v_and_b32_e32 v26, 0xffff0000, v71
	v_lshlrev_b32_e32 v24, 16, v24
	v_max_f32_e32 v26, v26, v26
	v_max_f32_e32 v24, v24, v24
	flat_store_short_d16_hi v[8:9], v30 offset:1664 nt
	v_min_f32_e32 v30, v26, v24
	v_max_f32_e32 v24, v26, v24
	v_cndmask_b32_e64 v24, v24, v30, s[24:25]
	v_and_b32_e32 v26, 0x7f800000, v24
	v_cmp_ne_u32_e32 vcc, s35, v26
                                        ; implicit-def: $vgpr26
	s_and_saveexec_b64 s[42:43], vcc
	s_xor_b64 s[42:43], exec, s[42:43]
; %bb.1746:                             ;   in Loop: Header=BB36_1625 Depth=3
	v_bfe_u32 v26, v24, 16, 1
	v_add3_u32 v26, v24, v26, s8
                                        ; implicit-def: $vgpr24
; %bb.1747:                             ;   in Loop: Header=BB36_1625 Depth=3
	s_andn2_saveexec_b64 s[42:43], s[42:43]
; %bb.1748:                             ;   in Loop: Header=BB36_1625 Depth=3
	v_or_b32_e32 v26, 0x10000, v24
	v_cmp_eq_u32_sdwa vcc, v24, v3 src0_sel:WORD_0 src1_sel:DWORD
	s_nop 1
	v_cndmask_b32_e32 v26, v26, v24, vcc
; %bb.1749:                             ;   in Loop: Header=BB36_1625 Depth=3
	s_or_b64 exec, exec, s[42:43]
	v_and_b32_e32 v24, 0xffff0000, v80
	v_lshlrev_b32_e32 v22, 16, v22
	v_max_f32_e32 v24, v24, v24
	v_max_f32_e32 v22, v22, v22
	flat_store_short_d16_hi v[8:9], v26 offset:1792 nt
	v_min_f32_e32 v26, v24, v22
	v_max_f32_e32 v22, v24, v22
	v_cndmask_b32_e64 v22, v22, v26, s[24:25]
	v_and_b32_e32 v24, 0x7f800000, v22
	v_cmp_ne_u32_e32 vcc, s35, v24
                                        ; implicit-def: $vgpr24
	s_and_saveexec_b64 s[42:43], vcc
	s_xor_b64 s[42:43], exec, s[42:43]
; %bb.1750:                             ;   in Loop: Header=BB36_1625 Depth=3
	v_bfe_u32 v24, v22, 16, 1
	v_add3_u32 v24, v22, v24, s8
                                        ; implicit-def: $vgpr22
; %bb.1751:                             ;   in Loop: Header=BB36_1625 Depth=3
	s_andn2_saveexec_b64 s[42:43], s[42:43]
	s_cbranch_execz .LBB36_1624
; %bb.1752:                             ;   in Loop: Header=BB36_1625 Depth=3
	v_or_b32_e32 v24, 0x10000, v22
	v_cmp_eq_u32_sdwa vcc, v22, v3 src0_sel:WORD_0 src1_sel:DWORD
	s_nop 1
	v_cndmask_b32_e32 v24, v24, v22, vcc
	s_branch .LBB36_1624
.LBB36_1753:                            ;   in Loop: Header=BB36_1243 Depth=2
	s_or_b64 exec, exec, s[28:29]
	scratch_load_dwordx2 v[42:43], off, s33 offset:412 ; 8-byte Folded Reload
.LBB36_1754:                            ;   in Loop: Header=BB36_1243 Depth=2
	s_or_b64 exec, exec, s[26:27]
	v_lshlrev_b32_e32 v8, 11, v21
	v_cmp_ne_u32_e32 vcc, v7, v8
	s_and_b64 exec, exec, vcc
	s_cbranch_execz .LBB36_1764
; %bb.1755:                             ;   in Loop: Header=BB36_1243 Depth=2
	v_lshlrev_b32_e32 v2, 6, v2
	v_sub_u32_e32 v2, v19, v2
	v_lshlrev_b32_e32 v9, 6, v20
	v_sub_u32_e32 v2, v2, v9
	v_ashrrev_i32_e32 v9, 31, v2
	v_lshrrev_b32_e32 v9, 26, v9
	v_add_u32_e32 v9, v2, v9
	v_and_b32_e32 v10, 0x7fffffc0, v9
	v_sub_u32_e32 v2, v2, v10
	v_lshlrev_b32_e32 v9, 1, v9
	v_and_b32_e32 v9, 0xffffff80, v9
	v_lshlrev_b32_e32 v2, 1, v2
	v_add3_u32 v8, v9, v2, v8
	v_sub_u32_e32 v2, v7, v8
	v_cmp_lt_i32_e32 vcc, 1, v2
	s_and_b64 exec, exec, vcc
	s_cbranch_execz .LBB36_1764
; %bb.1756:                             ;   in Loop: Header=BB36_1243 Depth=2
	s_trap 2
	ds_read_b64 v[16:17], v0
	v_add_u32_e32 v14, v8, v18
	s_and_b32 s74, s73, 1
	v_ashrrev_i32_e32 v15, 31, v14
	s_cmp_eq_u64 s[74:75], 0
	s_waitcnt lgkmcnt(0)
	v_lshl_add_u64 v[8:9], v[14:15], 0, v[102:103]
	v_lshl_add_u64 v[10:11], v[14:15], 0, v[98:99]
	;; [unrolled: 1-line block ×5, first 2 shown]
	s_mov_b64 s[42:43], 0
	s_cselect_b64 s[24:25], -1, 0
.LBB36_1757:                            ;   Parent Loop BB36_47 Depth=1
                                        ;     Parent Loop BB36_1243 Depth=2
                                        ; =>    This Loop Header: Depth=3
                                        ;         Child Loop BB36_1762 Depth 4
	flat_load_ushort v7, v[14:15] nt
	flat_load_ushort v17, v[12:13] nt
	;; [unrolled: 1-line block ×3, first 2 shown]
	s_waitcnt vmcnt(0) lgkmcnt(0)
	v_lshlrev_b32_e32 v7, 16, v7
	v_lshlrev_b32_e32 v17, 16, v17
	v_max_f32_e32 v7, v7, v7
	v_max_f32_e32 v17, v17, v17
	v_min_f32_e32 v18, v17, v7
	v_max_f32_e32 v7, v17, v7
	v_cndmask_b32_e64 v17, v7, v18, s[24:25]
	v_and_b32_e32 v7, 0x7f800000, v17
	v_cmp_ne_u32_e32 vcc, s35, v7
                                        ; implicit-def: $vgpr7
	s_and_saveexec_b64 s[26:27], vcc
	s_xor_b64 s[26:27], exec, s[26:27]
; %bb.1758:                             ;   in Loop: Header=BB36_1757 Depth=3
	v_bfe_u32 v7, v17, 16, 1
	v_add3_u32 v7, v17, v7, s8
                                        ; implicit-def: $vgpr17
; %bb.1759:                             ;   in Loop: Header=BB36_1757 Depth=3
	s_andn2_saveexec_b64 s[26:27], s[26:27]
; %bb.1760:                             ;   in Loop: Header=BB36_1757 Depth=3
	v_or_b32_e32 v7, 0x10000, v17
	v_cmp_eq_u32_sdwa vcc, v17, v3 src0_sel:WORD_0 src1_sel:DWORD
	s_nop 1
	v_cndmask_b32_e32 v7, v7, v17, vcc
; %bb.1761:                             ;   in Loop: Header=BB36_1757 Depth=3
	s_or_b64 exec, exec, s[26:27]
	v_and_b32_e32 v17, 0xffff0000, v7
	v_lshlrev_b32_e32 v16, 16, v16
	v_max_f32_e32 v17, v17, v17
	v_max_f32_e32 v16, v16, v16
	v_min_f32_e32 v18, v17, v16
	v_max_f32_e32 v16, v17, v16
	v_cndmask_b32_e64 v16, v16, v18, s[24:25]
	v_and_b32_e32 v17, 0x7f800000, v16
	v_bfe_u32 v18, v16, 16, 1
	v_or_b32_e32 v19, 0x10000, v16
	v_cmp_eq_u32_sdwa vcc, v16, v3 src0_sel:WORD_0 src1_sel:DWORD
	v_add3_u32 v18, v16, v18, s8
	s_mov_b64 s[46:47], 0
	v_cndmask_b32_e32 v16, v19, v16, vcc
	v_cmp_eq_u32_e32 vcc, s35, v17
	s_mov_b64 s[44:45], -1
	s_nop 0
	v_cndmask_b32_e32 v16, v18, v16, vcc
.LBB36_1762:                            ;   Parent Loop BB36_47 Depth=1
                                        ;     Parent Loop BB36_1243 Depth=2
                                        ;       Parent Loop BB36_1757 Depth=3
                                        ; =>      This Inner Loop Header: Depth=4
	v_cndmask_b32_e64 v18, 0, 1, s[44:45]
	s_cmp_eq_u32 s46, 1
	v_cmp_ne_u32_e32 vcc, 1, v18
	s_cselect_b64 s[26:27], -1, 0
	v_cndmask_b32_e64 v17, v7, v16, s[44:45]
	v_cndmask_b32_e32 v19, v11, v1, vcc
	v_cndmask_b32_e64 v21, v11, v1, s[26:27]
	s_cmp_eq_u32 s46, 0
	v_cndmask_b32_e32 v18, v10, v0, vcc
	v_cndmask_b32_e64 v20, v10, v0, s[26:27]
	flat_store_short_d16_hi v[18:19], v17 nt
	v_lshl_add_u64 v[18:19], v[20:21], 0, s[92:93]
	s_cselect_b64 vcc, -1, 0
	s_and_b64 s[28:29], exec, s[44:45]
	s_mov_b64 s[46:47], 1
	s_mov_b64 s[44:45], 0
	v_cndmask_b32_e64 v1, v1, v19, s[26:27]
	v_cndmask_b32_e64 v0, v0, v18, s[26:27]
	v_cndmask_b32_e32 v11, v11, v19, vcc
	v_cndmask_b32_e32 v10, v10, v18, vcc
	s_mov_b64 vcc, s[28:29]
	s_cbranch_vccnz .LBB36_1762
; %bb.1763:                             ;   in Loop: Header=BB36_1757 Depth=3
	scratch_load_dwordx2 v[16:17], off, s33 offset:356 ; 8-byte Folded Reload
	scratch_load_dwordx2 v[18:19], off, s33 offset:364 ; 8-byte Folded Reload
	s_waitcnt vmcnt(0)
	v_lshl_add_u64 v[10:11], v[10:11], 0, v[16:17]
	v_lshl_add_u64 v[0:1], v[0:1], 0, v[16:17]
	scratch_load_dwordx2 v[16:17], off, s33 offset:336 ; 8-byte Folded Reload
	v_lshl_add_u64 v[12:13], v[12:13], 0, v[18:19]
	v_lshl_add_u64 v[14:15], v[14:15], 0, v[18:19]
	;; [unrolled: 1-line block ×3, first 2 shown]
	s_waitcnt vmcnt(0)
	v_sub_u32_e32 v2, v2, v16
	v_cmp_gt_i32_e32 vcc, 2, v2
	s_or_b64 s[42:43], vcc, s[42:43]
	s_andn2_b64 exec, exec, s[42:43]
	s_cbranch_execnz .LBB36_1757
.LBB36_1764:                            ;   in Loop: Header=BB36_1243 Depth=2
	s_or_b64 exec, exec, s[40:41]
	s_branch .LBB36_1320
.LBB36_1765:                            ;   in Loop: Header=BB36_1243 Depth=2
	s_mov_b64 s[26:27], -1
	s_and_saveexec_b64 s[24:25], s[18:19]
	s_cbranch_execz .LBB36_1767
; %bb.1766:                             ;   in Loop: Header=BB36_1243 Depth=2
	ds_read_b32 v0, v0 offset:720
	s_waitcnt lgkmcnt(0)
	v_and_b32_e32 v0, 15, v0
	v_cmp_eq_u32_e32 vcc, 0, v0
	s_orn2_b64 s[26:27], vcc, exec
.LBB36_1767:                            ;   in Loop: Header=BB36_1243 Depth=2
	s_or_b64 exec, exec, s[24:25]
	s_and_saveexec_b64 s[24:25], s[14:15]
	s_cbranch_execz .LBB36_1769
; %bb.1768:                             ;   in Loop: Header=BB36_1243 Depth=2
	ds_read_b32 v0, v0 offset:784
	s_waitcnt lgkmcnt(0)
	v_and_b32_e32 v0, 15, v0
	v_cmp_eq_u32_e32 vcc, 0, v0
	s_and_b64 s[28:29], s[26:27], vcc
	s_andn2_b64 s[26:27], s[26:27], exec
	s_and_b64 s[28:29], s[28:29], exec
	s_or_b64 s[26:27], s[26:27], s[28:29]
.LBB36_1769:                            ;   in Loop: Header=BB36_1243 Depth=2
	s_or_b64 exec, exec, s[24:25]
	s_xor_b64 s[26:27], s[26:27], -1
	v_cndmask_b32_e64 v0, 0, 1, s[26:27]
	v_lshlrev_b32_e32 v2, 1, v6
	s_mov_b64 s[24:25], -1
	v_mov_b32_e32 v14, 0
	v_cmp_ne_u32_e32 vcc, 0, v0
	s_cbranch_vccz .LBB36_1771
; %bb.1770:                             ;   in Loop: Header=BB36_1243 Depth=2
	scratch_load_dword v15, off, s33 offset:344 ; 4-byte Folded Reload
	s_and_saveexec_b64 s[26:27], s[24:25]
	s_cbranch_execnz .LBB36_2070
	s_branch .LBB36_2210
.LBB36_1771:                            ;   in Loop: Header=BB36_1243 Depth=2
	v_ashrrev_i32_e32 v0, 31, v2
	v_lshrrev_b32_e32 v0, 20, v0
	v_add_u32_e32 v0, v2, v0
	v_ashrrev_i32_e32 v85, 12, v0
	scratch_load_dword v0, off, s33 offset:344 ; 4-byte Folded Reload
	s_waitcnt vmcnt(0)
	v_lshrrev_b32_e32 v0, 6, v0
	v_sub_u32_e32 v7, v85, v0
	v_cmp_lt_i32_e32 vcc, 0, v7
	s_and_saveexec_b64 s[26:27], vcc
	s_cbranch_execz .LBB36_2031
; %bb.1772:                             ;   in Loop: Header=BB36_1243 Depth=2
	s_trap 2
	scratch_load_dwordx2 v[10:11], off, s33 offset:304 ; 8-byte Folded Reload
	scratch_load_dwordx2 v[112:113], off, s33 offset:484 ; 8-byte Folded Reload
	ds_read_b64 v[8:9], v0
	s_and_b32 s74, s73, 1
	s_cmp_eq_u64 s[74:75], 0
	s_mov_b64 s[28:29], 0
	s_cselect_b64 vcc, -1, 0
	s_waitcnt vmcnt(0)
	v_lshl_add_u64 v[0:1], v[100:101], 0, v[10:11]
	s_waitcnt lgkmcnt(0)
	v_lshl_add_u64 v[102:103], v[8:9], 0, v[10:11]
	s_branch .LBB36_1774
.LBB36_1773:                            ;   in Loop: Header=BB36_1774 Depth=3
	s_or_b64 exec, exec, s[40:41]
	v_lshrrev_b32_e32 v12, 16, v12
	v_and_or_b32 v8, v8, s9, v12
	v_lshrrev_b32_e32 v12, 16, v14
	v_lshrrev_b32_e32 v13, 16, v13
	v_and_or_b32 v10, v10, s9, v12
	v_lshrrev_b32_e32 v12, 16, v15
	v_and_or_b32 v9, v9, s9, v13
	v_and_or_b32 v11, v11, s9, v12
	global_store_dwordx4 v[20:21], v[8:11], off
	scratch_load_dwordx2 v[8:9], off, s33 offset:320 ; 8-byte Folded Reload
	v_sub_u32_e32 v7, v7, v60
	v_cmp_gt_i32_e64 s[24:25], 1, v7
	s_or_b64 s[28:29], s[24:25], s[28:29]
	v_lshl_add_u64 v[112:113], v[112:113], 0, v[28:29]
	s_waitcnt vmcnt(0)
	v_lshl_add_u64 v[0:1], v[0:1], 0, v[8:9]
	v_lshl_add_u64 v[102:103], v[102:103], 0, v[8:9]
	s_andn2_b64 exec, exec, s[28:29]
	s_cbranch_execz .LBB36_2030
.LBB36_1774:                            ;   Parent Loop BB36_47 Depth=1
                                        ;     Parent Loop BB36_1243 Depth=2
                                        ; =>    This Inner Loop Header: Depth=3
	global_load_dwordx4 v[68:71], v[0:1], off nt
	global_load_dwordx4 v[52:55], v[0:1], off offset:1024 nt
	global_load_dwordx4 v[80:83], v[102:103], off nt
	global_load_dwordx4 v[20:23], v[112:113], off offset:-3072 nt
	global_load_dwordx4 v[16:19], v[112:113], off offset:-2048 nt
	global_load_dwordx4 v[36:39], v[0:1], off offset:2048 nt
	global_load_dwordx4 v[24:27], v[0:1], off offset:3072 nt
	global_load_dwordx4 v[12:15], v[112:113], off offset:-1024 nt
	global_load_dwordx4 v[8:11], v[112:113], off nt
	global_load_dwordx4 v[64:67], v[102:103], off offset:1024 nt
	global_load_dwordx4 v[48:51], v[102:103], off offset:2048 nt
	global_load_dwordx4 v[32:35], v[102:103], off offset:3072 nt
	s_waitcnt vmcnt(11)
	v_lshlrev_b32_e32 v30, 16, v68
	v_max_f32_e32 v30, v30, v30
	s_waitcnt vmcnt(9)
	v_lshlrev_b32_e32 v87, 16, v80
	v_max_f32_e32 v87, v87, v87
	v_min_f32_e32 v114, v30, v87
	v_max_f32_e32 v30, v30, v87
	v_cndmask_b32_e32 v30, v30, v114, vcc
	v_and_b32_e32 v87, 0x7f800000, v30
	v_cmp_ne_u32_e64 s[24:25], s35, v87
                                        ; implicit-def: $vgpr87
	s_and_saveexec_b64 s[40:41], s[24:25]
	s_xor_b64 s[24:25], exec, s[40:41]
; %bb.1775:                             ;   in Loop: Header=BB36_1774 Depth=3
	v_bfe_u32 v87, v30, 16, 1
	v_add3_u32 v87, v30, v87, s8
                                        ; implicit-def: $vgpr30
; %bb.1776:                             ;   in Loop: Header=BB36_1774 Depth=3
	s_andn2_saveexec_b64 s[40:41], s[24:25]
; %bb.1777:                             ;   in Loop: Header=BB36_1774 Depth=3
	v_or_b32_e32 v87, 0x10000, v30
	v_cmp_eq_u32_sdwa s[24:25], v30, v3 src0_sel:WORD_0 src1_sel:DWORD
	s_nop 1
	v_cndmask_b32_e64 v87, v87, v30, s[24:25]
; %bb.1778:                             ;   in Loop: Header=BB36_1774 Depth=3
	s_or_b64 exec, exec, s[40:41]
	v_and_b32_e32 v30, 0xffff0000, v68
	v_and_b32_e32 v68, 0xffff0000, v80
	v_max_f32_e32 v68, v68, v68
	v_max_f32_e32 v30, v30, v30
	v_min_f32_e32 v80, v30, v68
	v_max_f32_e32 v30, v30, v68
	v_cndmask_b32_e32 v30, v30, v80, vcc
	v_and_b32_e32 v68, 0x7f800000, v30
	v_cmp_ne_u32_e64 s[24:25], s35, v68
                                        ; implicit-def: $vgpr68
	s_and_saveexec_b64 s[40:41], s[24:25]
	s_xor_b64 s[24:25], exec, s[40:41]
; %bb.1779:                             ;   in Loop: Header=BB36_1774 Depth=3
	v_bfe_u32 v68, v30, 16, 1
	v_add3_u32 v68, v30, v68, s8
                                        ; implicit-def: $vgpr30
; %bb.1780:                             ;   in Loop: Header=BB36_1774 Depth=3
	s_andn2_saveexec_b64 s[40:41], s[24:25]
; %bb.1781:                             ;   in Loop: Header=BB36_1774 Depth=3
	v_or_b32_e32 v68, 0x10000, v30
	v_cmp_eq_u32_sdwa s[24:25], v30, v3 src0_sel:WORD_0 src1_sel:DWORD
	s_nop 1
	v_cndmask_b32_e64 v68, v68, v30, s[24:25]
; %bb.1782:                             ;   in Loop: Header=BB36_1774 Depth=3
	s_or_b64 exec, exec, s[40:41]
	v_lshlrev_b32_e32 v30, 16, v69
	v_lshlrev_b32_e32 v80, 16, v81
	v_max_f32_e32 v80, v80, v80
	v_max_f32_e32 v30, v30, v30
	v_min_f32_e32 v114, v30, v80
	v_max_f32_e32 v30, v30, v80
	v_cndmask_b32_e32 v30, v30, v114, vcc
	v_and_b32_e32 v80, 0x7f800000, v30
	v_cmp_ne_u32_e64 s[24:25], s35, v80
                                        ; implicit-def: $vgpr80
	s_and_saveexec_b64 s[40:41], s[24:25]
	s_xor_b64 s[24:25], exec, s[40:41]
; %bb.1783:                             ;   in Loop: Header=BB36_1774 Depth=3
	v_bfe_u32 v80, v30, 16, 1
	v_add3_u32 v80, v30, v80, s8
                                        ; implicit-def: $vgpr30
; %bb.1784:                             ;   in Loop: Header=BB36_1774 Depth=3
	s_andn2_saveexec_b64 s[40:41], s[24:25]
; %bb.1785:                             ;   in Loop: Header=BB36_1774 Depth=3
	v_or_b32_e32 v80, 0x10000, v30
	v_cmp_eq_u32_sdwa s[24:25], v30, v3 src0_sel:WORD_0 src1_sel:DWORD
	s_nop 1
	v_cndmask_b32_e64 v80, v80, v30, s[24:25]
; %bb.1786:                             ;   in Loop: Header=BB36_1774 Depth=3
	s_or_b64 exec, exec, s[40:41]
	v_and_b32_e32 v30, 0xffff0000, v69
	v_and_b32_e32 v69, 0xffff0000, v81
	v_max_f32_e32 v69, v69, v69
	v_max_f32_e32 v30, v30, v30
	v_min_f32_e32 v81, v30, v69
	v_max_f32_e32 v30, v30, v69
	v_cndmask_b32_e32 v30, v30, v81, vcc
	v_and_b32_e32 v69, 0x7f800000, v30
	v_cmp_ne_u32_e64 s[24:25], s35, v69
                                        ; implicit-def: $vgpr69
	s_and_saveexec_b64 s[40:41], s[24:25]
	s_xor_b64 s[24:25], exec, s[40:41]
; %bb.1787:                             ;   in Loop: Header=BB36_1774 Depth=3
	v_bfe_u32 v69, v30, 16, 1
	v_add3_u32 v69, v30, v69, s8
                                        ; implicit-def: $vgpr30
; %bb.1788:                             ;   in Loop: Header=BB36_1774 Depth=3
	s_andn2_saveexec_b64 s[40:41], s[24:25]
; %bb.1789:                             ;   in Loop: Header=BB36_1774 Depth=3
	v_or_b32_e32 v69, 0x10000, v30
	v_cmp_eq_u32_sdwa s[24:25], v30, v3 src0_sel:WORD_0 src1_sel:DWORD
	s_nop 1
	v_cndmask_b32_e64 v69, v69, v30, s[24:25]
; %bb.1790:                             ;   in Loop: Header=BB36_1774 Depth=3
	s_or_b64 exec, exec, s[40:41]
	v_lshlrev_b32_e32 v30, 16, v70
	v_lshlrev_b32_e32 v81, 16, v82
	v_max_f32_e32 v81, v81, v81
	v_max_f32_e32 v30, v30, v30
	v_min_f32_e32 v114, v30, v81
	v_max_f32_e32 v30, v30, v81
	v_cndmask_b32_e32 v30, v30, v114, vcc
	v_and_b32_e32 v81, 0x7f800000, v30
	v_cmp_ne_u32_e64 s[24:25], s35, v81
                                        ; implicit-def: $vgpr81
	s_and_saveexec_b64 s[40:41], s[24:25]
	s_xor_b64 s[24:25], exec, s[40:41]
; %bb.1791:                             ;   in Loop: Header=BB36_1774 Depth=3
	v_bfe_u32 v81, v30, 16, 1
	v_add3_u32 v81, v30, v81, s8
                                        ; implicit-def: $vgpr30
; %bb.1792:                             ;   in Loop: Header=BB36_1774 Depth=3
	s_andn2_saveexec_b64 s[40:41], s[24:25]
; %bb.1793:                             ;   in Loop: Header=BB36_1774 Depth=3
	v_or_b32_e32 v81, 0x10000, v30
	v_cmp_eq_u32_sdwa s[24:25], v30, v3 src0_sel:WORD_0 src1_sel:DWORD
	s_nop 1
	v_cndmask_b32_e64 v81, v81, v30, s[24:25]
; %bb.1794:                             ;   in Loop: Header=BB36_1774 Depth=3
	s_or_b64 exec, exec, s[40:41]
	v_and_b32_e32 v30, 0xffff0000, v70
	v_and_b32_e32 v70, 0xffff0000, v82
	v_max_f32_e32 v70, v70, v70
	v_max_f32_e32 v30, v30, v30
	v_min_f32_e32 v82, v30, v70
	v_max_f32_e32 v30, v30, v70
	v_cndmask_b32_e32 v30, v30, v82, vcc
	v_and_b32_e32 v70, 0x7f800000, v30
	v_cmp_ne_u32_e64 s[24:25], s35, v70
                                        ; implicit-def: $vgpr70
	s_and_saveexec_b64 s[40:41], s[24:25]
	s_xor_b64 s[24:25], exec, s[40:41]
; %bb.1795:                             ;   in Loop: Header=BB36_1774 Depth=3
	v_bfe_u32 v70, v30, 16, 1
	v_add3_u32 v70, v30, v70, s8
                                        ; implicit-def: $vgpr30
; %bb.1796:                             ;   in Loop: Header=BB36_1774 Depth=3
	s_andn2_saveexec_b64 s[40:41], s[24:25]
; %bb.1797:                             ;   in Loop: Header=BB36_1774 Depth=3
	v_or_b32_e32 v70, 0x10000, v30
	v_cmp_eq_u32_sdwa s[24:25], v30, v3 src0_sel:WORD_0 src1_sel:DWORD
	s_nop 1
	v_cndmask_b32_e64 v70, v70, v30, s[24:25]
; %bb.1798:                             ;   in Loop: Header=BB36_1774 Depth=3
	s_or_b64 exec, exec, s[40:41]
	v_lshlrev_b32_e32 v30, 16, v71
	v_lshlrev_b32_e32 v82, 16, v83
	v_max_f32_e32 v82, v82, v82
	v_max_f32_e32 v30, v30, v30
	v_min_f32_e32 v114, v30, v82
	v_max_f32_e32 v30, v30, v82
	v_cndmask_b32_e32 v30, v30, v114, vcc
	v_and_b32_e32 v82, 0x7f800000, v30
	v_cmp_ne_u32_e64 s[24:25], s35, v82
                                        ; implicit-def: $vgpr82
	s_and_saveexec_b64 s[40:41], s[24:25]
	s_xor_b64 s[24:25], exec, s[40:41]
; %bb.1799:                             ;   in Loop: Header=BB36_1774 Depth=3
	v_bfe_u32 v82, v30, 16, 1
	v_add3_u32 v82, v30, v82, s8
                                        ; implicit-def: $vgpr30
; %bb.1800:                             ;   in Loop: Header=BB36_1774 Depth=3
	s_andn2_saveexec_b64 s[40:41], s[24:25]
; %bb.1801:                             ;   in Loop: Header=BB36_1774 Depth=3
	v_or_b32_e32 v82, 0x10000, v30
	v_cmp_eq_u32_sdwa s[24:25], v30, v3 src0_sel:WORD_0 src1_sel:DWORD
	s_nop 1
	v_cndmask_b32_e64 v82, v82, v30, s[24:25]
; %bb.1802:                             ;   in Loop: Header=BB36_1774 Depth=3
	s_or_b64 exec, exec, s[40:41]
	v_and_b32_e32 v30, 0xffff0000, v71
	v_and_b32_e32 v71, 0xffff0000, v83
	v_max_f32_e32 v71, v71, v71
	v_max_f32_e32 v30, v30, v30
	v_min_f32_e32 v83, v30, v71
	v_max_f32_e32 v30, v30, v71
	v_cndmask_b32_e32 v30, v30, v83, vcc
	v_and_b32_e32 v71, 0x7f800000, v30
	v_cmp_ne_u32_e64 s[24:25], s35, v71
                                        ; implicit-def: $vgpr71
	s_and_saveexec_b64 s[40:41], s[24:25]
	s_xor_b64 s[24:25], exec, s[40:41]
; %bb.1803:                             ;   in Loop: Header=BB36_1774 Depth=3
	v_bfe_u32 v71, v30, 16, 1
	v_add3_u32 v71, v30, v71, s8
                                        ; implicit-def: $vgpr30
; %bb.1804:                             ;   in Loop: Header=BB36_1774 Depth=3
	s_andn2_saveexec_b64 s[40:41], s[24:25]
; %bb.1805:                             ;   in Loop: Header=BB36_1774 Depth=3
	v_or_b32_e32 v71, 0x10000, v30
	v_cmp_eq_u32_sdwa s[24:25], v30, v3 src0_sel:WORD_0 src1_sel:DWORD
	s_nop 1
	v_cndmask_b32_e64 v71, v71, v30, s[24:25]
; %bb.1806:                             ;   in Loop: Header=BB36_1774 Depth=3
	s_or_b64 exec, exec, s[40:41]
	v_lshlrev_b32_e32 v30, 16, v52
	s_waitcnt vmcnt(2)
	v_lshlrev_b32_e32 v83, 16, v64
	v_max_f32_e32 v83, v83, v83
	v_max_f32_e32 v30, v30, v30
	v_min_f32_e32 v114, v30, v83
	v_max_f32_e32 v30, v30, v83
	v_cndmask_b32_e32 v30, v30, v114, vcc
	v_and_b32_e32 v83, 0x7f800000, v30
	v_cmp_ne_u32_e64 s[24:25], s35, v83
                                        ; implicit-def: $vgpr83
	s_and_saveexec_b64 s[40:41], s[24:25]
	s_xor_b64 s[24:25], exec, s[40:41]
; %bb.1807:                             ;   in Loop: Header=BB36_1774 Depth=3
	v_bfe_u32 v83, v30, 16, 1
	v_add3_u32 v83, v30, v83, s8
                                        ; implicit-def: $vgpr30
; %bb.1808:                             ;   in Loop: Header=BB36_1774 Depth=3
	s_andn2_saveexec_b64 s[40:41], s[24:25]
; %bb.1809:                             ;   in Loop: Header=BB36_1774 Depth=3
	v_or_b32_e32 v83, 0x10000, v30
	v_cmp_eq_u32_sdwa s[24:25], v30, v3 src0_sel:WORD_0 src1_sel:DWORD
	s_nop 1
	v_cndmask_b32_e64 v83, v83, v30, s[24:25]
; %bb.1810:                             ;   in Loop: Header=BB36_1774 Depth=3
	s_or_b64 exec, exec, s[40:41]
	v_and_b32_e32 v30, 0xffff0000, v52
	v_and_b32_e32 v52, 0xffff0000, v64
	v_max_f32_e32 v52, v52, v52
	v_max_f32_e32 v30, v30, v30
	v_min_f32_e32 v64, v30, v52
	v_max_f32_e32 v30, v30, v52
	v_cndmask_b32_e32 v52, v30, v64, vcc
	v_and_b32_e32 v30, 0x7f800000, v52
	v_cmp_ne_u32_e64 s[24:25], s35, v30
                                        ; implicit-def: $vgpr30
	s_and_saveexec_b64 s[40:41], s[24:25]
	s_xor_b64 s[24:25], exec, s[40:41]
; %bb.1811:                             ;   in Loop: Header=BB36_1774 Depth=3
	v_bfe_u32 v30, v52, 16, 1
	v_add3_u32 v30, v52, v30, s8
                                        ; implicit-def: $vgpr52
; %bb.1812:                             ;   in Loop: Header=BB36_1774 Depth=3
	s_andn2_saveexec_b64 s[40:41], s[24:25]
; %bb.1813:                             ;   in Loop: Header=BB36_1774 Depth=3
	v_or_b32_e32 v30, 0x10000, v52
	v_cmp_eq_u32_sdwa s[24:25], v52, v3 src0_sel:WORD_0 src1_sel:DWORD
	s_nop 1
	v_cndmask_b32_e64 v30, v30, v52, s[24:25]
; %bb.1814:                             ;   in Loop: Header=BB36_1774 Depth=3
	s_or_b64 exec, exec, s[40:41]
	v_lshlrev_b32_e32 v52, 16, v53
	v_lshlrev_b32_e32 v64, 16, v65
	v_max_f32_e32 v64, v64, v64
	v_max_f32_e32 v52, v52, v52
	v_min_f32_e32 v114, v52, v64
	v_max_f32_e32 v52, v52, v64
	v_cndmask_b32_e32 v52, v52, v114, vcc
	v_and_b32_e32 v64, 0x7f800000, v52
	v_cmp_ne_u32_e64 s[24:25], s35, v64
                                        ; implicit-def: $vgpr64
	s_and_saveexec_b64 s[40:41], s[24:25]
	s_xor_b64 s[24:25], exec, s[40:41]
; %bb.1815:                             ;   in Loop: Header=BB36_1774 Depth=3
	v_bfe_u32 v64, v52, 16, 1
	v_add3_u32 v64, v52, v64, s8
                                        ; implicit-def: $vgpr52
; %bb.1816:                             ;   in Loop: Header=BB36_1774 Depth=3
	s_andn2_saveexec_b64 s[40:41], s[24:25]
; %bb.1817:                             ;   in Loop: Header=BB36_1774 Depth=3
	v_or_b32_e32 v64, 0x10000, v52
	v_cmp_eq_u32_sdwa s[24:25], v52, v3 src0_sel:WORD_0 src1_sel:DWORD
	s_nop 1
	v_cndmask_b32_e64 v64, v64, v52, s[24:25]
; %bb.1818:                             ;   in Loop: Header=BB36_1774 Depth=3
	s_or_b64 exec, exec, s[40:41]
	v_and_b32_e32 v52, 0xffff0000, v53
	v_and_b32_e32 v53, 0xffff0000, v65
	v_max_f32_e32 v53, v53, v53
	v_max_f32_e32 v52, v52, v52
	v_min_f32_e32 v65, v52, v53
	v_max_f32_e32 v52, v52, v53
	v_cndmask_b32_e32 v53, v52, v65, vcc
	v_and_b32_e32 v52, 0x7f800000, v53
	v_cmp_ne_u32_e64 s[24:25], s35, v52
                                        ; implicit-def: $vgpr52
	s_and_saveexec_b64 s[40:41], s[24:25]
	s_xor_b64 s[24:25], exec, s[40:41]
; %bb.1819:                             ;   in Loop: Header=BB36_1774 Depth=3
	v_bfe_u32 v52, v53, 16, 1
	v_add3_u32 v52, v53, v52, s8
                                        ; implicit-def: $vgpr53
; %bb.1820:                             ;   in Loop: Header=BB36_1774 Depth=3
	s_andn2_saveexec_b64 s[40:41], s[24:25]
; %bb.1821:                             ;   in Loop: Header=BB36_1774 Depth=3
	v_or_b32_e32 v52, 0x10000, v53
	v_cmp_eq_u32_sdwa s[24:25], v53, v3 src0_sel:WORD_0 src1_sel:DWORD
	s_nop 1
	v_cndmask_b32_e64 v52, v52, v53, s[24:25]
; %bb.1822:                             ;   in Loop: Header=BB36_1774 Depth=3
	s_or_b64 exec, exec, s[40:41]
	v_lshlrev_b32_e32 v53, 16, v54
	v_lshlrev_b32_e32 v65, 16, v66
	v_max_f32_e32 v65, v65, v65
	v_max_f32_e32 v53, v53, v53
	v_min_f32_e32 v114, v53, v65
	v_max_f32_e32 v53, v53, v65
	v_cndmask_b32_e32 v53, v53, v114, vcc
	v_and_b32_e32 v65, 0x7f800000, v53
	v_cmp_ne_u32_e64 s[24:25], s35, v65
                                        ; implicit-def: $vgpr65
	s_and_saveexec_b64 s[40:41], s[24:25]
	s_xor_b64 s[24:25], exec, s[40:41]
; %bb.1823:                             ;   in Loop: Header=BB36_1774 Depth=3
	v_bfe_u32 v65, v53, 16, 1
	v_add3_u32 v65, v53, v65, s8
                                        ; implicit-def: $vgpr53
; %bb.1824:                             ;   in Loop: Header=BB36_1774 Depth=3
	s_andn2_saveexec_b64 s[40:41], s[24:25]
; %bb.1825:                             ;   in Loop: Header=BB36_1774 Depth=3
	v_or_b32_e32 v65, 0x10000, v53
	v_cmp_eq_u32_sdwa s[24:25], v53, v3 src0_sel:WORD_0 src1_sel:DWORD
	s_nop 1
	v_cndmask_b32_e64 v65, v65, v53, s[24:25]
; %bb.1826:                             ;   in Loop: Header=BB36_1774 Depth=3
	s_or_b64 exec, exec, s[40:41]
	v_and_b32_e32 v53, 0xffff0000, v54
	v_and_b32_e32 v54, 0xffff0000, v66
	v_max_f32_e32 v54, v54, v54
	v_max_f32_e32 v53, v53, v53
	v_min_f32_e32 v66, v53, v54
	v_max_f32_e32 v53, v53, v54
	v_cndmask_b32_e32 v54, v53, v66, vcc
	v_and_b32_e32 v53, 0x7f800000, v54
	v_cmp_ne_u32_e64 s[24:25], s35, v53
                                        ; implicit-def: $vgpr53
	s_and_saveexec_b64 s[40:41], s[24:25]
	s_xor_b64 s[24:25], exec, s[40:41]
; %bb.1827:                             ;   in Loop: Header=BB36_1774 Depth=3
	v_bfe_u32 v53, v54, 16, 1
	v_add3_u32 v53, v54, v53, s8
                                        ; implicit-def: $vgpr54
; %bb.1828:                             ;   in Loop: Header=BB36_1774 Depth=3
	s_andn2_saveexec_b64 s[40:41], s[24:25]
; %bb.1829:                             ;   in Loop: Header=BB36_1774 Depth=3
	v_or_b32_e32 v53, 0x10000, v54
	v_cmp_eq_u32_sdwa s[24:25], v54, v3 src0_sel:WORD_0 src1_sel:DWORD
	s_nop 1
	v_cndmask_b32_e64 v53, v53, v54, s[24:25]
; %bb.1830:                             ;   in Loop: Header=BB36_1774 Depth=3
	s_or_b64 exec, exec, s[40:41]
	v_lshlrev_b32_e32 v54, 16, v55
	v_lshlrev_b32_e32 v66, 16, v67
	v_max_f32_e32 v66, v66, v66
	v_max_f32_e32 v54, v54, v54
	v_min_f32_e32 v114, v54, v66
	v_max_f32_e32 v54, v54, v66
	v_cndmask_b32_e32 v54, v54, v114, vcc
	v_and_b32_e32 v66, 0x7f800000, v54
	v_cmp_ne_u32_e64 s[24:25], s35, v66
                                        ; implicit-def: $vgpr66
	s_and_saveexec_b64 s[40:41], s[24:25]
	s_xor_b64 s[24:25], exec, s[40:41]
; %bb.1831:                             ;   in Loop: Header=BB36_1774 Depth=3
	v_bfe_u32 v66, v54, 16, 1
	v_add3_u32 v66, v54, v66, s8
                                        ; implicit-def: $vgpr54
; %bb.1832:                             ;   in Loop: Header=BB36_1774 Depth=3
	s_andn2_saveexec_b64 s[40:41], s[24:25]
; %bb.1833:                             ;   in Loop: Header=BB36_1774 Depth=3
	v_or_b32_e32 v66, 0x10000, v54
	v_cmp_eq_u32_sdwa s[24:25], v54, v3 src0_sel:WORD_0 src1_sel:DWORD
	s_nop 1
	v_cndmask_b32_e64 v66, v66, v54, s[24:25]
; %bb.1834:                             ;   in Loop: Header=BB36_1774 Depth=3
	s_or_b64 exec, exec, s[40:41]
	v_and_b32_e32 v54, 0xffff0000, v55
	v_and_b32_e32 v55, 0xffff0000, v67
	v_max_f32_e32 v55, v55, v55
	v_max_f32_e32 v54, v54, v54
	v_min_f32_e32 v67, v54, v55
	v_max_f32_e32 v54, v54, v55
	v_cndmask_b32_e32 v55, v54, v67, vcc
	v_and_b32_e32 v54, 0x7f800000, v55
	v_cmp_ne_u32_e64 s[24:25], s35, v54
                                        ; implicit-def: $vgpr54
	s_and_saveexec_b64 s[40:41], s[24:25]
	s_xor_b64 s[24:25], exec, s[40:41]
; %bb.1835:                             ;   in Loop: Header=BB36_1774 Depth=3
	v_bfe_u32 v54, v55, 16, 1
	v_add3_u32 v54, v55, v54, s8
                                        ; implicit-def: $vgpr55
; %bb.1836:                             ;   in Loop: Header=BB36_1774 Depth=3
	s_andn2_saveexec_b64 s[40:41], s[24:25]
; %bb.1837:                             ;   in Loop: Header=BB36_1774 Depth=3
	v_or_b32_e32 v54, 0x10000, v55
	v_cmp_eq_u32_sdwa s[24:25], v55, v3 src0_sel:WORD_0 src1_sel:DWORD
	s_nop 1
	v_cndmask_b32_e64 v54, v54, v55, s[24:25]
; %bb.1838:                             ;   in Loop: Header=BB36_1774 Depth=3
	s_or_b64 exec, exec, s[40:41]
	v_lshlrev_b32_e32 v55, 16, v36
	s_waitcnt vmcnt(1)
	v_lshlrev_b32_e32 v67, 16, v48
	v_max_f32_e32 v67, v67, v67
	v_max_f32_e32 v55, v55, v55
	v_min_f32_e32 v114, v55, v67
	v_max_f32_e32 v55, v55, v67
	v_cndmask_b32_e32 v67, v55, v114, vcc
	v_and_b32_e32 v55, 0x7f800000, v67
	v_cmp_ne_u32_e64 s[24:25], s35, v55
                                        ; implicit-def: $vgpr55
	s_and_saveexec_b64 s[40:41], s[24:25]
	s_xor_b64 s[24:25], exec, s[40:41]
; %bb.1839:                             ;   in Loop: Header=BB36_1774 Depth=3
	v_bfe_u32 v55, v67, 16, 1
	v_add3_u32 v55, v67, v55, s8
                                        ; implicit-def: $vgpr67
; %bb.1840:                             ;   in Loop: Header=BB36_1774 Depth=3
	s_andn2_saveexec_b64 s[40:41], s[24:25]
; %bb.1841:                             ;   in Loop: Header=BB36_1774 Depth=3
	v_or_b32_e32 v55, 0x10000, v67
	v_cmp_eq_u32_sdwa s[24:25], v67, v3 src0_sel:WORD_0 src1_sel:DWORD
	s_nop 1
	v_cndmask_b32_e64 v55, v55, v67, s[24:25]
; %bb.1842:                             ;   in Loop: Header=BB36_1774 Depth=3
	s_or_b64 exec, exec, s[40:41]
	v_and_b32_e32 v36, 0xffff0000, v36
	v_and_b32_e32 v48, 0xffff0000, v48
	v_max_f32_e32 v48, v48, v48
	v_max_f32_e32 v36, v36, v36
	v_min_f32_e32 v67, v36, v48
	v_max_f32_e32 v36, v36, v48
	v_cndmask_b32_e32 v48, v36, v67, vcc
	v_and_b32_e32 v36, 0x7f800000, v48
	v_cmp_ne_u32_e64 s[24:25], s35, v36
                                        ; implicit-def: $vgpr36
	s_and_saveexec_b64 s[40:41], s[24:25]
	s_xor_b64 s[24:25], exec, s[40:41]
; %bb.1843:                             ;   in Loop: Header=BB36_1774 Depth=3
	v_bfe_u32 v36, v48, 16, 1
	v_add3_u32 v36, v48, v36, s8
                                        ; implicit-def: $vgpr48
; %bb.1844:                             ;   in Loop: Header=BB36_1774 Depth=3
	s_andn2_saveexec_b64 s[40:41], s[24:25]
; %bb.1845:                             ;   in Loop: Header=BB36_1774 Depth=3
	v_or_b32_e32 v36, 0x10000, v48
	v_cmp_eq_u32_sdwa s[24:25], v48, v3 src0_sel:WORD_0 src1_sel:DWORD
	s_nop 1
	v_cndmask_b32_e64 v36, v36, v48, s[24:25]
; %bb.1846:                             ;   in Loop: Header=BB36_1774 Depth=3
	s_or_b64 exec, exec, s[40:41]
	v_lshlrev_b32_e32 v48, 16, v37
	v_lshlrev_b32_e32 v67, 16, v49
	v_max_f32_e32 v67, v67, v67
	v_max_f32_e32 v48, v48, v48
	v_min_f32_e32 v114, v48, v67
	v_max_f32_e32 v48, v48, v67
	v_cndmask_b32_e32 v67, v48, v114, vcc
	v_and_b32_e32 v48, 0x7f800000, v67
	v_cmp_ne_u32_e64 s[24:25], s35, v48
                                        ; implicit-def: $vgpr48
	s_and_saveexec_b64 s[40:41], s[24:25]
	s_xor_b64 s[24:25], exec, s[40:41]
; %bb.1847:                             ;   in Loop: Header=BB36_1774 Depth=3
	v_bfe_u32 v48, v67, 16, 1
	v_add3_u32 v48, v67, v48, s8
                                        ; implicit-def: $vgpr67
; %bb.1848:                             ;   in Loop: Header=BB36_1774 Depth=3
	s_andn2_saveexec_b64 s[40:41], s[24:25]
; %bb.1849:                             ;   in Loop: Header=BB36_1774 Depth=3
	v_or_b32_e32 v48, 0x10000, v67
	v_cmp_eq_u32_sdwa s[24:25], v67, v3 src0_sel:WORD_0 src1_sel:DWORD
	s_nop 1
	v_cndmask_b32_e64 v48, v48, v67, s[24:25]
; %bb.1850:                             ;   in Loop: Header=BB36_1774 Depth=3
	s_or_b64 exec, exec, s[40:41]
	v_and_b32_e32 v37, 0xffff0000, v37
	v_and_b32_e32 v49, 0xffff0000, v49
	v_max_f32_e32 v49, v49, v49
	v_max_f32_e32 v37, v37, v37
	v_min_f32_e32 v67, v37, v49
	v_max_f32_e32 v37, v37, v49
	v_cndmask_b32_e32 v49, v37, v67, vcc
	v_and_b32_e32 v37, 0x7f800000, v49
	v_cmp_ne_u32_e64 s[24:25], s35, v37
                                        ; implicit-def: $vgpr37
	s_and_saveexec_b64 s[40:41], s[24:25]
	s_xor_b64 s[24:25], exec, s[40:41]
; %bb.1851:                             ;   in Loop: Header=BB36_1774 Depth=3
	v_bfe_u32 v37, v49, 16, 1
	v_add3_u32 v37, v49, v37, s8
                                        ; implicit-def: $vgpr49
; %bb.1852:                             ;   in Loop: Header=BB36_1774 Depth=3
	s_andn2_saveexec_b64 s[40:41], s[24:25]
; %bb.1853:                             ;   in Loop: Header=BB36_1774 Depth=3
	v_or_b32_e32 v37, 0x10000, v49
	v_cmp_eq_u32_sdwa s[24:25], v49, v3 src0_sel:WORD_0 src1_sel:DWORD
	s_nop 1
	v_cndmask_b32_e64 v37, v37, v49, s[24:25]
; %bb.1854:                             ;   in Loop: Header=BB36_1774 Depth=3
	s_or_b64 exec, exec, s[40:41]
	v_lshlrev_b32_e32 v49, 16, v38
	v_lshlrev_b32_e32 v67, 16, v50
	v_max_f32_e32 v67, v67, v67
	v_max_f32_e32 v49, v49, v49
	v_min_f32_e32 v114, v49, v67
	v_max_f32_e32 v49, v49, v67
	v_cndmask_b32_e32 v67, v49, v114, vcc
	v_and_b32_e32 v49, 0x7f800000, v67
	v_cmp_ne_u32_e64 s[24:25], s35, v49
                                        ; implicit-def: $vgpr49
	s_and_saveexec_b64 s[40:41], s[24:25]
	s_xor_b64 s[24:25], exec, s[40:41]
; %bb.1855:                             ;   in Loop: Header=BB36_1774 Depth=3
	v_bfe_u32 v49, v67, 16, 1
	v_add3_u32 v49, v67, v49, s8
                                        ; implicit-def: $vgpr67
; %bb.1856:                             ;   in Loop: Header=BB36_1774 Depth=3
	s_andn2_saveexec_b64 s[40:41], s[24:25]
; %bb.1857:                             ;   in Loop: Header=BB36_1774 Depth=3
	v_or_b32_e32 v49, 0x10000, v67
	v_cmp_eq_u32_sdwa s[24:25], v67, v3 src0_sel:WORD_0 src1_sel:DWORD
	s_nop 1
	v_cndmask_b32_e64 v49, v49, v67, s[24:25]
; %bb.1858:                             ;   in Loop: Header=BB36_1774 Depth=3
	s_or_b64 exec, exec, s[40:41]
	v_and_b32_e32 v38, 0xffff0000, v38
	v_and_b32_e32 v50, 0xffff0000, v50
	v_max_f32_e32 v50, v50, v50
	v_max_f32_e32 v38, v38, v38
	v_min_f32_e32 v67, v38, v50
	v_max_f32_e32 v38, v38, v50
	v_cndmask_b32_e32 v50, v38, v67, vcc
	v_and_b32_e32 v38, 0x7f800000, v50
	v_cmp_ne_u32_e64 s[24:25], s35, v38
                                        ; implicit-def: $vgpr38
	s_and_saveexec_b64 s[40:41], s[24:25]
	s_xor_b64 s[24:25], exec, s[40:41]
; %bb.1859:                             ;   in Loop: Header=BB36_1774 Depth=3
	v_bfe_u32 v38, v50, 16, 1
	v_add3_u32 v38, v50, v38, s8
                                        ; implicit-def: $vgpr50
; %bb.1860:                             ;   in Loop: Header=BB36_1774 Depth=3
	s_andn2_saveexec_b64 s[40:41], s[24:25]
; %bb.1861:                             ;   in Loop: Header=BB36_1774 Depth=3
	v_or_b32_e32 v38, 0x10000, v50
	v_cmp_eq_u32_sdwa s[24:25], v50, v3 src0_sel:WORD_0 src1_sel:DWORD
	s_nop 1
	v_cndmask_b32_e64 v38, v38, v50, s[24:25]
; %bb.1862:                             ;   in Loop: Header=BB36_1774 Depth=3
	s_or_b64 exec, exec, s[40:41]
	v_lshlrev_b32_e32 v50, 16, v39
	v_lshlrev_b32_e32 v67, 16, v51
	v_max_f32_e32 v67, v67, v67
	v_max_f32_e32 v50, v50, v50
	v_min_f32_e32 v114, v50, v67
	v_max_f32_e32 v50, v50, v67
	v_cndmask_b32_e32 v67, v50, v114, vcc
	v_and_b32_e32 v50, 0x7f800000, v67
	v_cmp_ne_u32_e64 s[24:25], s35, v50
                                        ; implicit-def: $vgpr50
	s_and_saveexec_b64 s[40:41], s[24:25]
	s_xor_b64 s[24:25], exec, s[40:41]
; %bb.1863:                             ;   in Loop: Header=BB36_1774 Depth=3
	v_bfe_u32 v50, v67, 16, 1
	v_add3_u32 v50, v67, v50, s8
                                        ; implicit-def: $vgpr67
; %bb.1864:                             ;   in Loop: Header=BB36_1774 Depth=3
	s_andn2_saveexec_b64 s[40:41], s[24:25]
; %bb.1865:                             ;   in Loop: Header=BB36_1774 Depth=3
	v_or_b32_e32 v50, 0x10000, v67
	v_cmp_eq_u32_sdwa s[24:25], v67, v3 src0_sel:WORD_0 src1_sel:DWORD
	s_nop 1
	v_cndmask_b32_e64 v50, v50, v67, s[24:25]
; %bb.1866:                             ;   in Loop: Header=BB36_1774 Depth=3
	s_or_b64 exec, exec, s[40:41]
	v_and_b32_e32 v39, 0xffff0000, v39
	v_and_b32_e32 v51, 0xffff0000, v51
	v_max_f32_e32 v51, v51, v51
	v_max_f32_e32 v39, v39, v39
	v_min_f32_e32 v67, v39, v51
	v_max_f32_e32 v39, v39, v51
	v_cndmask_b32_e32 v51, v39, v67, vcc
	v_and_b32_e32 v39, 0x7f800000, v51
	v_cmp_ne_u32_e64 s[24:25], s35, v39
                                        ; implicit-def: $vgpr39
	s_and_saveexec_b64 s[40:41], s[24:25]
	s_xor_b64 s[24:25], exec, s[40:41]
; %bb.1867:                             ;   in Loop: Header=BB36_1774 Depth=3
	v_bfe_u32 v39, v51, 16, 1
	v_add3_u32 v39, v51, v39, s8
                                        ; implicit-def: $vgpr51
; %bb.1868:                             ;   in Loop: Header=BB36_1774 Depth=3
	s_andn2_saveexec_b64 s[40:41], s[24:25]
; %bb.1869:                             ;   in Loop: Header=BB36_1774 Depth=3
	v_or_b32_e32 v39, 0x10000, v51
	v_cmp_eq_u32_sdwa s[24:25], v51, v3 src0_sel:WORD_0 src1_sel:DWORD
	s_nop 1
	v_cndmask_b32_e64 v39, v39, v51, s[24:25]
; %bb.1870:                             ;   in Loop: Header=BB36_1774 Depth=3
	s_or_b64 exec, exec, s[40:41]
	v_lshlrev_b32_e32 v51, 16, v24
	s_waitcnt vmcnt(0)
	v_lshlrev_b32_e32 v67, 16, v32
	v_max_f32_e32 v67, v67, v67
	v_max_f32_e32 v51, v51, v51
	v_min_f32_e32 v114, v51, v67
	v_max_f32_e32 v51, v51, v67
	v_cndmask_b32_e32 v67, v51, v114, vcc
	v_and_b32_e32 v51, 0x7f800000, v67
	v_cmp_ne_u32_e64 s[24:25], s35, v51
                                        ; implicit-def: $vgpr51
	s_and_saveexec_b64 s[40:41], s[24:25]
	s_xor_b64 s[24:25], exec, s[40:41]
; %bb.1871:                             ;   in Loop: Header=BB36_1774 Depth=3
	v_bfe_u32 v51, v67, 16, 1
	v_add3_u32 v51, v67, v51, s8
                                        ; implicit-def: $vgpr67
; %bb.1872:                             ;   in Loop: Header=BB36_1774 Depth=3
	s_andn2_saveexec_b64 s[40:41], s[24:25]
; %bb.1873:                             ;   in Loop: Header=BB36_1774 Depth=3
	v_or_b32_e32 v51, 0x10000, v67
	v_cmp_eq_u32_sdwa s[24:25], v67, v3 src0_sel:WORD_0 src1_sel:DWORD
	s_nop 1
	v_cndmask_b32_e64 v51, v51, v67, s[24:25]
; %bb.1874:                             ;   in Loop: Header=BB36_1774 Depth=3
	s_or_b64 exec, exec, s[40:41]
	v_and_b32_e32 v24, 0xffff0000, v24
	v_and_b32_e32 v32, 0xffff0000, v32
	v_max_f32_e32 v32, v32, v32
	v_max_f32_e32 v24, v24, v24
	v_min_f32_e32 v67, v24, v32
	v_max_f32_e32 v24, v24, v32
	v_cndmask_b32_e32 v32, v24, v67, vcc
	v_and_b32_e32 v24, 0x7f800000, v32
	v_cmp_ne_u32_e64 s[24:25], s35, v24
                                        ; implicit-def: $vgpr24
	s_and_saveexec_b64 s[40:41], s[24:25]
	s_xor_b64 s[24:25], exec, s[40:41]
; %bb.1875:                             ;   in Loop: Header=BB36_1774 Depth=3
	v_bfe_u32 v24, v32, 16, 1
	v_add3_u32 v24, v32, v24, s8
                                        ; implicit-def: $vgpr32
; %bb.1876:                             ;   in Loop: Header=BB36_1774 Depth=3
	s_andn2_saveexec_b64 s[40:41], s[24:25]
; %bb.1877:                             ;   in Loop: Header=BB36_1774 Depth=3
	v_or_b32_e32 v24, 0x10000, v32
	v_cmp_eq_u32_sdwa s[24:25], v32, v3 src0_sel:WORD_0 src1_sel:DWORD
	s_nop 1
	v_cndmask_b32_e64 v24, v24, v32, s[24:25]
; %bb.1878:                             ;   in Loop: Header=BB36_1774 Depth=3
	s_or_b64 exec, exec, s[40:41]
	v_lshlrev_b32_e32 v32, 16, v25
	v_lshlrev_b32_e32 v67, 16, v33
	v_max_f32_e32 v67, v67, v67
	v_max_f32_e32 v32, v32, v32
	v_min_f32_e32 v114, v32, v67
	v_max_f32_e32 v32, v32, v67
	v_cndmask_b32_e32 v67, v32, v114, vcc
	v_and_b32_e32 v32, 0x7f800000, v67
	v_cmp_ne_u32_e64 s[24:25], s35, v32
                                        ; implicit-def: $vgpr32
	s_and_saveexec_b64 s[40:41], s[24:25]
	s_xor_b64 s[24:25], exec, s[40:41]
; %bb.1879:                             ;   in Loop: Header=BB36_1774 Depth=3
	v_bfe_u32 v32, v67, 16, 1
	v_add3_u32 v32, v67, v32, s8
                                        ; implicit-def: $vgpr67
; %bb.1880:                             ;   in Loop: Header=BB36_1774 Depth=3
	s_andn2_saveexec_b64 s[40:41], s[24:25]
; %bb.1881:                             ;   in Loop: Header=BB36_1774 Depth=3
	v_or_b32_e32 v32, 0x10000, v67
	v_cmp_eq_u32_sdwa s[24:25], v67, v3 src0_sel:WORD_0 src1_sel:DWORD
	s_nop 1
	v_cndmask_b32_e64 v32, v32, v67, s[24:25]
; %bb.1882:                             ;   in Loop: Header=BB36_1774 Depth=3
	s_or_b64 exec, exec, s[40:41]
	v_and_b32_e32 v25, 0xffff0000, v25
	v_and_b32_e32 v33, 0xffff0000, v33
	v_max_f32_e32 v33, v33, v33
	v_max_f32_e32 v25, v25, v25
	v_min_f32_e32 v67, v25, v33
	v_max_f32_e32 v25, v25, v33
	v_cndmask_b32_e32 v33, v25, v67, vcc
	v_and_b32_e32 v25, 0x7f800000, v33
	v_cmp_ne_u32_e64 s[24:25], s35, v25
                                        ; implicit-def: $vgpr25
	s_and_saveexec_b64 s[40:41], s[24:25]
	s_xor_b64 s[24:25], exec, s[40:41]
; %bb.1883:                             ;   in Loop: Header=BB36_1774 Depth=3
	v_bfe_u32 v25, v33, 16, 1
	v_add3_u32 v25, v33, v25, s8
                                        ; implicit-def: $vgpr33
; %bb.1884:                             ;   in Loop: Header=BB36_1774 Depth=3
	s_andn2_saveexec_b64 s[40:41], s[24:25]
; %bb.1885:                             ;   in Loop: Header=BB36_1774 Depth=3
	v_or_b32_e32 v25, 0x10000, v33
	v_cmp_eq_u32_sdwa s[24:25], v33, v3 src0_sel:WORD_0 src1_sel:DWORD
	s_nop 1
	v_cndmask_b32_e64 v25, v25, v33, s[24:25]
; %bb.1886:                             ;   in Loop: Header=BB36_1774 Depth=3
	s_or_b64 exec, exec, s[40:41]
	v_lshlrev_b32_e32 v33, 16, v26
	v_lshlrev_b32_e32 v67, 16, v34
	v_max_f32_e32 v67, v67, v67
	v_max_f32_e32 v33, v33, v33
	v_min_f32_e32 v114, v33, v67
	v_max_f32_e32 v33, v33, v67
	v_cndmask_b32_e32 v67, v33, v114, vcc
	v_and_b32_e32 v33, 0x7f800000, v67
	v_cmp_ne_u32_e64 s[24:25], s35, v33
                                        ; implicit-def: $vgpr33
	s_and_saveexec_b64 s[40:41], s[24:25]
	s_xor_b64 s[24:25], exec, s[40:41]
; %bb.1887:                             ;   in Loop: Header=BB36_1774 Depth=3
	v_bfe_u32 v33, v67, 16, 1
	v_add3_u32 v33, v67, v33, s8
                                        ; implicit-def: $vgpr67
; %bb.1888:                             ;   in Loop: Header=BB36_1774 Depth=3
	s_andn2_saveexec_b64 s[40:41], s[24:25]
; %bb.1889:                             ;   in Loop: Header=BB36_1774 Depth=3
	v_or_b32_e32 v33, 0x10000, v67
	v_cmp_eq_u32_sdwa s[24:25], v67, v3 src0_sel:WORD_0 src1_sel:DWORD
	s_nop 1
	v_cndmask_b32_e64 v33, v33, v67, s[24:25]
; %bb.1890:                             ;   in Loop: Header=BB36_1774 Depth=3
	s_or_b64 exec, exec, s[40:41]
	v_and_b32_e32 v26, 0xffff0000, v26
	v_and_b32_e32 v34, 0xffff0000, v34
	v_max_f32_e32 v34, v34, v34
	v_max_f32_e32 v26, v26, v26
	v_min_f32_e32 v67, v26, v34
	v_max_f32_e32 v26, v26, v34
	v_cndmask_b32_e32 v34, v26, v67, vcc
	v_and_b32_e32 v26, 0x7f800000, v34
	v_cmp_ne_u32_e64 s[24:25], s35, v26
                                        ; implicit-def: $vgpr26
	s_and_saveexec_b64 s[40:41], s[24:25]
	s_xor_b64 s[24:25], exec, s[40:41]
; %bb.1891:                             ;   in Loop: Header=BB36_1774 Depth=3
	v_bfe_u32 v26, v34, 16, 1
	v_add3_u32 v26, v34, v26, s8
                                        ; implicit-def: $vgpr34
; %bb.1892:                             ;   in Loop: Header=BB36_1774 Depth=3
	s_andn2_saveexec_b64 s[40:41], s[24:25]
; %bb.1893:                             ;   in Loop: Header=BB36_1774 Depth=3
	v_or_b32_e32 v26, 0x10000, v34
	v_cmp_eq_u32_sdwa s[24:25], v34, v3 src0_sel:WORD_0 src1_sel:DWORD
	s_nop 1
	v_cndmask_b32_e64 v26, v26, v34, s[24:25]
; %bb.1894:                             ;   in Loop: Header=BB36_1774 Depth=3
	s_or_b64 exec, exec, s[40:41]
	v_lshlrev_b32_e32 v34, 16, v27
	v_lshlrev_b32_e32 v67, 16, v35
	v_max_f32_e32 v67, v67, v67
	v_max_f32_e32 v34, v34, v34
	v_min_f32_e32 v114, v34, v67
	v_max_f32_e32 v34, v34, v67
	v_cndmask_b32_e32 v67, v34, v114, vcc
	v_and_b32_e32 v34, 0x7f800000, v67
	v_cmp_ne_u32_e64 s[24:25], s35, v34
                                        ; implicit-def: $vgpr34
	s_and_saveexec_b64 s[40:41], s[24:25]
	s_xor_b64 s[24:25], exec, s[40:41]
; %bb.1895:                             ;   in Loop: Header=BB36_1774 Depth=3
	v_bfe_u32 v34, v67, 16, 1
	v_add3_u32 v34, v67, v34, s8
                                        ; implicit-def: $vgpr67
; %bb.1896:                             ;   in Loop: Header=BB36_1774 Depth=3
	s_andn2_saveexec_b64 s[40:41], s[24:25]
; %bb.1897:                             ;   in Loop: Header=BB36_1774 Depth=3
	v_or_b32_e32 v34, 0x10000, v67
	v_cmp_eq_u32_sdwa s[24:25], v67, v3 src0_sel:WORD_0 src1_sel:DWORD
	s_nop 1
	v_cndmask_b32_e64 v34, v34, v67, s[24:25]
; %bb.1898:                             ;   in Loop: Header=BB36_1774 Depth=3
	s_or_b64 exec, exec, s[40:41]
	v_and_b32_e32 v27, 0xffff0000, v27
	v_and_b32_e32 v35, 0xffff0000, v35
	v_max_f32_e32 v35, v35, v35
	v_max_f32_e32 v27, v27, v27
	v_min_f32_e32 v67, v27, v35
	v_max_f32_e32 v27, v27, v35
	v_cndmask_b32_e32 v35, v27, v67, vcc
	v_and_b32_e32 v27, 0x7f800000, v35
	v_cmp_ne_u32_e64 s[24:25], s35, v27
                                        ; implicit-def: $vgpr27
	s_and_saveexec_b64 s[40:41], s[24:25]
	s_xor_b64 s[24:25], exec, s[40:41]
; %bb.1899:                             ;   in Loop: Header=BB36_1774 Depth=3
	v_bfe_u32 v27, v35, 16, 1
	v_add3_u32 v27, v35, v27, s8
                                        ; implicit-def: $vgpr35
; %bb.1900:                             ;   in Loop: Header=BB36_1774 Depth=3
	s_andn2_saveexec_b64 s[40:41], s[24:25]
; %bb.1901:                             ;   in Loop: Header=BB36_1774 Depth=3
	v_or_b32_e32 v27, 0x10000, v35
	v_cmp_eq_u32_sdwa s[24:25], v35, v3 src0_sel:WORD_0 src1_sel:DWORD
	s_nop 1
	v_cndmask_b32_e64 v27, v27, v35, s[24:25]
; %bb.1902:                             ;   in Loop: Header=BB36_1774 Depth=3
	s_or_b64 exec, exec, s[40:41]
	v_and_b32_e32 v35, 0xffff0000, v87
	v_lshlrev_b32_e32 v67, 16, v20
	v_max_f32_e32 v35, v35, v35
	v_max_f32_e32 v67, v67, v67
	v_min_f32_e32 v87, v35, v67
	v_max_f32_e32 v35, v35, v67
	v_cndmask_b32_e32 v67, v35, v87, vcc
	v_and_b32_e32 v35, 0x7f800000, v67
	v_cmp_ne_u32_e64 s[24:25], s35, v35
                                        ; implicit-def: $vgpr35
	s_and_saveexec_b64 s[40:41], s[24:25]
	s_xor_b64 s[24:25], exec, s[40:41]
; %bb.1903:                             ;   in Loop: Header=BB36_1774 Depth=3
	v_bfe_u32 v35, v67, 16, 1
	v_add3_u32 v35, v67, v35, s8
                                        ; implicit-def: $vgpr67
; %bb.1904:                             ;   in Loop: Header=BB36_1774 Depth=3
	s_andn2_saveexec_b64 s[40:41], s[24:25]
; %bb.1905:                             ;   in Loop: Header=BB36_1774 Depth=3
	v_or_b32_e32 v35, 0x10000, v67
	v_cmp_eq_u32_sdwa s[24:25], v67, v3 src0_sel:WORD_0 src1_sel:DWORD
	s_nop 1
	v_cndmask_b32_e64 v35, v35, v67, s[24:25]
; %bb.1906:                             ;   in Loop: Header=BB36_1774 Depth=3
	s_or_b64 exec, exec, s[40:41]
	v_and_b32_e32 v20, 0xffff0000, v20
	v_and_b32_e32 v67, 0xffff0000, v68
	v_max_f32_e32 v20, v20, v20
	v_max_f32_e32 v67, v67, v67
	v_min_f32_e32 v68, v67, v20
	v_max_f32_e32 v20, v67, v20
	v_cndmask_b32_e32 v20, v20, v68, vcc
	v_and_b32_e32 v67, 0x7f800000, v20
	v_cmp_ne_u32_e64 s[24:25], s35, v67
                                        ; implicit-def: $vgpr67
	s_and_saveexec_b64 s[40:41], s[24:25]
	s_xor_b64 s[24:25], exec, s[40:41]
; %bb.1907:                             ;   in Loop: Header=BB36_1774 Depth=3
	v_bfe_u32 v67, v20, 16, 1
	v_add3_u32 v67, v20, v67, s8
                                        ; implicit-def: $vgpr20
; %bb.1908:                             ;   in Loop: Header=BB36_1774 Depth=3
	s_andn2_saveexec_b64 s[40:41], s[24:25]
; %bb.1909:                             ;   in Loop: Header=BB36_1774 Depth=3
	v_or_b32_e32 v67, 0x10000, v20
	v_cmp_eq_u32_sdwa s[24:25], v20, v3 src0_sel:WORD_0 src1_sel:DWORD
	s_nop 1
	v_cndmask_b32_e64 v67, v67, v20, s[24:25]
; %bb.1910:                             ;   in Loop: Header=BB36_1774 Depth=3
	s_or_b64 exec, exec, s[40:41]
	v_and_b32_e32 v20, 0xffff0000, v80
	v_lshlrev_b32_e32 v68, 16, v21
	v_max_f32_e32 v20, v20, v20
	v_max_f32_e32 v68, v68, v68
	v_min_f32_e32 v80, v20, v68
	v_max_f32_e32 v20, v20, v68
	v_cndmask_b32_e32 v20, v20, v80, vcc
	v_and_b32_e32 v68, 0x7f800000, v20
	v_cmp_ne_u32_e64 s[24:25], s35, v68
                                        ; implicit-def: $vgpr68
	s_and_saveexec_b64 s[40:41], s[24:25]
	s_xor_b64 s[24:25], exec, s[40:41]
; %bb.1911:                             ;   in Loop: Header=BB36_1774 Depth=3
	v_bfe_u32 v68, v20, 16, 1
	v_add3_u32 v68, v20, v68, s8
                                        ; implicit-def: $vgpr20
; %bb.1912:                             ;   in Loop: Header=BB36_1774 Depth=3
	s_andn2_saveexec_b64 s[40:41], s[24:25]
; %bb.1913:                             ;   in Loop: Header=BB36_1774 Depth=3
	v_or_b32_e32 v68, 0x10000, v20
	v_cmp_eq_u32_sdwa s[24:25], v20, v3 src0_sel:WORD_0 src1_sel:DWORD
	s_nop 1
	v_cndmask_b32_e64 v68, v68, v20, s[24:25]
; %bb.1914:                             ;   in Loop: Header=BB36_1774 Depth=3
	s_or_b64 exec, exec, s[40:41]
	v_and_b32_e32 v20, 0xffff0000, v21
	v_and_b32_e32 v21, 0xffff0000, v69
	v_max_f32_e32 v20, v20, v20
	v_max_f32_e32 v21, v21, v21
	v_min_f32_e32 v69, v21, v20
	v_max_f32_e32 v20, v21, v20
	v_cndmask_b32_e32 v20, v20, v69, vcc
	v_and_b32_e32 v21, 0x7f800000, v20
	v_cmp_ne_u32_e64 s[24:25], s35, v21
                                        ; implicit-def: $vgpr69
	s_and_saveexec_b64 s[40:41], s[24:25]
	s_xor_b64 s[24:25], exec, s[40:41]
; %bb.1915:                             ;   in Loop: Header=BB36_1774 Depth=3
	v_bfe_u32 v21, v20, 16, 1
	v_add3_u32 v69, v20, v21, s8
                                        ; implicit-def: $vgpr20
; %bb.1916:                             ;   in Loop: Header=BB36_1774 Depth=3
	s_andn2_saveexec_b64 s[40:41], s[24:25]
; %bb.1917:                             ;   in Loop: Header=BB36_1774 Depth=3
	v_or_b32_e32 v21, 0x10000, v20
	v_cmp_eq_u32_sdwa s[24:25], v20, v3 src0_sel:WORD_0 src1_sel:DWORD
	s_nop 1
	v_cndmask_b32_e64 v69, v21, v20, s[24:25]
; %bb.1918:                             ;   in Loop: Header=BB36_1774 Depth=3
	s_or_b64 exec, exec, s[40:41]
	v_and_b32_e32 v20, 0xffff0000, v81
	v_lshlrev_b32_e32 v21, 16, v22
	v_max_f32_e32 v20, v20, v20
	v_max_f32_e32 v21, v21, v21
	v_min_f32_e32 v80, v20, v21
	v_max_f32_e32 v20, v20, v21
	v_cndmask_b32_e32 v20, v20, v80, vcc
	v_and_b32_e32 v21, 0x7f800000, v20
	v_cmp_ne_u32_e64 s[24:25], s35, v21
                                        ; implicit-def: $vgpr80
	s_and_saveexec_b64 s[40:41], s[24:25]
	s_xor_b64 s[24:25], exec, s[40:41]
; %bb.1919:                             ;   in Loop: Header=BB36_1774 Depth=3
	v_bfe_u32 v21, v20, 16, 1
	v_add3_u32 v80, v20, v21, s8
                                        ; implicit-def: $vgpr20
; %bb.1920:                             ;   in Loop: Header=BB36_1774 Depth=3
	s_andn2_saveexec_b64 s[40:41], s[24:25]
; %bb.1921:                             ;   in Loop: Header=BB36_1774 Depth=3
	v_or_b32_e32 v21, 0x10000, v20
	v_cmp_eq_u32_sdwa s[24:25], v20, v3 src0_sel:WORD_0 src1_sel:DWORD
	s_nop 1
	v_cndmask_b32_e64 v80, v21, v20, s[24:25]
; %bb.1922:                             ;   in Loop: Header=BB36_1774 Depth=3
	s_or_b64 exec, exec, s[40:41]
	v_and_b32_e32 v20, 0xffff0000, v22
	v_and_b32_e32 v21, 0xffff0000, v70
	v_max_f32_e32 v20, v20, v20
	v_max_f32_e32 v21, v21, v21
	v_min_f32_e32 v22, v21, v20
	v_max_f32_e32 v20, v21, v20
	v_cndmask_b32_e32 v20, v20, v22, vcc
	v_and_b32_e32 v21, 0x7f800000, v20
	v_cmp_ne_u32_e64 s[24:25], s35, v21
                                        ; implicit-def: $vgpr22
	s_and_saveexec_b64 s[40:41], s[24:25]
	s_xor_b64 s[24:25], exec, s[40:41]
; %bb.1923:                             ;   in Loop: Header=BB36_1774 Depth=3
	v_bfe_u32 v21, v20, 16, 1
	v_add3_u32 v22, v20, v21, s8
                                        ; implicit-def: $vgpr20
; %bb.1924:                             ;   in Loop: Header=BB36_1774 Depth=3
	s_andn2_saveexec_b64 s[40:41], s[24:25]
; %bb.1925:                             ;   in Loop: Header=BB36_1774 Depth=3
	v_or_b32_e32 v21, 0x10000, v20
	v_cmp_eq_u32_sdwa s[24:25], v20, v3 src0_sel:WORD_0 src1_sel:DWORD
	s_nop 1
	v_cndmask_b32_e64 v22, v21, v20, s[24:25]
; %bb.1926:                             ;   in Loop: Header=BB36_1774 Depth=3
	s_or_b64 exec, exec, s[40:41]
	v_and_b32_e32 v20, 0xffff0000, v82
	v_lshlrev_b32_e32 v21, 16, v23
	v_max_f32_e32 v20, v20, v20
	v_max_f32_e32 v21, v21, v21
	v_min_f32_e32 v70, v20, v21
	v_max_f32_e32 v20, v20, v21
	v_cndmask_b32_e32 v20, v20, v70, vcc
	v_and_b32_e32 v21, 0x7f800000, v20
	v_cmp_ne_u32_e64 s[24:25], s35, v21
                                        ; implicit-def: $vgpr70
	s_and_saveexec_b64 s[40:41], s[24:25]
	s_xor_b64 s[24:25], exec, s[40:41]
; %bb.1927:                             ;   in Loop: Header=BB36_1774 Depth=3
	v_bfe_u32 v21, v20, 16, 1
	v_add3_u32 v70, v20, v21, s8
                                        ; implicit-def: $vgpr20
; %bb.1928:                             ;   in Loop: Header=BB36_1774 Depth=3
	s_andn2_saveexec_b64 s[40:41], s[24:25]
; %bb.1929:                             ;   in Loop: Header=BB36_1774 Depth=3
	v_or_b32_e32 v21, 0x10000, v20
	v_cmp_eq_u32_sdwa s[24:25], v20, v3 src0_sel:WORD_0 src1_sel:DWORD
	s_nop 1
	v_cndmask_b32_e64 v70, v21, v20, s[24:25]
; %bb.1930:                             ;   in Loop: Header=BB36_1774 Depth=3
	s_or_b64 exec, exec, s[40:41]
	v_and_b32_e32 v20, 0xffff0000, v23
	v_and_b32_e32 v21, 0xffff0000, v71
	v_max_f32_e32 v20, v20, v20
	v_max_f32_e32 v21, v21, v21
	v_min_f32_e32 v23, v21, v20
	v_max_f32_e32 v20, v21, v20
	v_cndmask_b32_e32 v20, v20, v23, vcc
	v_and_b32_e32 v21, 0x7f800000, v20
	v_cmp_ne_u32_e64 s[24:25], s35, v21
                                        ; implicit-def: $vgpr23
	s_and_saveexec_b64 s[40:41], s[24:25]
	s_xor_b64 s[24:25], exec, s[40:41]
; %bb.1931:                             ;   in Loop: Header=BB36_1774 Depth=3
	v_bfe_u32 v21, v20, 16, 1
	v_add3_u32 v23, v20, v21, s8
                                        ; implicit-def: $vgpr20
; %bb.1932:                             ;   in Loop: Header=BB36_1774 Depth=3
	s_andn2_saveexec_b64 s[40:41], s[24:25]
; %bb.1933:                             ;   in Loop: Header=BB36_1774 Depth=3
	v_or_b32_e32 v21, 0x10000, v20
	v_cmp_eq_u32_sdwa s[24:25], v20, v3 src0_sel:WORD_0 src1_sel:DWORD
	s_nop 1
	v_cndmask_b32_e64 v23, v21, v20, s[24:25]
; %bb.1934:                             ;   in Loop: Header=BB36_1774 Depth=3
	s_or_b64 exec, exec, s[40:41]
	v_lshrrev_b32_e32 v35, 16, v35
	v_and_or_b32 v114, v67, s9, v35
	v_lshrrev_b32_e32 v35, 16, v80
	v_and_or_b32 v116, v22, s9, v35
	v_lshrrev_b32_e32 v22, 16, v70
	v_and_b32_e32 v71, 0xffff0000, v83
	v_and_or_b32 v117, v23, s9, v22
	v_lshlrev_b32_e32 v22, 16, v16
	v_max_f32_e32 v23, v71, v71
	v_max_f32_e32 v22, v22, v22
	v_min_f32_e32 v35, v23, v22
	v_max_f32_e32 v22, v23, v22
	v_cndmask_b32_e32 v23, v22, v35, vcc
	v_lshrrev_b32_e32 v68, 16, v68
	v_and_b32_e32 v22, 0x7f800000, v23
	v_lshl_add_u64 v[20:21], v[98:99], 0, v[112:113]
	v_and_or_b32 v115, v69, s9, v68
	v_cmp_ne_u32_e64 s[24:25], s35, v22
	global_store_dwordx4 v[20:21], v[114:117], off offset:-3072
                                        ; implicit-def: $vgpr22
	s_and_saveexec_b64 s[40:41], s[24:25]
	s_xor_b64 s[24:25], exec, s[40:41]
; %bb.1935:                             ;   in Loop: Header=BB36_1774 Depth=3
	v_bfe_u32 v22, v23, 16, 1
	v_add3_u32 v22, v23, v22, s8
                                        ; implicit-def: $vgpr23
; %bb.1936:                             ;   in Loop: Header=BB36_1774 Depth=3
	s_andn2_saveexec_b64 s[40:41], s[24:25]
; %bb.1937:                             ;   in Loop: Header=BB36_1774 Depth=3
	v_or_b32_e32 v22, 0x10000, v23
	v_cmp_eq_u32_sdwa s[24:25], v23, v3 src0_sel:WORD_0 src1_sel:DWORD
	s_nop 1
	v_cndmask_b32_e64 v22, v22, v23, s[24:25]
; %bb.1938:                             ;   in Loop: Header=BB36_1774 Depth=3
	s_or_b64 exec, exec, s[40:41]
	v_and_b32_e32 v16, 0xffff0000, v16
	v_and_b32_e32 v23, 0xffff0000, v30
	v_max_f32_e32 v16, v16, v16
	v_max_f32_e32 v23, v23, v23
	v_min_f32_e32 v30, v23, v16
	v_max_f32_e32 v16, v23, v16
	v_cndmask_b32_e32 v23, v16, v30, vcc
	v_and_b32_e32 v16, 0x7f800000, v23
	v_cmp_ne_u32_e64 s[24:25], s35, v16
                                        ; implicit-def: $vgpr16
	s_and_saveexec_b64 s[40:41], s[24:25]
	s_xor_b64 s[24:25], exec, s[40:41]
; %bb.1939:                             ;   in Loop: Header=BB36_1774 Depth=3
	v_bfe_u32 v16, v23, 16, 1
	v_add3_u32 v16, v23, v16, s8
                                        ; implicit-def: $vgpr23
; %bb.1940:                             ;   in Loop: Header=BB36_1774 Depth=3
	s_andn2_saveexec_b64 s[40:41], s[24:25]
; %bb.1941:                             ;   in Loop: Header=BB36_1774 Depth=3
	v_or_b32_e32 v16, 0x10000, v23
	v_cmp_eq_u32_sdwa s[24:25], v23, v3 src0_sel:WORD_0 src1_sel:DWORD
	s_nop 1
	v_cndmask_b32_e64 v16, v16, v23, s[24:25]
; %bb.1942:                             ;   in Loop: Header=BB36_1774 Depth=3
	s_or_b64 exec, exec, s[40:41]
	v_and_b32_e32 v23, 0xffff0000, v64
	v_lshlrev_b32_e32 v30, 16, v17
	v_max_f32_e32 v23, v23, v23
	v_max_f32_e32 v30, v30, v30
	v_min_f32_e32 v35, v23, v30
	v_max_f32_e32 v23, v23, v30
	v_cndmask_b32_e32 v30, v23, v35, vcc
	v_and_b32_e32 v23, 0x7f800000, v30
	v_cmp_ne_u32_e64 s[24:25], s35, v23
                                        ; implicit-def: $vgpr23
	s_and_saveexec_b64 s[40:41], s[24:25]
	s_xor_b64 s[24:25], exec, s[40:41]
; %bb.1943:                             ;   in Loop: Header=BB36_1774 Depth=3
	v_bfe_u32 v23, v30, 16, 1
	v_add3_u32 v23, v30, v23, s8
                                        ; implicit-def: $vgpr30
; %bb.1944:                             ;   in Loop: Header=BB36_1774 Depth=3
	s_andn2_saveexec_b64 s[40:41], s[24:25]
; %bb.1945:                             ;   in Loop: Header=BB36_1774 Depth=3
	v_or_b32_e32 v23, 0x10000, v30
	v_cmp_eq_u32_sdwa s[24:25], v30, v3 src0_sel:WORD_0 src1_sel:DWORD
	s_nop 1
	v_cndmask_b32_e64 v23, v23, v30, s[24:25]
; %bb.1946:                             ;   in Loop: Header=BB36_1774 Depth=3
	s_or_b64 exec, exec, s[40:41]
	v_and_b32_e32 v17, 0xffff0000, v17
	v_and_b32_e32 v30, 0xffff0000, v52
	v_max_f32_e32 v17, v17, v17
	v_max_f32_e32 v30, v30, v30
	v_min_f32_e32 v35, v30, v17
	v_max_f32_e32 v17, v30, v17
	v_cndmask_b32_e32 v30, v17, v35, vcc
	v_and_b32_e32 v17, 0x7f800000, v30
	v_cmp_ne_u32_e64 s[24:25], s35, v17
                                        ; implicit-def: $vgpr17
	s_and_saveexec_b64 s[40:41], s[24:25]
	s_xor_b64 s[24:25], exec, s[40:41]
; %bb.1947:                             ;   in Loop: Header=BB36_1774 Depth=3
	v_bfe_u32 v17, v30, 16, 1
	v_add3_u32 v17, v30, v17, s8
                                        ; implicit-def: $vgpr30
; %bb.1948:                             ;   in Loop: Header=BB36_1774 Depth=3
	s_andn2_saveexec_b64 s[40:41], s[24:25]
; %bb.1949:                             ;   in Loop: Header=BB36_1774 Depth=3
	v_or_b32_e32 v17, 0x10000, v30
	v_cmp_eq_u32_sdwa s[24:25], v30, v3 src0_sel:WORD_0 src1_sel:DWORD
	s_nop 1
	v_cndmask_b32_e64 v17, v17, v30, s[24:25]
; %bb.1950:                             ;   in Loop: Header=BB36_1774 Depth=3
	s_or_b64 exec, exec, s[40:41]
	v_and_b32_e32 v30, 0xffff0000, v65
	v_lshlrev_b32_e32 v35, 16, v18
	v_max_f32_e32 v30, v30, v30
	v_max_f32_e32 v35, v35, v35
	v_min_f32_e32 v52, v30, v35
	v_max_f32_e32 v30, v30, v35
	v_cndmask_b32_e32 v35, v30, v52, vcc
	v_and_b32_e32 v30, 0x7f800000, v35
	v_cmp_ne_u32_e64 s[24:25], s35, v30
                                        ; implicit-def: $vgpr30
	s_and_saveexec_b64 s[40:41], s[24:25]
	s_xor_b64 s[24:25], exec, s[40:41]
; %bb.1951:                             ;   in Loop: Header=BB36_1774 Depth=3
	v_bfe_u32 v30, v35, 16, 1
	v_add3_u32 v30, v35, v30, s8
                                        ; implicit-def: $vgpr35
; %bb.1952:                             ;   in Loop: Header=BB36_1774 Depth=3
	s_andn2_saveexec_b64 s[40:41], s[24:25]
; %bb.1953:                             ;   in Loop: Header=BB36_1774 Depth=3
	v_or_b32_e32 v30, 0x10000, v35
	v_cmp_eq_u32_sdwa s[24:25], v35, v3 src0_sel:WORD_0 src1_sel:DWORD
	s_nop 1
	v_cndmask_b32_e64 v30, v30, v35, s[24:25]
; %bb.1954:                             ;   in Loop: Header=BB36_1774 Depth=3
	s_or_b64 exec, exec, s[40:41]
	v_and_b32_e32 v18, 0xffff0000, v18
	v_and_b32_e32 v35, 0xffff0000, v53
	v_max_f32_e32 v18, v18, v18
	v_max_f32_e32 v35, v35, v35
	v_min_f32_e32 v52, v35, v18
	v_max_f32_e32 v18, v35, v18
	v_cndmask_b32_e32 v35, v18, v52, vcc
	v_and_b32_e32 v18, 0x7f800000, v35
	v_cmp_ne_u32_e64 s[24:25], s35, v18
                                        ; implicit-def: $vgpr18
	s_and_saveexec_b64 s[40:41], s[24:25]
	s_xor_b64 s[24:25], exec, s[40:41]
; %bb.1955:                             ;   in Loop: Header=BB36_1774 Depth=3
	v_bfe_u32 v18, v35, 16, 1
	v_add3_u32 v18, v35, v18, s8
                                        ; implicit-def: $vgpr35
; %bb.1956:                             ;   in Loop: Header=BB36_1774 Depth=3
	s_andn2_saveexec_b64 s[40:41], s[24:25]
; %bb.1957:                             ;   in Loop: Header=BB36_1774 Depth=3
	v_or_b32_e32 v18, 0x10000, v35
	v_cmp_eq_u32_sdwa s[24:25], v35, v3 src0_sel:WORD_0 src1_sel:DWORD
	s_nop 1
	v_cndmask_b32_e64 v18, v18, v35, s[24:25]
; %bb.1958:                             ;   in Loop: Header=BB36_1774 Depth=3
	s_or_b64 exec, exec, s[40:41]
	v_and_b32_e32 v35, 0xffff0000, v66
	v_lshlrev_b32_e32 v52, 16, v19
	v_max_f32_e32 v35, v35, v35
	v_max_f32_e32 v52, v52, v52
	v_min_f32_e32 v53, v35, v52
	v_max_f32_e32 v35, v35, v52
	v_cndmask_b32_e32 v52, v35, v53, vcc
	v_and_b32_e32 v35, 0x7f800000, v52
	v_cmp_ne_u32_e64 s[24:25], s35, v35
                                        ; implicit-def: $vgpr35
	s_and_saveexec_b64 s[40:41], s[24:25]
	s_xor_b64 s[24:25], exec, s[40:41]
; %bb.1959:                             ;   in Loop: Header=BB36_1774 Depth=3
	v_bfe_u32 v35, v52, 16, 1
	v_add3_u32 v35, v52, v35, s8
                                        ; implicit-def: $vgpr52
; %bb.1960:                             ;   in Loop: Header=BB36_1774 Depth=3
	s_andn2_saveexec_b64 s[40:41], s[24:25]
; %bb.1961:                             ;   in Loop: Header=BB36_1774 Depth=3
	v_or_b32_e32 v35, 0x10000, v52
	v_cmp_eq_u32_sdwa s[24:25], v52, v3 src0_sel:WORD_0 src1_sel:DWORD
	s_nop 1
	v_cndmask_b32_e64 v35, v35, v52, s[24:25]
; %bb.1962:                             ;   in Loop: Header=BB36_1774 Depth=3
	s_or_b64 exec, exec, s[40:41]
	v_and_b32_e32 v19, 0xffff0000, v19
	v_and_b32_e32 v52, 0xffff0000, v54
	v_max_f32_e32 v19, v19, v19
	v_max_f32_e32 v52, v52, v52
	v_min_f32_e32 v53, v52, v19
	v_max_f32_e32 v19, v52, v19
	v_cndmask_b32_e32 v52, v19, v53, vcc
	v_and_b32_e32 v19, 0x7f800000, v52
	v_cmp_ne_u32_e64 s[24:25], s35, v19
                                        ; implicit-def: $vgpr19
	s_and_saveexec_b64 s[40:41], s[24:25]
	s_xor_b64 s[24:25], exec, s[40:41]
; %bb.1963:                             ;   in Loop: Header=BB36_1774 Depth=3
	v_bfe_u32 v19, v52, 16, 1
	v_add3_u32 v19, v52, v19, s8
                                        ; implicit-def: $vgpr52
; %bb.1964:                             ;   in Loop: Header=BB36_1774 Depth=3
	s_andn2_saveexec_b64 s[40:41], s[24:25]
; %bb.1965:                             ;   in Loop: Header=BB36_1774 Depth=3
	v_or_b32_e32 v19, 0x10000, v52
	v_cmp_eq_u32_sdwa s[24:25], v52, v3 src0_sel:WORD_0 src1_sel:DWORD
	s_nop 1
	v_cndmask_b32_e64 v19, v19, v52, s[24:25]
; %bb.1966:                             ;   in Loop: Header=BB36_1774 Depth=3
	s_or_b64 exec, exec, s[40:41]
	v_lshrrev_b32_e32 v22, 16, v22
	v_and_or_b32 v16, v16, s9, v22
	v_lshrrev_b32_e32 v22, 16, v30
	v_lshrrev_b32_e32 v23, 16, v23
	v_and_or_b32 v18, v18, s9, v22
	v_lshrrev_b32_e32 v22, 16, v35
	v_and_or_b32 v17, v17, s9, v23
	v_and_or_b32 v19, v19, s9, v22
	v_and_b32_e32 v52, 0xffff0000, v55
	global_store_dwordx4 v[20:21], v[16:19], off offset:-2048
	s_nop 1
	v_lshlrev_b32_e32 v16, 16, v12
	v_max_f32_e32 v17, v52, v52
	v_max_f32_e32 v16, v16, v16
	v_min_f32_e32 v18, v17, v16
	v_max_f32_e32 v16, v17, v16
	v_cndmask_b32_e32 v17, v16, v18, vcc
	v_and_b32_e32 v16, 0x7f800000, v17
	v_cmp_ne_u32_e64 s[24:25], s35, v16
                                        ; implicit-def: $vgpr16
	s_and_saveexec_b64 s[40:41], s[24:25]
	s_xor_b64 s[24:25], exec, s[40:41]
; %bb.1967:                             ;   in Loop: Header=BB36_1774 Depth=3
	v_bfe_u32 v16, v17, 16, 1
	v_add3_u32 v16, v17, v16, s8
                                        ; implicit-def: $vgpr17
; %bb.1968:                             ;   in Loop: Header=BB36_1774 Depth=3
	s_andn2_saveexec_b64 s[40:41], s[24:25]
; %bb.1969:                             ;   in Loop: Header=BB36_1774 Depth=3
	v_or_b32_e32 v16, 0x10000, v17
	v_cmp_eq_u32_sdwa s[24:25], v17, v3 src0_sel:WORD_0 src1_sel:DWORD
	s_nop 1
	v_cndmask_b32_e64 v16, v16, v17, s[24:25]
; %bb.1970:                             ;   in Loop: Header=BB36_1774 Depth=3
	s_or_b64 exec, exec, s[40:41]
	v_and_b32_e32 v12, 0xffff0000, v12
	v_and_b32_e32 v17, 0xffff0000, v36
	v_max_f32_e32 v12, v12, v12
	v_max_f32_e32 v17, v17, v17
	v_min_f32_e32 v18, v17, v12
	v_max_f32_e32 v12, v17, v12
	v_cndmask_b32_e32 v17, v12, v18, vcc
	v_and_b32_e32 v12, 0x7f800000, v17
	v_cmp_ne_u32_e64 s[24:25], s35, v12
                                        ; implicit-def: $vgpr12
	s_and_saveexec_b64 s[40:41], s[24:25]
	s_xor_b64 s[24:25], exec, s[40:41]
; %bb.1971:                             ;   in Loop: Header=BB36_1774 Depth=3
	v_bfe_u32 v12, v17, 16, 1
	v_add3_u32 v12, v17, v12, s8
                                        ; implicit-def: $vgpr17
; %bb.1972:                             ;   in Loop: Header=BB36_1774 Depth=3
	s_andn2_saveexec_b64 s[40:41], s[24:25]
; %bb.1973:                             ;   in Loop: Header=BB36_1774 Depth=3
	v_or_b32_e32 v12, 0x10000, v17
	v_cmp_eq_u32_sdwa s[24:25], v17, v3 src0_sel:WORD_0 src1_sel:DWORD
	s_nop 1
	v_cndmask_b32_e64 v12, v12, v17, s[24:25]
; %bb.1974:                             ;   in Loop: Header=BB36_1774 Depth=3
	s_or_b64 exec, exec, s[40:41]
	v_and_b32_e32 v17, 0xffff0000, v48
	v_lshlrev_b32_e32 v18, 16, v13
	v_max_f32_e32 v17, v17, v17
	v_max_f32_e32 v18, v18, v18
	v_min_f32_e32 v19, v17, v18
	v_max_f32_e32 v17, v17, v18
	v_cndmask_b32_e32 v18, v17, v19, vcc
	v_and_b32_e32 v17, 0x7f800000, v18
	v_cmp_ne_u32_e64 s[24:25], s35, v17
                                        ; implicit-def: $vgpr17
	s_and_saveexec_b64 s[40:41], s[24:25]
	s_xor_b64 s[24:25], exec, s[40:41]
; %bb.1975:                             ;   in Loop: Header=BB36_1774 Depth=3
	v_bfe_u32 v17, v18, 16, 1
	v_add3_u32 v17, v18, v17, s8
                                        ; implicit-def: $vgpr18
; %bb.1976:                             ;   in Loop: Header=BB36_1774 Depth=3
	s_andn2_saveexec_b64 s[40:41], s[24:25]
; %bb.1977:                             ;   in Loop: Header=BB36_1774 Depth=3
	v_or_b32_e32 v17, 0x10000, v18
	v_cmp_eq_u32_sdwa s[24:25], v18, v3 src0_sel:WORD_0 src1_sel:DWORD
	s_nop 1
	v_cndmask_b32_e64 v17, v17, v18, s[24:25]
; %bb.1978:                             ;   in Loop: Header=BB36_1774 Depth=3
	s_or_b64 exec, exec, s[40:41]
	v_and_b32_e32 v13, 0xffff0000, v13
	v_and_b32_e32 v18, 0xffff0000, v37
	v_max_f32_e32 v13, v13, v13
	v_max_f32_e32 v18, v18, v18
	v_min_f32_e32 v19, v18, v13
	v_max_f32_e32 v13, v18, v13
	v_cndmask_b32_e32 v18, v13, v19, vcc
	v_and_b32_e32 v13, 0x7f800000, v18
	v_cmp_ne_u32_e64 s[24:25], s35, v13
                                        ; implicit-def: $vgpr13
	s_and_saveexec_b64 s[40:41], s[24:25]
	s_xor_b64 s[24:25], exec, s[40:41]
; %bb.1979:                             ;   in Loop: Header=BB36_1774 Depth=3
	v_bfe_u32 v13, v18, 16, 1
	v_add3_u32 v13, v18, v13, s8
                                        ; implicit-def: $vgpr18
; %bb.1980:                             ;   in Loop: Header=BB36_1774 Depth=3
	s_andn2_saveexec_b64 s[40:41], s[24:25]
; %bb.1981:                             ;   in Loop: Header=BB36_1774 Depth=3
	v_or_b32_e32 v13, 0x10000, v18
	v_cmp_eq_u32_sdwa s[24:25], v18, v3 src0_sel:WORD_0 src1_sel:DWORD
	s_nop 1
	v_cndmask_b32_e64 v13, v13, v18, s[24:25]
; %bb.1982:                             ;   in Loop: Header=BB36_1774 Depth=3
	s_or_b64 exec, exec, s[40:41]
	v_and_b32_e32 v18, 0xffff0000, v49
	v_lshlrev_b32_e32 v19, 16, v14
	v_max_f32_e32 v18, v18, v18
	v_max_f32_e32 v19, v19, v19
	v_min_f32_e32 v22, v18, v19
	v_max_f32_e32 v18, v18, v19
	v_cndmask_b32_e32 v19, v18, v22, vcc
	v_and_b32_e32 v18, 0x7f800000, v19
	v_cmp_ne_u32_e64 s[24:25], s35, v18
                                        ; implicit-def: $vgpr18
	s_and_saveexec_b64 s[40:41], s[24:25]
	s_xor_b64 s[24:25], exec, s[40:41]
; %bb.1983:                             ;   in Loop: Header=BB36_1774 Depth=3
	v_bfe_u32 v18, v19, 16, 1
	v_add3_u32 v18, v19, v18, s8
                                        ; implicit-def: $vgpr19
; %bb.1984:                             ;   in Loop: Header=BB36_1774 Depth=3
	s_andn2_saveexec_b64 s[40:41], s[24:25]
; %bb.1985:                             ;   in Loop: Header=BB36_1774 Depth=3
	v_or_b32_e32 v18, 0x10000, v19
	v_cmp_eq_u32_sdwa s[24:25], v19, v3 src0_sel:WORD_0 src1_sel:DWORD
	s_nop 1
	v_cndmask_b32_e64 v18, v18, v19, s[24:25]
; %bb.1986:                             ;   in Loop: Header=BB36_1774 Depth=3
	s_or_b64 exec, exec, s[40:41]
	v_and_b32_e32 v14, 0xffff0000, v14
	v_and_b32_e32 v19, 0xffff0000, v38
	v_max_f32_e32 v14, v14, v14
	v_max_f32_e32 v19, v19, v19
	v_min_f32_e32 v22, v19, v14
	v_max_f32_e32 v14, v19, v14
	v_cndmask_b32_e32 v19, v14, v22, vcc
	v_and_b32_e32 v14, 0x7f800000, v19
	v_cmp_ne_u32_e64 s[24:25], s35, v14
                                        ; implicit-def: $vgpr14
	s_and_saveexec_b64 s[40:41], s[24:25]
	s_xor_b64 s[24:25], exec, s[40:41]
; %bb.1987:                             ;   in Loop: Header=BB36_1774 Depth=3
	v_bfe_u32 v14, v19, 16, 1
	v_add3_u32 v14, v19, v14, s8
                                        ; implicit-def: $vgpr19
; %bb.1988:                             ;   in Loop: Header=BB36_1774 Depth=3
	s_andn2_saveexec_b64 s[40:41], s[24:25]
; %bb.1989:                             ;   in Loop: Header=BB36_1774 Depth=3
	v_or_b32_e32 v14, 0x10000, v19
	v_cmp_eq_u32_sdwa s[24:25], v19, v3 src0_sel:WORD_0 src1_sel:DWORD
	s_nop 1
	v_cndmask_b32_e64 v14, v14, v19, s[24:25]
; %bb.1990:                             ;   in Loop: Header=BB36_1774 Depth=3
	s_or_b64 exec, exec, s[40:41]
	v_and_b32_e32 v19, 0xffff0000, v50
	v_lshlrev_b32_e32 v22, 16, v15
	v_max_f32_e32 v19, v19, v19
	v_max_f32_e32 v22, v22, v22
	v_min_f32_e32 v23, v19, v22
	v_max_f32_e32 v19, v19, v22
	v_cndmask_b32_e32 v22, v19, v23, vcc
	v_and_b32_e32 v19, 0x7f800000, v22
	v_cmp_ne_u32_e64 s[24:25], s35, v19
                                        ; implicit-def: $vgpr19
	s_and_saveexec_b64 s[40:41], s[24:25]
	s_xor_b64 s[24:25], exec, s[40:41]
; %bb.1991:                             ;   in Loop: Header=BB36_1774 Depth=3
	v_bfe_u32 v19, v22, 16, 1
	v_add3_u32 v19, v22, v19, s8
                                        ; implicit-def: $vgpr22
; %bb.1992:                             ;   in Loop: Header=BB36_1774 Depth=3
	s_andn2_saveexec_b64 s[40:41], s[24:25]
; %bb.1993:                             ;   in Loop: Header=BB36_1774 Depth=3
	v_or_b32_e32 v19, 0x10000, v22
	v_cmp_eq_u32_sdwa s[24:25], v22, v3 src0_sel:WORD_0 src1_sel:DWORD
	s_nop 1
	v_cndmask_b32_e64 v19, v19, v22, s[24:25]
; %bb.1994:                             ;   in Loop: Header=BB36_1774 Depth=3
	s_or_b64 exec, exec, s[40:41]
	v_and_b32_e32 v15, 0xffff0000, v15
	v_and_b32_e32 v22, 0xffff0000, v39
	v_max_f32_e32 v15, v15, v15
	v_max_f32_e32 v22, v22, v22
	v_min_f32_e32 v23, v22, v15
	v_max_f32_e32 v15, v22, v15
	v_cndmask_b32_e32 v22, v15, v23, vcc
	v_and_b32_e32 v15, 0x7f800000, v22
	v_cmp_ne_u32_e64 s[24:25], s35, v15
                                        ; implicit-def: $vgpr15
	s_and_saveexec_b64 s[40:41], s[24:25]
	s_xor_b64 s[24:25], exec, s[40:41]
; %bb.1995:                             ;   in Loop: Header=BB36_1774 Depth=3
	v_bfe_u32 v15, v22, 16, 1
	v_add3_u32 v15, v22, v15, s8
                                        ; implicit-def: $vgpr22
; %bb.1996:                             ;   in Loop: Header=BB36_1774 Depth=3
	s_andn2_saveexec_b64 s[40:41], s[24:25]
; %bb.1997:                             ;   in Loop: Header=BB36_1774 Depth=3
	v_or_b32_e32 v15, 0x10000, v22
	v_cmp_eq_u32_sdwa s[24:25], v22, v3 src0_sel:WORD_0 src1_sel:DWORD
	s_nop 1
	v_cndmask_b32_e64 v15, v15, v22, s[24:25]
; %bb.1998:                             ;   in Loop: Header=BB36_1774 Depth=3
	s_or_b64 exec, exec, s[40:41]
	v_lshrrev_b32_e32 v16, 16, v16
	v_and_or_b32 v12, v12, s9, v16
	v_lshrrev_b32_e32 v16, 16, v18
	v_lshrrev_b32_e32 v17, 16, v17
	v_and_or_b32 v14, v14, s9, v16
	v_lshrrev_b32_e32 v16, 16, v19
	v_and_or_b32 v13, v13, s9, v17
	v_and_or_b32 v15, v15, s9, v16
	v_and_b32_e32 v22, 0xffff0000, v51
	global_store_dwordx4 v[20:21], v[12:15], off offset:-1024
	s_nop 1
	v_lshlrev_b32_e32 v12, 16, v8
	v_max_f32_e32 v13, v22, v22
	v_max_f32_e32 v12, v12, v12
	v_min_f32_e32 v14, v13, v12
	v_max_f32_e32 v12, v13, v12
	v_cndmask_b32_e32 v13, v12, v14, vcc
	v_and_b32_e32 v12, 0x7f800000, v13
	v_cmp_ne_u32_e64 s[24:25], s35, v12
                                        ; implicit-def: $vgpr12
	s_and_saveexec_b64 s[40:41], s[24:25]
	s_xor_b64 s[24:25], exec, s[40:41]
; %bb.1999:                             ;   in Loop: Header=BB36_1774 Depth=3
	v_bfe_u32 v12, v13, 16, 1
	v_add3_u32 v12, v13, v12, s8
                                        ; implicit-def: $vgpr13
; %bb.2000:                             ;   in Loop: Header=BB36_1774 Depth=3
	s_andn2_saveexec_b64 s[40:41], s[24:25]
; %bb.2001:                             ;   in Loop: Header=BB36_1774 Depth=3
	v_or_b32_e32 v12, 0x10000, v13
	v_cmp_eq_u32_sdwa s[24:25], v13, v3 src0_sel:WORD_0 src1_sel:DWORD
	s_nop 1
	v_cndmask_b32_e64 v12, v12, v13, s[24:25]
; %bb.2002:                             ;   in Loop: Header=BB36_1774 Depth=3
	s_or_b64 exec, exec, s[40:41]
	v_and_b32_e32 v8, 0xffff0000, v8
	v_and_b32_e32 v13, 0xffff0000, v24
	v_max_f32_e32 v8, v8, v8
	v_max_f32_e32 v13, v13, v13
	v_min_f32_e32 v14, v13, v8
	v_max_f32_e32 v8, v13, v8
	v_cndmask_b32_e32 v13, v8, v14, vcc
	v_and_b32_e32 v8, 0x7f800000, v13
	v_cmp_ne_u32_e64 s[24:25], s35, v8
                                        ; implicit-def: $vgpr8
	s_and_saveexec_b64 s[40:41], s[24:25]
	s_xor_b64 s[24:25], exec, s[40:41]
; %bb.2003:                             ;   in Loop: Header=BB36_1774 Depth=3
	v_bfe_u32 v8, v13, 16, 1
	v_add3_u32 v8, v13, v8, s8
                                        ; implicit-def: $vgpr13
; %bb.2004:                             ;   in Loop: Header=BB36_1774 Depth=3
	s_andn2_saveexec_b64 s[40:41], s[24:25]
; %bb.2005:                             ;   in Loop: Header=BB36_1774 Depth=3
	v_or_b32_e32 v8, 0x10000, v13
	v_cmp_eq_u32_sdwa s[24:25], v13, v3 src0_sel:WORD_0 src1_sel:DWORD
	s_nop 1
	v_cndmask_b32_e64 v8, v8, v13, s[24:25]
; %bb.2006:                             ;   in Loop: Header=BB36_1774 Depth=3
	s_or_b64 exec, exec, s[40:41]
	v_and_b32_e32 v13, 0xffff0000, v32
	v_lshlrev_b32_e32 v14, 16, v9
	v_max_f32_e32 v13, v13, v13
	v_max_f32_e32 v14, v14, v14
	v_min_f32_e32 v15, v13, v14
	v_max_f32_e32 v13, v13, v14
	v_cndmask_b32_e32 v14, v13, v15, vcc
	v_and_b32_e32 v13, 0x7f800000, v14
	v_cmp_ne_u32_e64 s[24:25], s35, v13
                                        ; implicit-def: $vgpr13
	s_and_saveexec_b64 s[40:41], s[24:25]
	s_xor_b64 s[24:25], exec, s[40:41]
; %bb.2007:                             ;   in Loop: Header=BB36_1774 Depth=3
	v_bfe_u32 v13, v14, 16, 1
	v_add3_u32 v13, v14, v13, s8
                                        ; implicit-def: $vgpr14
; %bb.2008:                             ;   in Loop: Header=BB36_1774 Depth=3
	s_andn2_saveexec_b64 s[40:41], s[24:25]
; %bb.2009:                             ;   in Loop: Header=BB36_1774 Depth=3
	v_or_b32_e32 v13, 0x10000, v14
	v_cmp_eq_u32_sdwa s[24:25], v14, v3 src0_sel:WORD_0 src1_sel:DWORD
	s_nop 1
	v_cndmask_b32_e64 v13, v13, v14, s[24:25]
; %bb.2010:                             ;   in Loop: Header=BB36_1774 Depth=3
	s_or_b64 exec, exec, s[40:41]
	v_and_b32_e32 v9, 0xffff0000, v9
	v_and_b32_e32 v14, 0xffff0000, v25
	v_max_f32_e32 v9, v9, v9
	v_max_f32_e32 v14, v14, v14
	v_min_f32_e32 v15, v14, v9
	v_max_f32_e32 v9, v14, v9
	v_cndmask_b32_e32 v14, v9, v15, vcc
	v_and_b32_e32 v9, 0x7f800000, v14
	v_cmp_ne_u32_e64 s[24:25], s35, v9
                                        ; implicit-def: $vgpr9
	s_and_saveexec_b64 s[40:41], s[24:25]
	s_xor_b64 s[24:25], exec, s[40:41]
; %bb.2011:                             ;   in Loop: Header=BB36_1774 Depth=3
	v_bfe_u32 v9, v14, 16, 1
	v_add3_u32 v9, v14, v9, s8
                                        ; implicit-def: $vgpr14
; %bb.2012:                             ;   in Loop: Header=BB36_1774 Depth=3
	s_andn2_saveexec_b64 s[40:41], s[24:25]
; %bb.2013:                             ;   in Loop: Header=BB36_1774 Depth=3
	v_or_b32_e32 v9, 0x10000, v14
	v_cmp_eq_u32_sdwa s[24:25], v14, v3 src0_sel:WORD_0 src1_sel:DWORD
	s_nop 1
	v_cndmask_b32_e64 v9, v9, v14, s[24:25]
; %bb.2014:                             ;   in Loop: Header=BB36_1774 Depth=3
	s_or_b64 exec, exec, s[40:41]
	v_and_b32_e32 v14, 0xffff0000, v33
	v_lshlrev_b32_e32 v15, 16, v10
	v_max_f32_e32 v14, v14, v14
	v_max_f32_e32 v15, v15, v15
	v_min_f32_e32 v16, v14, v15
	v_max_f32_e32 v14, v14, v15
	v_cndmask_b32_e32 v15, v14, v16, vcc
	v_and_b32_e32 v14, 0x7f800000, v15
	v_cmp_ne_u32_e64 s[24:25], s35, v14
                                        ; implicit-def: $vgpr14
	s_and_saveexec_b64 s[40:41], s[24:25]
	s_xor_b64 s[24:25], exec, s[40:41]
; %bb.2015:                             ;   in Loop: Header=BB36_1774 Depth=3
	v_bfe_u32 v14, v15, 16, 1
	v_add3_u32 v14, v15, v14, s8
                                        ; implicit-def: $vgpr15
; %bb.2016:                             ;   in Loop: Header=BB36_1774 Depth=3
	s_andn2_saveexec_b64 s[40:41], s[24:25]
; %bb.2017:                             ;   in Loop: Header=BB36_1774 Depth=3
	v_or_b32_e32 v14, 0x10000, v15
	v_cmp_eq_u32_sdwa s[24:25], v15, v3 src0_sel:WORD_0 src1_sel:DWORD
	s_nop 1
	v_cndmask_b32_e64 v14, v14, v15, s[24:25]
; %bb.2018:                             ;   in Loop: Header=BB36_1774 Depth=3
	s_or_b64 exec, exec, s[40:41]
	v_and_b32_e32 v10, 0xffff0000, v10
	v_and_b32_e32 v15, 0xffff0000, v26
	v_max_f32_e32 v10, v10, v10
	v_max_f32_e32 v15, v15, v15
	v_min_f32_e32 v16, v15, v10
	v_max_f32_e32 v10, v15, v10
	v_cndmask_b32_e32 v15, v10, v16, vcc
	v_and_b32_e32 v10, 0x7f800000, v15
	v_cmp_ne_u32_e64 s[24:25], s35, v10
                                        ; implicit-def: $vgpr10
	s_and_saveexec_b64 s[40:41], s[24:25]
	s_xor_b64 s[24:25], exec, s[40:41]
; %bb.2019:                             ;   in Loop: Header=BB36_1774 Depth=3
	v_bfe_u32 v10, v15, 16, 1
	v_add3_u32 v10, v15, v10, s8
                                        ; implicit-def: $vgpr15
; %bb.2020:                             ;   in Loop: Header=BB36_1774 Depth=3
	s_andn2_saveexec_b64 s[40:41], s[24:25]
; %bb.2021:                             ;   in Loop: Header=BB36_1774 Depth=3
	v_or_b32_e32 v10, 0x10000, v15
	v_cmp_eq_u32_sdwa s[24:25], v15, v3 src0_sel:WORD_0 src1_sel:DWORD
	s_nop 1
	v_cndmask_b32_e64 v10, v10, v15, s[24:25]
; %bb.2022:                             ;   in Loop: Header=BB36_1774 Depth=3
	s_or_b64 exec, exec, s[40:41]
	v_and_b32_e32 v15, 0xffff0000, v34
	v_lshlrev_b32_e32 v16, 16, v11
	v_max_f32_e32 v15, v15, v15
	v_max_f32_e32 v16, v16, v16
	v_min_f32_e32 v17, v15, v16
	v_max_f32_e32 v15, v15, v16
	v_cndmask_b32_e32 v16, v15, v17, vcc
	v_and_b32_e32 v15, 0x7f800000, v16
	v_cmp_ne_u32_e64 s[24:25], s35, v15
                                        ; implicit-def: $vgpr15
	s_and_saveexec_b64 s[40:41], s[24:25]
	s_xor_b64 s[24:25], exec, s[40:41]
; %bb.2023:                             ;   in Loop: Header=BB36_1774 Depth=3
	v_bfe_u32 v15, v16, 16, 1
	v_add3_u32 v15, v16, v15, s8
                                        ; implicit-def: $vgpr16
; %bb.2024:                             ;   in Loop: Header=BB36_1774 Depth=3
	s_andn2_saveexec_b64 s[40:41], s[24:25]
; %bb.2025:                             ;   in Loop: Header=BB36_1774 Depth=3
	v_or_b32_e32 v15, 0x10000, v16
	v_cmp_eq_u32_sdwa s[24:25], v16, v3 src0_sel:WORD_0 src1_sel:DWORD
	s_nop 1
	v_cndmask_b32_e64 v15, v15, v16, s[24:25]
; %bb.2026:                             ;   in Loop: Header=BB36_1774 Depth=3
	s_or_b64 exec, exec, s[40:41]
	v_and_b32_e32 v11, 0xffff0000, v11
	v_and_b32_e32 v16, 0xffff0000, v27
	v_max_f32_e32 v11, v11, v11
	v_max_f32_e32 v16, v16, v16
	v_min_f32_e32 v17, v16, v11
	v_max_f32_e32 v11, v16, v11
	v_cndmask_b32_e32 v16, v11, v17, vcc
	v_and_b32_e32 v11, 0x7f800000, v16
	v_cmp_ne_u32_e64 s[24:25], s35, v11
                                        ; implicit-def: $vgpr11
	s_and_saveexec_b64 s[40:41], s[24:25]
	s_xor_b64 s[24:25], exec, s[40:41]
; %bb.2027:                             ;   in Loop: Header=BB36_1774 Depth=3
	v_bfe_u32 v11, v16, 16, 1
	v_add3_u32 v11, v16, v11, s8
                                        ; implicit-def: $vgpr16
; %bb.2028:                             ;   in Loop: Header=BB36_1774 Depth=3
	s_andn2_saveexec_b64 s[40:41], s[24:25]
	s_cbranch_execz .LBB36_1773
; %bb.2029:                             ;   in Loop: Header=BB36_1774 Depth=3
	v_or_b32_e32 v11, 0x10000, v16
	v_cmp_eq_u32_sdwa s[24:25], v16, v3 src0_sel:WORD_0 src1_sel:DWORD
	s_nop 1
	v_cndmask_b32_e64 v11, v11, v16, s[24:25]
	s_branch .LBB36_1773
.LBB36_2030:                            ;   in Loop: Header=BB36_1243 Depth=2
	s_or_b64 exec, exec, s[28:29]
.LBB36_2031:                            ;   in Loop: Header=BB36_1243 Depth=2
	s_or_b64 exec, exec, s[26:27]
	v_lshlrev_b32_e32 v24, 12, v85
	v_cmp_ne_u32_e32 vcc, v2, v24
	s_mov_b64 s[24:25], 0
	v_mov_b32_e32 v14, 0
                                        ; implicit-def: $vgpr15
	s_and_saveexec_b64 s[66:67], vcc
	s_cbranch_execz .LBB36_2069
; %bb.2032:                             ;   in Loop: Header=BB36_1243 Depth=2
	v_lshlrev_b32_e32 v0, 6, v7
	scratch_load_dword v7, off, s33 offset:344 ; 4-byte Folded Reload
	v_sub_u32_e32 v1, v2, v24
	v_ashrrev_i32_e32 v9, 31, v1
	v_lshrrev_b32_e32 v9, 22, v9
	v_add_u32_e32 v9, v1, v9
	v_and_b32_e32 v25, 0xfffffc00, v9
	v_sub_u32_e32 v26, v1, v25
	v_ashrrev_i32_e32 v10, 10, v9
	v_cmp_lt_i32_e32 vcc, 15, v26
	s_waitcnt vmcnt(0)
	v_and_b32_e32 v7, 63, v7
	v_sub_u32_e32 v0, v7, v0
	v_ashrrev_i32_e32 v7, 31, v0
	v_lshrrev_b32_e32 v7, 26, v7
	v_add_u32_e32 v7, v0, v7
	v_ashrrev_i32_e32 v8, 6, v7
	v_and_b32_e32 v7, 0xffffffc0, v7
	v_sub_u32_e32 v7, v0, v7
	v_lshlrev_b32_e32 v0, 4, v7
	v_lshl_add_u32 v0, v8, 10, v0
	v_sub_u32_e32 v30, v1, v0
	v_addc_co_u32_e64 v1, s[24:25], 0, v10, vcc
	v_sub_u32_e32 v27, v1, v8
	v_cmp_lt_i32_e64 s[24:25], 15, v30
	s_and_saveexec_b64 s[68:69], s[24:25]
	s_cbranch_execz .LBB36_2068
; %bb.2033:                             ;   in Loop: Header=BB36_1243 Depth=2
	s_trap 2
	ds_read_b64 v[8:9], v0
	v_add_u32_e32 v0, v0, v24
	s_and_b32 s74, s73, 1
	v_ashrrev_i32_e32 v1, 31, v0
	s_cmp_eq_u64 s[74:75], 0
	v_lshl_add_u64 v[20:21], v[0:1], 0, v[100:101]
	s_waitcnt lgkmcnt(0)
	v_lshl_add_u64 v[22:23], v[8:9], 0, v[0:1]
	s_mov_b64 s[70:71], 0
	s_cselect_b64 s[24:25], -1, 0
	s_branch .LBB36_2035
.LBB36_2034:                            ;   in Loop: Header=BB36_2035 Depth=3
	s_or_b64 exec, exec, s[28:29]
	v_and_b32_e32 v19, 0xffff0000, v33
	v_and_b32_e32 v32, 0xffff0000, v32
	v_and_b32_e32 v33, 0xffff0000, v34
	s_waitcnt vmcnt(0)
	v_and_b32_e32 v34, 0xffff0000, v8
	v_lshlrev_b32_e32 v8, 16, v8
	v_max_f32_e32 v32, v32, v32
	v_max_f32_e32 v8, v8, v8
	v_min_f32_e32 v35, v32, v8
	v_max_f32_e32 v8, v32, v8
	v_cndmask_b32_e64 v8, v8, v35, s[24:25]
	v_and_b32_e32 v16, 0xffff0000, v16
	v_and_b32_e32 v32, 0x7f800000, v8
	v_cmp_eq_u32_e64 s[26:27], s35, v32
	v_bfe_u32 v32, v8, 16, 1
	v_cmp_eq_u32_sdwa s[28:29], v8, v3 src0_sel:WORD_0 src1_sel:DWORD
	v_or_b32_e32 v35, 0x10000, v8
	v_max_f32_e32 v16, v16, v16
	v_max_f32_e32 v34, v34, v34
	v_add3_u32 v32, v8, v32, s8
	v_cndmask_b32_e64 v8, v35, v8, s[28:29]
	v_min_f32_e32 v35, v16, v34
	v_max_f32_e32 v16, v16, v34
	v_cndmask_b32_e64 v16, v16, v35, s[24:25]
	v_and_b32_e32 v34, 0x7f800000, v16
	v_cmp_eq_u32_e64 s[28:29], s35, v34
	v_bfe_u32 v34, v16, 16, 1
	v_cmp_eq_u32_sdwa s[40:41], v16, v3 src0_sel:WORD_0 src1_sel:DWORD
	v_or_b32_e32 v35, 0x10000, v16
	v_add3_u32 v34, v16, v34, s8
	v_cndmask_b32_e64 v16, v35, v16, s[40:41]
	v_and_b32_e32 v35, 0xffff0000, v9
	v_lshlrev_b32_e32 v9, 16, v9
	v_max_f32_e32 v19, v19, v19
	v_max_f32_e32 v9, v9, v9
	v_min_f32_e32 v36, v19, v9
	v_max_f32_e32 v9, v19, v9
	v_cndmask_b32_e64 v9, v9, v36, s[24:25]
	v_and_b32_e32 v17, 0xffff0000, v17
	v_and_b32_e32 v19, 0x7f800000, v9
	v_cmp_eq_u32_e64 s[40:41], s35, v19
	v_bfe_u32 v19, v9, 16, 1
	v_cmp_eq_u32_sdwa s[42:43], v9, v3 src0_sel:WORD_0 src1_sel:DWORD
	v_or_b32_e32 v36, 0x10000, v9
	v_max_f32_e32 v17, v17, v17
	v_max_f32_e32 v35, v35, v35
	v_add3_u32 v19, v9, v19, s8
	v_cndmask_b32_e64 v9, v36, v9, s[42:43]
	v_min_f32_e32 v36, v17, v35
	v_max_f32_e32 v17, v17, v35
	v_cndmask_b32_e64 v17, v17, v36, s[24:25]
	v_and_b32_e32 v35, 0x7f800000, v17
	v_cmp_eq_u32_e64 s[42:43], s35, v35
	v_bfe_u32 v35, v17, 16, 1
	v_cmp_eq_u32_sdwa s[44:45], v17, v3 src0_sel:WORD_0 src1_sel:DWORD
	v_or_b32_e32 v36, 0x10000, v17
	v_add3_u32 v35, v17, v35, s8
	v_cndmask_b32_e64 v17, v36, v17, s[44:45]
	v_and_b32_e32 v36, 0xffff0000, v10
	v_lshlrev_b32_e32 v10, 16, v10
	v_max_f32_e32 v33, v33, v33
	v_max_f32_e32 v10, v10, v10
	v_min_f32_e32 v37, v33, v10
	v_max_f32_e32 v10, v33, v10
	v_cndmask_b32_e64 v10, v10, v37, s[24:25]
	v_and_b32_e32 v14, 0xffff0000, v14
	v_and_b32_e32 v33, 0x7f800000, v10
	v_cmp_eq_u32_e64 s[44:45], s35, v33
	v_bfe_u32 v33, v10, 16, 1
	v_cmp_eq_u32_sdwa s[46:47], v10, v3 src0_sel:WORD_0 src1_sel:DWORD
	v_or_b32_e32 v37, 0x10000, v10
	v_max_f32_e32 v14, v14, v14
	v_max_f32_e32 v36, v36, v36
	v_add3_u32 v33, v10, v33, s8
	v_cndmask_b32_e64 v10, v37, v10, s[46:47]
	v_min_f32_e32 v37, v14, v36
	v_max_f32_e32 v14, v14, v36
	v_cndmask_b32_e64 v14, v14, v37, s[24:25]
	v_and_b32_e32 v36, 0x7f800000, v14
	v_cmp_eq_u32_e64 s[46:47], s35, v36
	v_bfe_u32 v36, v14, 16, 1
	v_cmp_eq_u32_sdwa s[56:57], v14, v3 src0_sel:WORD_0 src1_sel:DWORD
	v_or_b32_e32 v37, 0x10000, v14
	v_and_b32_e32 v18, 0xffff0000, v18
	v_add3_u32 v36, v14, v36, s8
	v_cndmask_b32_e64 v14, v37, v14, s[56:57]
	v_and_b32_e32 v37, 0xffff0000, v11
	v_lshlrev_b32_e32 v11, 16, v11
	v_max_f32_e32 v18, v18, v18
	v_max_f32_e32 v11, v11, v11
	v_min_f32_e32 v38, v18, v11
	v_max_f32_e32 v11, v18, v11
	v_cndmask_b32_e64 v11, v11, v38, s[24:25]
	v_and_b32_e32 v15, 0xffff0000, v15
	v_and_b32_e32 v18, 0x7f800000, v11
	v_cmp_eq_u32_e64 s[56:57], s35, v18
	v_bfe_u32 v18, v11, 16, 1
	v_cmp_eq_u32_sdwa s[58:59], v11, v3 src0_sel:WORD_0 src1_sel:DWORD
	v_or_b32_e32 v38, 0x10000, v11
	v_max_f32_e32 v15, v15, v15
	v_max_f32_e32 v37, v37, v37
	v_add3_u32 v18, v11, v18, s8
	v_cndmask_b32_e64 v11, v38, v11, s[58:59]
	v_min_f32_e32 v38, v15, v37
	v_max_f32_e32 v15, v15, v37
	v_cndmask_b32_e64 v15, v15, v38, s[24:25]
	v_and_b32_e32 v37, 0x7f800000, v15
	v_cmp_eq_u32_e64 s[58:59], s35, v37
	v_bfe_u32 v37, v15, 16, 1
	v_cmp_eq_u32_sdwa s[60:61], v15, v3 src0_sel:WORD_0 src1_sel:DWORD
	v_or_b32_e32 v38, 0x10000, v15
	v_add3_u32 v37, v15, v37, s8
	v_cndmask_b32_e64 v15, v38, v15, s[60:61]
	v_cndmask_b32_e64 v8, v32, v8, s[26:27]
	;; [unrolled: 1-line block ×5, first 2 shown]
	v_sub_u32_e32 v30, v30, v76
	v_cndmask_b32_e64 v16, v34, v16, s[28:29]
	v_cndmask_b32_e64 v17, v35, v17, s[42:43]
	;; [unrolled: 1-line block ×4, first 2 shown]
	v_lshrrev_b32_e32 v9, 16, v9
	v_lshrrev_b32_e32 v8, 16, v8
	;; [unrolled: 1-line block ×4, first 2 shown]
	v_cmp_gt_i32_e64 s[26:27], 16, v30
	v_lshl_add_u64 v[12:13], v[98:99], 0, v[0:1]
	v_and_or_b32 v9, v17, s9, v9
	v_and_or_b32 v8, v16, s9, v8
	;; [unrolled: 1-line block ×4, first 2 shown]
	v_lshl_add_u64 v[20:21], v[20:21], 0, v[76:77]
	v_lshl_add_u64 v[22:23], v[22:23], 0, v[76:77]
	v_lshl_add_u64 v[0:1], v[0:1], 0, v[76:77]
	v_sub_u32_e32 v27, v27, v60
	s_or_b64 s[70:71], s[26:27], s[70:71]
	global_store_dwordx4 v[12:13], v[8:11], off
	s_andn2_b64 exec, exec, s[70:71]
	s_cbranch_execz .LBB36_2067
.LBB36_2035:                            ;   Parent Loop BB36_47 Depth=1
                                        ;     Parent Loop BB36_1243 Depth=2
                                        ; =>    This Inner Loop Header: Depth=3
	global_load_dwordx4 v[12:15], v[22:23], off nt
	global_load_dwordx4 v[16:19], v[20:21], off nt
	;; [unrolled: 1-line block ×3, first 2 shown]
	s_waitcnt vmcnt(2)
	v_lshlrev_b32_e32 v32, 16, v12
	s_waitcnt vmcnt(1)
	v_lshlrev_b32_e32 v33, 16, v16
	v_max_f32_e32 v32, v32, v32
	v_max_f32_e32 v33, v33, v33
	v_min_f32_e32 v34, v33, v32
	v_max_f32_e32 v32, v33, v32
	v_cndmask_b32_e64 v33, v32, v34, s[24:25]
	v_and_b32_e32 v32, 0x7f800000, v33
	v_cmp_ne_u32_e64 s[26:27], s35, v32
                                        ; implicit-def: $vgpr32
	s_and_saveexec_b64 s[28:29], s[26:27]
	s_xor_b64 s[26:27], exec, s[28:29]
; %bb.2036:                             ;   in Loop: Header=BB36_2035 Depth=3
	v_bfe_u32 v32, v33, 16, 1
	v_add3_u32 v32, v33, v32, s8
                                        ; implicit-def: $vgpr33
; %bb.2037:                             ;   in Loop: Header=BB36_2035 Depth=3
	s_andn2_saveexec_b64 s[28:29], s[26:27]
; %bb.2038:                             ;   in Loop: Header=BB36_2035 Depth=3
	v_or_b32_e32 v32, 0x10000, v33
	v_cmp_eq_u32_sdwa s[26:27], v33, v3 src0_sel:WORD_0 src1_sel:DWORD
	s_nop 1
	v_cndmask_b32_e64 v32, v32, v33, s[26:27]
; %bb.2039:                             ;   in Loop: Header=BB36_2035 Depth=3
	s_or_b64 exec, exec, s[28:29]
	v_and_b32_e32 v12, 0xffff0000, v12
	v_and_b32_e32 v16, 0xffff0000, v16
	v_max_f32_e32 v12, v12, v12
	v_max_f32_e32 v16, v16, v16
	v_min_f32_e32 v33, v16, v12
	v_max_f32_e32 v12, v16, v12
	v_cndmask_b32_e64 v12, v12, v33, s[24:25]
	v_and_b32_e32 v16, 0x7f800000, v12
	v_cmp_ne_u32_e64 s[26:27], s35, v16
                                        ; implicit-def: $vgpr16
	s_and_saveexec_b64 s[28:29], s[26:27]
	s_xor_b64 s[26:27], exec, s[28:29]
; %bb.2040:                             ;   in Loop: Header=BB36_2035 Depth=3
	v_bfe_u32 v16, v12, 16, 1
	v_add3_u32 v16, v12, v16, s8
                                        ; implicit-def: $vgpr12
; %bb.2041:                             ;   in Loop: Header=BB36_2035 Depth=3
	s_andn2_saveexec_b64 s[28:29], s[26:27]
; %bb.2042:                             ;   in Loop: Header=BB36_2035 Depth=3
	v_or_b32_e32 v16, 0x10000, v12
	v_cmp_eq_u32_sdwa s[26:27], v12, v3 src0_sel:WORD_0 src1_sel:DWORD
	s_nop 1
	v_cndmask_b32_e64 v16, v16, v12, s[26:27]
; %bb.2043:                             ;   in Loop: Header=BB36_2035 Depth=3
	s_or_b64 exec, exec, s[28:29]
	v_lshlrev_b32_e32 v12, 16, v13
	v_lshlrev_b32_e32 v33, 16, v17
	v_max_f32_e32 v12, v12, v12
	v_max_f32_e32 v33, v33, v33
	v_min_f32_e32 v34, v33, v12
	v_max_f32_e32 v12, v33, v12
	v_cndmask_b32_e64 v12, v12, v34, s[24:25]
	v_and_b32_e32 v33, 0x7f800000, v12
	v_cmp_ne_u32_e64 s[26:27], s35, v33
                                        ; implicit-def: $vgpr33
	s_and_saveexec_b64 s[28:29], s[26:27]
	s_xor_b64 s[26:27], exec, s[28:29]
; %bb.2044:                             ;   in Loop: Header=BB36_2035 Depth=3
	v_bfe_u32 v33, v12, 16, 1
	v_add3_u32 v33, v12, v33, s8
                                        ; implicit-def: $vgpr12
; %bb.2045:                             ;   in Loop: Header=BB36_2035 Depth=3
	s_andn2_saveexec_b64 s[28:29], s[26:27]
; %bb.2046:                             ;   in Loop: Header=BB36_2035 Depth=3
	v_or_b32_e32 v33, 0x10000, v12
	v_cmp_eq_u32_sdwa s[26:27], v12, v3 src0_sel:WORD_0 src1_sel:DWORD
	s_nop 1
	v_cndmask_b32_e64 v33, v33, v12, s[26:27]
; %bb.2047:                             ;   in Loop: Header=BB36_2035 Depth=3
	s_or_b64 exec, exec, s[28:29]
	v_and_b32_e32 v12, 0xffff0000, v17
	v_and_b32_e32 v13, 0xffff0000, v13
	v_max_f32_e32 v13, v13, v13
	v_max_f32_e32 v12, v12, v12
	v_min_f32_e32 v17, v12, v13
	v_max_f32_e32 v12, v12, v13
	v_cndmask_b32_e64 v12, v12, v17, s[24:25]
	v_and_b32_e32 v13, 0x7f800000, v12
	v_cmp_ne_u32_e64 s[26:27], s35, v13
                                        ; implicit-def: $vgpr17
	s_and_saveexec_b64 s[28:29], s[26:27]
	s_xor_b64 s[26:27], exec, s[28:29]
; %bb.2048:                             ;   in Loop: Header=BB36_2035 Depth=3
	v_bfe_u32 v13, v12, 16, 1
	v_add3_u32 v17, v12, v13, s8
                                        ; implicit-def: $vgpr12
; %bb.2049:                             ;   in Loop: Header=BB36_2035 Depth=3
	s_andn2_saveexec_b64 s[28:29], s[26:27]
; %bb.2050:                             ;   in Loop: Header=BB36_2035 Depth=3
	v_or_b32_e32 v13, 0x10000, v12
	v_cmp_eq_u32_sdwa s[26:27], v12, v3 src0_sel:WORD_0 src1_sel:DWORD
	s_nop 1
	v_cndmask_b32_e64 v17, v13, v12, s[26:27]
; %bb.2051:                             ;   in Loop: Header=BB36_2035 Depth=3
	s_or_b64 exec, exec, s[28:29]
	v_lshlrev_b32_e32 v12, 16, v14
	v_lshlrev_b32_e32 v13, 16, v18
	v_max_f32_e32 v12, v12, v12
	v_max_f32_e32 v13, v13, v13
	v_min_f32_e32 v34, v13, v12
	v_max_f32_e32 v12, v13, v12
	v_cndmask_b32_e64 v12, v12, v34, s[24:25]
	v_and_b32_e32 v13, 0x7f800000, v12
	v_cmp_ne_u32_e64 s[26:27], s35, v13
                                        ; implicit-def: $vgpr34
	s_and_saveexec_b64 s[28:29], s[26:27]
	s_xor_b64 s[26:27], exec, s[28:29]
; %bb.2052:                             ;   in Loop: Header=BB36_2035 Depth=3
	v_bfe_u32 v13, v12, 16, 1
	v_add3_u32 v34, v12, v13, s8
                                        ; implicit-def: $vgpr12
; %bb.2053:                             ;   in Loop: Header=BB36_2035 Depth=3
	s_andn2_saveexec_b64 s[28:29], s[26:27]
; %bb.2054:                             ;   in Loop: Header=BB36_2035 Depth=3
	v_or_b32_e32 v13, 0x10000, v12
	v_cmp_eq_u32_sdwa s[26:27], v12, v3 src0_sel:WORD_0 src1_sel:DWORD
	s_nop 1
	v_cndmask_b32_e64 v34, v13, v12, s[26:27]
; %bb.2055:                             ;   in Loop: Header=BB36_2035 Depth=3
	s_or_b64 exec, exec, s[28:29]
	v_and_b32_e32 v12, 0xffff0000, v18
	v_and_b32_e32 v13, 0xffff0000, v14
	v_max_f32_e32 v13, v13, v13
	v_max_f32_e32 v12, v12, v12
	v_min_f32_e32 v14, v12, v13
	v_max_f32_e32 v12, v12, v13
	v_cndmask_b32_e64 v12, v12, v14, s[24:25]
	v_and_b32_e32 v13, 0x7f800000, v12
	v_cmp_ne_u32_e64 s[26:27], s35, v13
                                        ; implicit-def: $vgpr14
	s_and_saveexec_b64 s[28:29], s[26:27]
	s_xor_b64 s[26:27], exec, s[28:29]
; %bb.2056:                             ;   in Loop: Header=BB36_2035 Depth=3
	v_bfe_u32 v13, v12, 16, 1
	v_add3_u32 v14, v12, v13, s8
                                        ; implicit-def: $vgpr12
; %bb.2057:                             ;   in Loop: Header=BB36_2035 Depth=3
	s_andn2_saveexec_b64 s[28:29], s[26:27]
; %bb.2058:                             ;   in Loop: Header=BB36_2035 Depth=3
	v_or_b32_e32 v13, 0x10000, v12
	v_cmp_eq_u32_sdwa s[26:27], v12, v3 src0_sel:WORD_0 src1_sel:DWORD
	s_nop 1
	v_cndmask_b32_e64 v14, v13, v12, s[26:27]
; %bb.2059:                             ;   in Loop: Header=BB36_2035 Depth=3
	s_or_b64 exec, exec, s[28:29]
	v_lshlrev_b32_e32 v12, 16, v15
	v_lshlrev_b32_e32 v13, 16, v19
	v_max_f32_e32 v12, v12, v12
	v_max_f32_e32 v13, v13, v13
	v_min_f32_e32 v18, v13, v12
	v_max_f32_e32 v12, v13, v12
	v_cndmask_b32_e64 v12, v12, v18, s[24:25]
	v_and_b32_e32 v13, 0x7f800000, v12
	v_cmp_ne_u32_e64 s[26:27], s35, v13
                                        ; implicit-def: $vgpr18
	s_and_saveexec_b64 s[28:29], s[26:27]
	s_xor_b64 s[26:27], exec, s[28:29]
; %bb.2060:                             ;   in Loop: Header=BB36_2035 Depth=3
	v_bfe_u32 v13, v12, 16, 1
	v_add3_u32 v18, v12, v13, s8
                                        ; implicit-def: $vgpr12
; %bb.2061:                             ;   in Loop: Header=BB36_2035 Depth=3
	s_andn2_saveexec_b64 s[28:29], s[26:27]
; %bb.2062:                             ;   in Loop: Header=BB36_2035 Depth=3
	v_or_b32_e32 v13, 0x10000, v12
	v_cmp_eq_u32_sdwa s[26:27], v12, v3 src0_sel:WORD_0 src1_sel:DWORD
	s_nop 1
	v_cndmask_b32_e64 v18, v13, v12, s[26:27]
; %bb.2063:                             ;   in Loop: Header=BB36_2035 Depth=3
	s_or_b64 exec, exec, s[28:29]
	v_and_b32_e32 v12, 0xffff0000, v19
	v_and_b32_e32 v13, 0xffff0000, v15
	v_max_f32_e32 v13, v13, v13
	v_max_f32_e32 v12, v12, v12
	v_min_f32_e32 v15, v12, v13
	v_max_f32_e32 v12, v12, v13
	v_cndmask_b32_e64 v12, v12, v15, s[24:25]
	v_and_b32_e32 v13, 0x7f800000, v12
	v_cmp_ne_u32_e64 s[26:27], s35, v13
                                        ; implicit-def: $vgpr15
	s_and_saveexec_b64 s[28:29], s[26:27]
	s_xor_b64 s[26:27], exec, s[28:29]
; %bb.2064:                             ;   in Loop: Header=BB36_2035 Depth=3
	v_bfe_u32 v13, v12, 16, 1
	v_add3_u32 v15, v12, v13, s8
                                        ; implicit-def: $vgpr12
; %bb.2065:                             ;   in Loop: Header=BB36_2035 Depth=3
	s_andn2_saveexec_b64 s[28:29], s[26:27]
	s_cbranch_execz .LBB36_2034
; %bb.2066:                             ;   in Loop: Header=BB36_2035 Depth=3
	v_or_b32_e32 v13, 0x10000, v12
	v_cmp_eq_u32_sdwa s[26:27], v12, v3 src0_sel:WORD_0 src1_sel:DWORD
	s_nop 1
	v_cndmask_b32_e64 v15, v13, v12, s[26:27]
	s_branch .LBB36_2034
.LBB36_2067:                            ;   in Loop: Header=BB36_1243 Depth=2
	s_or_b64 exec, exec, s[70:71]
.LBB36_2068:                            ;   in Loop: Header=BB36_1243 Depth=2
	s_or_b64 exec, exec, s[68:69]
	v_and_b32_e32 v0, 14, v2
	v_sub_u32_e32 v1, v26, v0
	v_cndmask_b32_e32 v1, 0, v1, vcc
	v_cndmask_b32_e32 v2, v26, v0, vcc
	v_cmp_lt_i32_e32 vcc, 0, v27
	v_add3_u32 v14, v25, v24, v1
	s_nop 0
	v_cndmask_b32_e32 v0, 0, v60, vcc
	v_sub_u32_e32 v0, v0, v27
	v_cmp_ne_u32_e32 vcc, 0, v2
	v_lshl_add_u32 v15, v0, 6, v7
	s_and_b64 s[24:25], vcc, exec
.LBB36_2069:                            ;   in Loop: Header=BB36_1243 Depth=2
	s_or_b64 exec, exec, s[66:67]
	s_and_saveexec_b64 s[26:27], s[24:25]
	s_cbranch_execz .LBB36_2210
.LBB36_2070:                            ;   in Loop: Header=BB36_1243 Depth=2
	s_waitcnt vmcnt(0)
	v_ashrrev_i32_e32 v0, 31, v15
	v_ashrrev_i32_e32 v1, 31, v2
	v_lshrrev_b32_e32 v0, 26, v0
	v_lshrrev_b32_e32 v1, 21, v1
	v_add_u32_e32 v0, v15, v0
	v_add_u32_e32 v1, v2, v1
	v_ashrrev_i32_e32 v7, 6, v0
	v_ashrrev_i32_e32 v17, 11, v1
	v_sub_u32_e32 v16, v17, v7
	v_cmp_lt_i32_e32 vcc, 0, v16
	s_and_saveexec_b64 s[28:29], vcc
	s_cbranch_execz .LBB36_2202
; %bb.2071:                             ;   in Loop: Header=BB36_1243 Depth=2
	v_and_b32_e32 v0, 0x7fffffc0, v0
	v_sub_u32_e32 v0, v15, v0
	v_lshlrev_b32_e32 v0, 1, v0
	s_trap 2
	ds_read_b64 v[8:9], v0
	v_lshlrev_b32_e32 v1, 11, v7
	v_add3_u32 v10, v0, v14, v1
	s_and_b32 s74, s73, 1
	v_ashrrev_i32_e32 v11, 31, v10
	s_cmp_eq_u64 s[74:75], 0
	v_lshl_add_u64 v[0:1], v[10:11], 0, v[100:101]
	s_waitcnt lgkmcnt(0)
	v_lshl_add_u64 v[8:9], v[8:9], 0, v[10:11]
	s_mov_b64 s[40:41], 0
	s_cselect_b64 s[24:25], -1, 0
	v_lshl_add_u64 v[10:11], v[10:11], 0, s[50:51]
	s_branch .LBB36_2073
.LBB36_2072:                            ;   in Loop: Header=BB36_2073 Depth=3
	s_or_b64 exec, exec, s[42:43]
	flat_store_short_d16_hi v[12:13], v19 nt
	scratch_load_dwordx2 v[12:13], off, s33 offset:272 ; 8-byte Folded Reload
	v_sub_u32_e32 v16, v16, v60
	v_cmp_gt_i32_e32 vcc, 1, v16
	s_or_b64 s[40:41], vcc, s[40:41]
	v_lshl_add_u64 v[10:11], v[10:11], 0, v[120:121]
	s_waitcnt vmcnt(0)
	v_lshl_add_u64 v[0:1], v[0:1], 0, v[12:13]
	v_lshl_add_u64 v[8:9], v[8:9], 0, v[12:13]
	s_andn2_b64 exec, exec, s[40:41]
	s_cbranch_execz .LBB36_2201
.LBB36_2073:                            ;   Parent Loop BB36_47 Depth=1
                                        ;     Parent Loop BB36_1243 Depth=2
                                        ; =>    This Inner Loop Header: Depth=3
	v_add_co_u32_e32 v12, vcc, 0xfffff880, v10
	s_nop 1
	v_addc_co_u32_e32 v13, vcc, -1, v11, vcc
	v_add_co_u32_e32 v18, vcc, 0xfffff900, v10
	flat_load_ushort v12, v[12:13] nt
	s_nop 0
	v_addc_co_u32_e32 v19, vcc, -1, v11, vcc
	flat_load_ushort v35, v[18:19] nt
	v_add_co_u32_e32 v18, vcc, 0xfffff980, v10
	s_nop 1
	v_addc_co_u32_e32 v19, vcc, -1, v11, vcc
	flat_load_ushort v34, v[18:19] nt
	v_add_co_u32_e32 v18, vcc, 0xfffffa00, v10
	;; [unrolled: 4-line block ×13, first 2 shown]
	s_nop 1
	v_addc_co_u32_e32 v19, vcc, -1, v11, vcc
	flat_load_ushort v19, v[18:19] nt
	s_nop 0
	flat_load_ushort v50, v[0:1] offset:1024 nt
	flat_load_ushort v49, v[0:1] offset:1152 nt
	;; [unrolled: 1-line block ×8, first 2 shown]
	flat_load_ushort v18, v[10:11] nt
	flat_load_ushort v67, v[0:1] offset:128 nt
	flat_load_ushort v65, v[0:1] offset:256 nt
	flat_load_ushort v64, v[0:1] offset:384 nt
	flat_load_ushort v55, v[0:1] offset:512 nt
	flat_load_ushort v54, v[0:1] offset:640 nt
	flat_load_ushort v53, v[0:1] offset:768 nt
	flat_load_ushort v52, v[0:1] offset:896 nt
	flat_load_ushort v66, v[0:1] nt
	flat_load_ushort v113, v[8:9] offset:128 nt
	flat_load_ushort v112, v[8:9] offset:256 nt
	flat_load_ushort v103, v[8:9] offset:384 nt
	flat_load_ushort v102, v[8:9] offset:512 nt
	flat_load_ushort v87, v[8:9] offset:640 nt
	flat_load_ushort v85, v[8:9] offset:768 nt
	flat_load_ushort v83, v[8:9] offset:896 nt
	;; [unrolled: 8-line block ×3, first 2 shown]
	flat_load_ushort v68, v[8:9] offset:1920 nt
	s_waitcnt vmcnt(0) lgkmcnt(0)
	v_lshlrev_b32_e32 v66, 16, v66
	v_max_f32_e32 v66, v66, v66
	v_lshlrev_b32_e32 v114, 16, v114
	v_max_f32_e32 v114, v114, v114
	v_min_f32_e32 v115, v66, v114
	v_max_f32_e32 v66, v66, v114
	v_cndmask_b32_e64 v114, v66, v115, s[24:25]
	v_and_b32_e32 v66, 0x7f800000, v114
	v_cmp_ne_u32_e32 vcc, s35, v66
                                        ; implicit-def: $vgpr66
	s_and_saveexec_b64 s[42:43], vcc
	s_xor_b64 s[42:43], exec, s[42:43]
; %bb.2074:                             ;   in Loop: Header=BB36_2073 Depth=3
	v_bfe_u32 v66, v114, 16, 1
	v_add3_u32 v66, v114, v66, s8
                                        ; implicit-def: $vgpr114
; %bb.2075:                             ;   in Loop: Header=BB36_2073 Depth=3
	s_andn2_saveexec_b64 s[42:43], s[42:43]
; %bb.2076:                             ;   in Loop: Header=BB36_2073 Depth=3
	v_or_b32_e32 v66, 0x10000, v114
	v_cmp_eq_u32_sdwa vcc, v114, v3 src0_sel:WORD_0 src1_sel:DWORD
	s_nop 1
	v_cndmask_b32_e32 v66, v66, v114, vcc
; %bb.2077:                             ;   in Loop: Header=BB36_2073 Depth=3
	s_or_b64 exec, exec, s[42:43]
	v_lshlrev_b32_e32 v67, 16, v67
	v_lshlrev_b32_e32 v113, 16, v113
	v_max_f32_e32 v113, v113, v113
	v_max_f32_e32 v67, v67, v67
	v_min_f32_e32 v114, v67, v113
	v_max_f32_e32 v67, v67, v113
	v_cndmask_b32_e64 v113, v67, v114, s[24:25]
	v_and_b32_e32 v67, 0x7f800000, v113
	v_cmp_ne_u32_e32 vcc, s35, v67
                                        ; implicit-def: $vgpr67
	s_and_saveexec_b64 s[42:43], vcc
	s_xor_b64 s[42:43], exec, s[42:43]
; %bb.2078:                             ;   in Loop: Header=BB36_2073 Depth=3
	v_bfe_u32 v67, v113, 16, 1
	v_add3_u32 v67, v113, v67, s8
                                        ; implicit-def: $vgpr113
; %bb.2079:                             ;   in Loop: Header=BB36_2073 Depth=3
	s_andn2_saveexec_b64 s[42:43], s[42:43]
; %bb.2080:                             ;   in Loop: Header=BB36_2073 Depth=3
	v_or_b32_e32 v67, 0x10000, v113
	v_cmp_eq_u32_sdwa vcc, v113, v3 src0_sel:WORD_0 src1_sel:DWORD
	s_nop 1
	v_cndmask_b32_e32 v67, v67, v113, vcc
; %bb.2081:                             ;   in Loop: Header=BB36_2073 Depth=3
	s_or_b64 exec, exec, s[42:43]
	v_lshlrev_b32_e32 v65, 16, v65
	v_lshlrev_b32_e32 v112, 16, v112
	v_max_f32_e32 v112, v112, v112
	v_max_f32_e32 v65, v65, v65
	v_min_f32_e32 v113, v65, v112
	v_max_f32_e32 v65, v65, v112
	v_cndmask_b32_e64 v112, v65, v113, s[24:25]
	v_and_b32_e32 v65, 0x7f800000, v112
	v_cmp_ne_u32_e32 vcc, s35, v65
                                        ; implicit-def: $vgpr65
	s_and_saveexec_b64 s[42:43], vcc
	s_xor_b64 s[42:43], exec, s[42:43]
; %bb.2082:                             ;   in Loop: Header=BB36_2073 Depth=3
	v_bfe_u32 v65, v112, 16, 1
	v_add3_u32 v65, v112, v65, s8
                                        ; implicit-def: $vgpr112
; %bb.2083:                             ;   in Loop: Header=BB36_2073 Depth=3
	s_andn2_saveexec_b64 s[42:43], s[42:43]
; %bb.2084:                             ;   in Loop: Header=BB36_2073 Depth=3
	v_or_b32_e32 v65, 0x10000, v112
	v_cmp_eq_u32_sdwa vcc, v112, v3 src0_sel:WORD_0 src1_sel:DWORD
	s_nop 1
	v_cndmask_b32_e32 v65, v65, v112, vcc
; %bb.2085:                             ;   in Loop: Header=BB36_2073 Depth=3
	s_or_b64 exec, exec, s[42:43]
	v_lshlrev_b32_e32 v64, 16, v64
	v_lshlrev_b32_e32 v103, 16, v103
	v_max_f32_e32 v103, v103, v103
	v_max_f32_e32 v64, v64, v64
	v_min_f32_e32 v112, v64, v103
	v_max_f32_e32 v64, v64, v103
	v_cndmask_b32_e64 v103, v64, v112, s[24:25]
	v_and_b32_e32 v64, 0x7f800000, v103
	v_cmp_ne_u32_e32 vcc, s35, v64
                                        ; implicit-def: $vgpr64
	s_and_saveexec_b64 s[42:43], vcc
	s_xor_b64 s[42:43], exec, s[42:43]
; %bb.2086:                             ;   in Loop: Header=BB36_2073 Depth=3
	v_bfe_u32 v64, v103, 16, 1
	v_add3_u32 v64, v103, v64, s8
                                        ; implicit-def: $vgpr103
; %bb.2087:                             ;   in Loop: Header=BB36_2073 Depth=3
	s_andn2_saveexec_b64 s[42:43], s[42:43]
; %bb.2088:                             ;   in Loop: Header=BB36_2073 Depth=3
	v_or_b32_e32 v64, 0x10000, v103
	v_cmp_eq_u32_sdwa vcc, v103, v3 src0_sel:WORD_0 src1_sel:DWORD
	s_nop 1
	v_cndmask_b32_e32 v64, v64, v103, vcc
; %bb.2089:                             ;   in Loop: Header=BB36_2073 Depth=3
	s_or_b64 exec, exec, s[42:43]
	v_lshlrev_b32_e32 v55, 16, v55
	v_lshlrev_b32_e32 v102, 16, v102
	v_max_f32_e32 v102, v102, v102
	v_max_f32_e32 v55, v55, v55
	v_min_f32_e32 v103, v55, v102
	v_max_f32_e32 v55, v55, v102
	v_cndmask_b32_e64 v102, v55, v103, s[24:25]
	v_and_b32_e32 v55, 0x7f800000, v102
	v_cmp_ne_u32_e32 vcc, s35, v55
                                        ; implicit-def: $vgpr55
	s_and_saveexec_b64 s[42:43], vcc
	s_xor_b64 s[42:43], exec, s[42:43]
; %bb.2090:                             ;   in Loop: Header=BB36_2073 Depth=3
	v_bfe_u32 v55, v102, 16, 1
	v_add3_u32 v55, v102, v55, s8
                                        ; implicit-def: $vgpr102
; %bb.2091:                             ;   in Loop: Header=BB36_2073 Depth=3
	s_andn2_saveexec_b64 s[42:43], s[42:43]
; %bb.2092:                             ;   in Loop: Header=BB36_2073 Depth=3
	v_or_b32_e32 v55, 0x10000, v102
	v_cmp_eq_u32_sdwa vcc, v102, v3 src0_sel:WORD_0 src1_sel:DWORD
	s_nop 1
	v_cndmask_b32_e32 v55, v55, v102, vcc
; %bb.2093:                             ;   in Loop: Header=BB36_2073 Depth=3
	s_or_b64 exec, exec, s[42:43]
	v_lshlrev_b32_e32 v54, 16, v54
	v_lshlrev_b32_e32 v87, 16, v87
	v_max_f32_e32 v87, v87, v87
	v_max_f32_e32 v54, v54, v54
	v_min_f32_e32 v102, v54, v87
	v_max_f32_e32 v54, v54, v87
	v_cndmask_b32_e64 v87, v54, v102, s[24:25]
	v_and_b32_e32 v54, 0x7f800000, v87
	v_cmp_ne_u32_e32 vcc, s35, v54
                                        ; implicit-def: $vgpr54
	s_and_saveexec_b64 s[42:43], vcc
	s_xor_b64 s[42:43], exec, s[42:43]
; %bb.2094:                             ;   in Loop: Header=BB36_2073 Depth=3
	v_bfe_u32 v54, v87, 16, 1
	v_add3_u32 v54, v87, v54, s8
                                        ; implicit-def: $vgpr87
; %bb.2095:                             ;   in Loop: Header=BB36_2073 Depth=3
	s_andn2_saveexec_b64 s[42:43], s[42:43]
; %bb.2096:                             ;   in Loop: Header=BB36_2073 Depth=3
	v_or_b32_e32 v54, 0x10000, v87
	v_cmp_eq_u32_sdwa vcc, v87, v3 src0_sel:WORD_0 src1_sel:DWORD
	s_nop 1
	v_cndmask_b32_e32 v54, v54, v87, vcc
; %bb.2097:                             ;   in Loop: Header=BB36_2073 Depth=3
	s_or_b64 exec, exec, s[42:43]
	v_lshlrev_b32_e32 v53, 16, v53
	v_lshlrev_b32_e32 v85, 16, v85
	v_max_f32_e32 v85, v85, v85
	v_max_f32_e32 v53, v53, v53
	v_min_f32_e32 v87, v53, v85
	v_max_f32_e32 v53, v53, v85
	v_cndmask_b32_e64 v85, v53, v87, s[24:25]
	v_and_b32_e32 v53, 0x7f800000, v85
	v_cmp_ne_u32_e32 vcc, s35, v53
                                        ; implicit-def: $vgpr53
	s_and_saveexec_b64 s[42:43], vcc
	s_xor_b64 s[42:43], exec, s[42:43]
; %bb.2098:                             ;   in Loop: Header=BB36_2073 Depth=3
	v_bfe_u32 v53, v85, 16, 1
	v_add3_u32 v53, v85, v53, s8
                                        ; implicit-def: $vgpr85
; %bb.2099:                             ;   in Loop: Header=BB36_2073 Depth=3
	s_andn2_saveexec_b64 s[42:43], s[42:43]
; %bb.2100:                             ;   in Loop: Header=BB36_2073 Depth=3
	v_or_b32_e32 v53, 0x10000, v85
	v_cmp_eq_u32_sdwa vcc, v85, v3 src0_sel:WORD_0 src1_sel:DWORD
	s_nop 1
	v_cndmask_b32_e32 v53, v53, v85, vcc
; %bb.2101:                             ;   in Loop: Header=BB36_2073 Depth=3
	s_or_b64 exec, exec, s[42:43]
	v_lshlrev_b32_e32 v52, 16, v52
	v_lshlrev_b32_e32 v83, 16, v83
	v_max_f32_e32 v83, v83, v83
	v_max_f32_e32 v52, v52, v52
	v_min_f32_e32 v85, v52, v83
	v_max_f32_e32 v52, v52, v83
	v_cndmask_b32_e64 v83, v52, v85, s[24:25]
	v_and_b32_e32 v52, 0x7f800000, v83
	v_cmp_ne_u32_e32 vcc, s35, v52
                                        ; implicit-def: $vgpr52
	s_and_saveexec_b64 s[42:43], vcc
	s_xor_b64 s[42:43], exec, s[42:43]
; %bb.2102:                             ;   in Loop: Header=BB36_2073 Depth=3
	v_bfe_u32 v52, v83, 16, 1
	v_add3_u32 v52, v83, v52, s8
                                        ; implicit-def: $vgpr83
; %bb.2103:                             ;   in Loop: Header=BB36_2073 Depth=3
	s_andn2_saveexec_b64 s[42:43], s[42:43]
; %bb.2104:                             ;   in Loop: Header=BB36_2073 Depth=3
	v_or_b32_e32 v52, 0x10000, v83
	v_cmp_eq_u32_sdwa vcc, v83, v3 src0_sel:WORD_0 src1_sel:DWORD
	s_nop 1
	v_cndmask_b32_e32 v52, v52, v83, vcc
; %bb.2105:                             ;   in Loop: Header=BB36_2073 Depth=3
	s_or_b64 exec, exec, s[42:43]
	v_lshlrev_b32_e32 v50, 16, v50
	v_lshlrev_b32_e32 v51, 16, v51
	v_max_f32_e32 v51, v51, v51
	v_max_f32_e32 v50, v50, v50
	v_min_f32_e32 v83, v50, v51
	v_max_f32_e32 v50, v50, v51
	v_cndmask_b32_e64 v50, v50, v83, s[24:25]
	v_and_b32_e32 v51, 0x7f800000, v50
	v_cmp_ne_u32_e32 vcc, s35, v51
                                        ; implicit-def: $vgpr51
	s_and_saveexec_b64 s[42:43], vcc
	s_xor_b64 s[42:43], exec, s[42:43]
; %bb.2106:                             ;   in Loop: Header=BB36_2073 Depth=3
	v_bfe_u32 v51, v50, 16, 1
	v_add3_u32 v51, v50, v51, s8
                                        ; implicit-def: $vgpr50
; %bb.2107:                             ;   in Loop: Header=BB36_2073 Depth=3
	s_andn2_saveexec_b64 s[42:43], s[42:43]
; %bb.2108:                             ;   in Loop: Header=BB36_2073 Depth=3
	v_or_b32_e32 v51, 0x10000, v50
	v_cmp_eq_u32_sdwa vcc, v50, v3 src0_sel:WORD_0 src1_sel:DWORD
	s_nop 1
	v_cndmask_b32_e32 v51, v51, v50, vcc
; %bb.2109:                             ;   in Loop: Header=BB36_2073 Depth=3
	s_or_b64 exec, exec, s[42:43]
	v_lshlrev_b32_e32 v49, 16, v49
	v_lshlrev_b32_e32 v50, 16, v82
	v_max_f32_e32 v50, v50, v50
	v_max_f32_e32 v49, v49, v49
	v_min_f32_e32 v82, v49, v50
	v_max_f32_e32 v49, v49, v50
	v_cndmask_b32_e64 v49, v49, v82, s[24:25]
	v_and_b32_e32 v50, 0x7f800000, v49
	v_cmp_ne_u32_e32 vcc, s35, v50
                                        ; implicit-def: $vgpr50
	s_and_saveexec_b64 s[42:43], vcc
	s_xor_b64 s[42:43], exec, s[42:43]
; %bb.2110:                             ;   in Loop: Header=BB36_2073 Depth=3
	v_bfe_u32 v50, v49, 16, 1
	v_add3_u32 v50, v49, v50, s8
                                        ; implicit-def: $vgpr49
; %bb.2111:                             ;   in Loop: Header=BB36_2073 Depth=3
	s_andn2_saveexec_b64 s[42:43], s[42:43]
; %bb.2112:                             ;   in Loop: Header=BB36_2073 Depth=3
	v_or_b32_e32 v50, 0x10000, v49
	v_cmp_eq_u32_sdwa vcc, v49, v3 src0_sel:WORD_0 src1_sel:DWORD
	s_nop 1
	v_cndmask_b32_e32 v50, v50, v49, vcc
; %bb.2113:                             ;   in Loop: Header=BB36_2073 Depth=3
	s_or_b64 exec, exec, s[42:43]
	v_lshlrev_b32_e32 v48, 16, v48
	v_lshlrev_b32_e32 v49, 16, v81
	v_max_f32_e32 v49, v49, v49
	v_max_f32_e32 v48, v48, v48
	v_min_f32_e32 v81, v48, v49
	v_max_f32_e32 v48, v48, v49
	v_cndmask_b32_e64 v48, v48, v81, s[24:25]
	v_and_b32_e32 v49, 0x7f800000, v48
	v_cmp_ne_u32_e32 vcc, s35, v49
                                        ; implicit-def: $vgpr49
	s_and_saveexec_b64 s[42:43], vcc
	s_xor_b64 s[42:43], exec, s[42:43]
; %bb.2114:                             ;   in Loop: Header=BB36_2073 Depth=3
	v_bfe_u32 v49, v48, 16, 1
	v_add3_u32 v49, v48, v49, s8
                                        ; implicit-def: $vgpr48
; %bb.2115:                             ;   in Loop: Header=BB36_2073 Depth=3
	s_andn2_saveexec_b64 s[42:43], s[42:43]
; %bb.2116:                             ;   in Loop: Header=BB36_2073 Depth=3
	v_or_b32_e32 v49, 0x10000, v48
	v_cmp_eq_u32_sdwa vcc, v48, v3 src0_sel:WORD_0 src1_sel:DWORD
	s_nop 1
	v_cndmask_b32_e32 v49, v49, v48, vcc
; %bb.2117:                             ;   in Loop: Header=BB36_2073 Depth=3
	s_or_b64 exec, exec, s[42:43]
	v_lshlrev_b32_e32 v39, 16, v39
	v_lshlrev_b32_e32 v48, 16, v80
	v_max_f32_e32 v48, v48, v48
	v_max_f32_e32 v39, v39, v39
	v_min_f32_e32 v80, v39, v48
	v_max_f32_e32 v39, v39, v48
	v_cndmask_b32_e64 v39, v39, v80, s[24:25]
	v_and_b32_e32 v48, 0x7f800000, v39
	v_cmp_ne_u32_e32 vcc, s35, v48
                                        ; implicit-def: $vgpr48
	s_and_saveexec_b64 s[42:43], vcc
	s_xor_b64 s[42:43], exec, s[42:43]
; %bb.2118:                             ;   in Loop: Header=BB36_2073 Depth=3
	v_bfe_u32 v48, v39, 16, 1
	v_add3_u32 v48, v39, v48, s8
                                        ; implicit-def: $vgpr39
; %bb.2119:                             ;   in Loop: Header=BB36_2073 Depth=3
	s_andn2_saveexec_b64 s[42:43], s[42:43]
; %bb.2120:                             ;   in Loop: Header=BB36_2073 Depth=3
	v_or_b32_e32 v48, 0x10000, v39
	v_cmp_eq_u32_sdwa vcc, v39, v3 src0_sel:WORD_0 src1_sel:DWORD
	s_nop 1
	v_cndmask_b32_e32 v48, v48, v39, vcc
; %bb.2121:                             ;   in Loop: Header=BB36_2073 Depth=3
	s_or_b64 exec, exec, s[42:43]
	v_lshlrev_b32_e32 v38, 16, v38
	v_lshlrev_b32_e32 v39, 16, v71
	v_max_f32_e32 v39, v39, v39
	v_max_f32_e32 v38, v38, v38
	v_min_f32_e32 v71, v38, v39
	v_max_f32_e32 v38, v38, v39
	v_cndmask_b32_e64 v38, v38, v71, s[24:25]
	v_and_b32_e32 v39, 0x7f800000, v38
	v_cmp_ne_u32_e32 vcc, s35, v39
                                        ; implicit-def: $vgpr39
	s_and_saveexec_b64 s[42:43], vcc
	s_xor_b64 s[42:43], exec, s[42:43]
; %bb.2122:                             ;   in Loop: Header=BB36_2073 Depth=3
	v_bfe_u32 v39, v38, 16, 1
	v_add3_u32 v39, v38, v39, s8
                                        ; implicit-def: $vgpr38
; %bb.2123:                             ;   in Loop: Header=BB36_2073 Depth=3
	s_andn2_saveexec_b64 s[42:43], s[42:43]
; %bb.2124:                             ;   in Loop: Header=BB36_2073 Depth=3
	v_or_b32_e32 v39, 0x10000, v38
	v_cmp_eq_u32_sdwa vcc, v38, v3 src0_sel:WORD_0 src1_sel:DWORD
	s_nop 1
	v_cndmask_b32_e32 v39, v39, v38, vcc
; %bb.2125:                             ;   in Loop: Header=BB36_2073 Depth=3
	s_or_b64 exec, exec, s[42:43]
	v_lshlrev_b32_e32 v37, 16, v37
	v_lshlrev_b32_e32 v38, 16, v70
	v_max_f32_e32 v38, v38, v38
	v_max_f32_e32 v37, v37, v37
	v_min_f32_e32 v70, v37, v38
	v_max_f32_e32 v37, v37, v38
	v_cndmask_b32_e64 v37, v37, v70, s[24:25]
	v_and_b32_e32 v38, 0x7f800000, v37
	v_cmp_ne_u32_e32 vcc, s35, v38
                                        ; implicit-def: $vgpr38
	s_and_saveexec_b64 s[42:43], vcc
	s_xor_b64 s[42:43], exec, s[42:43]
; %bb.2126:                             ;   in Loop: Header=BB36_2073 Depth=3
	v_bfe_u32 v38, v37, 16, 1
	v_add3_u32 v38, v37, v38, s8
                                        ; implicit-def: $vgpr37
; %bb.2127:                             ;   in Loop: Header=BB36_2073 Depth=3
	s_andn2_saveexec_b64 s[42:43], s[42:43]
; %bb.2128:                             ;   in Loop: Header=BB36_2073 Depth=3
	v_or_b32_e32 v38, 0x10000, v37
	v_cmp_eq_u32_sdwa vcc, v37, v3 src0_sel:WORD_0 src1_sel:DWORD
	s_nop 1
	v_cndmask_b32_e32 v38, v38, v37, vcc
; %bb.2129:                             ;   in Loop: Header=BB36_2073 Depth=3
	s_or_b64 exec, exec, s[42:43]
	v_lshlrev_b32_e32 v36, 16, v36
	v_lshlrev_b32_e32 v37, 16, v69
	v_max_f32_e32 v37, v37, v37
	v_max_f32_e32 v36, v36, v36
	v_min_f32_e32 v69, v36, v37
	v_max_f32_e32 v36, v36, v37
	v_cndmask_b32_e64 v36, v36, v69, s[24:25]
	v_and_b32_e32 v37, 0x7f800000, v36
	v_cmp_ne_u32_e32 vcc, s35, v37
                                        ; implicit-def: $vgpr37
	s_and_saveexec_b64 s[42:43], vcc
	s_xor_b64 s[42:43], exec, s[42:43]
; %bb.2130:                             ;   in Loop: Header=BB36_2073 Depth=3
	v_bfe_u32 v37, v36, 16, 1
	v_add3_u32 v37, v36, v37, s8
                                        ; implicit-def: $vgpr36
; %bb.2131:                             ;   in Loop: Header=BB36_2073 Depth=3
	s_andn2_saveexec_b64 s[42:43], s[42:43]
; %bb.2132:                             ;   in Loop: Header=BB36_2073 Depth=3
	v_or_b32_e32 v37, 0x10000, v36
	v_cmp_eq_u32_sdwa vcc, v36, v3 src0_sel:WORD_0 src1_sel:DWORD
	s_nop 1
	v_cndmask_b32_e32 v37, v37, v36, vcc
; %bb.2133:                             ;   in Loop: Header=BB36_2073 Depth=3
	s_or_b64 exec, exec, s[42:43]
	v_lshlrev_b32_e32 v13, 16, v13
	v_lshlrev_b32_e32 v36, 16, v68
	v_max_f32_e32 v36, v36, v36
	v_max_f32_e32 v13, v13, v13
	v_min_f32_e32 v68, v13, v36
	v_max_f32_e32 v13, v13, v36
	v_cndmask_b32_e64 v13, v13, v68, s[24:25]
	v_and_b32_e32 v36, 0x7f800000, v13
	v_cmp_ne_u32_e32 vcc, s35, v36
                                        ; implicit-def: $vgpr36
	s_and_saveexec_b64 s[42:43], vcc
	s_xor_b64 s[42:43], exec, s[42:43]
; %bb.2134:                             ;   in Loop: Header=BB36_2073 Depth=3
	v_bfe_u32 v36, v13, 16, 1
	v_add3_u32 v36, v13, v36, s8
                                        ; implicit-def: $vgpr13
; %bb.2135:                             ;   in Loop: Header=BB36_2073 Depth=3
	s_andn2_saveexec_b64 s[42:43], s[42:43]
; %bb.2136:                             ;   in Loop: Header=BB36_2073 Depth=3
	v_or_b32_e32 v36, 0x10000, v13
	v_cmp_eq_u32_sdwa vcc, v13, v3 src0_sel:WORD_0 src1_sel:DWORD
	s_nop 1
	v_cndmask_b32_e32 v36, v36, v13, vcc
; %bb.2137:                             ;   in Loop: Header=BB36_2073 Depth=3
	s_or_b64 exec, exec, s[42:43]
	v_and_b32_e32 v13, 0xffff0000, v66
	v_lshlrev_b32_e32 v12, 16, v12
	v_max_f32_e32 v13, v13, v13
	v_max_f32_e32 v12, v12, v12
	v_min_f32_e32 v66, v13, v12
	v_max_f32_e32 v12, v13, v12
	v_cndmask_b32_e64 v12, v12, v66, s[24:25]
	v_and_b32_e32 v13, 0x7f800000, v12
	v_cmp_ne_u32_e32 vcc, s35, v13
                                        ; implicit-def: $vgpr66
	s_and_saveexec_b64 s[42:43], vcc
	s_xor_b64 s[42:43], exec, s[42:43]
; %bb.2138:                             ;   in Loop: Header=BB36_2073 Depth=3
	v_bfe_u32 v13, v12, 16, 1
	v_add3_u32 v66, v12, v13, s8
                                        ; implicit-def: $vgpr12
; %bb.2139:                             ;   in Loop: Header=BB36_2073 Depth=3
	s_andn2_saveexec_b64 s[42:43], s[42:43]
; %bb.2140:                             ;   in Loop: Header=BB36_2073 Depth=3
	v_or_b32_e32 v13, 0x10000, v12
	v_cmp_eq_u32_sdwa vcc, v12, v3 src0_sel:WORD_0 src1_sel:DWORD
	s_nop 1
	v_cndmask_b32_e32 v66, v13, v12, vcc
; %bb.2141:                             ;   in Loop: Header=BB36_2073 Depth=3
	s_or_b64 exec, exec, s[42:43]
	v_lshl_add_u64 v[12:13], v[98:99], 0, v[10:11]
	v_add_co_u32_e32 v68, vcc, 0xfffff880, v12
	v_and_b32_e32 v67, 0xffff0000, v67
	s_nop 0
	v_addc_co_u32_e32 v69, vcc, -1, v13, vcc
	v_lshlrev_b32_e32 v35, 16, v35
	flat_store_short_d16_hi v[68:69], v66 nt
	v_max_f32_e32 v66, v67, v67
	v_max_f32_e32 v35, v35, v35
	v_min_f32_e32 v67, v66, v35
	v_max_f32_e32 v35, v66, v35
	v_cndmask_b32_e64 v66, v35, v67, s[24:25]
	v_and_b32_e32 v35, 0x7f800000, v66
	v_cmp_ne_u32_e32 vcc, s35, v35
                                        ; implicit-def: $vgpr35
	s_and_saveexec_b64 s[42:43], vcc
	s_xor_b64 s[42:43], exec, s[42:43]
; %bb.2142:                             ;   in Loop: Header=BB36_2073 Depth=3
	v_bfe_u32 v35, v66, 16, 1
	v_add3_u32 v35, v66, v35, s8
                                        ; implicit-def: $vgpr66
; %bb.2143:                             ;   in Loop: Header=BB36_2073 Depth=3
	s_andn2_saveexec_b64 s[42:43], s[42:43]
; %bb.2144:                             ;   in Loop: Header=BB36_2073 Depth=3
	v_or_b32_e32 v35, 0x10000, v66
	v_cmp_eq_u32_sdwa vcc, v66, v3 src0_sel:WORD_0 src1_sel:DWORD
	s_nop 1
	v_cndmask_b32_e32 v35, v35, v66, vcc
; %bb.2145:                             ;   in Loop: Header=BB36_2073 Depth=3
	s_or_b64 exec, exec, s[42:43]
	v_add_co_u32_e32 v66, vcc, 0xfffff900, v12
	v_and_b32_e32 v65, 0xffff0000, v65
	s_nop 0
	v_addc_co_u32_e32 v67, vcc, -1, v13, vcc
	v_lshlrev_b32_e32 v34, 16, v34
	flat_store_short_d16_hi v[66:67], v35 nt
	v_max_f32_e32 v35, v65, v65
	v_max_f32_e32 v34, v34, v34
	v_min_f32_e32 v65, v35, v34
	v_max_f32_e32 v34, v35, v34
	v_cndmask_b32_e64 v35, v34, v65, s[24:25]
	v_and_b32_e32 v34, 0x7f800000, v35
	v_cmp_ne_u32_e32 vcc, s35, v34
                                        ; implicit-def: $vgpr34
	s_and_saveexec_b64 s[42:43], vcc
	s_xor_b64 s[42:43], exec, s[42:43]
; %bb.2146:                             ;   in Loop: Header=BB36_2073 Depth=3
	v_bfe_u32 v34, v35, 16, 1
	v_add3_u32 v34, v35, v34, s8
                                        ; implicit-def: $vgpr35
; %bb.2147:                             ;   in Loop: Header=BB36_2073 Depth=3
	s_andn2_saveexec_b64 s[42:43], s[42:43]
; %bb.2148:                             ;   in Loop: Header=BB36_2073 Depth=3
	v_or_b32_e32 v34, 0x10000, v35
	v_cmp_eq_u32_sdwa vcc, v35, v3 src0_sel:WORD_0 src1_sel:DWORD
	s_nop 1
	v_cndmask_b32_e32 v34, v34, v35, vcc
; %bb.2149:                             ;   in Loop: Header=BB36_2073 Depth=3
	s_or_b64 exec, exec, s[42:43]
	v_and_b32_e32 v35, 0xffff0000, v64
	v_add_co_u32_e32 v64, vcc, 0xfffff980, v12
	v_lshlrev_b32_e32 v33, 16, v33
	s_nop 0
	v_addc_co_u32_e32 v65, vcc, -1, v13, vcc
	flat_store_short_d16_hi v[64:65], v34 nt
	v_max_f32_e32 v34, v35, v35
	v_max_f32_e32 v33, v33, v33
	v_min_f32_e32 v35, v34, v33
	v_max_f32_e32 v33, v34, v33
	v_cndmask_b32_e64 v34, v33, v35, s[24:25]
	v_and_b32_e32 v33, 0x7f800000, v34
	v_cmp_ne_u32_e32 vcc, s35, v33
                                        ; implicit-def: $vgpr33
	s_and_saveexec_b64 s[42:43], vcc
	s_xor_b64 s[42:43], exec, s[42:43]
; %bb.2150:                             ;   in Loop: Header=BB36_2073 Depth=3
	v_bfe_u32 v33, v34, 16, 1
	v_add3_u32 v33, v34, v33, s8
                                        ; implicit-def: $vgpr34
; %bb.2151:                             ;   in Loop: Header=BB36_2073 Depth=3
	s_andn2_saveexec_b64 s[42:43], s[42:43]
; %bb.2152:                             ;   in Loop: Header=BB36_2073 Depth=3
	v_or_b32_e32 v33, 0x10000, v34
	v_cmp_eq_u32_sdwa vcc, v34, v3 src0_sel:WORD_0 src1_sel:DWORD
	s_nop 1
	v_cndmask_b32_e32 v33, v33, v34, vcc
; %bb.2153:                             ;   in Loop: Header=BB36_2073 Depth=3
	s_or_b64 exec, exec, s[42:43]
	v_add_co_u32_e32 v34, vcc, 0xfffffa00, v12
	v_and_b32_e32 v55, 0xffff0000, v55
	s_nop 0
	v_addc_co_u32_e32 v35, vcc, -1, v13, vcc
	v_lshlrev_b32_e32 v32, 16, v32
	flat_store_short_d16_hi v[34:35], v33 nt
	v_max_f32_e32 v33, v55, v55
	v_max_f32_e32 v32, v32, v32
	v_min_f32_e32 v34, v33, v32
	v_max_f32_e32 v32, v33, v32
	v_cndmask_b32_e64 v33, v32, v34, s[24:25]
	v_and_b32_e32 v32, 0x7f800000, v33
	v_cmp_ne_u32_e32 vcc, s35, v32
                                        ; implicit-def: $vgpr32
	s_and_saveexec_b64 s[42:43], vcc
	s_xor_b64 s[42:43], exec, s[42:43]
; %bb.2154:                             ;   in Loop: Header=BB36_2073 Depth=3
	v_bfe_u32 v32, v33, 16, 1
	v_add3_u32 v32, v33, v32, s8
                                        ; implicit-def: $vgpr33
; %bb.2155:                             ;   in Loop: Header=BB36_2073 Depth=3
	s_andn2_saveexec_b64 s[42:43], s[42:43]
; %bb.2156:                             ;   in Loop: Header=BB36_2073 Depth=3
	v_or_b32_e32 v32, 0x10000, v33
	v_cmp_eq_u32_sdwa vcc, v33, v3 src0_sel:WORD_0 src1_sel:DWORD
	s_nop 1
	v_cndmask_b32_e32 v32, v32, v33, vcc
; %bb.2157:                             ;   in Loop: Header=BB36_2073 Depth=3
	s_or_b64 exec, exec, s[42:43]
	v_add_co_u32_e32 v34, vcc, 0xfffffa80, v12
	v_and_b32_e32 v33, 0xffff0000, v54
	s_nop 0
	v_addc_co_u32_e32 v35, vcc, -1, v13, vcc
	v_lshlrev_b32_e32 v30, 16, v30
	flat_store_short_d16_hi v[34:35], v32 nt
	v_max_f32_e32 v32, v33, v33
	v_max_f32_e32 v30, v30, v30
	v_min_f32_e32 v33, v32, v30
	v_max_f32_e32 v30, v32, v30
	v_cndmask_b32_e64 v32, v30, v33, s[24:25]
	v_and_b32_e32 v30, 0x7f800000, v32
	v_cmp_ne_u32_e32 vcc, s35, v30
                                        ; implicit-def: $vgpr30
	s_and_saveexec_b64 s[42:43], vcc
	s_xor_b64 s[42:43], exec, s[42:43]
; %bb.2158:                             ;   in Loop: Header=BB36_2073 Depth=3
	v_bfe_u32 v30, v32, 16, 1
	v_add3_u32 v30, v32, v30, s8
                                        ; implicit-def: $vgpr32
; %bb.2159:                             ;   in Loop: Header=BB36_2073 Depth=3
	s_andn2_saveexec_b64 s[42:43], s[42:43]
; %bb.2160:                             ;   in Loop: Header=BB36_2073 Depth=3
	v_or_b32_e32 v30, 0x10000, v32
	v_cmp_eq_u32_sdwa vcc, v32, v3 src0_sel:WORD_0 src1_sel:DWORD
	s_nop 1
	v_cndmask_b32_e32 v30, v30, v32, vcc
; %bb.2161:                             ;   in Loop: Header=BB36_2073 Depth=3
	s_or_b64 exec, exec, s[42:43]
	v_add_co_u32_e32 v32, vcc, 0xfffffb00, v12
	v_and_b32_e32 v34, 0xffff0000, v53
	s_nop 0
	v_addc_co_u32_e32 v33, vcc, -1, v13, vcc
	v_lshlrev_b32_e32 v27, 16, v27
	flat_store_short_d16_hi v[32:33], v30 nt
	v_max_f32_e32 v30, v34, v34
	v_max_f32_e32 v27, v27, v27
	v_min_f32_e32 v32, v30, v27
	v_max_f32_e32 v27, v30, v27
	v_cndmask_b32_e64 v30, v27, v32, s[24:25]
	v_and_b32_e32 v27, 0x7f800000, v30
	v_cmp_ne_u32_e32 vcc, s35, v27
                                        ; implicit-def: $vgpr27
	s_and_saveexec_b64 s[42:43], vcc
	s_xor_b64 s[42:43], exec, s[42:43]
; %bb.2162:                             ;   in Loop: Header=BB36_2073 Depth=3
	v_bfe_u32 v27, v30, 16, 1
	v_add3_u32 v27, v30, v27, s8
                                        ; implicit-def: $vgpr30
; %bb.2163:                             ;   in Loop: Header=BB36_2073 Depth=3
	s_andn2_saveexec_b64 s[42:43], s[42:43]
; %bb.2164:                             ;   in Loop: Header=BB36_2073 Depth=3
	v_or_b32_e32 v27, 0x10000, v30
	v_cmp_eq_u32_sdwa vcc, v30, v3 src0_sel:WORD_0 src1_sel:DWORD
	s_nop 1
	v_cndmask_b32_e32 v27, v27, v30, vcc
; %bb.2165:                             ;   in Loop: Header=BB36_2073 Depth=3
	s_or_b64 exec, exec, s[42:43]
	v_add_co_u32_e32 v32, vcc, 0xfffffb80, v12
	v_and_b32_e32 v30, 0xffff0000, v52
	s_nop 0
	v_addc_co_u32_e32 v33, vcc, -1, v13, vcc
	v_lshlrev_b32_e32 v26, 16, v26
	flat_store_short_d16_hi v[32:33], v27 nt
	v_max_f32_e32 v27, v30, v30
	v_max_f32_e32 v26, v26, v26
	v_min_f32_e32 v30, v27, v26
	v_max_f32_e32 v26, v27, v26
	v_cndmask_b32_e64 v27, v26, v30, s[24:25]
	v_and_b32_e32 v26, 0x7f800000, v27
	v_cmp_ne_u32_e32 vcc, s35, v26
                                        ; implicit-def: $vgpr26
	s_and_saveexec_b64 s[42:43], vcc
	s_xor_b64 s[42:43], exec, s[42:43]
; %bb.2166:                             ;   in Loop: Header=BB36_2073 Depth=3
	v_bfe_u32 v26, v27, 16, 1
	v_add3_u32 v26, v27, v26, s8
                                        ; implicit-def: $vgpr27
; %bb.2167:                             ;   in Loop: Header=BB36_2073 Depth=3
	s_andn2_saveexec_b64 s[42:43], s[42:43]
; %bb.2168:                             ;   in Loop: Header=BB36_2073 Depth=3
	v_or_b32_e32 v26, 0x10000, v27
	v_cmp_eq_u32_sdwa vcc, v27, v3 src0_sel:WORD_0 src1_sel:DWORD
	s_nop 1
	v_cndmask_b32_e32 v26, v26, v27, vcc
; %bb.2169:                             ;   in Loop: Header=BB36_2073 Depth=3
	s_or_b64 exec, exec, s[42:43]
	v_add_co_u32_e32 v32, vcc, 0xfffffc00, v12
	v_and_b32_e32 v27, 0xffff0000, v51
	s_nop 0
	v_addc_co_u32_e32 v33, vcc, -1, v13, vcc
	v_lshlrev_b32_e32 v25, 16, v25
	flat_store_short_d16_hi v[32:33], v26 nt
	v_max_f32_e32 v26, v27, v27
	v_max_f32_e32 v25, v25, v25
	v_min_f32_e32 v27, v26, v25
	v_max_f32_e32 v25, v26, v25
	v_cndmask_b32_e64 v26, v25, v27, s[24:25]
	v_and_b32_e32 v25, 0x7f800000, v26
	v_cmp_ne_u32_e32 vcc, s35, v25
                                        ; implicit-def: $vgpr25
	s_and_saveexec_b64 s[42:43], vcc
	s_xor_b64 s[42:43], exec, s[42:43]
; %bb.2170:                             ;   in Loop: Header=BB36_2073 Depth=3
	v_bfe_u32 v25, v26, 16, 1
	v_add3_u32 v25, v26, v25, s8
                                        ; implicit-def: $vgpr26
; %bb.2171:                             ;   in Loop: Header=BB36_2073 Depth=3
	s_andn2_saveexec_b64 s[42:43], s[42:43]
; %bb.2172:                             ;   in Loop: Header=BB36_2073 Depth=3
	v_or_b32_e32 v25, 0x10000, v26
	v_cmp_eq_u32_sdwa vcc, v26, v3 src0_sel:WORD_0 src1_sel:DWORD
	s_nop 1
	v_cndmask_b32_e32 v25, v25, v26, vcc
; %bb.2173:                             ;   in Loop: Header=BB36_2073 Depth=3
	s_or_b64 exec, exec, s[42:43]
	v_add_co_u32_e32 v26, vcc, 0xfffffc80, v12
	v_and_b32_e32 v30, 0xffff0000, v50
	s_nop 0
	v_addc_co_u32_e32 v27, vcc, -1, v13, vcc
	v_lshlrev_b32_e32 v24, 16, v24
	flat_store_short_d16_hi v[26:27], v25 nt
	v_max_f32_e32 v25, v30, v30
	v_max_f32_e32 v24, v24, v24
	v_min_f32_e32 v26, v25, v24
	v_max_f32_e32 v24, v25, v24
	v_cndmask_b32_e64 v25, v24, v26, s[24:25]
	v_and_b32_e32 v24, 0x7f800000, v25
	v_cmp_ne_u32_e32 vcc, s35, v24
                                        ; implicit-def: $vgpr24
	s_and_saveexec_b64 s[42:43], vcc
	s_xor_b64 s[42:43], exec, s[42:43]
; %bb.2174:                             ;   in Loop: Header=BB36_2073 Depth=3
	v_bfe_u32 v24, v25, 16, 1
	v_add3_u32 v24, v25, v24, s8
                                        ; implicit-def: $vgpr25
; %bb.2175:                             ;   in Loop: Header=BB36_2073 Depth=3
	s_andn2_saveexec_b64 s[42:43], s[42:43]
; %bb.2176:                             ;   in Loop: Header=BB36_2073 Depth=3
	v_or_b32_e32 v24, 0x10000, v25
	v_cmp_eq_u32_sdwa vcc, v25, v3 src0_sel:WORD_0 src1_sel:DWORD
	s_nop 1
	v_cndmask_b32_e32 v24, v24, v25, vcc
; %bb.2177:                             ;   in Loop: Header=BB36_2073 Depth=3
	s_or_b64 exec, exec, s[42:43]
	v_add_co_u32_e32 v26, vcc, 0xfffffd00, v12
	v_and_b32_e32 v25, 0xffff0000, v49
	s_nop 0
	v_addc_co_u32_e32 v27, vcc, -1, v13, vcc
	v_lshlrev_b32_e32 v23, 16, v23
	flat_store_short_d16_hi v[26:27], v24 nt
	v_max_f32_e32 v24, v25, v25
	v_max_f32_e32 v23, v23, v23
	v_min_f32_e32 v25, v24, v23
	v_max_f32_e32 v23, v24, v23
	v_cndmask_b32_e64 v24, v23, v25, s[24:25]
	v_and_b32_e32 v23, 0x7f800000, v24
	v_cmp_ne_u32_e32 vcc, s35, v23
                                        ; implicit-def: $vgpr23
	s_and_saveexec_b64 s[42:43], vcc
	s_xor_b64 s[42:43], exec, s[42:43]
; %bb.2178:                             ;   in Loop: Header=BB36_2073 Depth=3
	v_bfe_u32 v23, v24, 16, 1
	v_add3_u32 v23, v24, v23, s8
                                        ; implicit-def: $vgpr24
; %bb.2179:                             ;   in Loop: Header=BB36_2073 Depth=3
	s_andn2_saveexec_b64 s[42:43], s[42:43]
; %bb.2180:                             ;   in Loop: Header=BB36_2073 Depth=3
	v_or_b32_e32 v23, 0x10000, v24
	v_cmp_eq_u32_sdwa vcc, v24, v3 src0_sel:WORD_0 src1_sel:DWORD
	s_nop 1
	v_cndmask_b32_e32 v23, v23, v24, vcc
; %bb.2181:                             ;   in Loop: Header=BB36_2073 Depth=3
	s_or_b64 exec, exec, s[42:43]
	v_add_co_u32_e32 v24, vcc, 0xfffffd80, v12
	v_and_b32_e32 v26, 0xffff0000, v48
	s_nop 0
	v_addc_co_u32_e32 v25, vcc, -1, v13, vcc
	v_lshlrev_b32_e32 v22, 16, v22
	flat_store_short_d16_hi v[24:25], v23 nt
	v_max_f32_e32 v23, v26, v26
	v_max_f32_e32 v22, v22, v22
	v_min_f32_e32 v24, v23, v22
	v_max_f32_e32 v22, v23, v22
	v_cndmask_b32_e64 v23, v22, v24, s[24:25]
	v_and_b32_e32 v22, 0x7f800000, v23
	v_cmp_ne_u32_e32 vcc, s35, v22
                                        ; implicit-def: $vgpr22
	s_and_saveexec_b64 s[42:43], vcc
	s_xor_b64 s[42:43], exec, s[42:43]
; %bb.2182:                             ;   in Loop: Header=BB36_2073 Depth=3
	v_bfe_u32 v22, v23, 16, 1
	v_add3_u32 v22, v23, v22, s8
                                        ; implicit-def: $vgpr23
; %bb.2183:                             ;   in Loop: Header=BB36_2073 Depth=3
	s_andn2_saveexec_b64 s[42:43], s[42:43]
; %bb.2184:                             ;   in Loop: Header=BB36_2073 Depth=3
	v_or_b32_e32 v22, 0x10000, v23
	v_cmp_eq_u32_sdwa vcc, v23, v3 src0_sel:WORD_0 src1_sel:DWORD
	s_nop 1
	v_cndmask_b32_e32 v22, v22, v23, vcc
; %bb.2185:                             ;   in Loop: Header=BB36_2073 Depth=3
	s_or_b64 exec, exec, s[42:43]
	v_add_co_u32_e32 v24, vcc, 0xfffffe00, v12
	v_and_b32_e32 v23, 0xffff0000, v39
	s_nop 0
	v_addc_co_u32_e32 v25, vcc, -1, v13, vcc
	v_lshlrev_b32_e32 v21, 16, v21
	flat_store_short_d16_hi v[24:25], v22 nt
	v_max_f32_e32 v22, v23, v23
	v_max_f32_e32 v21, v21, v21
	v_min_f32_e32 v23, v22, v21
	v_max_f32_e32 v21, v22, v21
	v_cndmask_b32_e64 v22, v21, v23, s[24:25]
	v_and_b32_e32 v21, 0x7f800000, v22
	v_cmp_ne_u32_e32 vcc, s35, v21
                                        ; implicit-def: $vgpr21
	s_and_saveexec_b64 s[42:43], vcc
	s_xor_b64 s[42:43], exec, s[42:43]
; %bb.2186:                             ;   in Loop: Header=BB36_2073 Depth=3
	v_bfe_u32 v21, v22, 16, 1
	v_add3_u32 v21, v22, v21, s8
                                        ; implicit-def: $vgpr22
; %bb.2187:                             ;   in Loop: Header=BB36_2073 Depth=3
	s_andn2_saveexec_b64 s[42:43], s[42:43]
; %bb.2188:                             ;   in Loop: Header=BB36_2073 Depth=3
	v_or_b32_e32 v21, 0x10000, v22
	v_cmp_eq_u32_sdwa vcc, v22, v3 src0_sel:WORD_0 src1_sel:DWORD
	s_nop 1
	v_cndmask_b32_e32 v21, v21, v22, vcc
; %bb.2189:                             ;   in Loop: Header=BB36_2073 Depth=3
	s_or_b64 exec, exec, s[42:43]
	v_add_co_u32_e32 v22, vcc, 0xfffffe80, v12
	v_and_b32_e32 v24, 0xffff0000, v38
	s_nop 0
	v_addc_co_u32_e32 v23, vcc, -1, v13, vcc
	v_lshlrev_b32_e32 v20, 16, v20
	flat_store_short_d16_hi v[22:23], v21 nt
	v_max_f32_e32 v21, v24, v24
	v_max_f32_e32 v20, v20, v20
	v_min_f32_e32 v22, v21, v20
	v_max_f32_e32 v20, v21, v20
	v_cndmask_b32_e64 v21, v20, v22, s[24:25]
	v_and_b32_e32 v20, 0x7f800000, v21
	v_cmp_ne_u32_e32 vcc, s35, v20
                                        ; implicit-def: $vgpr20
	s_and_saveexec_b64 s[42:43], vcc
	s_xor_b64 s[42:43], exec, s[42:43]
; %bb.2190:                             ;   in Loop: Header=BB36_2073 Depth=3
	v_bfe_u32 v20, v21, 16, 1
	v_add3_u32 v20, v21, v20, s8
                                        ; implicit-def: $vgpr21
; %bb.2191:                             ;   in Loop: Header=BB36_2073 Depth=3
	s_andn2_saveexec_b64 s[42:43], s[42:43]
; %bb.2192:                             ;   in Loop: Header=BB36_2073 Depth=3
	v_or_b32_e32 v20, 0x10000, v21
	v_cmp_eq_u32_sdwa vcc, v21, v3 src0_sel:WORD_0 src1_sel:DWORD
	s_nop 1
	v_cndmask_b32_e32 v20, v20, v21, vcc
; %bb.2193:                             ;   in Loop: Header=BB36_2073 Depth=3
	s_or_b64 exec, exec, s[42:43]
	v_add_co_u32_e32 v22, vcc, 0xffffff00, v12
	v_and_b32_e32 v21, 0xffff0000, v37
	s_nop 0
	v_addc_co_u32_e32 v23, vcc, -1, v13, vcc
	v_lshlrev_b32_e32 v19, 16, v19
	flat_store_short_d16_hi v[22:23], v20 nt
	v_max_f32_e32 v20, v21, v21
	v_max_f32_e32 v19, v19, v19
	v_min_f32_e32 v21, v20, v19
	v_max_f32_e32 v19, v20, v19
	v_cndmask_b32_e64 v20, v19, v21, s[24:25]
	v_and_b32_e32 v19, 0x7f800000, v20
	v_cmp_ne_u32_e32 vcc, s35, v19
                                        ; implicit-def: $vgpr19
	s_and_saveexec_b64 s[42:43], vcc
	s_xor_b64 s[42:43], exec, s[42:43]
; %bb.2194:                             ;   in Loop: Header=BB36_2073 Depth=3
	v_bfe_u32 v19, v20, 16, 1
	v_add3_u32 v19, v20, v19, s8
                                        ; implicit-def: $vgpr20
; %bb.2195:                             ;   in Loop: Header=BB36_2073 Depth=3
	s_andn2_saveexec_b64 s[42:43], s[42:43]
; %bb.2196:                             ;   in Loop: Header=BB36_2073 Depth=3
	v_or_b32_e32 v19, 0x10000, v20
	v_cmp_eq_u32_sdwa vcc, v20, v3 src0_sel:WORD_0 src1_sel:DWORD
	s_nop 1
	v_cndmask_b32_e32 v19, v19, v20, vcc
; %bb.2197:                             ;   in Loop: Header=BB36_2073 Depth=3
	s_or_b64 exec, exec, s[42:43]
	v_add_co_u32_e32 v20, vcc, 0xffffff80, v12
	v_and_b32_e32 v22, 0xffff0000, v36
	s_nop 0
	v_addc_co_u32_e32 v21, vcc, -1, v13, vcc
	v_lshlrev_b32_e32 v18, 16, v18
	flat_store_short_d16_hi v[20:21], v19 nt
	v_max_f32_e32 v19, v22, v22
	v_max_f32_e32 v18, v18, v18
	v_min_f32_e32 v20, v19, v18
	v_max_f32_e32 v18, v19, v18
	v_cndmask_b32_e64 v18, v18, v20, s[24:25]
	v_and_b32_e32 v19, 0x7f800000, v18
	v_cmp_ne_u32_e32 vcc, s35, v19
                                        ; implicit-def: $vgpr19
	s_and_saveexec_b64 s[42:43], vcc
	s_xor_b64 s[42:43], exec, s[42:43]
; %bb.2198:                             ;   in Loop: Header=BB36_2073 Depth=3
	v_bfe_u32 v19, v18, 16, 1
	v_add3_u32 v19, v18, v19, s8
                                        ; implicit-def: $vgpr18
; %bb.2199:                             ;   in Loop: Header=BB36_2073 Depth=3
	s_andn2_saveexec_b64 s[42:43], s[42:43]
	s_cbranch_execz .LBB36_2072
; %bb.2200:                             ;   in Loop: Header=BB36_2073 Depth=3
	v_or_b32_e32 v19, 0x10000, v18
	v_cmp_eq_u32_sdwa vcc, v18, v3 src0_sel:WORD_0 src1_sel:DWORD
	s_nop 1
	v_cndmask_b32_e32 v19, v19, v18, vcc
	s_branch .LBB36_2072
.LBB36_2201:                            ;   in Loop: Header=BB36_1243 Depth=2
	s_or_b64 exec, exec, s[40:41]
.LBB36_2202:                            ;   in Loop: Header=BB36_1243 Depth=2
	s_or_b64 exec, exec, s[28:29]
	v_lshlrev_b32_e32 v0, 11, v17
	v_cmp_ne_u32_e32 vcc, v2, v0
	s_and_b64 exec, exec, vcc
	s_cbranch_execz .LBB36_2210
; %bb.2203:                             ;   in Loop: Header=BB36_1243 Depth=2
	v_lshlrev_b32_e32 v1, 6, v7
	v_sub_u32_e32 v1, v15, v1
	v_lshlrev_b32_e32 v7, 6, v16
	v_sub_u32_e32 v1, v1, v7
	v_ashrrev_i32_e32 v7, 31, v1
	v_lshrrev_b32_e32 v7, 26, v7
	v_add_u32_e32 v7, v1, v7
	v_and_b32_e32 v8, 0x7fffffc0, v7
	v_sub_u32_e32 v1, v1, v8
	v_lshlrev_b32_e32 v7, 1, v7
	v_and_b32_e32 v7, 0xffffff80, v7
	v_lshlrev_b32_e32 v1, 1, v1
	v_add3_u32 v0, v7, v1, v0
	v_sub_u32_e32 v2, v2, v0
	v_cmp_lt_i32_e32 vcc, 1, v2
	s_and_b64 exec, exec, vcc
	s_cbranch_execz .LBB36_2210
; %bb.2204:                             ;   in Loop: Header=BB36_1243 Depth=2
	s_trap 2
	ds_read_b64 v[10:11], v0
	v_add_u32_e32 v0, v0, v14
	s_and_b32 s74, s73, 1
	v_ashrrev_i32_e32 v1, 31, v0
	s_cmp_eq_u64 s[74:75], 0
	v_lshl_add_u64 v[8:9], v[0:1], 0, v[100:101]
	s_waitcnt lgkmcnt(0)
	v_lshl_add_u64 v[10:11], v[10:11], 0, v[0:1]
	s_mov_b64 s[28:29], 0
	s_cselect_b64 vcc, -1, 0
	s_branch .LBB36_2206
.LBB36_2205:                            ;   in Loop: Header=BB36_2206 Depth=3
	s_or_b64 exec, exec, s[40:41]
	v_and_b32_e32 v12, 0xffff0000, v13
	v_lshlrev_b32_e32 v7, 16, v7
	v_max_f32_e32 v12, v12, v12
	v_max_f32_e32 v7, v7, v7
	v_min_f32_e32 v13, v12, v7
	v_max_f32_e32 v7, v12, v7
	v_cndmask_b32_e32 v7, v7, v13, vcc
	v_and_b32_e32 v12, 0x7f800000, v7
	v_bfe_u32 v13, v7, 16, 1
	v_or_b32_e32 v16, 0x10000, v7
	v_cmp_eq_u32_sdwa s[24:25], v7, v3 src0_sel:WORD_0 src1_sel:DWORD
	v_add3_u32 v13, v7, v13, s8
	v_lshl_add_u64 v[14:15], v[98:99], 0, v[0:1]
	v_cndmask_b32_e64 v7, v16, v7, s[24:25]
	v_cmp_eq_u32_e64 s[24:25], s35, v12
	s_nop 1
	v_cndmask_b32_e64 v7, v13, v7, s[24:25]
	scratch_load_dwordx2 v[12:13], off, s33 offset:336 ; 8-byte Folded Reload
	s_waitcnt vmcnt(0)
	v_sub_u32_e32 v2, v2, v12
	v_cmp_gt_i32_e64 s[24:25], 2, v2
	v_lshl_add_u64 v[8:9], v[8:9], 0, v[12:13]
	v_lshl_add_u64 v[10:11], v[10:11], 0, v[12:13]
	s_or_b64 s[28:29], s[24:25], s[28:29]
	v_lshl_add_u64 v[0:1], v[0:1], 0, v[12:13]
	flat_store_short_d16_hi v[14:15], v7 nt
	s_andn2_b64 exec, exec, s[28:29]
	s_cbranch_execz .LBB36_2210
.LBB36_2206:                            ;   Parent Loop BB36_47 Depth=1
                                        ;     Parent Loop BB36_1243 Depth=2
                                        ; =>    This Inner Loop Header: Depth=3
	flat_load_ushort v12, v[10:11] nt
	flat_load_ushort v13, v[8:9] nt
	;; [unrolled: 1-line block ×3, first 2 shown]
	s_waitcnt vmcnt(0) lgkmcnt(0)
	v_lshlrev_b32_e32 v12, 16, v12
	v_lshlrev_b32_e32 v13, 16, v13
	v_max_f32_e32 v12, v12, v12
	v_max_f32_e32 v13, v13, v13
	v_min_f32_e32 v14, v13, v12
	v_max_f32_e32 v12, v13, v12
	v_cndmask_b32_e32 v12, v12, v14, vcc
	v_and_b32_e32 v13, 0x7f800000, v12
	v_cmp_ne_u32_e64 s[24:25], s35, v13
                                        ; implicit-def: $vgpr13
	s_and_saveexec_b64 s[40:41], s[24:25]
	s_xor_b64 s[24:25], exec, s[40:41]
; %bb.2207:                             ;   in Loop: Header=BB36_2206 Depth=3
	v_bfe_u32 v13, v12, 16, 1
	v_add3_u32 v13, v12, v13, s8
                                        ; implicit-def: $vgpr12
; %bb.2208:                             ;   in Loop: Header=BB36_2206 Depth=3
	s_andn2_saveexec_b64 s[40:41], s[24:25]
	s_cbranch_execz .LBB36_2205
; %bb.2209:                             ;   in Loop: Header=BB36_2206 Depth=3
	v_or_b32_e32 v13, 0x10000, v12
	v_cmp_eq_u32_sdwa s[24:25], v12, v3 src0_sel:WORD_0 src1_sel:DWORD
	s_nop 1
	v_cndmask_b32_e64 v13, v13, v12, s[24:25]
	s_branch .LBB36_2205
.LBB36_2210:                            ;   in Loop: Header=BB36_1243 Depth=2
	s_or_b64 exec, exec, s[26:27]
	v_cmp_lt_i32_e64 s[24:25], 0, v6
	s_and_saveexec_b64 s[26:27], s[4:5]
	s_cbranch_execz .LBB36_2229
.LBB36_2211:                            ;   in Loop: Header=BB36_1243 Depth=2
	s_and_saveexec_b64 s[28:29], s[76:77]
	s_xor_b64 s[28:29], exec, s[28:29]
	s_cbranch_execz .LBB36_2226
; %bb.2212:                             ;   in Loop: Header=BB36_1243 Depth=2
	s_and_saveexec_b64 s[40:41], s[12:13]
	s_cbranch_execz .LBB36_2225
; %bb.2213:                             ;   in Loop: Header=BB36_1243 Depth=2
	s_mov_b64 s[44:45], exec
	v_mbcnt_lo_u32_b32 v0, s44, 0
	v_mbcnt_hi_u32_b32 v0, s45, v0
	v_cmp_eq_u32_e32 vcc, 0, v0
	s_waitcnt lgkmcnt(0)
	s_and_saveexec_b64 s[42:43], vcc
	s_cbranch_execz .LBB36_2215
; %bb.2214:                             ;   in Loop: Header=BB36_1243 Depth=2
	s_bcnt1_i32_b64 s44, s[44:45]
	v_mov_b32_e32 v2, s44
	ds_add_u64 v0, v[2:3]
	s_trap 2
.LBB36_2215:                            ;   in Loop: Header=BB36_1243 Depth=2
	s_or_b64 exec, exec, s[42:43]
	s_trap 2
	ds_read_b64 v[0:1], v0
	s_waitcnt lgkmcnt(0)
	v_lshl_add_u64 v[56:57], v[56:57], 0, v[60:61]
	v_cmp_lt_u64_e32 vcc, v[0:1], v[56:57]
	s_and_saveexec_b64 s[42:43], vcc
	s_cbranch_execz .LBB36_2224
; %bb.2216:                             ;   in Loop: Header=BB36_1243 Depth=2
	s_mov_b32 s73, 0
	s_mov_b64 s[44:45], 0
                                        ; implicit-def: $sgpr46_sgpr47
                                        ; implicit-def: $sgpr56_sgpr57
	s_branch .LBB36_2218
.LBB36_2217:                            ;   in Loop: Header=BB36_2218 Depth=3
	s_or_b64 exec, exec, s[60:61]
	s_and_b64 s[58:59], exec, vcc
	s_or_b64 s[44:45], s[58:59], s[44:45]
	s_andn2_b64 s[46:47], s[46:47], exec
	s_and_b64 s[58:59], s[56:57], exec
	s_or_b64 s[46:47], s[46:47], s[58:59]
	s_andn2_b64 exec, exec, s[44:45]
	s_cbranch_execz .LBB36_2222
.LBB36_2218:                            ;   Parent Loop BB36_47 Depth=1
                                        ;     Parent Loop BB36_1243 Depth=2
                                        ; =>    This Inner Loop Header: Depth=3
	s_add_i32 s73, s73, 1
	s_cmpk_lg_i32 s73, 0x2710
	s_cselect_b64 s[58:59], -1, 0
	s_and_b64 vcc, exec, s[58:59]
	s_cbranch_vccz .LBB36_2220
; %bb.2219:                             ;   in Loop: Header=BB36_2218 Depth=3
	s_mov_b64 vcc, -1
	s_or_b64 s[56:57], s[56:57], exec
	s_and_saveexec_b64 s[60:61], s[58:59]
	s_cbranch_execz .LBB36_2217
	s_branch .LBB36_2221
.LBB36_2220:                            ;   in Loop: Header=BB36_2218 Depth=3
	s_trap 2
	ds_read_b64 v[0:1], v0
	s_andn2_b64 s[58:59], s[58:59], exec
	s_mov_b32 s73, 0
	s_waitcnt vmcnt(0) lgkmcnt(0)
	flat_load_dword v0, v[0:1] sc0 sc1
	s_waitcnt vmcnt(0) lgkmcnt(0)
	buffer_inv sc0 sc1
	v_cmp_eq_u32_e32 vcc, 0, v0
	s_and_b64 s[60:61], vcc, exec
	s_or_b64 s[58:59], s[58:59], s[60:61]
	s_mov_b64 vcc, -1
	s_or_b64 s[56:57], s[56:57], exec
	s_and_saveexec_b64 s[60:61], s[58:59]
	s_cbranch_execz .LBB36_2217
.LBB36_2221:                            ;   in Loop: Header=BB36_2218 Depth=3
	s_sleep 1
	s_trap 2
	ds_read_b64 v[0:1], v0
	s_waitcnt lgkmcnt(0)
	s_andn2_b64 s[56:57], s[56:57], exec
	v_cmp_ge_u64_e32 vcc, v[0:1], v[56:57]
	s_orn2_b64 vcc, vcc, exec
	s_branch .LBB36_2217
.LBB36_2222:                            ;   in Loop: Header=BB36_1243 Depth=2
	s_or_b64 exec, exec, s[44:45]
	s_and_saveexec_b64 s[44:45], s[46:47]
	s_xor_b64 s[44:45], exec, s[44:45]
	s_cbranch_execz .LBB36_2224
; %bb.2223:                             ;   in Loop: Header=BB36_1243 Depth=2
	v_mov_b32_e32 v0, 1
	ds_write_b32 v0, v0
	s_trap 2
.LBB36_2224:                            ;   in Loop: Header=BB36_1243 Depth=2
	s_or_b64 exec, exec, s[42:43]
	;;#ASMSTART
	s_wakeup
	;;#ASMEND
.LBB36_2225:                            ;   in Loop: Header=BB36_1243 Depth=2
	s_or_b64 exec, exec, s[40:41]
.LBB36_2226:                            ;   in Loop: Header=BB36_1243 Depth=2
	s_andn2_saveexec_b64 s[28:29], s[28:29]
	s_cbranch_execz .LBB36_2228
; %bb.2227:                             ;   in Loop: Header=BB36_1243 Depth=2
	s_waitcnt lgkmcnt(0)
	s_barrier
.LBB36_2228:                            ;   in Loop: Header=BB36_1243 Depth=2
	s_or_b64 exec, exec, s[28:29]
.LBB36_2229:                            ;   in Loop: Header=BB36_1243 Depth=2
	s_or_b64 exec, exec, s[26:27]
	v_and_b32_e32 v0, 16, v79
	s_and_saveexec_b64 s[26:27], s[20:21]
	s_xor_b64 s[26:27], exec, s[26:27]
	s_cbranch_execz .LBB36_2233
; %bb.2230:                             ;   in Loop: Header=BB36_1243 Depth=2
	v_and_b32_e32 v1, 16, v79
	v_cmp_ne_u32_e32 vcc, 0, v1
	v_and_b32_e32 v0, 16, v79
	s_and_b64 s[28:29], vcc, s[24:25]
	s_and_saveexec_b64 s[24:25], s[28:29]
	s_cbranch_execz .LBB36_2232
; %bb.2231:                             ;   in Loop: Header=BB36_1243 Depth=2
	v_mov_b32_e32 v0, 1
	buffer_wbl2 sc1
	s_waitcnt vmcnt(0) lgkmcnt(0)
	buffer_inv sc1
.LBB36_2232:                            ;   in Loop: Header=BB36_1243 Depth=2
	s_or_b64 exec, exec, s[24:25]
.LBB36_2233:                            ;   in Loop: Header=BB36_1243 Depth=2
	s_andn2_saveexec_b64 s[24:25], s[26:27]
	s_cbranch_execz .LBB36_2252
; %bb.2234:                             ;   in Loop: Header=BB36_1243 Depth=2
	s_and_saveexec_b64 s[26:27], s[76:77]
	s_xor_b64 s[26:27], exec, s[26:27]
	s_cbranch_execz .LBB36_2249
; %bb.2235:                             ;   in Loop: Header=BB36_1243 Depth=2
	s_and_saveexec_b64 s[28:29], s[12:13]
	s_cbranch_execz .LBB36_2248
; %bb.2236:                             ;   in Loop: Header=BB36_1243 Depth=2
	s_mov_b64 s[42:43], exec
	v_mbcnt_lo_u32_b32 v1, s42, 0
	v_mbcnt_hi_u32_b32 v1, s43, v1
	v_cmp_eq_u32_e32 vcc, 0, v1
	;;#ASMSTART
	s_waitcnt lgkmcnt(0) vmcnt(0)
	;;#ASMEND
	s_and_saveexec_b64 s[40:41], vcc
	s_cbranch_execz .LBB36_2238
; %bb.2237:                             ;   in Loop: Header=BB36_1243 Depth=2
	s_bcnt1_i32_b64 s42, s[42:43]
	v_mov_b32_e32 v2, s42
	s_waitcnt lgkmcnt(0)
	ds_add_u64 v0, v[2:3]
	s_trap 2
.LBB36_2238:                            ;   in Loop: Header=BB36_1243 Depth=2
	s_or_b64 exec, exec, s[40:41]
	s_trap 2
	ds_read_b64 v[6:7], v0
	s_waitcnt lgkmcnt(0)
	v_lshl_add_u64 v[56:57], v[56:57], 0, v[60:61]
	v_cmp_lt_u64_e32 vcc, v[6:7], v[56:57]
	s_and_saveexec_b64 s[40:41], vcc
	s_cbranch_execz .LBB36_2247
; %bb.2239:                             ;   in Loop: Header=BB36_1243 Depth=2
	s_mov_b32 s73, 0
	s_mov_b64 s[42:43], 0
                                        ; implicit-def: $sgpr44_sgpr45
                                        ; implicit-def: $sgpr46_sgpr47
	s_branch .LBB36_2241
.LBB36_2240:                            ;   in Loop: Header=BB36_2241 Depth=3
	s_or_b64 exec, exec, s[58:59]
	s_and_b64 s[56:57], exec, s[60:61]
	s_or_b64 s[42:43], s[56:57], s[42:43]
	s_andn2_b64 s[44:45], s[44:45], exec
	s_and_b64 s[56:57], s[46:47], exec
	s_or_b64 s[44:45], s[44:45], s[56:57]
	s_andn2_b64 exec, exec, s[42:43]
	s_cbranch_execz .LBB36_2245
.LBB36_2241:                            ;   Parent Loop BB36_47 Depth=1
                                        ;     Parent Loop BB36_1243 Depth=2
                                        ; =>    This Inner Loop Header: Depth=3
	s_add_i32 s73, s73, 1
	s_cmpk_lg_i32 s73, 0x2710
	s_cselect_b64 s[56:57], -1, 0
	s_and_b64 vcc, exec, s[56:57]
	s_cbranch_vccz .LBB36_2243
; %bb.2242:                             ;   in Loop: Header=BB36_2241 Depth=3
	s_mov_b64 s[60:61], -1
	s_or_b64 s[46:47], s[46:47], exec
	s_and_saveexec_b64 s[58:59], s[56:57]
	s_cbranch_execz .LBB36_2240
	s_branch .LBB36_2244
.LBB36_2243:                            ;   in Loop: Header=BB36_2241 Depth=3
	s_trap 2
	ds_read_b64 v[6:7], v0
	s_andn2_b64 s[56:57], s[56:57], exec
	s_mov_b32 s73, 0
	s_waitcnt vmcnt(0) lgkmcnt(0)
	flat_load_dword v1, v[6:7] sc0 sc1
	s_waitcnt vmcnt(0) lgkmcnt(0)
	buffer_inv sc0 sc1
	v_cmp_eq_u32_e32 vcc, 0, v1
	s_and_b64 s[58:59], vcc, exec
	s_or_b64 s[56:57], s[56:57], s[58:59]
	s_mov_b64 s[60:61], -1
	s_or_b64 s[46:47], s[46:47], exec
	s_and_saveexec_b64 s[58:59], s[56:57]
	s_cbranch_execz .LBB36_2240
.LBB36_2244:                            ;   in Loop: Header=BB36_2241 Depth=3
	s_sleep 1
	s_trap 2
	ds_read_b64 v[6:7], v0
	s_waitcnt lgkmcnt(0)
	s_andn2_b64 s[46:47], s[46:47], exec
	v_cmp_ge_u64_e32 vcc, v[6:7], v[56:57]
	s_orn2_b64 s[60:61], vcc, exec
	s_branch .LBB36_2240
.LBB36_2245:                            ;   in Loop: Header=BB36_1243 Depth=2
	s_or_b64 exec, exec, s[42:43]
	s_and_saveexec_b64 s[42:43], s[44:45]
	s_xor_b64 s[42:43], exec, s[42:43]
	s_cbranch_execz .LBB36_2247
; %bb.2246:                             ;   in Loop: Header=BB36_1243 Depth=2
	v_mov_b32_e32 v1, 1
	ds_write_b32 v0, v1
	s_trap 2
.LBB36_2247:                            ;   in Loop: Header=BB36_1243 Depth=2
	s_or_b64 exec, exec, s[40:41]
	;;#ASMSTART
	s_wakeup
	;;#ASMEND
.LBB36_2248:                            ;   in Loop: Header=BB36_1243 Depth=2
	s_or_b64 exec, exec, s[28:29]
.LBB36_2249:                            ;   in Loop: Header=BB36_1243 Depth=2
	s_andn2_saveexec_b64 s[26:27], s[26:27]
	s_cbranch_execz .LBB36_2251
; %bb.2250:                             ;   in Loop: Header=BB36_1243 Depth=2
	;;#ASMSTART
	s_waitcnt lgkmcnt(0) vmcnt(0)
	;;#ASMEND
	s_barrier
.LBB36_2251:                            ;   in Loop: Header=BB36_1243 Depth=2
	s_or_b64 exec, exec, s[26:27]
.LBB36_2252:                            ;   in Loop: Header=BB36_1243 Depth=2
	s_or_b64 exec, exec, s[24:25]
	v_cmp_ne_u32_e32 vcc, 0, v0
	s_xor_b64 s[24:25], s[6:7], -1
	s_and_b64 s[26:27], vcc, s[24:25]
	s_and_saveexec_b64 s[24:25], s[26:27]
	s_cbranch_execz .LBB36_2254
; %bb.2253:                             ;   in Loop: Header=BB36_1243 Depth=2
	scratch_load_dwordx2 v[0:1], off, s33 offset:296 ; 8-byte Folded Reload
	v_mov_b32_e32 v2, 1
	s_waitcnt vmcnt(0)
	flat_store_dword v[0:1], v2 sc0 sc1
.LBB36_2254:                            ;   in Loop: Header=BB36_1243 Depth=2
	s_or_b64 exec, exec, s[24:25]
	v_and_b32_e32 v0, 48, v79
	v_cmp_ne_u32_e32 vcc, 0, v0
	s_and_saveexec_b64 s[24:25], vcc
	s_cbranch_execz .LBB36_1242
; %bb.2255:                             ;   in Loop: Header=BB36_1243 Depth=2
	v_lshl_add_u64 v[4:5], v[4:5], 0, 2
	flat_store_dwordx2 v[40:41], v[4:5] sc0 sc1
	s_branch .LBB36_1242
.LBB36_2256:                            ;   in Loop: Header=BB36_47 Depth=1
	s_or_b64 exec, exec, s[52:53]
	v_cmp_gt_i32_e32 vcc, 2, v2
	s_and_saveexec_b64 s[26:27], vcc
	s_cbranch_execz .LBB36_2332
.LBB36_2257:                            ;   in Loop: Header=BB36_47 Depth=1
	v_cmp_eq_u32_e64 s[40:41], 0, v2
	s_mov_b64 s[28:29], 0
	s_branch .LBB36_2259
.LBB36_2258:                            ;   in Loop: Header=BB36_2259 Depth=2
	s_or_b64 exec, exec, s[24:25]
	v_add_u32_e32 v86, v84, v86
	s_mov_b64 s[40:41], 0
	s_andn2_b64 exec, exec, s[28:29]
	s_cbranch_execz .LBB36_2333
.LBB36_2259:                            ;   Parent Loop BB36_47 Depth=1
                                        ; =>  This Loop Header: Depth=2
                                        ;       Child Loop BB36_2265 Depth 3
                                        ;       Child Loop BB36_2293 Depth 3
	;; [unrolled: 1-line block ×3, first 2 shown]
	v_sub_u32_e32 v0, v44, v86
	v_min_i32_e32 v84, v84, v0
	v_and_b32_e32 v0, 12, v79
	v_cmp_ne_u32_e32 vcc, 0, v0
	s_and_saveexec_b64 s[42:43], vcc
	s_cbranch_execz .LBB36_2285
; %bb.2260:                             ;   in Loop: Header=BB36_2259 Depth=2
	v_and_b32_e32 v2, 8, v79
	s_waitcnt lgkmcnt(0)
	v_lshl_add_u64 v[6:7], v[46:47], 0, v[2:3]
	v_lshl_add_u64 v[0:1], v[4:5], 0, 2
	v_cmp_lt_u64_e32 vcc, v[6:7], v[0:1]
	s_and_saveexec_b64 s[44:45], vcc
	s_cbranch_execz .LBB36_2272
; %bb.2261:                             ;   in Loop: Header=BB36_2259 Depth=2
	v_and_b32_e32 v5, 64, v79
	s_mov_b32 s73, 0
	v_cmp_eq_u32_e32 vcc, 0, v5
	s_mov_b64 s[46:47], 0
                                        ; implicit-def: $sgpr56_sgpr57
                                        ; implicit-def: $sgpr58_sgpr59
                                        ; implicit-def: $sgpr60_sgpr61
	s_branch .LBB36_2265
.LBB36_2262:                            ;   in Loop: Header=BB36_2265 Depth=3
	s_waitcnt vmcnt(0) lgkmcnt(0)
	v_lshl_add_u64 v[6:7], v[46:47], 0, v[2:3]
	v_cmp_ge_u64_e64 s[24:25], v[6:7], v[0:1]
	s_or_b64 s[64:65], s[64:65], exec
	s_orn2_b64 s[54:55], s[24:25], exec
.LBB36_2263:                            ;   in Loop: Header=BB36_2265 Depth=3
	s_or_b64 exec, exec, s[68:69]
	s_andn2_b64 s[24:25], s[60:61], exec
	s_and_b64 s[60:61], s[64:65], exec
	s_or_b64 s[60:61], s[24:25], s[60:61]
	s_andn2_b64 s[24:25], s[58:59], exec
	s_and_b64 s[58:59], s[54:55], exec
	s_or_b64 s[58:59], s[24:25], s[58:59]
.LBB36_2264:                            ;   in Loop: Header=BB36_2265 Depth=3
	s_or_b64 exec, exec, s[52:53]
	s_and_b64 s[24:25], exec, s[58:59]
	s_or_b64 s[46:47], s[24:25], s[46:47]
	s_andn2_b64 s[24:25], s[56:57], exec
	s_and_b64 s[56:57], s[60:61], exec
	s_or_b64 s[56:57], s[24:25], s[56:57]
	s_andn2_b64 exec, exec, s[46:47]
	s_cbranch_execz .LBB36_2269
.LBB36_2265:                            ;   Parent Loop BB36_47 Depth=1
                                        ;     Parent Loop BB36_2259 Depth=2
                                        ; =>    This Inner Loop Header: Depth=3
	s_sleep 1
	s_waitcnt vmcnt(0) lgkmcnt(0)
	flat_load_dwordx2 v[46:47], v[40:41] sc0 sc1
	s_or_b64 s[60:61], s[60:61], exec
	s_or_b64 s[58:59], s[58:59], exec
                                        ; implicit-def: $vgpr5
	s_and_saveexec_b64 s[52:53], vcc
	s_cbranch_execz .LBB36_2264
; %bb.2266:                             ;   in Loop: Header=BB36_2265 Depth=3
	s_cmpk_lt_i32 s73, 0x270f
	s_cselect_b64 s[66:67], -1, 0
	s_cmpk_gt_i32 s73, 0x270e
	s_mov_b64 s[54:55], -1
	s_cbranch_scc0 .LBB36_2268
; %bb.2267:                             ;   in Loop: Header=BB36_2265 Depth=3
	s_trap 2
	ds_read_b64 v[6:7], v0
	s_andn2_b64 s[66:67], s[66:67], exec
	s_mov_b32 s73, 0
	s_mov_b64 s[64:65], 0
	s_waitcnt vmcnt(0) lgkmcnt(0)
	flat_load_dword v5, v[6:7] sc0 sc1
	s_waitcnt vmcnt(0) lgkmcnt(0)
	buffer_inv sc0 sc1
	v_cmp_eq_u32_e64 s[24:25], 0, v5
	s_and_b64 s[24:25], s[24:25], exec
	s_or_b64 s[66:67], s[66:67], s[24:25]
	s_and_saveexec_b64 s[68:69], s[66:67]
	s_cbranch_execz .LBB36_2263
	s_branch .LBB36_2262
.LBB36_2268:                            ;   in Loop: Header=BB36_2265 Depth=3
	s_add_i32 s73, s73, 1
	s_mov_b64 s[64:65], -1
                                        ; implicit-def: $vgpr5
	s_and_saveexec_b64 s[68:69], s[66:67]
	s_cbranch_execz .LBB36_2263
	s_branch .LBB36_2262
.LBB36_2269:                            ;   in Loop: Header=BB36_2259 Depth=2
	s_or_b64 exec, exec, s[46:47]
	s_xor_b64 s[24:25], s[56:57], -1
	s_and_saveexec_b64 s[46:47], s[24:25]
	s_xor_b64 s[24:25], exec, s[46:47]
	s_cbranch_execz .LBB36_2271
; %bb.2270:                             ;   in Loop: Header=BB36_2259 Depth=2
	v_or_b32_e32 v79, 64, v79
	s_waitcnt lgkmcnt(0)
	ds_write_b32 v0, v5
	s_trap 2
.LBB36_2271:                            ;   in Loop: Header=BB36_2259 Depth=2
	s_or_b64 exec, exec, s[24:25]
.LBB36_2272:                            ;   in Loop: Header=BB36_2259 Depth=2
	s_or_b64 exec, exec, s[44:45]
	v_and_b32_e32 v5, 0x108, v79
	v_cmp_ne_u32_e32 vcc, s34, v5
	v_and_b32_e32 v4, 7, v4
	;;#ASMSTART
	s_wakeup
	;;#ASMEND
	s_and_saveexec_b64 s[24:25], vcc
	s_xor_b64 s[24:25], exec, s[24:25]
                                        ; implicit-def: $vgpr5
; %bb.2273:                             ;   in Loop: Header=BB36_2259 Depth=2
	v_mov_b32_e32 v5, v3
; %bb.2274:                             ;   in Loop: Header=BB36_2259 Depth=2
	s_andn2_saveexec_b64 s[24:25], s[24:25]
	s_cbranch_execz .LBB36_2276
; %bb.2275:                             ;   in Loop: Header=BB36_2259 Depth=2
	scratch_load_dwordx4 v[6:9], off, s33 offset:280 ; 16-byte Folded Reload
	v_ashrrev_i32_e32 v85, 31, v84
	v_mov_b32_e32 v5, v3
	s_waitcnt vmcnt(0)
	v_lshlrev_b64 v[8:9], 1, v[84:85]
	v_mad_u64_u32 v[6:7], s[44:45], v4, 24, v[6:7]
	flat_store_dwordx2 v[6:7], v[8:9] offset:8
.LBB36_2276:                            ;   in Loop: Header=BB36_2259 Depth=2
	s_or_b64 exec, exec, s[24:25]
	v_and_b32_e32 v6, 0x100, v79
	v_cmp_ne_u32_e32 vcc, 0, v6
	s_mov_b64 s[24:25], -1
                                        ; implicit-def: $vgpr8_vgpr9
	s_and_saveexec_b64 s[44:45], vcc
	s_cbranch_execz .LBB36_2280
; %bb.2277:                             ;   in Loop: Header=BB36_2259 Depth=2
	scratch_load_dwordx4 v[6:9], off, s33 offset:280 ; 16-byte Folded Reload
                                        ; implicit-def: $vgpr8_vgpr9
	s_waitcnt vmcnt(0)
	v_mad_u64_u32 v[10:11], s[24:25], v4, 24, v[6:7]
	v_mov_b32_e32 v6, v11
	v_mad_u64_u32 v[6:7], s[24:25], v5, 24, v[6:7]
	v_mov_b32_e32 v11, v6
	flat_load_dword v6, v[10:11]
	s_waitcnt vmcnt(0) lgkmcnt(0)
	v_cmp_ne_u32_e32 vcc, 1, v6
	v_cmp_eq_u32_e64 s[24:25], 1, v6
	s_and_saveexec_b64 s[46:47], s[24:25]
	s_cbranch_execz .LBB36_2279
; %bb.2278:                             ;   in Loop: Header=BB36_2259 Depth=2
	flat_load_dword v6, v[10:11] offset:4 sc0 sc1
	s_waitcnt vmcnt(0) lgkmcnt(0)
	v_ashrrev_i32_e32 v7, 31, v6
	v_lshrrev_b64 v[8:9], 1, v[6:7]
.LBB36_2279:                            ;   in Loop: Header=BB36_2259 Depth=2
	s_or_b64 exec, exec, s[46:47]
	s_orn2_b64 s[24:25], vcc, exec
.LBB36_2280:                            ;   in Loop: Header=BB36_2259 Depth=2
	s_or_b64 exec, exec, s[44:45]
	s_and_saveexec_b64 s[44:45], s[24:25]
	s_cbranch_execz .LBB36_2282
; %bb.2281:                             ;   in Loop: Header=BB36_2259 Depth=2
	scratch_load_dwordx2 v[6:7], off, s33 offset:348 ; 8-byte Folded Reload
	s_waitcnt vmcnt(0)
	v_mov_b32_e32 v8, v6
	scratch_load_dwordx2 v[6:7], off, s33 offset:372 ; 8-byte Folded Reload
	v_mul_lo_u32 v5, v5, v8
	v_mad_u64_u32 v[8:9], s[24:25], v4, v8, 0
	s_waitcnt vmcnt(0)
	v_mul_lo_u32 v6, v4, v7
	v_add3_u32 v9, v9, v6, v5
.LBB36_2282:                            ;   in Loop: Header=BB36_2259 Depth=2
	s_or_b64 exec, exec, s[44:45]
	v_cmp_eq_u32_e32 vcc, 0, v2
	v_mov_b32_e32 v2, 0x90
	v_mov_b32_e32 v4, 0xd0
	v_cndmask_b32_e32 v2, v4, v2, vcc
	scratch_load_dwordx2 v[4:5], off, s33 offset:264 ; 8-byte Folded Reload
	v_add_u32_e32 v2, v0, v2
	s_waitcnt vmcnt(0)
	v_lshl_add_u64 v[4:5], v[8:9], 1, v[4:5]
	ds_write_b64 v2, v[4:5] offset:584
	v_and_b32_e32 v2, 0x2000, v79
	v_cmp_ne_u32_e32 vcc, 0, v2
	s_and_saveexec_b64 s[24:25], vcc
	s_cbranch_execz .LBB36_2284
; %bb.2283:                             ;   in Loop: Header=BB36_2259 Depth=2
	ds_read_b64 v[4:5], v0 offset:872
	s_waitcnt lgkmcnt(0)
	v_lshl_add_u64 v[4:5], v[4:5], 0, 1
	ds_write_b64 v0, v[4:5] offset:872
.LBB36_2284:                            ;   in Loop: Header=BB36_2259 Depth=2
	s_or_b64 exec, exec, s[24:25]
	v_mov_b64_e32 v[4:5], v[0:1]
.LBB36_2285:                            ;   in Loop: Header=BB36_2259 Depth=2
	s_or_b64 exec, exec, s[42:43]
	s_xor_b64 s[24:25], s[40:41], -1
	s_and_b64 s[24:25], exec, s[24:25]
	s_or_b64 s[28:29], s[24:25], s[28:29]
	s_and_saveexec_b64 s[24:25], s[4:5]
	s_cbranch_execz .LBB36_2304
; %bb.2286:                             ;   in Loop: Header=BB36_2259 Depth=2
	s_and_saveexec_b64 s[40:41], s[76:77]
	s_xor_b64 s[40:41], exec, s[40:41]
	s_cbranch_execz .LBB36_2301
; %bb.2287:                             ;   in Loop: Header=BB36_2259 Depth=2
	s_and_saveexec_b64 s[42:43], s[12:13]
	s_cbranch_execz .LBB36_2300
; %bb.2288:                             ;   in Loop: Header=BB36_2259 Depth=2
	s_mov_b64 s[46:47], exec
	v_mbcnt_lo_u32_b32 v0, s46, 0
	v_mbcnt_hi_u32_b32 v0, s47, v0
	v_cmp_eq_u32_e32 vcc, 0, v0
	s_waitcnt lgkmcnt(0)
	s_and_saveexec_b64 s[44:45], vcc
	s_cbranch_execz .LBB36_2290
; %bb.2289:                             ;   in Loop: Header=BB36_2259 Depth=2
	s_bcnt1_i32_b64 s46, s[46:47]
	v_mov_b32_e32 v2, s46
	ds_add_u64 v0, v[2:3]
	s_trap 2
.LBB36_2290:                            ;   in Loop: Header=BB36_2259 Depth=2
	s_or_b64 exec, exec, s[44:45]
	s_trap 2
	ds_read_b64 v[0:1], v0
	s_waitcnt lgkmcnt(0)
	v_lshl_add_u64 v[56:57], v[56:57], 0, v[60:61]
	v_cmp_lt_u64_e32 vcc, v[0:1], v[56:57]
	s_and_saveexec_b64 s[44:45], vcc
	s_cbranch_execz .LBB36_2299
; %bb.2291:                             ;   in Loop: Header=BB36_2259 Depth=2
	s_mov_b32 s73, 0
	s_mov_b64 s[46:47], 0
                                        ; implicit-def: $sgpr56_sgpr57
                                        ; implicit-def: $sgpr58_sgpr59
	s_branch .LBB36_2293
.LBB36_2292:                            ;   in Loop: Header=BB36_2293 Depth=3
	s_or_b64 exec, exec, s[52:53]
	s_and_b64 s[60:61], exec, vcc
	s_or_b64 s[46:47], s[60:61], s[46:47]
	s_andn2_b64 s[56:57], s[56:57], exec
	s_and_b64 s[60:61], s[58:59], exec
	s_or_b64 s[56:57], s[56:57], s[60:61]
	s_andn2_b64 exec, exec, s[46:47]
	s_cbranch_execz .LBB36_2297
.LBB36_2293:                            ;   Parent Loop BB36_47 Depth=1
                                        ;     Parent Loop BB36_2259 Depth=2
                                        ; =>    This Inner Loop Header: Depth=3
	s_add_i32 s73, s73, 1
	s_cmpk_lg_i32 s73, 0x2710
	s_cselect_b64 s[60:61], -1, 0
	s_and_b64 vcc, exec, s[60:61]
	s_cbranch_vccz .LBB36_2295
; %bb.2294:                             ;   in Loop: Header=BB36_2293 Depth=3
	s_mov_b64 vcc, -1
	s_or_b64 s[58:59], s[58:59], exec
	s_and_saveexec_b64 s[52:53], s[60:61]
	s_cbranch_execz .LBB36_2292
	s_branch .LBB36_2296
.LBB36_2295:                            ;   in Loop: Header=BB36_2293 Depth=3
	s_trap 2
	ds_read_b64 v[0:1], v0
	s_andn2_b64 s[60:61], s[60:61], exec
	s_mov_b32 s73, 0
	s_waitcnt vmcnt(0) lgkmcnt(0)
	flat_load_dword v0, v[0:1] sc0 sc1
	s_waitcnt vmcnt(0) lgkmcnt(0)
	buffer_inv sc0 sc1
	v_cmp_eq_u32_e32 vcc, 0, v0
	s_and_b64 vcc, vcc, exec
	s_or_b64 s[60:61], s[60:61], vcc
	s_mov_b64 vcc, -1
	s_or_b64 s[58:59], s[58:59], exec
	s_and_saveexec_b64 s[52:53], s[60:61]
	s_cbranch_execz .LBB36_2292
.LBB36_2296:                            ;   in Loop: Header=BB36_2293 Depth=3
	s_sleep 1
	s_trap 2
	ds_read_b64 v[0:1], v0
	s_waitcnt lgkmcnt(0)
	s_andn2_b64 s[58:59], s[58:59], exec
	v_cmp_ge_u64_e32 vcc, v[0:1], v[56:57]
	s_orn2_b64 vcc, vcc, exec
	s_branch .LBB36_2292
.LBB36_2297:                            ;   in Loop: Header=BB36_2259 Depth=2
	s_or_b64 exec, exec, s[46:47]
	s_and_saveexec_b64 s[46:47], s[56:57]
	s_xor_b64 s[46:47], exec, s[46:47]
	s_cbranch_execz .LBB36_2299
; %bb.2298:                             ;   in Loop: Header=BB36_2259 Depth=2
	v_mov_b32_e32 v0, 1
	ds_write_b32 v0, v0
	s_trap 2
.LBB36_2299:                            ;   in Loop: Header=BB36_2259 Depth=2
	s_or_b64 exec, exec, s[44:45]
	;;#ASMSTART
	s_wakeup
	;;#ASMEND
.LBB36_2300:                            ;   in Loop: Header=BB36_2259 Depth=2
	s_or_b64 exec, exec, s[42:43]
.LBB36_2301:                            ;   in Loop: Header=BB36_2259 Depth=2
	s_andn2_saveexec_b64 s[40:41], s[40:41]
	s_cbranch_execz .LBB36_2303
; %bb.2302:                             ;   in Loop: Header=BB36_2259 Depth=2
	s_waitcnt lgkmcnt(0)
	s_barrier
.LBB36_2303:                            ;   in Loop: Header=BB36_2259 Depth=2
	s_or_b64 exec, exec, s[40:41]
.LBB36_2304:                            ;   in Loop: Header=BB36_2259 Depth=2
	s_or_b64 exec, exec, s[24:25]
	v_and_b32_e32 v0, 16, v79
	s_and_saveexec_b64 s[24:25], s[20:21]
	s_xor_b64 s[24:25], exec, s[24:25]
	s_cbranch_execz .LBB36_2308
; %bb.2305:                             ;   in Loop: Header=BB36_2259 Depth=2
	s_trap 2
	ds_read_b32 v1, v0
	v_cmp_lt_i32_e32 vcc, 0, v84
	v_and_b32_e32 v2, 16, v79
	v_and_b32_e32 v0, 16, v79
	s_waitcnt lgkmcnt(0)
	v_readfirstlane_b32 s40, v1
	s_cmp_eq_u32 s40, 0
	s_cselect_b64 s[40:41], -1, 0
	s_and_b64 s[40:41], vcc, s[40:41]
	v_cmp_ne_u32_e32 vcc, 0, v2
	s_and_b64 s[42:43], vcc, s[40:41]
	s_and_saveexec_b64 s[40:41], s[42:43]
	s_cbranch_execz .LBB36_2307
; %bb.2306:                             ;   in Loop: Header=BB36_2259 Depth=2
	v_mov_b32_e32 v0, 1
	buffer_wbl2 sc1
	s_waitcnt vmcnt(0)
	buffer_inv sc1
.LBB36_2307:                            ;   in Loop: Header=BB36_2259 Depth=2
	s_or_b64 exec, exec, s[40:41]
.LBB36_2308:                            ;   in Loop: Header=BB36_2259 Depth=2
	s_andn2_saveexec_b64 s[24:25], s[24:25]
	s_cbranch_execz .LBB36_2327
; %bb.2309:                             ;   in Loop: Header=BB36_2259 Depth=2
	s_and_saveexec_b64 s[40:41], s[76:77]
	s_xor_b64 s[40:41], exec, s[40:41]
	s_cbranch_execz .LBB36_2324
; %bb.2310:                             ;   in Loop: Header=BB36_2259 Depth=2
	s_and_saveexec_b64 s[42:43], s[12:13]
	s_cbranch_execz .LBB36_2323
; %bb.2311:                             ;   in Loop: Header=BB36_2259 Depth=2
	s_mov_b64 s[46:47], exec
	v_mbcnt_lo_u32_b32 v1, s46, 0
	v_mbcnt_hi_u32_b32 v1, s47, v1
	v_cmp_eq_u32_e32 vcc, 0, v1
	;;#ASMSTART
	s_waitcnt lgkmcnt(0) vmcnt(0)
	;;#ASMEND
	s_and_saveexec_b64 s[44:45], vcc
	s_cbranch_execz .LBB36_2313
; %bb.2312:                             ;   in Loop: Header=BB36_2259 Depth=2
	s_bcnt1_i32_b64 s46, s[46:47]
	v_mov_b32_e32 v2, s46
	s_waitcnt lgkmcnt(0)
	ds_add_u64 v0, v[2:3]
	s_trap 2
.LBB36_2313:                            ;   in Loop: Header=BB36_2259 Depth=2
	s_or_b64 exec, exec, s[44:45]
	s_trap 2
	ds_read_b64 v[6:7], v0
	s_waitcnt lgkmcnt(0)
	v_lshl_add_u64 v[56:57], v[56:57], 0, v[60:61]
	v_cmp_lt_u64_e32 vcc, v[6:7], v[56:57]
	s_and_saveexec_b64 s[44:45], vcc
	s_cbranch_execz .LBB36_2322
; %bb.2314:                             ;   in Loop: Header=BB36_2259 Depth=2
	s_mov_b32 s73, 0
	s_mov_b64 s[46:47], 0
                                        ; implicit-def: $sgpr56_sgpr57
                                        ; implicit-def: $sgpr58_sgpr59
	s_branch .LBB36_2316
.LBB36_2315:                            ;   in Loop: Header=BB36_2316 Depth=3
	s_or_b64 exec, exec, s[52:53]
	s_and_b64 s[60:61], exec, vcc
	s_or_b64 s[46:47], s[60:61], s[46:47]
	s_andn2_b64 s[56:57], s[56:57], exec
	s_and_b64 s[60:61], s[58:59], exec
	s_or_b64 s[56:57], s[56:57], s[60:61]
	s_andn2_b64 exec, exec, s[46:47]
	s_cbranch_execz .LBB36_2320
.LBB36_2316:                            ;   Parent Loop BB36_47 Depth=1
                                        ;     Parent Loop BB36_2259 Depth=2
                                        ; =>    This Inner Loop Header: Depth=3
	s_add_i32 s73, s73, 1
	s_cmpk_lg_i32 s73, 0x2710
	s_cselect_b64 s[60:61], -1, 0
	s_and_b64 vcc, exec, s[60:61]
	s_cbranch_vccz .LBB36_2318
; %bb.2317:                             ;   in Loop: Header=BB36_2316 Depth=3
	s_mov_b64 vcc, -1
	s_or_b64 s[58:59], s[58:59], exec
	s_and_saveexec_b64 s[52:53], s[60:61]
	s_cbranch_execz .LBB36_2315
	s_branch .LBB36_2319
.LBB36_2318:                            ;   in Loop: Header=BB36_2316 Depth=3
	s_trap 2
	ds_read_b64 v[6:7], v0
	s_andn2_b64 s[60:61], s[60:61], exec
	s_mov_b32 s73, 0
	s_waitcnt vmcnt(0) lgkmcnt(0)
	flat_load_dword v1, v[6:7] sc0 sc1
	s_waitcnt vmcnt(0) lgkmcnt(0)
	buffer_inv sc0 sc1
	v_cmp_eq_u32_e32 vcc, 0, v1
	s_and_b64 vcc, vcc, exec
	s_or_b64 s[60:61], s[60:61], vcc
	s_mov_b64 vcc, -1
	s_or_b64 s[58:59], s[58:59], exec
	s_and_saveexec_b64 s[52:53], s[60:61]
	s_cbranch_execz .LBB36_2315
.LBB36_2319:                            ;   in Loop: Header=BB36_2316 Depth=3
	s_sleep 1
	s_trap 2
	ds_read_b64 v[6:7], v0
	s_waitcnt lgkmcnt(0)
	s_andn2_b64 s[58:59], s[58:59], exec
	v_cmp_ge_u64_e32 vcc, v[6:7], v[56:57]
	s_orn2_b64 vcc, vcc, exec
	s_branch .LBB36_2315
.LBB36_2320:                            ;   in Loop: Header=BB36_2259 Depth=2
	s_or_b64 exec, exec, s[46:47]
	s_and_saveexec_b64 s[46:47], s[56:57]
	s_xor_b64 s[46:47], exec, s[46:47]
	s_cbranch_execz .LBB36_2322
; %bb.2321:                             ;   in Loop: Header=BB36_2259 Depth=2
	v_mov_b32_e32 v1, 1
	ds_write_b32 v0, v1
	s_trap 2
.LBB36_2322:                            ;   in Loop: Header=BB36_2259 Depth=2
	s_or_b64 exec, exec, s[44:45]
	;;#ASMSTART
	s_wakeup
	;;#ASMEND
.LBB36_2323:                            ;   in Loop: Header=BB36_2259 Depth=2
	s_or_b64 exec, exec, s[42:43]
.LBB36_2324:                            ;   in Loop: Header=BB36_2259 Depth=2
	s_andn2_saveexec_b64 s[40:41], s[40:41]
	s_cbranch_execz .LBB36_2326
; %bb.2325:                             ;   in Loop: Header=BB36_2259 Depth=2
	;;#ASMSTART
	s_waitcnt lgkmcnt(0) vmcnt(0)
	;;#ASMEND
	s_barrier
.LBB36_2326:                            ;   in Loop: Header=BB36_2259 Depth=2
	s_or_b64 exec, exec, s[40:41]
.LBB36_2327:                            ;   in Loop: Header=BB36_2259 Depth=2
	s_or_b64 exec, exec, s[24:25]
	v_cmp_ne_u32_e32 vcc, 0, v0
	s_xor_b64 s[24:25], s[6:7], -1
	s_and_b64 s[40:41], vcc, s[24:25]
	s_and_saveexec_b64 s[24:25], s[40:41]
	s_cbranch_execz .LBB36_2329
; %bb.2328:                             ;   in Loop: Header=BB36_2259 Depth=2
	scratch_load_dwordx2 v[0:1], off, s33 offset:296 ; 8-byte Folded Reload
	v_mov_b32_e32 v2, 1
	s_waitcnt vmcnt(0)
	flat_store_dword v[0:1], v2 sc0 sc1
.LBB36_2329:                            ;   in Loop: Header=BB36_2259 Depth=2
	s_or_b64 exec, exec, s[24:25]
	v_and_b32_e32 v0, 48, v79
	v_cmp_ne_u32_e32 vcc, 0, v0
	s_and_saveexec_b64 s[24:25], vcc
	s_cbranch_execz .LBB36_2258
; %bb.2330:                             ;   in Loop: Header=BB36_2259 Depth=2
	v_lshl_add_u64 v[4:5], v[4:5], 0, 2
	flat_store_dwordx2 v[40:41], v[4:5] sc0 sc1
	s_branch .LBB36_2258
.LBB36_2331:                            ;   in Loop: Header=BB36_47 Depth=1
	s_or_b64 exec, exec, s[54:55]
	s_or_b64 exec, exec, s[52:53]
	v_cmp_gt_i32_e32 vcc, 2, v2
	s_and_saveexec_b64 s[26:27], vcc
	s_cbranch_execnz .LBB36_2257
.LBB36_2332:                            ;   in Loop: Header=BB36_47 Depth=1
	s_or_b64 exec, exec, s[26:27]
	s_and_b64 vcc, exec, s[22:23]
	s_cbranch_vccz .LBB36_2334
	s_branch .LBB36_3102
.LBB36_2333:                            ;   in Loop: Header=BB36_47 Depth=1
	s_or_b64 exec, exec, s[28:29]
	s_or_b64 exec, exec, s[26:27]
	s_and_b64 vcc, exec, s[22:23]
	s_cbranch_vccnz .LBB36_3102
.LBB36_2334:                            ;   in Loop: Header=BB36_47 Depth=1
	s_mov_b32 s70, 1
.LBB36_2335:                            ;   Parent Loop BB36_47 Depth=1
                                        ; =>  This Loop Header: Depth=2
                                        ;       Child Loop BB36_2338 Depth 3
                                        ;         Child Loop BB36_2346 Depth 4
                                        ;         Child Loop BB36_2374 Depth 4
	;; [unrolled: 1-line block ×9, first 2 shown]
                                        ;           Child Loop BB36_2556 Depth 5
                                        ;         Child Loop BB36_2564 Depth 4
                                        ;         Child Loop BB36_2632 Depth 4
                                        ;           Child Loop BB36_2633 Depth 5
                                        ;         Child Loop BB36_2989 Depth 4
                                        ;         Child Loop BB36_3008 Depth 4
                                        ;       Child Loop BB36_3027 Depth 3
                                        ;         Child Loop BB36_3033 Depth 4
                                        ;         Child Loop BB36_3061 Depth 4
	;; [unrolled: 1-line block ×3, first 2 shown]
	scratch_load_dwordx2 v[8:9], off, s33 offset:420 ; 8-byte Folded Reload
	s_sub_i32 s22, s84, s70
	s_cmp_ge_i32 s22, s80
	s_cselect_b32 s23, s80, 0
	s_sub_i32 s22, s22, s23
	s_ashr_i32 s23, s22, 31
	v_mov_b32_e32 v72, 0
	s_waitcnt vmcnt(0)
	v_mul_lo_u32 v2, v8, s23
	v_mul_lo_u32 v6, v9, s22
	v_mad_u64_u32 v[0:1], s[22:23], v8, s22, 0
	v_add3_u32 v1, v1, v2, v6
	scratch_load_dwordx2 v[6:7], off, s33 offset:404 ; 8-byte Folded Reload
	s_waitcnt vmcnt(0)
	v_sub_co_u32_e32 v6, vcc, v6, v0
	s_nop 1
	v_subb_co_u32_e32 v7, vcc, v7, v1, vcc
	v_cmp_lt_i64_e32 vcc, v[8:9], v[6:7]
	s_nop 1
	v_cndmask_b32_e32 v2, v6, v8, vcc
	v_max_i32_e32 v6, 0, v2
	v_add_u32_e32 v7, 31, v6
	v_ashrrev_i32_e32 v8, 31, v7
	v_lshrrev_b32_e32 v8, 27, v8
	v_add_u32_e32 v7, v7, v8
	v_ashrrev_i32_e32 v7, 5, v7
	v_lshlrev_b32_e32 v7, 4, v7
	v_cmp_lt_i32_e32 vcc, 0, v2
	v_max_i32_e32 v58, s87, v7
	s_and_b64 s[22:23], s[48:49], vcc
	v_mov_b32_e32 v2, 0
	s_and_saveexec_b64 s[60:61], s[22:23]
	s_cbranch_execz .LBB36_3024
; %bb.2336:                             ;   in Loop: Header=BB36_2335 Depth=2
	scratch_load_dwordx2 v[8:9], off, s33 offset:380 ; 8-byte Folded Reload
	s_mov_b32 s73, 1
	s_mov_b64 s[54:55], -1
	v_mov_b32_e32 v72, 0
	s_mov_b64 s[52:53], 0
	s_waitcnt vmcnt(0)
	v_lshl_add_u64 v[0:1], v[0:1], 0, v[8:9]
	v_lshlrev_b64 v[74:75], 1, v[0:1]
	s_branch .LBB36_2338
.LBB36_2337:                            ;   in Loop: Header=BB36_2338 Depth=3
	s_or_b64 exec, exec, s[22:23]
	v_add_u32_e32 v72, v58, v72
	v_cmp_ge_i32_e32 vcc, v72, v6
	s_xor_b64 s[22:23], s[54:55], -1
	s_or_b64 s[22:23], s[22:23], vcc
	s_and_b64 s[22:23], exec, s[22:23]
	s_or_b64 s[52:53], s[22:23], s[52:53]
	s_mov_b64 s[54:55], 0
	v_mov_b32_e32 v2, s73
	s_mov_b32 s73, 2
	s_andn2_b64 exec, exec, s[52:53]
	s_cbranch_execz .LBB36_3023
.LBB36_2338:                            ;   Parent Loop BB36_47 Depth=1
                                        ;     Parent Loop BB36_2335 Depth=2
                                        ; =>    This Loop Header: Depth=3
                                        ;         Child Loop BB36_2346 Depth 4
                                        ;         Child Loop BB36_2374 Depth 4
	;; [unrolled: 1-line block ×9, first 2 shown]
                                        ;           Child Loop BB36_2556 Depth 5
                                        ;         Child Loop BB36_2564 Depth 4
                                        ;         Child Loop BB36_2632 Depth 4
                                        ;           Child Loop BB36_2633 Depth 5
                                        ;         Child Loop BB36_2989 Depth 4
                                        ;         Child Loop BB36_3008 Depth 4
	s_and_saveexec_b64 s[22:23], s[0:1]
	s_cbranch_execz .LBB36_2340
; %bb.2339:                             ;   in Loop: Header=BB36_2338 Depth=3
	s_trap 2
	ds_read_b128 v[8:11], v0
	v_ashrrev_i32_e32 v73, 31, v72
	v_lshlrev_b64 v[0:1], 1, v[72:73]
	s_waitcnt lgkmcnt(0)
	v_lshl_add_u64 v[8:9], v[8:9], 0, v[74:75]
	v_lshl_add_u64 v[12:13], v[10:11], 0, v[74:75]
	;; [unrolled: 1-line block ×3, first 2 shown]
	ds_write_b64 v0, v[8:9]
	v_lshl_add_u64 v[0:1], v[12:13], 0, v[0:1]
	v_cmp_ne_u64_e32 vcc, 0, v[10:11]
	s_nop 1
	v_cndmask_b32_e32 v1, 0, v1, vcc
	v_cndmask_b32_e32 v0, 0, v0, vcc
	ds_write_b64 v0, v[0:1]
.LBB36_2340:                            ;   in Loop: Header=BB36_2338 Depth=3
	s_or_b64 exec, exec, s[22:23]
	v_sub_u32_e32 v0, v6, v72
	v_min_i32_e32 v58, v58, v0
	v_and_b32_e32 v0, 12, v79
	v_cmp_ne_u32_e32 vcc, 0, v0
	s_and_saveexec_b64 s[24:25], vcc
	s_cbranch_execz .LBB36_2366
; %bb.2341:                             ;   in Loop: Header=BB36_2338 Depth=3
	v_and_b32_e32 v2, 8, v79
	s_waitcnt lgkmcnt(0)
	v_lshl_add_u64 v[8:9], v[46:47], 0, v[2:3]
	v_lshl_add_u64 v[0:1], v[4:5], 0, 2
	v_cmp_lt_u64_e32 vcc, v[8:9], v[0:1]
	s_and_saveexec_b64 s[26:27], vcc
	s_cbranch_execz .LBB36_2353
; %bb.2342:                             ;   in Loop: Header=BB36_2338 Depth=3
	v_and_b32_e32 v5, 64, v79
	s_mov_b32 s74, 0
	v_cmp_eq_u32_e32 vcc, 0, v5
	s_mov_b64 s[28:29], 0
                                        ; implicit-def: $sgpr40_sgpr41
                                        ; implicit-def: $sgpr42_sgpr43
                                        ; implicit-def: $sgpr44_sgpr45
	s_branch .LBB36_2346
.LBB36_2343:                            ;   in Loop: Header=BB36_2346 Depth=4
	s_waitcnt vmcnt(0) lgkmcnt(0)
	v_lshl_add_u64 v[8:9], v[46:47], 0, v[2:3]
	v_cmp_ge_u64_e64 s[22:23], v[8:9], v[0:1]
	s_or_b64 s[58:59], s[58:59], exec
	s_orn2_b64 s[56:57], s[22:23], exec
.LBB36_2344:                            ;   in Loop: Header=BB36_2346 Depth=4
	s_or_b64 exec, exec, s[66:67]
	s_andn2_b64 s[22:23], s[44:45], exec
	s_and_b64 s[44:45], s[58:59], exec
	s_or_b64 s[44:45], s[22:23], s[44:45]
	s_andn2_b64 s[22:23], s[42:43], exec
	s_and_b64 s[42:43], s[56:57], exec
	s_or_b64 s[42:43], s[22:23], s[42:43]
.LBB36_2345:                            ;   in Loop: Header=BB36_2346 Depth=4
	s_or_b64 exec, exec, s[46:47]
	s_and_b64 s[22:23], exec, s[42:43]
	s_or_b64 s[28:29], s[22:23], s[28:29]
	s_andn2_b64 s[22:23], s[40:41], exec
	s_and_b64 s[40:41], s[44:45], exec
	s_or_b64 s[40:41], s[22:23], s[40:41]
	s_andn2_b64 exec, exec, s[28:29]
	s_cbranch_execz .LBB36_2350
.LBB36_2346:                            ;   Parent Loop BB36_47 Depth=1
                                        ;     Parent Loop BB36_2335 Depth=2
                                        ;       Parent Loop BB36_2338 Depth=3
                                        ; =>      This Inner Loop Header: Depth=4
	s_sleep 1
	s_waitcnt vmcnt(0) lgkmcnt(0)
	flat_load_dwordx2 v[46:47], v[40:41] sc0 sc1
	s_or_b64 s[44:45], s[44:45], exec
	s_or_b64 s[42:43], s[42:43], exec
                                        ; implicit-def: $vgpr5
	s_and_saveexec_b64 s[46:47], vcc
	s_cbranch_execz .LBB36_2345
; %bb.2347:                             ;   in Loop: Header=BB36_2346 Depth=4
	s_cmpk_lt_i32 s74, 0x270f
	s_cselect_b64 s[64:65], -1, 0
	s_cmpk_gt_i32 s74, 0x270e
	s_mov_b64 s[56:57], -1
	s_cbranch_scc0 .LBB36_2349
; %bb.2348:                             ;   in Loop: Header=BB36_2346 Depth=4
	s_trap 2
	ds_read_b64 v[8:9], v0
	s_andn2_b64 s[64:65], s[64:65], exec
	s_mov_b32 s74, 0
	s_mov_b64 s[58:59], 0
	s_waitcnt vmcnt(0) lgkmcnt(0)
	flat_load_dword v5, v[8:9] sc0 sc1
	s_waitcnt vmcnt(0) lgkmcnt(0)
	buffer_inv sc0 sc1
	v_cmp_eq_u32_e64 s[22:23], 0, v5
	s_and_b64 s[22:23], s[22:23], exec
	s_or_b64 s[64:65], s[64:65], s[22:23]
	s_and_saveexec_b64 s[66:67], s[64:65]
	s_cbranch_execz .LBB36_2344
	s_branch .LBB36_2343
.LBB36_2349:                            ;   in Loop: Header=BB36_2346 Depth=4
	s_add_i32 s74, s74, 1
	s_mov_b64 s[58:59], -1
                                        ; implicit-def: $vgpr5
	s_and_saveexec_b64 s[66:67], s[64:65]
	s_cbranch_execz .LBB36_2344
	s_branch .LBB36_2343
.LBB36_2350:                            ;   in Loop: Header=BB36_2338 Depth=3
	s_or_b64 exec, exec, s[28:29]
	s_xor_b64 s[22:23], s[40:41], -1
	s_and_saveexec_b64 s[28:29], s[22:23]
	s_xor_b64 s[22:23], exec, s[28:29]
	s_cbranch_execz .LBB36_2352
; %bb.2351:                             ;   in Loop: Header=BB36_2338 Depth=3
	v_or_b32_e32 v79, 64, v79
	s_waitcnt lgkmcnt(0)
	ds_write_b32 v0, v5
	s_trap 2
.LBB36_2352:                            ;   in Loop: Header=BB36_2338 Depth=3
	s_or_b64 exec, exec, s[22:23]
.LBB36_2353:                            ;   in Loop: Header=BB36_2338 Depth=3
	s_or_b64 exec, exec, s[26:27]
	v_and_b32_e32 v5, 0x108, v79
	v_cmp_ne_u32_e32 vcc, s34, v5
	;;#ASMSTART
	s_wakeup
	;;#ASMEND
                                        ; implicit-def: $vgpr8_vgpr9
	s_and_saveexec_b64 s[22:23], vcc
	s_xor_b64 s[22:23], exec, s[22:23]
; %bb.2354:                             ;   in Loop: Header=BB36_2338 Depth=3
	v_and_b32_e32 v8, 7, v4
	v_mov_b32_e32 v9, v3
                                        ; implicit-def: $vgpr4_vgpr5
; %bb.2355:                             ;   in Loop: Header=BB36_2338 Depth=3
	s_andn2_saveexec_b64 s[22:23], s[22:23]
	s_cbranch_execz .LBB36_2357
; %bb.2356:                             ;   in Loop: Header=BB36_2338 Depth=3
	scratch_load_dwordx4 v[10:13], off, s33 offset:280 ; 16-byte Folded Reload
	v_and_b32_e32 v8, 7, v4
	v_ashrrev_i32_e32 v59, 31, v58
	v_mov_b32_e32 v9, v3
	s_waitcnt vmcnt(0)
	v_mad_u64_u32 v[4:5], s[26:27], v8, 24, v[10:11]
	v_lshlrev_b64 v[10:11], 1, v[58:59]
	v_mov_b32_e32 v59, v31
	flat_store_dwordx2 v[4:5], v[10:11] offset:8
.LBB36_2357:                            ;   in Loop: Header=BB36_2338 Depth=3
	s_or_b64 exec, exec, s[22:23]
	v_and_b32_e32 v4, 0x100, v79
	v_cmp_ne_u32_e32 vcc, 0, v4
	s_mov_b64 s[22:23], -1
                                        ; implicit-def: $vgpr4_vgpr5
	s_and_saveexec_b64 s[26:27], vcc
	s_cbranch_execz .LBB36_2361
; %bb.2358:                             ;   in Loop: Header=BB36_2338 Depth=3
	scratch_load_dwordx4 v[10:13], off, s33 offset:280 ; 16-byte Folded Reload
	s_waitcnt vmcnt(0)
	v_mad_u64_u32 v[10:11], s[22:23], v8, 24, v[10:11]
	v_mov_b32_e32 v4, v11
	v_mad_u64_u32 v[4:5], s[22:23], v9, 24, v[4:5]
	v_mov_b32_e32 v11, v4
	flat_load_dword v4, v[10:11]
	s_waitcnt vmcnt(0) lgkmcnt(0)
	v_cmp_ne_u32_e32 vcc, 1, v4
	v_cmp_eq_u32_e64 s[22:23], 1, v4
                                        ; implicit-def: $vgpr4_vgpr5
	s_and_saveexec_b64 s[28:29], s[22:23]
	s_cbranch_execz .LBB36_2360
; %bb.2359:                             ;   in Loop: Header=BB36_2338 Depth=3
	flat_load_dword v4, v[10:11] offset:4 sc0 sc1
	s_waitcnt vmcnt(0) lgkmcnt(0)
	v_ashrrev_i32_e32 v5, 31, v4
	v_lshrrev_b64 v[4:5], 1, v[4:5]
.LBB36_2360:                            ;   in Loop: Header=BB36_2338 Depth=3
	s_or_b64 exec, exec, s[28:29]
	s_orn2_b64 s[22:23], vcc, exec
.LBB36_2361:                            ;   in Loop: Header=BB36_2338 Depth=3
	s_or_b64 exec, exec, s[26:27]
	s_and_saveexec_b64 s[26:27], s[22:23]
	s_cbranch_execz .LBB36_2363
; %bb.2362:                             ;   in Loop: Header=BB36_2338 Depth=3
	scratch_load_dwordx2 v[4:5], off, s33 offset:348 ; 8-byte Folded Reload
	scratch_load_dwordx2 v[10:11], off, s33 offset:372 ; 8-byte Folded Reload
	s_waitcnt vmcnt(0)
	v_mul_lo_u32 v7, v9, v4
	v_mul_lo_u32 v9, v8, v11
	v_mad_u64_u32 v[4:5], s[22:23], v8, v4, 0
	v_add3_u32 v5, v5, v9, v7
.LBB36_2363:                            ;   in Loop: Header=BB36_2338 Depth=3
	s_or_b64 exec, exec, s[26:27]
	scratch_load_dwordx2 v[8:9], off, s33 offset:264 ; 8-byte Folded Reload
	v_cmp_eq_u32_e32 vcc, 0, v2
	v_mov_b32_e32 v2, 0xd0
	v_mov_b32_e32 v7, 0x88
	v_cndmask_b32_e32 v2, v2, v7, vcc
	v_add_u32_e32 v2, v0, v2
	s_waitcnt vmcnt(0)
	v_lshl_add_u64 v[4:5], v[4:5], 1, v[8:9]
	ds_write_b64 v2, v[4:5] offset:584
	v_and_b32_e32 v2, 0x2000, v79
	v_cmp_ne_u32_e32 vcc, 0, v2
	s_and_saveexec_b64 s[22:23], vcc
	s_cbranch_execz .LBB36_2365
; %bb.2364:                             ;   in Loop: Header=BB36_2338 Depth=3
	ds_read_b64 v[4:5], v0 offset:872
	s_waitcnt lgkmcnt(0)
	v_lshl_add_u64 v[4:5], v[4:5], 0, 1
	ds_write_b64 v0, v[4:5] offset:872
.LBB36_2365:                            ;   in Loop: Header=BB36_2338 Depth=3
	s_or_b64 exec, exec, s[22:23]
	v_mov_b64_e32 v[4:5], v[0:1]
.LBB36_2366:                            ;   in Loop: Header=BB36_2338 Depth=3
	s_or_b64 exec, exec, s[24:25]
	s_and_saveexec_b64 s[22:23], s[4:5]
	s_cbranch_execz .LBB36_2385
; %bb.2367:                             ;   in Loop: Header=BB36_2338 Depth=3
	s_and_saveexec_b64 s[24:25], s[76:77]
	s_xor_b64 s[24:25], exec, s[24:25]
	s_cbranch_execz .LBB36_2382
; %bb.2368:                             ;   in Loop: Header=BB36_2338 Depth=3
	s_and_saveexec_b64 s[26:27], s[12:13]
	s_cbranch_execz .LBB36_2381
; %bb.2369:                             ;   in Loop: Header=BB36_2338 Depth=3
	s_mov_b64 s[40:41], exec
	v_mbcnt_lo_u32_b32 v0, s40, 0
	v_mbcnt_hi_u32_b32 v0, s41, v0
	v_cmp_eq_u32_e32 vcc, 0, v0
	s_waitcnt lgkmcnt(0)
	s_and_saveexec_b64 s[28:29], vcc
	s_cbranch_execz .LBB36_2371
; %bb.2370:                             ;   in Loop: Header=BB36_2338 Depth=3
	s_bcnt1_i32_b64 s40, s[40:41]
	v_mov_b32_e32 v2, s40
	ds_add_u64 v0, v[2:3]
	s_trap 2
.LBB36_2371:                            ;   in Loop: Header=BB36_2338 Depth=3
	s_or_b64 exec, exec, s[28:29]
	s_trap 2
	ds_read_b64 v[0:1], v0
	s_waitcnt lgkmcnt(0)
	v_lshl_add_u64 v[56:57], v[56:57], 0, v[60:61]
	v_cmp_lt_u64_e32 vcc, v[0:1], v[56:57]
	s_and_saveexec_b64 s[28:29], vcc
	s_cbranch_execz .LBB36_2380
; %bb.2372:                             ;   in Loop: Header=BB36_2338 Depth=3
	s_mov_b32 s74, 0
	s_mov_b64 s[40:41], 0
                                        ; implicit-def: $sgpr42_sgpr43
                                        ; implicit-def: $sgpr44_sgpr45
	s_branch .LBB36_2374
.LBB36_2373:                            ;   in Loop: Header=BB36_2374 Depth=4
	s_or_b64 exec, exec, s[56:57]
	s_and_b64 s[46:47], exec, s[58:59]
	s_or_b64 s[40:41], s[46:47], s[40:41]
	s_andn2_b64 s[42:43], s[42:43], exec
	s_and_b64 s[46:47], s[44:45], exec
	s_or_b64 s[42:43], s[42:43], s[46:47]
	s_andn2_b64 exec, exec, s[40:41]
	s_cbranch_execz .LBB36_2378
.LBB36_2374:                            ;   Parent Loop BB36_47 Depth=1
                                        ;     Parent Loop BB36_2335 Depth=2
                                        ;       Parent Loop BB36_2338 Depth=3
                                        ; =>      This Inner Loop Header: Depth=4
	s_add_i32 s74, s74, 1
	s_cmpk_lg_i32 s74, 0x2710
	s_cselect_b64 s[46:47], -1, 0
	s_and_b64 vcc, exec, s[46:47]
	s_cbranch_vccz .LBB36_2376
; %bb.2375:                             ;   in Loop: Header=BB36_2374 Depth=4
	s_mov_b64 s[58:59], -1
	s_or_b64 s[44:45], s[44:45], exec
	s_and_saveexec_b64 s[56:57], s[46:47]
	s_cbranch_execz .LBB36_2373
	s_branch .LBB36_2377
.LBB36_2376:                            ;   in Loop: Header=BB36_2374 Depth=4
	s_trap 2
	ds_read_b64 v[0:1], v0
	s_andn2_b64 s[46:47], s[46:47], exec
	s_mov_b32 s74, 0
	s_waitcnt lgkmcnt(0)
	flat_load_dword v0, v[0:1] sc0 sc1
	s_waitcnt vmcnt(0) lgkmcnt(0)
	buffer_inv sc0 sc1
	v_cmp_eq_u32_e32 vcc, 0, v0
	s_and_b64 s[56:57], vcc, exec
	s_or_b64 s[46:47], s[46:47], s[56:57]
	s_mov_b64 s[58:59], -1
	s_or_b64 s[44:45], s[44:45], exec
	s_and_saveexec_b64 s[56:57], s[46:47]
	s_cbranch_execz .LBB36_2373
.LBB36_2377:                            ;   in Loop: Header=BB36_2374 Depth=4
	s_sleep 1
	s_trap 2
	ds_read_b64 v[0:1], v0
	s_waitcnt lgkmcnt(0)
	s_andn2_b64 s[44:45], s[44:45], exec
	v_cmp_ge_u64_e32 vcc, v[0:1], v[56:57]
	s_orn2_b64 s[58:59], vcc, exec
	s_branch .LBB36_2373
.LBB36_2378:                            ;   in Loop: Header=BB36_2338 Depth=3
	s_or_b64 exec, exec, s[40:41]
	s_and_saveexec_b64 s[40:41], s[42:43]
	s_xor_b64 s[40:41], exec, s[40:41]
	s_cbranch_execz .LBB36_2380
; %bb.2379:                             ;   in Loop: Header=BB36_2338 Depth=3
	v_mov_b32_e32 v0, 1
	ds_write_b32 v0, v0
	s_trap 2
.LBB36_2380:                            ;   in Loop: Header=BB36_2338 Depth=3
	s_or_b64 exec, exec, s[28:29]
	;;#ASMSTART
	s_wakeup
	;;#ASMEND
.LBB36_2381:                            ;   in Loop: Header=BB36_2338 Depth=3
	s_or_b64 exec, exec, s[26:27]
.LBB36_2382:                            ;   in Loop: Header=BB36_2338 Depth=3
	s_andn2_saveexec_b64 s[24:25], s[24:25]
	s_cbranch_execz .LBB36_2384
; %bb.2383:                             ;   in Loop: Header=BB36_2338 Depth=3
	s_waitcnt lgkmcnt(0)
	s_barrier
.LBB36_2384:                            ;   in Loop: Header=BB36_2338 Depth=3
	s_or_b64 exec, exec, s[24:25]
.LBB36_2385:                            ;   in Loop: Header=BB36_2338 Depth=3
	s_or_b64 exec, exec, s[22:23]
	s_trap 2
	ds_read_b32 v7, v0
	v_and_b32_e32 v0, 0x4000, v79
	v_cmp_ne_u32_e32 vcc, 0, v0
	s_xor_b64 s[22:23], s[2:3], -1
	s_and_b64 s[24:25], s[22:23], vcc
	s_and_saveexec_b64 s[22:23], s[24:25]
	s_cbranch_execz .LBB36_2404
; %bb.2386:                             ;   in Loop: Header=BB36_2338 Depth=3
	s_and_saveexec_b64 s[24:25], s[76:77]
	s_xor_b64 s[24:25], exec, s[24:25]
	s_cbranch_execz .LBB36_2401
; %bb.2387:                             ;   in Loop: Header=BB36_2338 Depth=3
	s_and_saveexec_b64 s[26:27], s[12:13]
	s_cbranch_execz .LBB36_2400
; %bb.2388:                             ;   in Loop: Header=BB36_2338 Depth=3
	s_mov_b64 s[40:41], exec
	v_mbcnt_lo_u32_b32 v0, s40, 0
	v_mbcnt_hi_u32_b32 v0, s41, v0
	v_cmp_eq_u32_e32 vcc, 0, v0
	s_waitcnt lgkmcnt(0)
	s_and_saveexec_b64 s[28:29], vcc
	s_cbranch_execz .LBB36_2390
; %bb.2389:                             ;   in Loop: Header=BB36_2338 Depth=3
	s_bcnt1_i32_b64 s40, s[40:41]
	v_mov_b32_e32 v2, s40
	ds_add_u64 v0, v[2:3]
	s_trap 2
.LBB36_2390:                            ;   in Loop: Header=BB36_2338 Depth=3
	s_or_b64 exec, exec, s[28:29]
	s_trap 2
	ds_read_b64 v[0:1], v0
	s_waitcnt lgkmcnt(0)
	v_lshl_add_u64 v[56:57], v[56:57], 0, v[60:61]
	v_cmp_lt_u64_e32 vcc, v[0:1], v[56:57]
	s_and_saveexec_b64 s[28:29], vcc
	s_cbranch_execz .LBB36_2399
; %bb.2391:                             ;   in Loop: Header=BB36_2338 Depth=3
	s_mov_b32 s74, 0
	s_mov_b64 s[40:41], 0
                                        ; implicit-def: $sgpr42_sgpr43
                                        ; implicit-def: $sgpr44_sgpr45
	s_branch .LBB36_2393
.LBB36_2392:                            ;   in Loop: Header=BB36_2393 Depth=4
	s_or_b64 exec, exec, s[56:57]
	s_and_b64 s[46:47], exec, s[58:59]
	s_or_b64 s[40:41], s[46:47], s[40:41]
	s_andn2_b64 s[42:43], s[42:43], exec
	s_and_b64 s[46:47], s[44:45], exec
	s_or_b64 s[42:43], s[42:43], s[46:47]
	s_andn2_b64 exec, exec, s[40:41]
	s_cbranch_execz .LBB36_2397
.LBB36_2393:                            ;   Parent Loop BB36_47 Depth=1
                                        ;     Parent Loop BB36_2335 Depth=2
                                        ;       Parent Loop BB36_2338 Depth=3
                                        ; =>      This Inner Loop Header: Depth=4
	s_add_i32 s74, s74, 1
	s_cmpk_lg_i32 s74, 0x2710
	s_cselect_b64 s[46:47], -1, 0
	s_and_b64 vcc, exec, s[46:47]
	s_cbranch_vccz .LBB36_2395
; %bb.2394:                             ;   in Loop: Header=BB36_2393 Depth=4
	s_mov_b64 s[58:59], -1
	s_or_b64 s[44:45], s[44:45], exec
	s_and_saveexec_b64 s[56:57], s[46:47]
	s_cbranch_execz .LBB36_2392
	s_branch .LBB36_2396
.LBB36_2395:                            ;   in Loop: Header=BB36_2393 Depth=4
	s_trap 2
	ds_read_b64 v[0:1], v0
	s_andn2_b64 s[46:47], s[46:47], exec
	s_mov_b32 s74, 0
	s_waitcnt lgkmcnt(0)
	flat_load_dword v0, v[0:1] sc0 sc1
	s_waitcnt vmcnt(0) lgkmcnt(0)
	buffer_inv sc0 sc1
	v_cmp_eq_u32_e32 vcc, 0, v0
	s_and_b64 s[56:57], vcc, exec
	s_or_b64 s[46:47], s[46:47], s[56:57]
	s_mov_b64 s[58:59], -1
	s_or_b64 s[44:45], s[44:45], exec
	s_and_saveexec_b64 s[56:57], s[46:47]
	s_cbranch_execz .LBB36_2392
.LBB36_2396:                            ;   in Loop: Header=BB36_2393 Depth=4
	s_sleep 1
	s_trap 2
	ds_read_b64 v[0:1], v0
	s_waitcnt lgkmcnt(0)
	s_andn2_b64 s[44:45], s[44:45], exec
	v_cmp_ge_u64_e32 vcc, v[0:1], v[56:57]
	s_orn2_b64 s[58:59], vcc, exec
	s_branch .LBB36_2392
.LBB36_2397:                            ;   in Loop: Header=BB36_2338 Depth=3
	s_or_b64 exec, exec, s[40:41]
	s_and_saveexec_b64 s[40:41], s[42:43]
	s_xor_b64 s[40:41], exec, s[40:41]
	s_cbranch_execz .LBB36_2399
; %bb.2398:                             ;   in Loop: Header=BB36_2338 Depth=3
	v_mov_b32_e32 v0, 1
	ds_write_b32 v0, v0
	s_trap 2
.LBB36_2399:                            ;   in Loop: Header=BB36_2338 Depth=3
	s_or_b64 exec, exec, s[28:29]
	;;#ASMSTART
	s_wakeup
	;;#ASMEND
.LBB36_2400:                            ;   in Loop: Header=BB36_2338 Depth=3
	s_or_b64 exec, exec, s[26:27]
.LBB36_2401:                            ;   in Loop: Header=BB36_2338 Depth=3
	s_andn2_saveexec_b64 s[24:25], s[24:25]
	s_cbranch_execz .LBB36_2403
; %bb.2402:                             ;   in Loop: Header=BB36_2338 Depth=3
	s_waitcnt lgkmcnt(0)
	s_barrier
.LBB36_2403:                            ;   in Loop: Header=BB36_2338 Depth=3
	s_or_b64 exec, exec, s[24:25]
.LBB36_2404:                            ;   in Loop: Header=BB36_2338 Depth=3
	s_or_b64 exec, exec, s[22:23]
	s_trap 2
	ds_read_b64 v[0:1], v0
	s_waitcnt lgkmcnt(0)
	v_cmp_eq_u64_e32 vcc, 0, v[0:1]
	s_cbranch_vccnz .LBB36_2413
; %bb.2405:                             ;   in Loop: Header=BB36_2338 Depth=3
	s_trap 2
	ds_read_b64 v[118:119], v0
	s_waitcnt lgkmcnt(0)
	v_cmp_eq_u64_e32 vcc, 0, v[118:119]
	s_cbranch_vccnz .LBB36_2413
; %bb.2406:                             ;   in Loop: Header=BB36_2338 Depth=3
	s_trap 2
	ds_read_b64 v[52:53], v0
	v_cmp_eq_u32_e32 vcc, 0, v7
	s_waitcnt lgkmcnt(0)
	v_readfirstlane_b32 s71, v52
	v_cndmask_b32_e32 v7, 0, v58, vcc
	v_cmp_ne_u64_e32 vcc, 0, v[52:53]
	s_cbranch_vccz .LBB36_2418
; %bb.2407:                             ;   in Loop: Header=BB36_2338 Depth=3
	s_trap 2
	ds_read_b64 v[54:55], v0
	s_mov_b64 s[24:25], -1
	s_and_saveexec_b64 s[22:23], s[16:17]
	s_cbranch_execz .LBB36_2409
; %bb.2408:                             ;   in Loop: Header=BB36_2338 Depth=3
	ds_read_b32 v2, v0 offset:720
	s_waitcnt lgkmcnt(0)
	v_and_b32_e32 v2, 15, v2
	v_cmp_eq_u32_e32 vcc, 0, v2
	s_orn2_b64 s[24:25], vcc, exec
.LBB36_2409:                            ;   in Loop: Header=BB36_2338 Depth=3
	s_or_b64 exec, exec, s[22:23]
	s_and_saveexec_b64 s[22:23], s[18:19]
	s_cbranch_execz .LBB36_2411
; %bb.2410:                             ;   in Loop: Header=BB36_2338 Depth=3
	ds_read_b32 v2, v0 offset:784
	s_waitcnt lgkmcnt(0)
	v_and_b32_e32 v2, 15, v2
	v_cmp_eq_u32_e32 vcc, 0, v2
	s_and_b64 s[26:27], s[24:25], vcc
	s_andn2_b64 s[24:25], s[24:25], exec
	s_and_b64 s[26:27], s[26:27], exec
	s_or_b64 s[24:25], s[24:25], s[26:27]
.LBB36_2411:                            ;   in Loop: Header=BB36_2338 Depth=3
	s_or_b64 exec, exec, s[22:23]
	s_xor_b64 s[24:25], s[24:25], -1
	v_cndmask_b32_e64 v2, 0, 1, s[24:25]
	v_lshlrev_b32_e32 v80, 1, v7
	s_mov_b64 s[22:23], -1
	s_waitcnt vmcnt(0)
	v_mov_b32_e32 v18, 0
	v_cmp_ne_u32_e32 vcc, 0, v2
	s_cbranch_vccz .LBB36_2420
; %bb.2412:                             ;   in Loop: Header=BB36_2338 Depth=3
	scratch_load_dword v19, off, s33 offset:344 ; 4-byte Folded Reload
	s_and_saveexec_b64 s[40:41], s[22:23]
	s_cbranch_execnz .LBB36_2561
	s_branch .LBB36_2635
.LBB36_2413:                            ;   in Loop: Header=BB36_2338 Depth=3
	s_mov_b64 s[22:23], 0
	s_and_saveexec_b64 s[24:25], s[4:5]
	s_cbranch_execnz .LBB36_2982
.LBB36_2414:                            ;   in Loop: Header=BB36_2338 Depth=3
	s_or_b64 exec, exec, s[24:25]
                                        ; implicit-def: $vgpr0
	s_and_saveexec_b64 s[24:25], s[20:21]
	s_xor_b64 s[24:25], exec, s[24:25]
	s_cbranch_execz .LBB36_3000
.LBB36_2415:                            ;   in Loop: Header=BB36_2338 Depth=3
	v_and_b32_e32 v1, 16, v79
	v_cmp_ne_u32_e32 vcc, 0, v1
	v_and_b32_e32 v0, 16, v79
	s_and_b64 s[26:27], vcc, s[22:23]
	s_and_saveexec_b64 s[22:23], s[26:27]
	s_cbranch_execz .LBB36_2417
; %bb.2416:                             ;   in Loop: Header=BB36_2338 Depth=3
	v_mov_b32_e32 v0, 1
	buffer_wbl2 sc1
	s_waitcnt vmcnt(0) lgkmcnt(0)
	buffer_inv sc1
.LBB36_2417:                            ;   in Loop: Header=BB36_2338 Depth=3
	s_or_b64 exec, exec, s[22:23]
	s_andn2_saveexec_b64 s[22:23], s[24:25]
	s_cbranch_execz .LBB36_3019
	s_branch .LBB36_3001
.LBB36_2418:                            ;   in Loop: Header=BB36_2338 Depth=3
	s_cbranch_execnz .LBB36_2636
.LBB36_2419:                            ;   in Loop: Header=BB36_2338 Depth=3
	v_cmp_lt_i32_e64 s[22:23], 0, v7
	s_and_saveexec_b64 s[24:25], s[4:5]
	s_cbranch_execnz .LBB36_2982
	s_branch .LBB36_2414
.LBB36_2420:                            ;   in Loop: Header=BB36_2338 Depth=3
	v_ashrrev_i32_e32 v2, 31, v80
	v_lshrrev_b32_e32 v2, 20, v2
	v_add_u32_e32 v2, v80, v2
	v_ashrrev_i32_e32 v81, 12, v2
	scratch_load_dword v2, off, s33 offset:344 ; 4-byte Folded Reload
	s_waitcnt vmcnt(0)
	v_lshrrev_b32_e32 v2, 6, v2
	v_sub_u32_e32 v2, v81, v2
	v_cmp_lt_i32_e32 vcc, 0, v2
	s_and_saveexec_b64 s[24:25], vcc
	s_cbranch_execz .LBB36_2552
; %bb.2421:                             ;   in Loop: Header=BB36_2338 Depth=3
	scratch_load_dwordx2 v[8:9], off, s33 offset:304 ; 8-byte Folded Reload
	s_and_b32 s74, s71, 1
	s_cmp_eq_u64 s[74:75], 0
	s_mov_b64 s[26:27], 0
	s_cselect_b64 vcc, -1, 0
	v_mov_b64_e32 v[68:69], v[0:1]
	s_waitcnt lgkmcnt(0)
	v_mov_b64_e32 v[70:71], v[54:55]
	s_waitcnt vmcnt(0)
	v_lshl_add_u64 v[64:65], v[118:119], 0, v[8:9]
	v_lshl_add_u64 v[66:67], v[52:53], 0, v[8:9]
	s_branch .LBB36_2423
.LBB36_2422:                            ;   in Loop: Header=BB36_2423 Depth=4
	s_or_b64 exec, exec, s[28:29]
	v_lshrrev_b32_e32 v30, 16, v30
	v_and_or_b32 v24, v24, s9, v30
	v_lshrrev_b32_e32 v30, 16, v33
	v_lshrrev_b32_e32 v32, 16, v32
	v_and_or_b32 v26, v26, s9, v30
	v_lshrrev_b32_e32 v30, 16, v34
	v_and_or_b32 v25, v25, s9, v32
	v_and_or_b32 v27, v27, s9, v30
	global_store_dwordx4 v[64:65], v[24:27], off offset:3072
	global_store_dwordx4 v[66:67], v[20:23], off
	global_store_dwordx4 v[66:67], v[16:19], off offset:1024
	global_store_dwordx4 v[66:67], v[12:15], off offset:2048
	;; [unrolled: 1-line block ×3, first 2 shown]
	scratch_load_dwordx2 v[8:9], off, s33 offset:320 ; 8-byte Folded Reload
	v_sub_u32_e32 v2, v2, v60
	v_cmp_gt_i32_e64 s[22:23], 1, v2
	v_lshl_add_u64 v[70:71], v[70:71], 0, v[28:29]
	s_or_b64 s[26:27], s[22:23], s[26:27]
	v_lshl_add_u64 v[68:69], v[68:69], 0, v[28:29]
	s_waitcnt vmcnt(0)
	v_lshl_add_u64 v[64:65], v[64:65], 0, v[8:9]
	v_lshl_add_u64 v[66:67], v[66:67], 0, v[8:9]
	s_andn2_b64 exec, exec, s[26:27]
	s_cbranch_execz .LBB36_2551
.LBB36_2423:                            ;   Parent Loop BB36_47 Depth=1
                                        ;     Parent Loop BB36_2335 Depth=2
                                        ;       Parent Loop BB36_2338 Depth=3
                                        ; =>      This Inner Loop Header: Depth=4
	scratch_load_dwordx2 v[8:9], off, s33 offset:304 ; 8-byte Folded Reload
	s_waitcnt vmcnt(0)
	v_lshl_add_u64 v[24:25], v[8:9], 0, v[70:71]
	v_lshl_add_u64 v[8:9], v[8:9], 0, v[68:69]
	global_load_dwordx4 v[20:23], v[8:9], off nt
	global_load_dwordx4 v[48:51], v[24:25], off nt
	global_load_dwordx4 v[16:19], v[8:9], off offset:1024 nt
	global_load_dwordx4 v[36:39], v[24:25], off offset:1024 nt
	;; [unrolled: 1-line block ×3, first 2 shown]
	s_nop 0
	global_load_dwordx4 v[8:11], v[8:9], off offset:3072 nt
	s_nop 0
	global_load_dwordx4 v[32:35], v[24:25], off offset:2048 nt
	;; [unrolled: 2-line block ×3, first 2 shown]
	s_waitcnt vmcnt(7)
	v_lshlrev_b32_e32 v30, 16, v20
	s_waitcnt vmcnt(6)
	v_lshlrev_b32_e32 v82, 16, v48
	v_max_f32_e32 v82, v82, v82
	v_max_f32_e32 v30, v30, v30
	v_min_f32_e32 v83, v30, v82
	v_max_f32_e32 v30, v30, v82
	v_cndmask_b32_e32 v82, v30, v83, vcc
	v_and_b32_e32 v30, 0x7f800000, v82
	v_cmp_ne_u32_e64 s[22:23], s35, v30
                                        ; implicit-def: $vgpr30
	s_and_saveexec_b64 s[28:29], s[22:23]
	s_xor_b64 s[22:23], exec, s[28:29]
; %bb.2424:                             ;   in Loop: Header=BB36_2423 Depth=4
	v_bfe_u32 v30, v82, 16, 1
	v_add3_u32 v30, v82, v30, s8
                                        ; implicit-def: $vgpr82
; %bb.2425:                             ;   in Loop: Header=BB36_2423 Depth=4
	s_andn2_saveexec_b64 s[28:29], s[22:23]
; %bb.2426:                             ;   in Loop: Header=BB36_2423 Depth=4
	v_or_b32_e32 v30, 0x10000, v82
	v_cmp_eq_u32_sdwa s[22:23], v82, v3 src0_sel:WORD_0 src1_sel:DWORD
	s_nop 1
	v_cndmask_b32_e64 v30, v30, v82, s[22:23]
; %bb.2427:                             ;   in Loop: Header=BB36_2423 Depth=4
	s_or_b64 exec, exec, s[28:29]
	v_and_b32_e32 v82, 0xffff0000, v20
	v_and_b32_e32 v48, 0xffff0000, v48
	v_max_f32_e32 v48, v48, v48
	v_max_f32_e32 v82, v82, v82
	v_min_f32_e32 v83, v82, v48
	v_max_f32_e32 v48, v82, v48
	v_cndmask_b32_e32 v82, v48, v83, vcc
	v_and_b32_e32 v48, 0x7f800000, v82
	v_cmp_ne_u32_e64 s[22:23], s35, v48
                                        ; implicit-def: $vgpr48
	s_and_saveexec_b64 s[28:29], s[22:23]
	s_xor_b64 s[22:23], exec, s[28:29]
; %bb.2428:                             ;   in Loop: Header=BB36_2423 Depth=4
	v_bfe_u32 v48, v82, 16, 1
	v_add3_u32 v48, v82, v48, s8
                                        ; implicit-def: $vgpr82
; %bb.2429:                             ;   in Loop: Header=BB36_2423 Depth=4
	s_andn2_saveexec_b64 s[28:29], s[22:23]
; %bb.2430:                             ;   in Loop: Header=BB36_2423 Depth=4
	v_or_b32_e32 v48, 0x10000, v82
	v_cmp_eq_u32_sdwa s[22:23], v82, v3 src0_sel:WORD_0 src1_sel:DWORD
	s_nop 1
	v_cndmask_b32_e64 v48, v48, v82, s[22:23]
; %bb.2431:                             ;   in Loop: Header=BB36_2423 Depth=4
	s_or_b64 exec, exec, s[28:29]
	v_lshlrev_b32_e32 v82, 16, v21
	v_lshlrev_b32_e32 v83, 16, v49
	v_max_f32_e32 v83, v83, v83
	v_max_f32_e32 v82, v82, v82
	v_min_f32_e32 v84, v82, v83
	v_max_f32_e32 v82, v82, v83
	v_cndmask_b32_e32 v83, v82, v84, vcc
	v_and_b32_e32 v82, 0x7f800000, v83
	v_cmp_ne_u32_e64 s[22:23], s35, v82
                                        ; implicit-def: $vgpr82
	s_and_saveexec_b64 s[28:29], s[22:23]
	s_xor_b64 s[22:23], exec, s[28:29]
; %bb.2432:                             ;   in Loop: Header=BB36_2423 Depth=4
	v_bfe_u32 v82, v83, 16, 1
	v_add3_u32 v82, v83, v82, s8
                                        ; implicit-def: $vgpr83
; %bb.2433:                             ;   in Loop: Header=BB36_2423 Depth=4
	s_andn2_saveexec_b64 s[28:29], s[22:23]
; %bb.2434:                             ;   in Loop: Header=BB36_2423 Depth=4
	v_or_b32_e32 v82, 0x10000, v83
	v_cmp_eq_u32_sdwa s[22:23], v83, v3 src0_sel:WORD_0 src1_sel:DWORD
	s_nop 1
	v_cndmask_b32_e64 v82, v82, v83, s[22:23]
; %bb.2435:                             ;   in Loop: Header=BB36_2423 Depth=4
	s_or_b64 exec, exec, s[28:29]
	v_and_b32_e32 v83, 0xffff0000, v21
	v_and_b32_e32 v49, 0xffff0000, v49
	v_max_f32_e32 v49, v49, v49
	v_max_f32_e32 v83, v83, v83
	v_min_f32_e32 v84, v83, v49
	v_max_f32_e32 v49, v83, v49
	v_cndmask_b32_e32 v83, v49, v84, vcc
	v_and_b32_e32 v49, 0x7f800000, v83
	v_cmp_ne_u32_e64 s[22:23], s35, v49
                                        ; implicit-def: $vgpr49
	s_and_saveexec_b64 s[28:29], s[22:23]
	s_xor_b64 s[22:23], exec, s[28:29]
; %bb.2436:                             ;   in Loop: Header=BB36_2423 Depth=4
	v_bfe_u32 v49, v83, 16, 1
	v_add3_u32 v49, v83, v49, s8
                                        ; implicit-def: $vgpr83
; %bb.2437:                             ;   in Loop: Header=BB36_2423 Depth=4
	s_andn2_saveexec_b64 s[28:29], s[22:23]
; %bb.2438:                             ;   in Loop: Header=BB36_2423 Depth=4
	v_or_b32_e32 v49, 0x10000, v83
	v_cmp_eq_u32_sdwa s[22:23], v83, v3 src0_sel:WORD_0 src1_sel:DWORD
	s_nop 1
	v_cndmask_b32_e64 v49, v49, v83, s[22:23]
; %bb.2439:                             ;   in Loop: Header=BB36_2423 Depth=4
	s_or_b64 exec, exec, s[28:29]
	v_lshlrev_b32_e32 v83, 16, v22
	v_lshlrev_b32_e32 v84, 16, v50
	v_max_f32_e32 v84, v84, v84
	v_max_f32_e32 v83, v83, v83
	v_min_f32_e32 v85, v83, v84
	v_max_f32_e32 v83, v83, v84
	v_cndmask_b32_e32 v84, v83, v85, vcc
	v_and_b32_e32 v83, 0x7f800000, v84
	v_cmp_ne_u32_e64 s[22:23], s35, v83
                                        ; implicit-def: $vgpr83
	s_and_saveexec_b64 s[28:29], s[22:23]
	s_xor_b64 s[22:23], exec, s[28:29]
; %bb.2440:                             ;   in Loop: Header=BB36_2423 Depth=4
	v_bfe_u32 v83, v84, 16, 1
	v_add3_u32 v83, v84, v83, s8
                                        ; implicit-def: $vgpr84
; %bb.2441:                             ;   in Loop: Header=BB36_2423 Depth=4
	s_andn2_saveexec_b64 s[28:29], s[22:23]
; %bb.2442:                             ;   in Loop: Header=BB36_2423 Depth=4
	v_or_b32_e32 v83, 0x10000, v84
	v_cmp_eq_u32_sdwa s[22:23], v84, v3 src0_sel:WORD_0 src1_sel:DWORD
	s_nop 1
	v_cndmask_b32_e64 v83, v83, v84, s[22:23]
; %bb.2443:                             ;   in Loop: Header=BB36_2423 Depth=4
	s_or_b64 exec, exec, s[28:29]
	v_and_b32_e32 v84, 0xffff0000, v22
	v_and_b32_e32 v50, 0xffff0000, v50
	v_max_f32_e32 v50, v50, v50
	v_max_f32_e32 v84, v84, v84
	v_min_f32_e32 v85, v84, v50
	v_max_f32_e32 v50, v84, v50
	v_cndmask_b32_e32 v84, v50, v85, vcc
	v_and_b32_e32 v50, 0x7f800000, v84
	v_cmp_ne_u32_e64 s[22:23], s35, v50
                                        ; implicit-def: $vgpr50
	s_and_saveexec_b64 s[28:29], s[22:23]
	s_xor_b64 s[22:23], exec, s[28:29]
; %bb.2444:                             ;   in Loop: Header=BB36_2423 Depth=4
	v_bfe_u32 v50, v84, 16, 1
	v_add3_u32 v50, v84, v50, s8
                                        ; implicit-def: $vgpr84
; %bb.2445:                             ;   in Loop: Header=BB36_2423 Depth=4
	s_andn2_saveexec_b64 s[28:29], s[22:23]
; %bb.2446:                             ;   in Loop: Header=BB36_2423 Depth=4
	v_or_b32_e32 v50, 0x10000, v84
	v_cmp_eq_u32_sdwa s[22:23], v84, v3 src0_sel:WORD_0 src1_sel:DWORD
	s_nop 1
	v_cndmask_b32_e64 v50, v50, v84, s[22:23]
; %bb.2447:                             ;   in Loop: Header=BB36_2423 Depth=4
	s_or_b64 exec, exec, s[28:29]
	v_lshlrev_b32_e32 v84, 16, v23
	v_lshlrev_b32_e32 v85, 16, v51
	v_max_f32_e32 v85, v85, v85
	v_max_f32_e32 v84, v84, v84
	v_min_f32_e32 v86, v84, v85
	v_max_f32_e32 v84, v84, v85
	v_cndmask_b32_e32 v85, v84, v86, vcc
	v_and_b32_e32 v84, 0x7f800000, v85
	v_cmp_ne_u32_e64 s[22:23], s35, v84
                                        ; implicit-def: $vgpr84
	s_and_saveexec_b64 s[28:29], s[22:23]
	s_xor_b64 s[22:23], exec, s[28:29]
; %bb.2448:                             ;   in Loop: Header=BB36_2423 Depth=4
	v_bfe_u32 v84, v85, 16, 1
	v_add3_u32 v84, v85, v84, s8
                                        ; implicit-def: $vgpr85
; %bb.2449:                             ;   in Loop: Header=BB36_2423 Depth=4
	s_andn2_saveexec_b64 s[28:29], s[22:23]
; %bb.2450:                             ;   in Loop: Header=BB36_2423 Depth=4
	v_or_b32_e32 v84, 0x10000, v85
	v_cmp_eq_u32_sdwa s[22:23], v85, v3 src0_sel:WORD_0 src1_sel:DWORD
	s_nop 1
	v_cndmask_b32_e64 v84, v84, v85, s[22:23]
; %bb.2451:                             ;   in Loop: Header=BB36_2423 Depth=4
	s_or_b64 exec, exec, s[28:29]
	v_and_b32_e32 v85, 0xffff0000, v23
	v_and_b32_e32 v51, 0xffff0000, v51
	v_max_f32_e32 v51, v51, v51
	v_max_f32_e32 v85, v85, v85
	v_min_f32_e32 v86, v85, v51
	v_max_f32_e32 v51, v85, v51
	v_cndmask_b32_e32 v85, v51, v86, vcc
	v_and_b32_e32 v51, 0x7f800000, v85
	v_cmp_ne_u32_e64 s[22:23], s35, v51
                                        ; implicit-def: $vgpr51
	s_and_saveexec_b64 s[28:29], s[22:23]
	s_xor_b64 s[22:23], exec, s[28:29]
; %bb.2452:                             ;   in Loop: Header=BB36_2423 Depth=4
	v_bfe_u32 v51, v85, 16, 1
	v_add3_u32 v51, v85, v51, s8
                                        ; implicit-def: $vgpr85
; %bb.2453:                             ;   in Loop: Header=BB36_2423 Depth=4
	s_andn2_saveexec_b64 s[28:29], s[22:23]
; %bb.2454:                             ;   in Loop: Header=BB36_2423 Depth=4
	v_or_b32_e32 v51, 0x10000, v85
	v_cmp_eq_u32_sdwa s[22:23], v85, v3 src0_sel:WORD_0 src1_sel:DWORD
	s_nop 1
	v_cndmask_b32_e64 v51, v51, v85, s[22:23]
; %bb.2455:                             ;   in Loop: Header=BB36_2423 Depth=4
	s_or_b64 exec, exec, s[28:29]
	v_lshrrev_b32_e32 v30, 16, v30
	v_and_or_b32 v48, v48, s9, v30
	v_lshrrev_b32_e32 v30, 16, v83
	v_lshrrev_b32_e32 v82, 16, v82
	v_and_or_b32 v50, v50, s9, v30
	v_lshrrev_b32_e32 v30, 16, v84
	v_and_or_b32 v49, v49, s9, v82
	v_and_or_b32 v51, v51, s9, v30
	global_store_dwordx4 v[64:65], v[48:51], off
	s_waitcnt vmcnt(6)
	v_lshlrev_b32_e32 v30, 16, v16
	v_max_f32_e32 v30, v30, v30
	s_waitcnt vmcnt(5)
	v_lshlrev_b32_e32 v48, 16, v36
	v_max_f32_e32 v48, v48, v48
	v_min_f32_e32 v49, v30, v48
	v_max_f32_e32 v30, v30, v48
	v_cndmask_b32_e32 v48, v30, v49, vcc
	v_and_b32_e32 v30, 0x7f800000, v48
	v_cmp_ne_u32_e64 s[22:23], s35, v30
                                        ; implicit-def: $vgpr30
	s_and_saveexec_b64 s[28:29], s[22:23]
	s_xor_b64 s[22:23], exec, s[28:29]
; %bb.2456:                             ;   in Loop: Header=BB36_2423 Depth=4
	v_bfe_u32 v30, v48, 16, 1
	v_add3_u32 v30, v48, v30, s8
                                        ; implicit-def: $vgpr48
; %bb.2457:                             ;   in Loop: Header=BB36_2423 Depth=4
	s_andn2_saveexec_b64 s[28:29], s[22:23]
; %bb.2458:                             ;   in Loop: Header=BB36_2423 Depth=4
	v_or_b32_e32 v30, 0x10000, v48
	v_cmp_eq_u32_sdwa s[22:23], v48, v3 src0_sel:WORD_0 src1_sel:DWORD
	s_nop 1
	v_cndmask_b32_e64 v30, v30, v48, s[22:23]
; %bb.2459:                             ;   in Loop: Header=BB36_2423 Depth=4
	s_or_b64 exec, exec, s[28:29]
	v_and_b32_e32 v48, 0xffff0000, v16
	v_and_b32_e32 v36, 0xffff0000, v36
	v_max_f32_e32 v36, v36, v36
	v_max_f32_e32 v48, v48, v48
	v_min_f32_e32 v49, v48, v36
	v_max_f32_e32 v36, v48, v36
	v_cndmask_b32_e32 v48, v36, v49, vcc
	v_and_b32_e32 v36, 0x7f800000, v48
	v_cmp_ne_u32_e64 s[22:23], s35, v36
                                        ; implicit-def: $vgpr36
	s_and_saveexec_b64 s[28:29], s[22:23]
	s_xor_b64 s[22:23], exec, s[28:29]
; %bb.2460:                             ;   in Loop: Header=BB36_2423 Depth=4
	v_bfe_u32 v36, v48, 16, 1
	v_add3_u32 v36, v48, v36, s8
                                        ; implicit-def: $vgpr48
; %bb.2461:                             ;   in Loop: Header=BB36_2423 Depth=4
	s_andn2_saveexec_b64 s[28:29], s[22:23]
; %bb.2462:                             ;   in Loop: Header=BB36_2423 Depth=4
	v_or_b32_e32 v36, 0x10000, v48
	v_cmp_eq_u32_sdwa s[22:23], v48, v3 src0_sel:WORD_0 src1_sel:DWORD
	s_nop 1
	v_cndmask_b32_e64 v36, v36, v48, s[22:23]
; %bb.2463:                             ;   in Loop: Header=BB36_2423 Depth=4
	s_or_b64 exec, exec, s[28:29]
	v_lshlrev_b32_e32 v48, 16, v17
	v_lshlrev_b32_e32 v49, 16, v37
	v_max_f32_e32 v49, v49, v49
	v_max_f32_e32 v48, v48, v48
	v_min_f32_e32 v50, v48, v49
	v_max_f32_e32 v48, v48, v49
	v_cndmask_b32_e32 v49, v48, v50, vcc
	v_and_b32_e32 v48, 0x7f800000, v49
	v_cmp_ne_u32_e64 s[22:23], s35, v48
                                        ; implicit-def: $vgpr48
	s_and_saveexec_b64 s[28:29], s[22:23]
	s_xor_b64 s[22:23], exec, s[28:29]
; %bb.2464:                             ;   in Loop: Header=BB36_2423 Depth=4
	v_bfe_u32 v48, v49, 16, 1
	v_add3_u32 v48, v49, v48, s8
                                        ; implicit-def: $vgpr49
; %bb.2465:                             ;   in Loop: Header=BB36_2423 Depth=4
	s_andn2_saveexec_b64 s[28:29], s[22:23]
; %bb.2466:                             ;   in Loop: Header=BB36_2423 Depth=4
	v_or_b32_e32 v48, 0x10000, v49
	v_cmp_eq_u32_sdwa s[22:23], v49, v3 src0_sel:WORD_0 src1_sel:DWORD
	s_nop 1
	v_cndmask_b32_e64 v48, v48, v49, s[22:23]
; %bb.2467:                             ;   in Loop: Header=BB36_2423 Depth=4
	s_or_b64 exec, exec, s[28:29]
	v_and_b32_e32 v49, 0xffff0000, v17
	v_and_b32_e32 v37, 0xffff0000, v37
	v_max_f32_e32 v37, v37, v37
	v_max_f32_e32 v49, v49, v49
	v_min_f32_e32 v50, v49, v37
	v_max_f32_e32 v37, v49, v37
	v_cndmask_b32_e32 v49, v37, v50, vcc
	v_and_b32_e32 v37, 0x7f800000, v49
	v_cmp_ne_u32_e64 s[22:23], s35, v37
                                        ; implicit-def: $vgpr37
	s_and_saveexec_b64 s[28:29], s[22:23]
	s_xor_b64 s[22:23], exec, s[28:29]
; %bb.2468:                             ;   in Loop: Header=BB36_2423 Depth=4
	v_bfe_u32 v37, v49, 16, 1
	v_add3_u32 v37, v49, v37, s8
                                        ; implicit-def: $vgpr49
; %bb.2469:                             ;   in Loop: Header=BB36_2423 Depth=4
	s_andn2_saveexec_b64 s[28:29], s[22:23]
; %bb.2470:                             ;   in Loop: Header=BB36_2423 Depth=4
	v_or_b32_e32 v37, 0x10000, v49
	v_cmp_eq_u32_sdwa s[22:23], v49, v3 src0_sel:WORD_0 src1_sel:DWORD
	s_nop 1
	v_cndmask_b32_e64 v37, v37, v49, s[22:23]
; %bb.2471:                             ;   in Loop: Header=BB36_2423 Depth=4
	s_or_b64 exec, exec, s[28:29]
	v_lshlrev_b32_e32 v49, 16, v18
	v_lshlrev_b32_e32 v50, 16, v38
	v_max_f32_e32 v50, v50, v50
	v_max_f32_e32 v49, v49, v49
	v_min_f32_e32 v51, v49, v50
	v_max_f32_e32 v49, v49, v50
	v_cndmask_b32_e32 v50, v49, v51, vcc
	v_and_b32_e32 v49, 0x7f800000, v50
	v_cmp_ne_u32_e64 s[22:23], s35, v49
                                        ; implicit-def: $vgpr49
	s_and_saveexec_b64 s[28:29], s[22:23]
	s_xor_b64 s[22:23], exec, s[28:29]
; %bb.2472:                             ;   in Loop: Header=BB36_2423 Depth=4
	v_bfe_u32 v49, v50, 16, 1
	v_add3_u32 v49, v50, v49, s8
                                        ; implicit-def: $vgpr50
; %bb.2473:                             ;   in Loop: Header=BB36_2423 Depth=4
	s_andn2_saveexec_b64 s[28:29], s[22:23]
; %bb.2474:                             ;   in Loop: Header=BB36_2423 Depth=4
	v_or_b32_e32 v49, 0x10000, v50
	v_cmp_eq_u32_sdwa s[22:23], v50, v3 src0_sel:WORD_0 src1_sel:DWORD
	s_nop 1
	v_cndmask_b32_e64 v49, v49, v50, s[22:23]
; %bb.2475:                             ;   in Loop: Header=BB36_2423 Depth=4
	s_or_b64 exec, exec, s[28:29]
	v_and_b32_e32 v50, 0xffff0000, v18
	v_and_b32_e32 v38, 0xffff0000, v38
	v_max_f32_e32 v38, v38, v38
	v_max_f32_e32 v50, v50, v50
	v_min_f32_e32 v51, v50, v38
	v_max_f32_e32 v38, v50, v38
	v_cndmask_b32_e32 v50, v38, v51, vcc
	v_and_b32_e32 v38, 0x7f800000, v50
	v_cmp_ne_u32_e64 s[22:23], s35, v38
                                        ; implicit-def: $vgpr38
	s_and_saveexec_b64 s[28:29], s[22:23]
	s_xor_b64 s[22:23], exec, s[28:29]
; %bb.2476:                             ;   in Loop: Header=BB36_2423 Depth=4
	v_bfe_u32 v38, v50, 16, 1
	v_add3_u32 v38, v50, v38, s8
                                        ; implicit-def: $vgpr50
; %bb.2477:                             ;   in Loop: Header=BB36_2423 Depth=4
	s_andn2_saveexec_b64 s[28:29], s[22:23]
; %bb.2478:                             ;   in Loop: Header=BB36_2423 Depth=4
	v_or_b32_e32 v38, 0x10000, v50
	v_cmp_eq_u32_sdwa s[22:23], v50, v3 src0_sel:WORD_0 src1_sel:DWORD
	s_nop 1
	v_cndmask_b32_e64 v38, v38, v50, s[22:23]
; %bb.2479:                             ;   in Loop: Header=BB36_2423 Depth=4
	s_or_b64 exec, exec, s[28:29]
	v_lshlrev_b32_e32 v50, 16, v19
	v_lshlrev_b32_e32 v51, 16, v39
	v_max_f32_e32 v51, v51, v51
	v_max_f32_e32 v50, v50, v50
	v_min_f32_e32 v82, v50, v51
	v_max_f32_e32 v50, v50, v51
	v_cndmask_b32_e32 v51, v50, v82, vcc
	v_and_b32_e32 v50, 0x7f800000, v51
	v_cmp_ne_u32_e64 s[22:23], s35, v50
                                        ; implicit-def: $vgpr50
	s_and_saveexec_b64 s[28:29], s[22:23]
	s_xor_b64 s[22:23], exec, s[28:29]
; %bb.2480:                             ;   in Loop: Header=BB36_2423 Depth=4
	v_bfe_u32 v50, v51, 16, 1
	v_add3_u32 v50, v51, v50, s8
                                        ; implicit-def: $vgpr51
; %bb.2481:                             ;   in Loop: Header=BB36_2423 Depth=4
	s_andn2_saveexec_b64 s[28:29], s[22:23]
; %bb.2482:                             ;   in Loop: Header=BB36_2423 Depth=4
	v_or_b32_e32 v50, 0x10000, v51
	v_cmp_eq_u32_sdwa s[22:23], v51, v3 src0_sel:WORD_0 src1_sel:DWORD
	s_nop 1
	v_cndmask_b32_e64 v50, v50, v51, s[22:23]
; %bb.2483:                             ;   in Loop: Header=BB36_2423 Depth=4
	s_or_b64 exec, exec, s[28:29]
	v_and_b32_e32 v51, 0xffff0000, v19
	v_and_b32_e32 v39, 0xffff0000, v39
	v_max_f32_e32 v39, v39, v39
	v_max_f32_e32 v51, v51, v51
	v_min_f32_e32 v82, v51, v39
	v_max_f32_e32 v39, v51, v39
	v_cndmask_b32_e32 v51, v39, v82, vcc
	v_and_b32_e32 v39, 0x7f800000, v51
	v_cmp_ne_u32_e64 s[22:23], s35, v39
                                        ; implicit-def: $vgpr39
	s_and_saveexec_b64 s[28:29], s[22:23]
	s_xor_b64 s[22:23], exec, s[28:29]
; %bb.2484:                             ;   in Loop: Header=BB36_2423 Depth=4
	v_bfe_u32 v39, v51, 16, 1
	v_add3_u32 v39, v51, v39, s8
                                        ; implicit-def: $vgpr51
; %bb.2485:                             ;   in Loop: Header=BB36_2423 Depth=4
	s_andn2_saveexec_b64 s[28:29], s[22:23]
; %bb.2486:                             ;   in Loop: Header=BB36_2423 Depth=4
	v_or_b32_e32 v39, 0x10000, v51
	v_cmp_eq_u32_sdwa s[22:23], v51, v3 src0_sel:WORD_0 src1_sel:DWORD
	s_nop 1
	v_cndmask_b32_e64 v39, v39, v51, s[22:23]
; %bb.2487:                             ;   in Loop: Header=BB36_2423 Depth=4
	s_or_b64 exec, exec, s[28:29]
	v_lshrrev_b32_e32 v30, 16, v30
	v_and_or_b32 v36, v36, s9, v30
	v_lshrrev_b32_e32 v30, 16, v49
	v_lshrrev_b32_e32 v48, 16, v48
	v_and_or_b32 v38, v38, s9, v30
	v_lshrrev_b32_e32 v30, 16, v50
	v_and_or_b32 v37, v37, s9, v48
	v_and_or_b32 v39, v39, s9, v30
	global_store_dwordx4 v[64:65], v[36:39], off offset:1024
	s_waitcnt vmcnt(5)
	v_lshlrev_b32_e32 v30, 16, v12
	v_max_f32_e32 v30, v30, v30
	s_waitcnt vmcnt(3)
	v_lshlrev_b32_e32 v36, 16, v32
	v_max_f32_e32 v36, v36, v36
	v_min_f32_e32 v37, v30, v36
	v_max_f32_e32 v30, v30, v36
	v_cndmask_b32_e32 v36, v30, v37, vcc
	v_and_b32_e32 v30, 0x7f800000, v36
	v_cmp_ne_u32_e64 s[22:23], s35, v30
                                        ; implicit-def: $vgpr30
	s_and_saveexec_b64 s[28:29], s[22:23]
	s_xor_b64 s[22:23], exec, s[28:29]
; %bb.2488:                             ;   in Loop: Header=BB36_2423 Depth=4
	v_bfe_u32 v30, v36, 16, 1
	v_add3_u32 v30, v36, v30, s8
                                        ; implicit-def: $vgpr36
; %bb.2489:                             ;   in Loop: Header=BB36_2423 Depth=4
	s_andn2_saveexec_b64 s[28:29], s[22:23]
; %bb.2490:                             ;   in Loop: Header=BB36_2423 Depth=4
	v_or_b32_e32 v30, 0x10000, v36
	v_cmp_eq_u32_sdwa s[22:23], v36, v3 src0_sel:WORD_0 src1_sel:DWORD
	s_nop 1
	v_cndmask_b32_e64 v30, v30, v36, s[22:23]
; %bb.2491:                             ;   in Loop: Header=BB36_2423 Depth=4
	s_or_b64 exec, exec, s[28:29]
	v_and_b32_e32 v36, 0xffff0000, v12
	v_and_b32_e32 v32, 0xffff0000, v32
	v_max_f32_e32 v32, v32, v32
	v_max_f32_e32 v36, v36, v36
	v_min_f32_e32 v37, v36, v32
	v_max_f32_e32 v32, v36, v32
	v_cndmask_b32_e32 v36, v32, v37, vcc
	v_and_b32_e32 v32, 0x7f800000, v36
	v_cmp_ne_u32_e64 s[22:23], s35, v32
                                        ; implicit-def: $vgpr32
	s_and_saveexec_b64 s[28:29], s[22:23]
	s_xor_b64 s[22:23], exec, s[28:29]
; %bb.2492:                             ;   in Loop: Header=BB36_2423 Depth=4
	v_bfe_u32 v32, v36, 16, 1
	v_add3_u32 v32, v36, v32, s8
                                        ; implicit-def: $vgpr36
; %bb.2493:                             ;   in Loop: Header=BB36_2423 Depth=4
	s_andn2_saveexec_b64 s[28:29], s[22:23]
; %bb.2494:                             ;   in Loop: Header=BB36_2423 Depth=4
	v_or_b32_e32 v32, 0x10000, v36
	v_cmp_eq_u32_sdwa s[22:23], v36, v3 src0_sel:WORD_0 src1_sel:DWORD
	s_nop 1
	v_cndmask_b32_e64 v32, v32, v36, s[22:23]
; %bb.2495:                             ;   in Loop: Header=BB36_2423 Depth=4
	s_or_b64 exec, exec, s[28:29]
	v_lshlrev_b32_e32 v36, 16, v13
	v_lshlrev_b32_e32 v37, 16, v33
	v_max_f32_e32 v37, v37, v37
	v_max_f32_e32 v36, v36, v36
	v_min_f32_e32 v38, v36, v37
	v_max_f32_e32 v36, v36, v37
	v_cndmask_b32_e32 v37, v36, v38, vcc
	v_and_b32_e32 v36, 0x7f800000, v37
	v_cmp_ne_u32_e64 s[22:23], s35, v36
                                        ; implicit-def: $vgpr36
	s_and_saveexec_b64 s[28:29], s[22:23]
	s_xor_b64 s[22:23], exec, s[28:29]
; %bb.2496:                             ;   in Loop: Header=BB36_2423 Depth=4
	v_bfe_u32 v36, v37, 16, 1
	v_add3_u32 v36, v37, v36, s8
                                        ; implicit-def: $vgpr37
; %bb.2497:                             ;   in Loop: Header=BB36_2423 Depth=4
	s_andn2_saveexec_b64 s[28:29], s[22:23]
; %bb.2498:                             ;   in Loop: Header=BB36_2423 Depth=4
	v_or_b32_e32 v36, 0x10000, v37
	v_cmp_eq_u32_sdwa s[22:23], v37, v3 src0_sel:WORD_0 src1_sel:DWORD
	s_nop 1
	v_cndmask_b32_e64 v36, v36, v37, s[22:23]
; %bb.2499:                             ;   in Loop: Header=BB36_2423 Depth=4
	s_or_b64 exec, exec, s[28:29]
	v_and_b32_e32 v37, 0xffff0000, v13
	v_and_b32_e32 v33, 0xffff0000, v33
	v_max_f32_e32 v33, v33, v33
	v_max_f32_e32 v37, v37, v37
	v_min_f32_e32 v38, v37, v33
	v_max_f32_e32 v33, v37, v33
	v_cndmask_b32_e32 v37, v33, v38, vcc
	v_and_b32_e32 v33, 0x7f800000, v37
	v_cmp_ne_u32_e64 s[22:23], s35, v33
                                        ; implicit-def: $vgpr33
	s_and_saveexec_b64 s[28:29], s[22:23]
	s_xor_b64 s[22:23], exec, s[28:29]
; %bb.2500:                             ;   in Loop: Header=BB36_2423 Depth=4
	v_bfe_u32 v33, v37, 16, 1
	v_add3_u32 v33, v37, v33, s8
                                        ; implicit-def: $vgpr37
; %bb.2501:                             ;   in Loop: Header=BB36_2423 Depth=4
	s_andn2_saveexec_b64 s[28:29], s[22:23]
; %bb.2502:                             ;   in Loop: Header=BB36_2423 Depth=4
	v_or_b32_e32 v33, 0x10000, v37
	v_cmp_eq_u32_sdwa s[22:23], v37, v3 src0_sel:WORD_0 src1_sel:DWORD
	s_nop 1
	v_cndmask_b32_e64 v33, v33, v37, s[22:23]
; %bb.2503:                             ;   in Loop: Header=BB36_2423 Depth=4
	s_or_b64 exec, exec, s[28:29]
	v_lshlrev_b32_e32 v37, 16, v14
	v_lshlrev_b32_e32 v38, 16, v34
	v_max_f32_e32 v38, v38, v38
	v_max_f32_e32 v37, v37, v37
	v_min_f32_e32 v39, v37, v38
	v_max_f32_e32 v37, v37, v38
	v_cndmask_b32_e32 v38, v37, v39, vcc
	v_and_b32_e32 v37, 0x7f800000, v38
	v_cmp_ne_u32_e64 s[22:23], s35, v37
                                        ; implicit-def: $vgpr37
	s_and_saveexec_b64 s[28:29], s[22:23]
	s_xor_b64 s[22:23], exec, s[28:29]
; %bb.2504:                             ;   in Loop: Header=BB36_2423 Depth=4
	v_bfe_u32 v37, v38, 16, 1
	v_add3_u32 v37, v38, v37, s8
                                        ; implicit-def: $vgpr38
; %bb.2505:                             ;   in Loop: Header=BB36_2423 Depth=4
	s_andn2_saveexec_b64 s[28:29], s[22:23]
; %bb.2506:                             ;   in Loop: Header=BB36_2423 Depth=4
	v_or_b32_e32 v37, 0x10000, v38
	v_cmp_eq_u32_sdwa s[22:23], v38, v3 src0_sel:WORD_0 src1_sel:DWORD
	s_nop 1
	v_cndmask_b32_e64 v37, v37, v38, s[22:23]
; %bb.2507:                             ;   in Loop: Header=BB36_2423 Depth=4
	s_or_b64 exec, exec, s[28:29]
	v_and_b32_e32 v38, 0xffff0000, v14
	v_and_b32_e32 v34, 0xffff0000, v34
	v_max_f32_e32 v34, v34, v34
	v_max_f32_e32 v38, v38, v38
	v_min_f32_e32 v39, v38, v34
	v_max_f32_e32 v34, v38, v34
	v_cndmask_b32_e32 v38, v34, v39, vcc
	v_and_b32_e32 v34, 0x7f800000, v38
	v_cmp_ne_u32_e64 s[22:23], s35, v34
                                        ; implicit-def: $vgpr34
	s_and_saveexec_b64 s[28:29], s[22:23]
	s_xor_b64 s[22:23], exec, s[28:29]
; %bb.2508:                             ;   in Loop: Header=BB36_2423 Depth=4
	v_bfe_u32 v34, v38, 16, 1
	v_add3_u32 v34, v38, v34, s8
                                        ; implicit-def: $vgpr38
; %bb.2509:                             ;   in Loop: Header=BB36_2423 Depth=4
	s_andn2_saveexec_b64 s[28:29], s[22:23]
; %bb.2510:                             ;   in Loop: Header=BB36_2423 Depth=4
	v_or_b32_e32 v34, 0x10000, v38
	v_cmp_eq_u32_sdwa s[22:23], v38, v3 src0_sel:WORD_0 src1_sel:DWORD
	s_nop 1
	v_cndmask_b32_e64 v34, v34, v38, s[22:23]
; %bb.2511:                             ;   in Loop: Header=BB36_2423 Depth=4
	s_or_b64 exec, exec, s[28:29]
	v_lshlrev_b32_e32 v38, 16, v15
	v_lshlrev_b32_e32 v39, 16, v35
	v_max_f32_e32 v39, v39, v39
	v_max_f32_e32 v38, v38, v38
	v_min_f32_e32 v48, v38, v39
	v_max_f32_e32 v38, v38, v39
	v_cndmask_b32_e32 v39, v38, v48, vcc
	v_and_b32_e32 v38, 0x7f800000, v39
	v_cmp_ne_u32_e64 s[22:23], s35, v38
                                        ; implicit-def: $vgpr38
	s_and_saveexec_b64 s[28:29], s[22:23]
	s_xor_b64 s[22:23], exec, s[28:29]
; %bb.2512:                             ;   in Loop: Header=BB36_2423 Depth=4
	v_bfe_u32 v38, v39, 16, 1
	v_add3_u32 v38, v39, v38, s8
                                        ; implicit-def: $vgpr39
; %bb.2513:                             ;   in Loop: Header=BB36_2423 Depth=4
	s_andn2_saveexec_b64 s[28:29], s[22:23]
; %bb.2514:                             ;   in Loop: Header=BB36_2423 Depth=4
	v_or_b32_e32 v38, 0x10000, v39
	v_cmp_eq_u32_sdwa s[22:23], v39, v3 src0_sel:WORD_0 src1_sel:DWORD
	s_nop 1
	v_cndmask_b32_e64 v38, v38, v39, s[22:23]
; %bb.2515:                             ;   in Loop: Header=BB36_2423 Depth=4
	s_or_b64 exec, exec, s[28:29]
	v_and_b32_e32 v39, 0xffff0000, v15
	v_and_b32_e32 v35, 0xffff0000, v35
	v_max_f32_e32 v35, v35, v35
	v_max_f32_e32 v39, v39, v39
	v_min_f32_e32 v48, v39, v35
	v_max_f32_e32 v35, v39, v35
	v_cndmask_b32_e32 v39, v35, v48, vcc
	v_and_b32_e32 v35, 0x7f800000, v39
	v_cmp_ne_u32_e64 s[22:23], s35, v35
                                        ; implicit-def: $vgpr35
	s_and_saveexec_b64 s[28:29], s[22:23]
	s_xor_b64 s[22:23], exec, s[28:29]
; %bb.2516:                             ;   in Loop: Header=BB36_2423 Depth=4
	v_bfe_u32 v35, v39, 16, 1
	v_add3_u32 v35, v39, v35, s8
                                        ; implicit-def: $vgpr39
; %bb.2517:                             ;   in Loop: Header=BB36_2423 Depth=4
	s_andn2_saveexec_b64 s[28:29], s[22:23]
; %bb.2518:                             ;   in Loop: Header=BB36_2423 Depth=4
	v_or_b32_e32 v35, 0x10000, v39
	v_cmp_eq_u32_sdwa s[22:23], v39, v3 src0_sel:WORD_0 src1_sel:DWORD
	s_nop 1
	v_cndmask_b32_e64 v35, v35, v39, s[22:23]
; %bb.2519:                             ;   in Loop: Header=BB36_2423 Depth=4
	s_or_b64 exec, exec, s[28:29]
	v_lshrrev_b32_e32 v30, 16, v30
	v_and_or_b32 v32, v32, s9, v30
	v_lshrrev_b32_e32 v30, 16, v37
	v_lshrrev_b32_e32 v36, 16, v36
	v_and_or_b32 v34, v34, s9, v30
	v_lshrrev_b32_e32 v30, 16, v38
	v_and_or_b32 v33, v33, s9, v36
	v_and_or_b32 v35, v35, s9, v30
	global_store_dwordx4 v[64:65], v[32:35], off offset:2048
	v_lshlrev_b32_e32 v30, 16, v8
	v_max_f32_e32 v30, v30, v30
	s_waitcnt vmcnt(3)
	v_lshlrev_b32_e32 v32, 16, v24
	v_max_f32_e32 v32, v32, v32
	v_min_f32_e32 v33, v30, v32
	v_max_f32_e32 v30, v30, v32
	v_cndmask_b32_e32 v32, v30, v33, vcc
	v_and_b32_e32 v30, 0x7f800000, v32
	v_cmp_ne_u32_e64 s[22:23], s35, v30
                                        ; implicit-def: $vgpr30
	s_and_saveexec_b64 s[28:29], s[22:23]
	s_xor_b64 s[22:23], exec, s[28:29]
; %bb.2520:                             ;   in Loop: Header=BB36_2423 Depth=4
	v_bfe_u32 v30, v32, 16, 1
	v_add3_u32 v30, v32, v30, s8
                                        ; implicit-def: $vgpr32
; %bb.2521:                             ;   in Loop: Header=BB36_2423 Depth=4
	s_andn2_saveexec_b64 s[28:29], s[22:23]
; %bb.2522:                             ;   in Loop: Header=BB36_2423 Depth=4
	v_or_b32_e32 v30, 0x10000, v32
	v_cmp_eq_u32_sdwa s[22:23], v32, v3 src0_sel:WORD_0 src1_sel:DWORD
	s_nop 1
	v_cndmask_b32_e64 v30, v30, v32, s[22:23]
; %bb.2523:                             ;   in Loop: Header=BB36_2423 Depth=4
	s_or_b64 exec, exec, s[28:29]
	v_and_b32_e32 v32, 0xffff0000, v8
	v_and_b32_e32 v24, 0xffff0000, v24
	v_max_f32_e32 v24, v24, v24
	v_max_f32_e32 v32, v32, v32
	v_min_f32_e32 v33, v32, v24
	v_max_f32_e32 v24, v32, v24
	v_cndmask_b32_e32 v32, v24, v33, vcc
	v_and_b32_e32 v24, 0x7f800000, v32
	v_cmp_ne_u32_e64 s[22:23], s35, v24
                                        ; implicit-def: $vgpr24
	s_and_saveexec_b64 s[28:29], s[22:23]
	s_xor_b64 s[22:23], exec, s[28:29]
; %bb.2524:                             ;   in Loop: Header=BB36_2423 Depth=4
	v_bfe_u32 v24, v32, 16, 1
	v_add3_u32 v24, v32, v24, s8
                                        ; implicit-def: $vgpr32
; %bb.2525:                             ;   in Loop: Header=BB36_2423 Depth=4
	s_andn2_saveexec_b64 s[28:29], s[22:23]
; %bb.2526:                             ;   in Loop: Header=BB36_2423 Depth=4
	v_or_b32_e32 v24, 0x10000, v32
	v_cmp_eq_u32_sdwa s[22:23], v32, v3 src0_sel:WORD_0 src1_sel:DWORD
	s_nop 1
	v_cndmask_b32_e64 v24, v24, v32, s[22:23]
; %bb.2527:                             ;   in Loop: Header=BB36_2423 Depth=4
	s_or_b64 exec, exec, s[28:29]
	v_lshlrev_b32_e32 v32, 16, v9
	v_lshlrev_b32_e32 v33, 16, v25
	v_max_f32_e32 v33, v33, v33
	v_max_f32_e32 v32, v32, v32
	v_min_f32_e32 v34, v32, v33
	v_max_f32_e32 v32, v32, v33
	v_cndmask_b32_e32 v33, v32, v34, vcc
	v_and_b32_e32 v32, 0x7f800000, v33
	v_cmp_ne_u32_e64 s[22:23], s35, v32
                                        ; implicit-def: $vgpr32
	s_and_saveexec_b64 s[28:29], s[22:23]
	s_xor_b64 s[22:23], exec, s[28:29]
; %bb.2528:                             ;   in Loop: Header=BB36_2423 Depth=4
	v_bfe_u32 v32, v33, 16, 1
	v_add3_u32 v32, v33, v32, s8
                                        ; implicit-def: $vgpr33
; %bb.2529:                             ;   in Loop: Header=BB36_2423 Depth=4
	s_andn2_saveexec_b64 s[28:29], s[22:23]
; %bb.2530:                             ;   in Loop: Header=BB36_2423 Depth=4
	v_or_b32_e32 v32, 0x10000, v33
	v_cmp_eq_u32_sdwa s[22:23], v33, v3 src0_sel:WORD_0 src1_sel:DWORD
	s_nop 1
	v_cndmask_b32_e64 v32, v32, v33, s[22:23]
; %bb.2531:                             ;   in Loop: Header=BB36_2423 Depth=4
	s_or_b64 exec, exec, s[28:29]
	v_and_b32_e32 v33, 0xffff0000, v9
	v_and_b32_e32 v25, 0xffff0000, v25
	v_max_f32_e32 v25, v25, v25
	v_max_f32_e32 v33, v33, v33
	v_min_f32_e32 v34, v33, v25
	v_max_f32_e32 v25, v33, v25
	v_cndmask_b32_e32 v33, v25, v34, vcc
	v_and_b32_e32 v25, 0x7f800000, v33
	v_cmp_ne_u32_e64 s[22:23], s35, v25
                                        ; implicit-def: $vgpr25
	s_and_saveexec_b64 s[28:29], s[22:23]
	s_xor_b64 s[22:23], exec, s[28:29]
; %bb.2532:                             ;   in Loop: Header=BB36_2423 Depth=4
	v_bfe_u32 v25, v33, 16, 1
	v_add3_u32 v25, v33, v25, s8
                                        ; implicit-def: $vgpr33
; %bb.2533:                             ;   in Loop: Header=BB36_2423 Depth=4
	s_andn2_saveexec_b64 s[28:29], s[22:23]
; %bb.2534:                             ;   in Loop: Header=BB36_2423 Depth=4
	v_or_b32_e32 v25, 0x10000, v33
	v_cmp_eq_u32_sdwa s[22:23], v33, v3 src0_sel:WORD_0 src1_sel:DWORD
	s_nop 1
	v_cndmask_b32_e64 v25, v25, v33, s[22:23]
; %bb.2535:                             ;   in Loop: Header=BB36_2423 Depth=4
	s_or_b64 exec, exec, s[28:29]
	v_lshlrev_b32_e32 v33, 16, v10
	v_lshlrev_b32_e32 v34, 16, v26
	v_max_f32_e32 v34, v34, v34
	v_max_f32_e32 v33, v33, v33
	v_min_f32_e32 v35, v33, v34
	v_max_f32_e32 v33, v33, v34
	v_cndmask_b32_e32 v34, v33, v35, vcc
	v_and_b32_e32 v33, 0x7f800000, v34
	v_cmp_ne_u32_e64 s[22:23], s35, v33
                                        ; implicit-def: $vgpr33
	s_and_saveexec_b64 s[28:29], s[22:23]
	s_xor_b64 s[22:23], exec, s[28:29]
; %bb.2536:                             ;   in Loop: Header=BB36_2423 Depth=4
	v_bfe_u32 v33, v34, 16, 1
	v_add3_u32 v33, v34, v33, s8
                                        ; implicit-def: $vgpr34
; %bb.2537:                             ;   in Loop: Header=BB36_2423 Depth=4
	s_andn2_saveexec_b64 s[28:29], s[22:23]
; %bb.2538:                             ;   in Loop: Header=BB36_2423 Depth=4
	v_or_b32_e32 v33, 0x10000, v34
	v_cmp_eq_u32_sdwa s[22:23], v34, v3 src0_sel:WORD_0 src1_sel:DWORD
	s_nop 1
	v_cndmask_b32_e64 v33, v33, v34, s[22:23]
; %bb.2539:                             ;   in Loop: Header=BB36_2423 Depth=4
	s_or_b64 exec, exec, s[28:29]
	v_and_b32_e32 v34, 0xffff0000, v10
	v_and_b32_e32 v26, 0xffff0000, v26
	v_max_f32_e32 v26, v26, v26
	v_max_f32_e32 v34, v34, v34
	v_min_f32_e32 v35, v34, v26
	v_max_f32_e32 v26, v34, v26
	v_cndmask_b32_e32 v34, v26, v35, vcc
	v_and_b32_e32 v26, 0x7f800000, v34
	v_cmp_ne_u32_e64 s[22:23], s35, v26
                                        ; implicit-def: $vgpr26
	s_and_saveexec_b64 s[28:29], s[22:23]
	s_xor_b64 s[22:23], exec, s[28:29]
; %bb.2540:                             ;   in Loop: Header=BB36_2423 Depth=4
	v_bfe_u32 v26, v34, 16, 1
	v_add3_u32 v26, v34, v26, s8
                                        ; implicit-def: $vgpr34
; %bb.2541:                             ;   in Loop: Header=BB36_2423 Depth=4
	s_andn2_saveexec_b64 s[28:29], s[22:23]
; %bb.2542:                             ;   in Loop: Header=BB36_2423 Depth=4
	v_or_b32_e32 v26, 0x10000, v34
	v_cmp_eq_u32_sdwa s[22:23], v34, v3 src0_sel:WORD_0 src1_sel:DWORD
	s_nop 1
	v_cndmask_b32_e64 v26, v26, v34, s[22:23]
; %bb.2543:                             ;   in Loop: Header=BB36_2423 Depth=4
	s_or_b64 exec, exec, s[28:29]
	v_lshlrev_b32_e32 v34, 16, v11
	v_lshlrev_b32_e32 v35, 16, v27
	v_max_f32_e32 v35, v35, v35
	v_max_f32_e32 v34, v34, v34
	v_min_f32_e32 v36, v34, v35
	v_max_f32_e32 v34, v34, v35
	v_cndmask_b32_e32 v35, v34, v36, vcc
	v_and_b32_e32 v34, 0x7f800000, v35
	v_cmp_ne_u32_e64 s[22:23], s35, v34
                                        ; implicit-def: $vgpr34
	s_and_saveexec_b64 s[28:29], s[22:23]
	s_xor_b64 s[22:23], exec, s[28:29]
; %bb.2544:                             ;   in Loop: Header=BB36_2423 Depth=4
	v_bfe_u32 v34, v35, 16, 1
	v_add3_u32 v34, v35, v34, s8
                                        ; implicit-def: $vgpr35
; %bb.2545:                             ;   in Loop: Header=BB36_2423 Depth=4
	s_andn2_saveexec_b64 s[28:29], s[22:23]
; %bb.2546:                             ;   in Loop: Header=BB36_2423 Depth=4
	v_or_b32_e32 v34, 0x10000, v35
	v_cmp_eq_u32_sdwa s[22:23], v35, v3 src0_sel:WORD_0 src1_sel:DWORD
	s_nop 1
	v_cndmask_b32_e64 v34, v34, v35, s[22:23]
; %bb.2547:                             ;   in Loop: Header=BB36_2423 Depth=4
	s_or_b64 exec, exec, s[28:29]
	v_and_b32_e32 v35, 0xffff0000, v11
	v_and_b32_e32 v27, 0xffff0000, v27
	v_max_f32_e32 v27, v27, v27
	v_max_f32_e32 v35, v35, v35
	v_min_f32_e32 v36, v35, v27
	v_max_f32_e32 v27, v35, v27
	v_cndmask_b32_e32 v35, v27, v36, vcc
	v_and_b32_e32 v27, 0x7f800000, v35
	v_cmp_ne_u32_e64 s[22:23], s35, v27
                                        ; implicit-def: $vgpr27
	s_and_saveexec_b64 s[28:29], s[22:23]
	s_xor_b64 s[22:23], exec, s[28:29]
; %bb.2548:                             ;   in Loop: Header=BB36_2423 Depth=4
	v_bfe_u32 v27, v35, 16, 1
	v_add3_u32 v27, v35, v27, s8
                                        ; implicit-def: $vgpr35
; %bb.2549:                             ;   in Loop: Header=BB36_2423 Depth=4
	s_andn2_saveexec_b64 s[28:29], s[22:23]
	s_cbranch_execz .LBB36_2422
; %bb.2550:                             ;   in Loop: Header=BB36_2423 Depth=4
	v_or_b32_e32 v27, 0x10000, v35
	v_cmp_eq_u32_sdwa s[22:23], v35, v3 src0_sel:WORD_0 src1_sel:DWORD
	s_nop 1
	v_cndmask_b32_e64 v27, v27, v35, s[22:23]
	s_branch .LBB36_2422
.LBB36_2551:                            ;   in Loop: Header=BB36_2338 Depth=3
	s_or_b64 exec, exec, s[26:27]
.LBB36_2552:                            ;   in Loop: Header=BB36_2338 Depth=3
	s_or_b64 exec, exec, s[24:25]
	v_lshlrev_b32_e32 v24, 12, v81
	v_cmp_ne_u32_e32 vcc, v80, v24
	s_mov_b64 s[22:23], 0
	v_mov_b32_e32 v18, 0
                                        ; implicit-def: $vgpr19
	s_and_saveexec_b64 s[64:65], vcc
	s_cbranch_execz .LBB36_2560
; %bb.2553:                             ;   in Loop: Header=BB36_2338 Depth=3
	scratch_load_dword v9, off, s33 offset:344 ; 4-byte Folded Reload
	v_lshlrev_b32_e32 v2, 6, v2
	v_sub_u32_e32 v8, v80, v24
	s_waitcnt vmcnt(0)
	v_and_b32_e32 v9, 63, v9
	v_sub_u32_e32 v2, v9, v2
	v_ashrrev_i32_e32 v9, 31, v2
	v_lshrrev_b32_e32 v9, 26, v9
	v_add_u32_e32 v9, v2, v9
	v_ashrrev_i32_e32 v10, 6, v9
	v_and_b32_e32 v9, 0xffffffc0, v9
	v_sub_u32_e32 v25, v2, v9
	v_ashrrev_i32_e32 v9, 31, v8
	v_lshrrev_b32_e32 v9, 22, v9
	v_add_u32_e32 v9, v8, v9
	v_and_b32_e32 v26, 0xfffffc00, v9
	v_lshlrev_b32_e32 v2, 4, v25
	v_sub_u32_e32 v27, v8, v26
	v_lshl_add_u32 v2, v10, 10, v2
	v_ashrrev_i32_e32 v11, 10, v9
	v_cmp_lt_i32_e64 s[22:23], 15, v27
	v_sub_u32_e32 v32, v8, v2
	s_nop 0
	v_addc_co_u32_e64 v8, vcc, 0, v11, s[22:23]
	v_sub_u32_e32 v30, v8, v10
	v_cmp_lt_i32_e32 vcc, 15, v32
	s_and_saveexec_b64 s[66:67], vcc
	s_cbranch_execz .LBB36_2559
; %bb.2554:                             ;   in Loop: Header=BB36_2338 Depth=3
	v_add_u32_e32 v8, v2, v24
	s_and_b32 s74, s71, 1
	v_ashrrev_i32_e32 v9, 31, v8
	s_cmp_eq_u64 s[74:75], 0
	v_lshl_add_u64 v[16:17], v[8:9], 0, v[0:1]
	s_waitcnt lgkmcnt(0)
	v_lshl_add_u64 v[18:19], v[8:9], 0, v[54:55]
	v_lshl_add_u64 v[20:21], v[8:9], 0, v[118:119]
	;; [unrolled: 1-line block ×3, first 2 shown]
	s_mov_b64 s[68:69], 0
	s_cselect_b64 s[24:25], -1, 0
.LBB36_2555:                            ;   Parent Loop BB36_47 Depth=1
                                        ;     Parent Loop BB36_2335 Depth=2
                                        ;       Parent Loop BB36_2338 Depth=3
                                        ; =>      This Loop Header: Depth=4
                                        ;           Child Loop BB36_2556 Depth 5
	global_load_dwordx4 v[8:11], v[16:17], off nt
	global_load_dwordx4 v[12:15], v[18:19], off nt
	s_waitcnt vmcnt(1)
	v_lshlrev_b32_e32 v2, 16, v8
	s_waitcnt vmcnt(0)
	v_and_b32_e32 v34, 0xffff0000, v12
	v_lshlrev_b32_e32 v12, 16, v12
	v_max_f32_e32 v12, v12, v12
	v_max_f32_e32 v2, v2, v2
	v_min_f32_e32 v35, v2, v12
	v_max_f32_e32 v2, v2, v12
	v_cndmask_b32_e64 v12, v2, v35, s[24:25]
	v_and_b32_e32 v33, 0xffff0000, v8
	v_and_b32_e32 v2, 0x7f800000, v12
	v_cmp_eq_u32_e32 vcc, s35, v2
	v_bfe_u32 v2, v12, 16, 1
	v_cmp_eq_u32_sdwa s[26:27], v12, v3 src0_sel:WORD_0 src1_sel:DWORD
	v_or_b32_e32 v35, 0x10000, v12
	v_max_f32_e32 v34, v34, v34
	v_max_f32_e32 v33, v33, v33
	v_add3_u32 v2, v12, v2, s8
	v_cndmask_b32_e64 v12, v35, v12, s[26:27]
	v_min_f32_e32 v35, v33, v34
	v_max_f32_e32 v33, v33, v34
	v_cndmask_b32_e64 v34, v33, v35, s[24:25]
	v_and_b32_e32 v33, 0x7f800000, v34
	v_cmp_eq_u32_e64 s[26:27], s35, v33
	v_bfe_u32 v33, v34, 16, 1
	v_cmp_eq_u32_sdwa s[28:29], v34, v3 src0_sel:WORD_0 src1_sel:DWORD
	v_or_b32_e32 v35, 0x10000, v34
	v_add3_u32 v33, v34, v33, s8
	v_cndmask_b32_e64 v34, v35, v34, s[28:29]
	v_and_b32_e32 v37, 0xffff0000, v13
	v_lshlrev_b32_e32 v35, 16, v9
	v_lshlrev_b32_e32 v13, 16, v13
	v_max_f32_e32 v13, v13, v13
	v_max_f32_e32 v35, v35, v35
	v_min_f32_e32 v38, v35, v13
	v_max_f32_e32 v13, v35, v13
	v_cndmask_b32_e64 v35, v13, v38, s[24:25]
	v_and_b32_e32 v36, 0xffff0000, v9
	v_and_b32_e32 v13, 0x7f800000, v35
	v_cmp_eq_u32_e64 s[28:29], s35, v13
	v_bfe_u32 v13, v35, 16, 1
	v_cmp_eq_u32_sdwa s[40:41], v35, v3 src0_sel:WORD_0 src1_sel:DWORD
	v_or_b32_e32 v38, 0x10000, v35
	v_max_f32_e32 v37, v37, v37
	v_max_f32_e32 v36, v36, v36
	v_add3_u32 v13, v35, v13, s8
	v_cndmask_b32_e64 v35, v38, v35, s[40:41]
	v_min_f32_e32 v38, v36, v37
	v_max_f32_e32 v36, v36, v37
	v_cndmask_b32_e64 v37, v36, v38, s[24:25]
	v_and_b32_e32 v36, 0x7f800000, v37
	v_cmp_eq_u32_e64 s[40:41], s35, v36
	v_bfe_u32 v36, v37, 16, 1
	v_cmp_eq_u32_sdwa s[42:43], v37, v3 src0_sel:WORD_0 src1_sel:DWORD
	v_or_b32_e32 v38, 0x10000, v37
	v_add3_u32 v36, v37, v36, s8
	v_cndmask_b32_e64 v37, v38, v37, s[42:43]
	v_and_b32_e32 v48, 0xffff0000, v14
	v_lshlrev_b32_e32 v38, 16, v10
	v_lshlrev_b32_e32 v14, 16, v14
	v_max_f32_e32 v14, v14, v14
	v_max_f32_e32 v38, v38, v38
	v_min_f32_e32 v49, v38, v14
	v_max_f32_e32 v14, v38, v14
	v_cndmask_b32_e64 v38, v14, v49, s[24:25]
	v_and_b32_e32 v39, 0xffff0000, v10
	v_and_b32_e32 v14, 0x7f800000, v38
	v_cmp_eq_u32_e64 s[42:43], s35, v14
	v_bfe_u32 v14, v38, 16, 1
	v_cmp_eq_u32_sdwa s[44:45], v38, v3 src0_sel:WORD_0 src1_sel:DWORD
	v_or_b32_e32 v49, 0x10000, v38
	v_max_f32_e32 v48, v48, v48
	v_max_f32_e32 v39, v39, v39
	v_add3_u32 v14, v38, v14, s8
	v_cndmask_b32_e64 v38, v49, v38, s[44:45]
	v_min_f32_e32 v49, v39, v48
	v_max_f32_e32 v39, v39, v48
	v_and_b32_e32 v50, 0xffff0000, v15
	v_lshlrev_b32_e32 v51, 16, v11
	v_lshlrev_b32_e32 v15, 16, v15
	v_cndmask_b32_e64 v48, v39, v49, s[24:25]
	v_max_f32_e32 v15, v15, v15
	v_max_f32_e32 v51, v51, v51
	v_and_b32_e32 v39, 0x7f800000, v48
	v_min_f32_e32 v64, v51, v15
	v_max_f32_e32 v15, v51, v15
	v_cmp_eq_u32_e64 s[44:45], s35, v39
	v_bfe_u32 v39, v48, 16, 1
	v_cmp_eq_u32_sdwa s[46:47], v48, v3 src0_sel:WORD_0 src1_sel:DWORD
	v_or_b32_e32 v49, 0x10000, v48
	v_cndmask_b32_e64 v15, v15, v64, s[24:25]
	v_add3_u32 v39, v48, v39, s8
	v_cndmask_b32_e64 v48, v49, v48, s[46:47]
	v_and_b32_e32 v49, 0xffff0000, v11
	v_and_b32_e32 v51, 0x7f800000, v15
	v_cmp_eq_u32_e64 s[46:47], s35, v51
	v_bfe_u32 v51, v15, 16, 1
	v_cmp_eq_u32_sdwa s[56:57], v15, v3 src0_sel:WORD_0 src1_sel:DWORD
	v_or_b32_e32 v64, 0x10000, v15
	v_max_f32_e32 v50, v50, v50
	v_max_f32_e32 v49, v49, v49
	v_add3_u32 v51, v15, v51, s8
	v_cndmask_b32_e64 v15, v64, v15, s[56:57]
	v_min_f32_e32 v64, v49, v50
	v_max_f32_e32 v49, v49, v50
	v_cndmask_b32_e64 v49, v49, v64, s[24:25]
	v_and_b32_e32 v50, 0x7f800000, v49
	v_cmp_eq_u32_e64 s[56:57], s35, v50
	v_bfe_u32 v50, v49, 16, 1
	v_cmp_eq_u32_sdwa s[58:59], v49, v3 src0_sel:WORD_0 src1_sel:DWORD
	v_or_b32_e32 v64, 0x10000, v49
	v_cndmask_b32_e32 v2, v2, v12, vcc
	v_add3_u32 v50, v49, v50, s8
	v_cndmask_b32_e64 v49, v64, v49, s[58:59]
	v_cndmask_b32_e64 v12, v33, v34, s[26:27]
	v_cndmask_b32_e64 v13, v13, v35, s[28:29]
	v_cndmask_b32_e64 v14, v14, v38, s[42:43]
	v_cndmask_b32_e64 v15, v51, v15, s[46:47]
	v_lshrrev_b32_e32 v2, 16, v2
	v_cndmask_b32_e64 v33, v36, v37, s[40:41]
	v_cndmask_b32_e64 v34, v39, v48, s[44:45]
	v_cndmask_b32_e64 v35, v50, v49, s[56:57]
	v_lshrrev_b32_e32 v13, 16, v13
	v_and_or_b32 v2, v12, s9, v2
	v_lshrrev_b32_e32 v12, 16, v14
	v_lshrrev_b32_e32 v14, 16, v15
	v_and_or_b32 v13, v33, s9, v13
	v_and_or_b32 v12, v34, s9, v12
	;; [unrolled: 1-line block ×3, first 2 shown]
	s_mov_b64 s[26:27], -1
	s_mov_b64 s[28:29], 0
.LBB36_2556:                            ;   Parent Loop BB36_47 Depth=1
                                        ;     Parent Loop BB36_2335 Depth=2
                                        ;       Parent Loop BB36_2338 Depth=3
                                        ;         Parent Loop BB36_2555 Depth=4
                                        ; =>        This Inner Loop Header: Depth=5
	v_cndmask_b32_e64 v14, 0, 1, s[26:27]
	v_cmp_ne_u32_e32 vcc, 1, v14
	s_cmp_eq_u32 s28, 1
	v_cndmask_b32_e64 v35, v9, v13, s[26:27]
	v_cndmask_b32_e64 v34, v8, v2, s[26:27]
	;; [unrolled: 1-line block ×4, first 2 shown]
	v_cndmask_b32_e32 v39, v21, v23, vcc
	v_cndmask_b32_e32 v38, v20, v22, vcc
	s_cselect_b64 vcc, -1, 0
	global_store_dwordx4 v[38:39], v[34:37], off
	s_cmp_eq_u32 s28, 0
	s_mov_b64 s[28:29], 1
	v_cndmask_b32_e32 v35, v21, v23, vcc
	v_cndmask_b32_e32 v34, v20, v22, vcc
	v_lshl_add_u64 v[34:35], v[34:35], 0, s[88:89]
	v_cndmask_b32_e32 v23, v23, v35, vcc
	v_cndmask_b32_e32 v22, v22, v34, vcc
	s_cselect_b64 vcc, -1, 0
	v_cndmask_b32_e32 v21, v21, v35, vcc
	v_cndmask_b32_e32 v20, v20, v34, vcc
	s_and_b64 vcc, exec, s[26:27]
	s_mov_b64 s[26:27], 0
	s_cbranch_vccnz .LBB36_2556
; %bb.2557:                             ;   in Loop: Header=BB36_2555 Depth=4
	scratch_load_dwordx2 v[8:9], off, s33 offset:312 ; 8-byte Folded Reload
	v_sub_u32_e32 v32, v32, v76
	v_cmp_gt_i32_e32 vcc, 16, v32
	v_lshl_add_u64 v[20:21], v[20:21], 0, v[92:93]
	v_lshl_add_u64 v[22:23], v[22:23], 0, v[92:93]
	s_or_b64 s[68:69], vcc, s[68:69]
	v_sub_u32_e32 v30, v30, v60
	s_waitcnt vmcnt(0)
	v_lshl_add_u64 v[16:17], v[16:17], 0, v[8:9]
	v_lshl_add_u64 v[18:19], v[18:19], 0, v[8:9]
	s_andn2_b64 exec, exec, s[68:69]
	s_cbranch_execnz .LBB36_2555
; %bb.2558:                             ;   in Loop: Header=BB36_2338 Depth=3
	s_or_b64 exec, exec, s[68:69]
.LBB36_2559:                            ;   in Loop: Header=BB36_2338 Depth=3
	s_or_b64 exec, exec, s[66:67]
	v_and_b32_e32 v2, 14, v80
	v_cmp_lt_i32_e32 vcc, 0, v30
	v_sub_u32_e32 v8, v27, v2
	v_cndmask_b32_e64 v80, v27, v2, s[22:23]
	v_cndmask_b32_e32 v2, 0, v60, vcc
	v_cndmask_b32_e64 v8, 0, v8, s[22:23]
	v_sub_u32_e32 v2, v2, v30
	v_cmp_ne_u32_e32 vcc, 0, v80
	v_add3_u32 v18, v26, v24, v8
	v_lshl_add_u32 v19, v2, 6, v25
	s_and_b64 s[22:23], vcc, exec
.LBB36_2560:                            ;   in Loop: Header=BB36_2338 Depth=3
	s_or_b64 exec, exec, s[64:65]
	s_and_saveexec_b64 s[40:41], s[22:23]
	s_cbranch_execz .LBB36_2635
.LBB36_2561:                            ;   in Loop: Header=BB36_2338 Depth=3
	s_waitcnt vmcnt(0)
	v_ashrrev_i32_e32 v2, 31, v19
	v_ashrrev_i32_e32 v9, 31, v80
	v_lshrrev_b32_e32 v2, 26, v2
	v_lshrrev_b32_e32 v9, 21, v9
	v_add_u32_e32 v8, v19, v2
	v_add_u32_e32 v9, v80, v9
	v_ashrrev_i32_e32 v2, 6, v8
	v_ashrrev_i32_e32 v21, 11, v9
	v_sub_u32_e32 v20, v21, v2
	v_cmp_lt_i32_e32 vcc, 0, v20
	s_and_saveexec_b64 s[24:25], vcc
	s_cbranch_execz .LBB36_2629
; %bb.2562:                             ;   in Loop: Header=BB36_2338 Depth=3
	v_and_b32_e32 v8, 0x7fffffc0, v8
	v_sub_u32_e32 v8, v19, v8
	v_lshlrev_b32_e32 v8, 1, v8
	v_lshlrev_b32_e32 v9, 11, v2
	v_add3_u32 v8, v8, v18, v9
	s_and_b32 s74, s71, 1
	v_ashrrev_i32_e32 v9, 31, v8
	s_cmp_eq_u64 s[74:75], 0
	v_lshl_add_u64 v[10:11], v[8:9], 0, v[118:119]
	v_lshl_add_u64 v[12:13], v[8:9], 0, v[52:53]
	s_mov_b64 s[26:27], 0
	s_cselect_b64 vcc, -1, 0
	v_mov_b64_e32 v[14:15], v[0:1]
	s_waitcnt lgkmcnt(0)
	v_mov_b64_e32 v[16:17], v[54:55]
	s_branch .LBB36_2564
.LBB36_2563:                            ;   in Loop: Header=BB36_2564 Depth=4
	s_or_b64 exec, exec, s[28:29]
	flat_store_short_d16_hi v[10:11], v50 offset:1920 nt
	flat_store_short v[12:13], v22 nt
	flat_store_short v[12:13], v23 offset:128 nt
	flat_store_short v[12:13], v24 offset:256 nt
	;; [unrolled: 1-line block ×15, first 2 shown]
	scratch_load_dwordx2 v[22:23], off, s33 offset:272 ; 8-byte Folded Reload
	v_sub_u32_e32 v20, v20, v60
	v_cmp_gt_i32_e64 s[22:23], 1, v20
	v_lshl_add_u64 v[16:17], v[16:17], 0, v[120:121]
	s_or_b64 s[26:27], s[22:23], s[26:27]
	v_lshl_add_u64 v[14:15], v[14:15], 0, v[120:121]
	s_waitcnt vmcnt(0)
	v_lshl_add_u64 v[10:11], v[10:11], 0, v[22:23]
	v_lshl_add_u64 v[12:13], v[12:13], 0, v[22:23]
	s_andn2_b64 exec, exec, s[26:27]
	s_cbranch_execz .LBB36_2628
.LBB36_2564:                            ;   Parent Loop BB36_47 Depth=1
                                        ;     Parent Loop BB36_2335 Depth=2
                                        ;       Parent Loop BB36_2338 Depth=3
                                        ; =>      This Inner Loop Header: Depth=4
	v_lshl_add_u64 v[48:49], v[8:9], 0, v[14:15]
	v_lshl_add_u64 v[86:87], v[8:9], 0, v[16:17]
	flat_load_ushort v22, v[48:49] nt
	flat_load_ushort v23, v[48:49] offset:128 nt
	flat_load_ushort v24, v[48:49] offset:256 nt
	;; [unrolled: 1-line block ×14, first 2 shown]
	s_nop 0
	flat_load_ushort v48, v[48:49] offset:1920 nt
	s_nop 0
	flat_load_ushort v84, v[86:87] offset:128 nt
	flat_load_ushort v83, v[86:87] offset:256 nt
	flat_load_ushort v82, v[86:87] offset:384 nt
	flat_load_ushort v81, v[86:87] offset:512 nt
	flat_load_ushort v71, v[86:87] offset:640 nt
	flat_load_ushort v70, v[86:87] offset:768 nt
	flat_load_ushort v69, v[86:87] offset:896 nt
	flat_load_ushort v85, v[86:87] nt
	flat_load_ushort v68, v[86:87] offset:1024 nt
	flat_load_ushort v67, v[86:87] offset:1152 nt
	;; [unrolled: 1-line block ×8, first 2 shown]
	s_waitcnt vmcnt(0) lgkmcnt(0)
	v_lshlrev_b32_e32 v86, 16, v22
	v_max_f32_e32 v86, v86, v86
	v_lshlrev_b32_e32 v85, 16, v85
	v_max_f32_e32 v85, v85, v85
	v_min_f32_e32 v87, v86, v85
	v_max_f32_e32 v85, v86, v85
	v_cndmask_b32_e32 v85, v85, v87, vcc
	v_and_b32_e32 v86, 0x7f800000, v85
	v_cmp_ne_u32_e64 s[22:23], s35, v86
                                        ; implicit-def: $vgpr86
	s_and_saveexec_b64 s[28:29], s[22:23]
	s_xor_b64 s[22:23], exec, s[28:29]
; %bb.2565:                             ;   in Loop: Header=BB36_2564 Depth=4
	v_bfe_u32 v86, v85, 16, 1
	v_add3_u32 v86, v85, v86, s8
                                        ; implicit-def: $vgpr85
; %bb.2566:                             ;   in Loop: Header=BB36_2564 Depth=4
	s_andn2_saveexec_b64 s[28:29], s[22:23]
; %bb.2567:                             ;   in Loop: Header=BB36_2564 Depth=4
	v_or_b32_e32 v86, 0x10000, v85
	v_cmp_eq_u32_sdwa s[22:23], v85, v3 src0_sel:WORD_0 src1_sel:DWORD
	s_nop 1
	v_cndmask_b32_e64 v86, v86, v85, s[22:23]
; %bb.2568:                             ;   in Loop: Header=BB36_2564 Depth=4
	s_or_b64 exec, exec, s[28:29]
	v_lshlrev_b32_e32 v85, 16, v23
	v_lshlrev_b32_e32 v84, 16, v84
	v_max_f32_e32 v84, v84, v84
	v_max_f32_e32 v85, v85, v85
	flat_store_short_d16_hi v[10:11], v86 nt
	v_min_f32_e32 v86, v85, v84
	v_max_f32_e32 v84, v85, v84
	v_cndmask_b32_e32 v84, v84, v86, vcc
	v_and_b32_e32 v85, 0x7f800000, v84
	v_cmp_ne_u32_e64 s[22:23], s35, v85
                                        ; implicit-def: $vgpr85
	s_and_saveexec_b64 s[28:29], s[22:23]
	s_xor_b64 s[22:23], exec, s[28:29]
; %bb.2569:                             ;   in Loop: Header=BB36_2564 Depth=4
	v_bfe_u32 v85, v84, 16, 1
	v_add3_u32 v85, v84, v85, s8
                                        ; implicit-def: $vgpr84
; %bb.2570:                             ;   in Loop: Header=BB36_2564 Depth=4
	s_andn2_saveexec_b64 s[28:29], s[22:23]
; %bb.2571:                             ;   in Loop: Header=BB36_2564 Depth=4
	v_or_b32_e32 v85, 0x10000, v84
	v_cmp_eq_u32_sdwa s[22:23], v84, v3 src0_sel:WORD_0 src1_sel:DWORD
	s_nop 1
	v_cndmask_b32_e64 v85, v85, v84, s[22:23]
; %bb.2572:                             ;   in Loop: Header=BB36_2564 Depth=4
	s_or_b64 exec, exec, s[28:29]
	v_lshlrev_b32_e32 v84, 16, v24
	v_lshlrev_b32_e32 v83, 16, v83
	v_max_f32_e32 v83, v83, v83
	v_max_f32_e32 v84, v84, v84
	flat_store_short_d16_hi v[10:11], v85 offset:128 nt
	v_min_f32_e32 v85, v84, v83
	v_max_f32_e32 v83, v84, v83
	v_cndmask_b32_e32 v83, v83, v85, vcc
	v_and_b32_e32 v84, 0x7f800000, v83
	v_cmp_ne_u32_e64 s[22:23], s35, v84
                                        ; implicit-def: $vgpr84
	s_and_saveexec_b64 s[28:29], s[22:23]
	s_xor_b64 s[22:23], exec, s[28:29]
; %bb.2573:                             ;   in Loop: Header=BB36_2564 Depth=4
	v_bfe_u32 v84, v83, 16, 1
	v_add3_u32 v84, v83, v84, s8
                                        ; implicit-def: $vgpr83
; %bb.2574:                             ;   in Loop: Header=BB36_2564 Depth=4
	s_andn2_saveexec_b64 s[28:29], s[22:23]
; %bb.2575:                             ;   in Loop: Header=BB36_2564 Depth=4
	v_or_b32_e32 v84, 0x10000, v83
	v_cmp_eq_u32_sdwa s[22:23], v83, v3 src0_sel:WORD_0 src1_sel:DWORD
	s_nop 1
	v_cndmask_b32_e64 v84, v84, v83, s[22:23]
; %bb.2576:                             ;   in Loop: Header=BB36_2564 Depth=4
	s_or_b64 exec, exec, s[28:29]
	v_lshlrev_b32_e32 v83, 16, v25
	v_lshlrev_b32_e32 v82, 16, v82
	v_max_f32_e32 v82, v82, v82
	v_max_f32_e32 v83, v83, v83
	flat_store_short_d16_hi v[10:11], v84 offset:256 nt
	v_min_f32_e32 v84, v83, v82
	v_max_f32_e32 v82, v83, v82
	v_cndmask_b32_e32 v82, v82, v84, vcc
	v_and_b32_e32 v83, 0x7f800000, v82
	v_cmp_ne_u32_e64 s[22:23], s35, v83
                                        ; implicit-def: $vgpr83
	s_and_saveexec_b64 s[28:29], s[22:23]
	s_xor_b64 s[22:23], exec, s[28:29]
; %bb.2577:                             ;   in Loop: Header=BB36_2564 Depth=4
	v_bfe_u32 v83, v82, 16, 1
	v_add3_u32 v83, v82, v83, s8
                                        ; implicit-def: $vgpr82
; %bb.2578:                             ;   in Loop: Header=BB36_2564 Depth=4
	s_andn2_saveexec_b64 s[28:29], s[22:23]
; %bb.2579:                             ;   in Loop: Header=BB36_2564 Depth=4
	v_or_b32_e32 v83, 0x10000, v82
	v_cmp_eq_u32_sdwa s[22:23], v82, v3 src0_sel:WORD_0 src1_sel:DWORD
	s_nop 1
	v_cndmask_b32_e64 v83, v83, v82, s[22:23]
; %bb.2580:                             ;   in Loop: Header=BB36_2564 Depth=4
	s_or_b64 exec, exec, s[28:29]
	v_lshlrev_b32_e32 v82, 16, v26
	v_lshlrev_b32_e32 v81, 16, v81
	v_max_f32_e32 v81, v81, v81
	v_max_f32_e32 v82, v82, v82
	flat_store_short_d16_hi v[10:11], v83 offset:384 nt
	v_min_f32_e32 v83, v82, v81
	v_max_f32_e32 v81, v82, v81
	v_cndmask_b32_e32 v81, v81, v83, vcc
	v_and_b32_e32 v82, 0x7f800000, v81
	v_cmp_ne_u32_e64 s[22:23], s35, v82
                                        ; implicit-def: $vgpr82
	s_and_saveexec_b64 s[28:29], s[22:23]
	s_xor_b64 s[22:23], exec, s[28:29]
; %bb.2581:                             ;   in Loop: Header=BB36_2564 Depth=4
	v_bfe_u32 v82, v81, 16, 1
	v_add3_u32 v82, v81, v82, s8
                                        ; implicit-def: $vgpr81
; %bb.2582:                             ;   in Loop: Header=BB36_2564 Depth=4
	s_andn2_saveexec_b64 s[28:29], s[22:23]
; %bb.2583:                             ;   in Loop: Header=BB36_2564 Depth=4
	v_or_b32_e32 v82, 0x10000, v81
	v_cmp_eq_u32_sdwa s[22:23], v81, v3 src0_sel:WORD_0 src1_sel:DWORD
	s_nop 1
	v_cndmask_b32_e64 v82, v82, v81, s[22:23]
; %bb.2584:                             ;   in Loop: Header=BB36_2564 Depth=4
	s_or_b64 exec, exec, s[28:29]
	v_lshlrev_b32_e32 v81, 16, v27
	v_lshlrev_b32_e32 v71, 16, v71
	v_max_f32_e32 v71, v71, v71
	v_max_f32_e32 v81, v81, v81
	flat_store_short_d16_hi v[10:11], v82 offset:512 nt
	v_min_f32_e32 v82, v81, v71
	v_max_f32_e32 v71, v81, v71
	v_cndmask_b32_e32 v71, v71, v82, vcc
	v_and_b32_e32 v81, 0x7f800000, v71
	v_cmp_ne_u32_e64 s[22:23], s35, v81
                                        ; implicit-def: $vgpr81
	s_and_saveexec_b64 s[28:29], s[22:23]
	s_xor_b64 s[22:23], exec, s[28:29]
; %bb.2585:                             ;   in Loop: Header=BB36_2564 Depth=4
	v_bfe_u32 v81, v71, 16, 1
	v_add3_u32 v81, v71, v81, s8
                                        ; implicit-def: $vgpr71
; %bb.2586:                             ;   in Loop: Header=BB36_2564 Depth=4
	s_andn2_saveexec_b64 s[28:29], s[22:23]
; %bb.2587:                             ;   in Loop: Header=BB36_2564 Depth=4
	v_or_b32_e32 v81, 0x10000, v71
	v_cmp_eq_u32_sdwa s[22:23], v71, v3 src0_sel:WORD_0 src1_sel:DWORD
	s_nop 1
	v_cndmask_b32_e64 v81, v81, v71, s[22:23]
; %bb.2588:                             ;   in Loop: Header=BB36_2564 Depth=4
	s_or_b64 exec, exec, s[28:29]
	v_lshlrev_b32_e32 v71, 16, v30
	v_lshlrev_b32_e32 v70, 16, v70
	v_max_f32_e32 v70, v70, v70
	v_max_f32_e32 v71, v71, v71
	flat_store_short_d16_hi v[10:11], v81 offset:640 nt
	v_min_f32_e32 v81, v71, v70
	v_max_f32_e32 v70, v71, v70
	v_cndmask_b32_e32 v70, v70, v81, vcc
	v_and_b32_e32 v71, 0x7f800000, v70
	v_cmp_ne_u32_e64 s[22:23], s35, v71
                                        ; implicit-def: $vgpr71
	s_and_saveexec_b64 s[28:29], s[22:23]
	s_xor_b64 s[22:23], exec, s[28:29]
; %bb.2589:                             ;   in Loop: Header=BB36_2564 Depth=4
	v_bfe_u32 v71, v70, 16, 1
	v_add3_u32 v71, v70, v71, s8
                                        ; implicit-def: $vgpr70
; %bb.2590:                             ;   in Loop: Header=BB36_2564 Depth=4
	s_andn2_saveexec_b64 s[28:29], s[22:23]
; %bb.2591:                             ;   in Loop: Header=BB36_2564 Depth=4
	v_or_b32_e32 v71, 0x10000, v70
	v_cmp_eq_u32_sdwa s[22:23], v70, v3 src0_sel:WORD_0 src1_sel:DWORD
	s_nop 1
	v_cndmask_b32_e64 v71, v71, v70, s[22:23]
; %bb.2592:                             ;   in Loop: Header=BB36_2564 Depth=4
	s_or_b64 exec, exec, s[28:29]
	v_lshlrev_b32_e32 v70, 16, v32
	v_lshlrev_b32_e32 v69, 16, v69
	v_max_f32_e32 v69, v69, v69
	v_max_f32_e32 v70, v70, v70
	flat_store_short_d16_hi v[10:11], v71 offset:768 nt
	v_min_f32_e32 v71, v70, v69
	v_max_f32_e32 v69, v70, v69
	v_cndmask_b32_e32 v69, v69, v71, vcc
	v_and_b32_e32 v70, 0x7f800000, v69
	v_cmp_ne_u32_e64 s[22:23], s35, v70
                                        ; implicit-def: $vgpr70
	s_and_saveexec_b64 s[28:29], s[22:23]
	s_xor_b64 s[22:23], exec, s[28:29]
; %bb.2593:                             ;   in Loop: Header=BB36_2564 Depth=4
	v_bfe_u32 v70, v69, 16, 1
	v_add3_u32 v70, v69, v70, s8
                                        ; implicit-def: $vgpr69
; %bb.2594:                             ;   in Loop: Header=BB36_2564 Depth=4
	s_andn2_saveexec_b64 s[28:29], s[22:23]
; %bb.2595:                             ;   in Loop: Header=BB36_2564 Depth=4
	v_or_b32_e32 v70, 0x10000, v69
	v_cmp_eq_u32_sdwa s[22:23], v69, v3 src0_sel:WORD_0 src1_sel:DWORD
	s_nop 1
	v_cndmask_b32_e64 v70, v70, v69, s[22:23]
; %bb.2596:                             ;   in Loop: Header=BB36_2564 Depth=4
	s_or_b64 exec, exec, s[28:29]
	v_lshlrev_b32_e32 v69, 16, v33
	v_lshlrev_b32_e32 v68, 16, v68
	v_max_f32_e32 v68, v68, v68
	v_max_f32_e32 v69, v69, v69
	flat_store_short_d16_hi v[10:11], v70 offset:896 nt
	v_min_f32_e32 v70, v69, v68
	v_max_f32_e32 v68, v69, v68
	v_cndmask_b32_e32 v68, v68, v70, vcc
	v_and_b32_e32 v69, 0x7f800000, v68
	v_cmp_ne_u32_e64 s[22:23], s35, v69
                                        ; implicit-def: $vgpr69
	s_and_saveexec_b64 s[28:29], s[22:23]
	s_xor_b64 s[22:23], exec, s[28:29]
; %bb.2597:                             ;   in Loop: Header=BB36_2564 Depth=4
	v_bfe_u32 v69, v68, 16, 1
	v_add3_u32 v69, v68, v69, s8
                                        ; implicit-def: $vgpr68
; %bb.2598:                             ;   in Loop: Header=BB36_2564 Depth=4
	s_andn2_saveexec_b64 s[28:29], s[22:23]
; %bb.2599:                             ;   in Loop: Header=BB36_2564 Depth=4
	v_or_b32_e32 v69, 0x10000, v68
	v_cmp_eq_u32_sdwa s[22:23], v68, v3 src0_sel:WORD_0 src1_sel:DWORD
	s_nop 1
	v_cndmask_b32_e64 v69, v69, v68, s[22:23]
; %bb.2600:                             ;   in Loop: Header=BB36_2564 Depth=4
	s_or_b64 exec, exec, s[28:29]
	v_lshlrev_b32_e32 v68, 16, v34
	v_lshlrev_b32_e32 v67, 16, v67
	v_max_f32_e32 v67, v67, v67
	v_max_f32_e32 v68, v68, v68
	flat_store_short_d16_hi v[10:11], v69 offset:1024 nt
	v_min_f32_e32 v69, v68, v67
	v_max_f32_e32 v67, v68, v67
	v_cndmask_b32_e32 v67, v67, v69, vcc
	v_and_b32_e32 v68, 0x7f800000, v67
	v_cmp_ne_u32_e64 s[22:23], s35, v68
                                        ; implicit-def: $vgpr68
	s_and_saveexec_b64 s[28:29], s[22:23]
	s_xor_b64 s[22:23], exec, s[28:29]
; %bb.2601:                             ;   in Loop: Header=BB36_2564 Depth=4
	v_bfe_u32 v68, v67, 16, 1
	v_add3_u32 v68, v67, v68, s8
                                        ; implicit-def: $vgpr67
; %bb.2602:                             ;   in Loop: Header=BB36_2564 Depth=4
	s_andn2_saveexec_b64 s[28:29], s[22:23]
; %bb.2603:                             ;   in Loop: Header=BB36_2564 Depth=4
	v_or_b32_e32 v68, 0x10000, v67
	v_cmp_eq_u32_sdwa s[22:23], v67, v3 src0_sel:WORD_0 src1_sel:DWORD
	s_nop 1
	v_cndmask_b32_e64 v68, v68, v67, s[22:23]
; %bb.2604:                             ;   in Loop: Header=BB36_2564 Depth=4
	s_or_b64 exec, exec, s[28:29]
	v_lshlrev_b32_e32 v67, 16, v35
	v_lshlrev_b32_e32 v66, 16, v66
	v_max_f32_e32 v66, v66, v66
	v_max_f32_e32 v67, v67, v67
	flat_store_short_d16_hi v[10:11], v68 offset:1152 nt
	v_min_f32_e32 v68, v67, v66
	v_max_f32_e32 v66, v67, v66
	v_cndmask_b32_e32 v66, v66, v68, vcc
	v_and_b32_e32 v67, 0x7f800000, v66
	v_cmp_ne_u32_e64 s[22:23], s35, v67
                                        ; implicit-def: $vgpr67
	s_and_saveexec_b64 s[28:29], s[22:23]
	s_xor_b64 s[22:23], exec, s[28:29]
; %bb.2605:                             ;   in Loop: Header=BB36_2564 Depth=4
	v_bfe_u32 v67, v66, 16, 1
	v_add3_u32 v67, v66, v67, s8
                                        ; implicit-def: $vgpr66
; %bb.2606:                             ;   in Loop: Header=BB36_2564 Depth=4
	s_andn2_saveexec_b64 s[28:29], s[22:23]
; %bb.2607:                             ;   in Loop: Header=BB36_2564 Depth=4
	v_or_b32_e32 v67, 0x10000, v66
	v_cmp_eq_u32_sdwa s[22:23], v66, v3 src0_sel:WORD_0 src1_sel:DWORD
	s_nop 1
	v_cndmask_b32_e64 v67, v67, v66, s[22:23]
; %bb.2608:                             ;   in Loop: Header=BB36_2564 Depth=4
	s_or_b64 exec, exec, s[28:29]
	v_lshlrev_b32_e32 v66, 16, v36
	v_lshlrev_b32_e32 v65, 16, v65
	v_max_f32_e32 v65, v65, v65
	v_max_f32_e32 v66, v66, v66
	flat_store_short_d16_hi v[10:11], v67 offset:1280 nt
	v_min_f32_e32 v67, v66, v65
	v_max_f32_e32 v65, v66, v65
	v_cndmask_b32_e32 v65, v65, v67, vcc
	v_and_b32_e32 v66, 0x7f800000, v65
	v_cmp_ne_u32_e64 s[22:23], s35, v66
                                        ; implicit-def: $vgpr66
	s_and_saveexec_b64 s[28:29], s[22:23]
	s_xor_b64 s[22:23], exec, s[28:29]
; %bb.2609:                             ;   in Loop: Header=BB36_2564 Depth=4
	v_bfe_u32 v66, v65, 16, 1
	v_add3_u32 v66, v65, v66, s8
                                        ; implicit-def: $vgpr65
; %bb.2610:                             ;   in Loop: Header=BB36_2564 Depth=4
	s_andn2_saveexec_b64 s[28:29], s[22:23]
; %bb.2611:                             ;   in Loop: Header=BB36_2564 Depth=4
	v_or_b32_e32 v66, 0x10000, v65
	v_cmp_eq_u32_sdwa s[22:23], v65, v3 src0_sel:WORD_0 src1_sel:DWORD
	s_nop 1
	v_cndmask_b32_e64 v66, v66, v65, s[22:23]
; %bb.2612:                             ;   in Loop: Header=BB36_2564 Depth=4
	s_or_b64 exec, exec, s[28:29]
	v_lshlrev_b32_e32 v65, 16, v37
	v_lshlrev_b32_e32 v64, 16, v64
	v_max_f32_e32 v64, v64, v64
	v_max_f32_e32 v65, v65, v65
	flat_store_short_d16_hi v[10:11], v66 offset:1408 nt
	v_min_f32_e32 v66, v65, v64
	v_max_f32_e32 v64, v65, v64
	v_cndmask_b32_e32 v64, v64, v66, vcc
	v_and_b32_e32 v65, 0x7f800000, v64
	v_cmp_ne_u32_e64 s[22:23], s35, v65
                                        ; implicit-def: $vgpr65
	s_and_saveexec_b64 s[28:29], s[22:23]
	s_xor_b64 s[22:23], exec, s[28:29]
; %bb.2613:                             ;   in Loop: Header=BB36_2564 Depth=4
	v_bfe_u32 v65, v64, 16, 1
	v_add3_u32 v65, v64, v65, s8
                                        ; implicit-def: $vgpr64
; %bb.2614:                             ;   in Loop: Header=BB36_2564 Depth=4
	s_andn2_saveexec_b64 s[28:29], s[22:23]
; %bb.2615:                             ;   in Loop: Header=BB36_2564 Depth=4
	v_or_b32_e32 v65, 0x10000, v64
	v_cmp_eq_u32_sdwa s[22:23], v64, v3 src0_sel:WORD_0 src1_sel:DWORD
	s_nop 1
	v_cndmask_b32_e64 v65, v65, v64, s[22:23]
; %bb.2616:                             ;   in Loop: Header=BB36_2564 Depth=4
	s_or_b64 exec, exec, s[28:29]
	v_lshlrev_b32_e32 v64, 16, v38
	v_lshlrev_b32_e32 v51, 16, v51
	v_max_f32_e32 v51, v51, v51
	v_max_f32_e32 v64, v64, v64
	flat_store_short_d16_hi v[10:11], v65 offset:1536 nt
	v_min_f32_e32 v65, v64, v51
	v_max_f32_e32 v51, v64, v51
	v_cndmask_b32_e32 v51, v51, v65, vcc
	v_and_b32_e32 v64, 0x7f800000, v51
	v_cmp_ne_u32_e64 s[22:23], s35, v64
                                        ; implicit-def: $vgpr64
	s_and_saveexec_b64 s[28:29], s[22:23]
	s_xor_b64 s[22:23], exec, s[28:29]
; %bb.2617:                             ;   in Loop: Header=BB36_2564 Depth=4
	v_bfe_u32 v64, v51, 16, 1
	v_add3_u32 v64, v51, v64, s8
                                        ; implicit-def: $vgpr51
; %bb.2618:                             ;   in Loop: Header=BB36_2564 Depth=4
	s_andn2_saveexec_b64 s[28:29], s[22:23]
; %bb.2619:                             ;   in Loop: Header=BB36_2564 Depth=4
	v_or_b32_e32 v64, 0x10000, v51
	v_cmp_eq_u32_sdwa s[22:23], v51, v3 src0_sel:WORD_0 src1_sel:DWORD
	s_nop 1
	v_cndmask_b32_e64 v64, v64, v51, s[22:23]
; %bb.2620:                             ;   in Loop: Header=BB36_2564 Depth=4
	s_or_b64 exec, exec, s[28:29]
	v_lshlrev_b32_e32 v51, 16, v39
	v_lshlrev_b32_e32 v50, 16, v50
	v_max_f32_e32 v50, v50, v50
	v_max_f32_e32 v51, v51, v51
	flat_store_short_d16_hi v[10:11], v64 offset:1664 nt
	v_min_f32_e32 v64, v51, v50
	v_max_f32_e32 v50, v51, v50
	v_cndmask_b32_e32 v50, v50, v64, vcc
	v_and_b32_e32 v51, 0x7f800000, v50
	v_cmp_ne_u32_e64 s[22:23], s35, v51
                                        ; implicit-def: $vgpr51
	s_and_saveexec_b64 s[28:29], s[22:23]
	s_xor_b64 s[22:23], exec, s[28:29]
; %bb.2621:                             ;   in Loop: Header=BB36_2564 Depth=4
	v_bfe_u32 v51, v50, 16, 1
	v_add3_u32 v51, v50, v51, s8
                                        ; implicit-def: $vgpr50
; %bb.2622:                             ;   in Loop: Header=BB36_2564 Depth=4
	s_andn2_saveexec_b64 s[28:29], s[22:23]
; %bb.2623:                             ;   in Loop: Header=BB36_2564 Depth=4
	v_or_b32_e32 v51, 0x10000, v50
	v_cmp_eq_u32_sdwa s[22:23], v50, v3 src0_sel:WORD_0 src1_sel:DWORD
	s_nop 1
	v_cndmask_b32_e64 v51, v51, v50, s[22:23]
; %bb.2624:                             ;   in Loop: Header=BB36_2564 Depth=4
	s_or_b64 exec, exec, s[28:29]
	v_lshlrev_b32_e32 v50, 16, v48
	v_lshlrev_b32_e32 v49, 16, v49
	v_max_f32_e32 v49, v49, v49
	v_max_f32_e32 v50, v50, v50
	flat_store_short_d16_hi v[10:11], v51 offset:1792 nt
	v_min_f32_e32 v51, v50, v49
	v_max_f32_e32 v49, v50, v49
	v_cndmask_b32_e32 v49, v49, v51, vcc
	v_and_b32_e32 v50, 0x7f800000, v49
	v_cmp_ne_u32_e64 s[22:23], s35, v50
                                        ; implicit-def: $vgpr50
	s_and_saveexec_b64 s[28:29], s[22:23]
	s_xor_b64 s[22:23], exec, s[28:29]
; %bb.2625:                             ;   in Loop: Header=BB36_2564 Depth=4
	v_bfe_u32 v50, v49, 16, 1
	v_add3_u32 v50, v49, v50, s8
                                        ; implicit-def: $vgpr49
; %bb.2626:                             ;   in Loop: Header=BB36_2564 Depth=4
	s_andn2_saveexec_b64 s[28:29], s[22:23]
	s_cbranch_execz .LBB36_2563
; %bb.2627:                             ;   in Loop: Header=BB36_2564 Depth=4
	v_or_b32_e32 v50, 0x10000, v49
	v_cmp_eq_u32_sdwa s[22:23], v49, v3 src0_sel:WORD_0 src1_sel:DWORD
	s_nop 1
	v_cndmask_b32_e64 v50, v50, v49, s[22:23]
	s_branch .LBB36_2563
.LBB36_2628:                            ;   in Loop: Header=BB36_2338 Depth=3
	s_or_b64 exec, exec, s[26:27]
.LBB36_2629:                            ;   in Loop: Header=BB36_2338 Depth=3
	s_or_b64 exec, exec, s[24:25]
	v_lshlrev_b32_e32 v8, 11, v21
	v_cmp_ne_u32_e32 vcc, v80, v8
	s_and_b64 exec, exec, vcc
	s_cbranch_execz .LBB36_2635
; %bb.2630:                             ;   in Loop: Header=BB36_2338 Depth=3
	v_lshlrev_b32_e32 v2, 6, v2
	v_sub_u32_e32 v2, v19, v2
	v_lshlrev_b32_e32 v9, 6, v20
	v_sub_u32_e32 v2, v2, v9
	v_ashrrev_i32_e32 v9, 31, v2
	v_lshrrev_b32_e32 v9, 26, v9
	v_add_u32_e32 v9, v2, v9
	v_and_b32_e32 v10, 0x7fffffc0, v9
	v_sub_u32_e32 v2, v2, v10
	v_lshlrev_b32_e32 v9, 1, v9
	v_and_b32_e32 v9, 0xffffff80, v9
	v_lshlrev_b32_e32 v2, 1, v2
	v_add3_u32 v8, v9, v2, v8
	v_sub_u32_e32 v2, v80, v8
	v_cmp_lt_i32_e32 vcc, 1, v2
	s_and_b64 exec, exec, vcc
	s_cbranch_execz .LBB36_2635
; %bb.2631:                             ;   in Loop: Header=BB36_2338 Depth=3
	v_add_u32_e32 v14, v8, v18
	s_and_b32 s74, s71, 1
	v_ashrrev_i32_e32 v15, 31, v14
	s_cmp_eq_u64 s[74:75], 0
	v_lshl_add_u64 v[8:9], v[14:15], 0, v[0:1]
	s_waitcnt lgkmcnt(0)
	v_lshl_add_u64 v[10:11], v[14:15], 0, v[54:55]
	v_lshl_add_u64 v[12:13], v[14:15], 0, v[118:119]
	;; [unrolled: 1-line block ×3, first 2 shown]
	s_mov_b64 s[42:43], 0
	s_cselect_b64 s[22:23], -1, 0
.LBB36_2632:                            ;   Parent Loop BB36_47 Depth=1
                                        ;     Parent Loop BB36_2335 Depth=2
                                        ;       Parent Loop BB36_2338 Depth=3
                                        ; =>      This Loop Header: Depth=4
                                        ;           Child Loop BB36_2633 Depth 5
	flat_load_ushort v16, v[8:9] nt
	flat_load_ushort v17, v[10:11] nt
	s_mov_b64 s[24:25], -1
	s_mov_b64 s[44:45], 0
	s_waitcnt vmcnt(0) lgkmcnt(0)
	v_lshlrev_b32_e32 v18, 16, v16
	v_lshlrev_b32_e32 v17, 16, v17
	v_max_f32_e32 v17, v17, v17
	v_max_f32_e32 v18, v18, v18
	v_min_f32_e32 v19, v18, v17
	v_max_f32_e32 v17, v18, v17
	v_cndmask_b32_e64 v17, v17, v19, s[22:23]
	v_and_b32_e32 v18, 0x7f800000, v17
	v_bfe_u32 v19, v17, 16, 1
	v_or_b32_e32 v20, 0x10000, v17
	v_cmp_eq_u32_sdwa vcc, v17, v3 src0_sel:WORD_0 src1_sel:DWORD
	v_add3_u32 v19, v17, v19, s8
	s_nop 0
	v_cndmask_b32_e32 v17, v20, v17, vcc
	v_cmp_eq_u32_e32 vcc, s35, v18
	s_nop 1
	v_cndmask_b32_e32 v17, v19, v17, vcc
.LBB36_2633:                            ;   Parent Loop BB36_47 Depth=1
                                        ;     Parent Loop BB36_2335 Depth=2
                                        ;       Parent Loop BB36_2338 Depth=3
                                        ;         Parent Loop BB36_2632 Depth=4
                                        ; =>        This Inner Loop Header: Depth=5
	s_mov_b64 vcc, s[24:25]
	v_cndmask_b32_e64 v18, 0, 1, s[24:25]
	s_cmp_eq_u32 s44, 1
	v_cndmask_b32_sdwa v22, v16, v17, vcc dst_sel:DWORD dst_unused:UNUSED_PAD src0_sel:DWORD src1_sel:WORD_1
	v_cmp_ne_u32_e32 vcc, 1, v18
	s_cselect_b64 s[26:27], -1, 0
	v_cndmask_b32_e64 v21, v13, v15, s[26:27]
	v_cndmask_b32_e32 v19, v13, v15, vcc
	s_cmp_eq_u32 s44, 0
	v_cndmask_b32_e32 v18, v12, v14, vcc
	v_cndmask_b32_e64 v20, v12, v14, s[26:27]
	flat_store_short v[18:19], v22 nt
	v_lshl_add_u64 v[18:19], v[20:21], 0, s[92:93]
	s_cselect_b64 vcc, -1, 0
	s_and_b64 s[28:29], exec, s[24:25]
	s_mov_b64 s[44:45], 1
	s_mov_b64 s[24:25], 0
	v_cndmask_b32_e64 v15, v15, v19, s[26:27]
	v_cndmask_b32_e64 v14, v14, v18, s[26:27]
	v_cndmask_b32_e32 v13, v13, v19, vcc
	v_cndmask_b32_e32 v12, v12, v18, vcc
	s_mov_b64 vcc, s[28:29]
	s_cbranch_vccnz .LBB36_2633
; %bb.2634:                             ;   in Loop: Header=BB36_2632 Depth=4
	scratch_load_dwordx2 v[16:17], off, s33 offset:356 ; 8-byte Folded Reload
	scratch_load_dwordx2 v[18:19], off, s33 offset:364 ; 8-byte Folded Reload
	s_waitcnt vmcnt(0)
	v_lshl_add_u64 v[12:13], v[12:13], 0, v[16:17]
	v_lshl_add_u64 v[14:15], v[14:15], 0, v[16:17]
	scratch_load_dwordx2 v[16:17], off, s33 offset:336 ; 8-byte Folded Reload
	v_lshl_add_u64 v[8:9], v[8:9], 0, v[18:19]
	v_lshl_add_u64 v[10:11], v[10:11], 0, v[18:19]
	s_waitcnt vmcnt(0)
	v_sub_u32_e32 v2, v2, v16
	v_cmp_gt_i32_e32 vcc, 2, v2
	s_or_b64 s[42:43], vcc, s[42:43]
	s_andn2_b64 exec, exec, s[42:43]
	s_cbranch_execnz .LBB36_2632
.LBB36_2635:                            ;   in Loop: Header=BB36_2338 Depth=3
	s_or_b64 exec, exec, s[40:41]
	s_branch .LBB36_2419
.LBB36_2636:                            ;   in Loop: Header=BB36_2338 Depth=3
	s_mov_b64 s[24:25], -1
	s_and_saveexec_b64 s[22:23], s[16:17]
	s_cbranch_execz .LBB36_2638
; %bb.2637:                             ;   in Loop: Header=BB36_2338 Depth=3
	ds_read_b32 v2, v0 offset:720
	s_waitcnt lgkmcnt(0)
	v_and_b32_e32 v2, 15, v2
	v_cmp_eq_u32_e32 vcc, 0, v2
	s_orn2_b64 s[24:25], vcc, exec
.LBB36_2638:                            ;   in Loop: Header=BB36_2338 Depth=3
	s_or_b64 exec, exec, s[22:23]
	s_and_saveexec_b64 s[22:23], s[14:15]
	s_cbranch_execz .LBB36_2640
; %bb.2639:                             ;   in Loop: Header=BB36_2338 Depth=3
	ds_read_b32 v2, v0 offset:784
	s_waitcnt lgkmcnt(0)
	v_and_b32_e32 v2, 15, v2
	v_cmp_eq_u32_e32 vcc, 0, v2
	s_and_b64 s[26:27], s[24:25], vcc
	s_andn2_b64 s[24:25], s[24:25], exec
	s_and_b64 s[26:27], s[26:27], exec
	s_or_b64 s[24:25], s[24:25], s[26:27]
.LBB36_2640:                            ;   in Loop: Header=BB36_2338 Depth=3
	s_or_b64 exec, exec, s[22:23]
	s_xor_b64 s[24:25], s[24:25], -1
	v_cndmask_b32_e64 v8, 0, 1, s[24:25]
	v_lshlrev_b32_e32 v2, 1, v7
	s_mov_b64 s[22:23], -1
	v_mov_b32_e32 v14, 0
	v_cmp_ne_u32_e32 vcc, 0, v8
	s_cbranch_vccz .LBB36_2642
; %bb.2641:                             ;   in Loop: Header=BB36_2338 Depth=3
	scratch_load_dword v15, off, s33 offset:344 ; 4-byte Folded Reload
	s_and_saveexec_b64 s[24:25], s[22:23]
	s_cbranch_execnz .LBB36_2909
	s_branch .LBB36_2981
.LBB36_2642:                            ;   in Loop: Header=BB36_2338 Depth=3
	v_ashrrev_i32_e32 v8, 31, v2
	v_lshrrev_b32_e32 v8, 19, v8
	v_add_u32_e32 v8, v2, v8
	v_ashrrev_i32_e32 v45, 13, v8
	scratch_load_dword v8, off, s33 offset:344 ; 4-byte Folded Reload
	s_waitcnt vmcnt(0)
	v_lshrrev_b32_e32 v8, 6, v8
	v_sub_u32_e32 v44, v45, v8
	v_cmp_lt_i32_e32 vcc, 0, v44
	s_and_saveexec_b64 s[24:25], vcc
	s_cbranch_execz .LBB36_2902
; %bb.2643:                             ;   in Loop: Header=BB36_2338 Depth=3
	scratch_load_dwordx2 v[108:109], off, s33 offset:444 ; 8-byte Folded Reload
	s_and_b32 s74, s71, 1
	s_cmp_eq_u64 s[74:75], 0
	s_mov_b64 s[26:27], 0
	s_cselect_b64 s[22:23], -1, 0
	s_branch .LBB36_2645
.LBB36_2644:                            ;   in Loop: Header=BB36_2645 Depth=4
	s_or_b64 exec, exec, s[28:29]
	v_lshrrev_b32_e32 v12, 16, v12
	v_and_or_b32 v9, v9, s9, v12
	v_lshrrev_b32_e32 v12, 16, v16
	v_and_or_b32 v8, v8, s9, v12
	;; [unrolled: 2-line block ×4, first 2 shown]
	global_store_dwordx4 v[100:101], v[8:11], off
	scratch_load_dwordx2 v[8:9], off, s33 offset:328 ; 8-byte Folded Reload
	v_sub_u32_e32 v44, v44, v60
	v_cmp_gt_i32_e32 vcc, 1, v44
	s_or_b64 s[26:27], vcc, s[26:27]
	s_waitcnt vmcnt(0)
	v_lshl_add_u64 v[108:109], v[108:109], 0, v[8:9]
	s_andn2_b64 exec, exec, s[26:27]
	s_cbranch_execz .LBB36_2901
.LBB36_2645:                            ;   Parent Loop BB36_47 Depth=1
                                        ;     Parent Loop BB36_2335 Depth=2
                                        ;       Parent Loop BB36_2338 Depth=3
                                        ; =>      This Inner Loop Header: Depth=4
	s_waitcnt vmcnt(0)
	v_lshl_add_u64 v[8:9], v[0:1], 0, v[108:109]
	v_add_co_u32_e32 v10, vcc, 0xfffff000, v8
	s_nop 1
	v_addc_co_u32_e32 v11, vcc, -1, v9, vcc
	global_load_dwordx4 v[100:103], v[10:11], off offset:-3072 nt
	v_add_co_u32_e32 v12, vcc, 0xfffff000, v108
	s_waitcnt vmcnt(0)
	v_lshlrev_b32_e32 v30, 16, v100
	v_addc_co_u32_e32 v13, vcc, -1, v109, vcc
	global_load_dwordx4 v[112:115], v[12:13], off offset:-3072 nt
	global_load_dwordx4 v[84:87], v[10:11], off offset:-2048 nt
	;; [unrolled: 1-line block ×5, first 2 shown]
	s_waitcnt lgkmcnt(0)
	global_load_dwordx4 v[52:55], v[8:9], off offset:-4096 nt
	global_load_dwordx4 v[64:67], v[108:109], off offset:-4096 nt
	;; [unrolled: 1-line block ×8, first 2 shown]
	s_nop 0
	global_load_dwordx4 v[8:11], v[8:9], off nt
	s_nop 0
	global_load_dwordx4 v[12:15], v[108:109], off nt
	v_max_f32_e32 v30, v30, v30
	s_waitcnt vmcnt(14)
	v_lshlrev_b32_e32 v116, 16, v112
	v_max_f32_e32 v116, v116, v116
	v_min_f32_e32 v117, v30, v116
	v_max_f32_e32 v30, v30, v116
	v_cndmask_b32_e64 v116, v30, v117, s[22:23]
	v_and_b32_e32 v30, 0x7f800000, v116
	v_cmp_ne_u32_e32 vcc, s35, v30
                                        ; implicit-def: $vgpr30
	s_and_saveexec_b64 s[28:29], vcc
	s_xor_b64 s[28:29], exec, s[28:29]
; %bb.2646:                             ;   in Loop: Header=BB36_2645 Depth=4
	v_bfe_u32 v30, v116, 16, 1
	v_add3_u32 v30, v116, v30, s8
                                        ; implicit-def: $vgpr116
; %bb.2647:                             ;   in Loop: Header=BB36_2645 Depth=4
	s_andn2_saveexec_b64 s[28:29], s[28:29]
; %bb.2648:                             ;   in Loop: Header=BB36_2645 Depth=4
	v_or_b32_e32 v30, 0x10000, v116
	v_cmp_eq_u32_sdwa vcc, v116, v3 src0_sel:WORD_0 src1_sel:DWORD
	s_nop 1
	v_cndmask_b32_e32 v30, v30, v116, vcc
; %bb.2649:                             ;   in Loop: Header=BB36_2645 Depth=4
	s_or_b64 exec, exec, s[28:29]
	v_and_b32_e32 v100, 0xffff0000, v100
	v_and_b32_e32 v112, 0xffff0000, v112
	v_max_f32_e32 v112, v112, v112
	v_max_f32_e32 v100, v100, v100
	v_min_f32_e32 v116, v100, v112
	v_max_f32_e32 v100, v100, v112
	v_cndmask_b32_e64 v100, v100, v116, s[22:23]
	v_and_b32_e32 v112, 0x7f800000, v100
	v_cmp_ne_u32_e32 vcc, s35, v112
                                        ; implicit-def: $vgpr112
	s_and_saveexec_b64 s[28:29], vcc
	s_xor_b64 s[28:29], exec, s[28:29]
; %bb.2650:                             ;   in Loop: Header=BB36_2645 Depth=4
	v_bfe_u32 v112, v100, 16, 1
	v_add3_u32 v112, v100, v112, s8
                                        ; implicit-def: $vgpr100
; %bb.2651:                             ;   in Loop: Header=BB36_2645 Depth=4
	s_andn2_saveexec_b64 s[28:29], s[28:29]
; %bb.2652:                             ;   in Loop: Header=BB36_2645 Depth=4
	v_or_b32_e32 v112, 0x10000, v100
	v_cmp_eq_u32_sdwa vcc, v100, v3 src0_sel:WORD_0 src1_sel:DWORD
	s_nop 1
	v_cndmask_b32_e32 v112, v112, v100, vcc
; %bb.2653:                             ;   in Loop: Header=BB36_2645 Depth=4
	s_or_b64 exec, exec, s[28:29]
	v_lshlrev_b32_e32 v100, 16, v101
	v_lshlrev_b32_e32 v116, 16, v113
	v_max_f32_e32 v116, v116, v116
	v_max_f32_e32 v100, v100, v100
	v_min_f32_e32 v117, v100, v116
	v_max_f32_e32 v100, v100, v116
	v_cndmask_b32_e64 v100, v100, v117, s[22:23]
	v_and_b32_e32 v116, 0x7f800000, v100
	v_cmp_ne_u32_e32 vcc, s35, v116
                                        ; implicit-def: $vgpr42
	s_and_saveexec_b64 s[28:29], vcc
	s_xor_b64 s[28:29], exec, s[28:29]
; %bb.2654:                             ;   in Loop: Header=BB36_2645 Depth=4
	v_bfe_u32 v116, v100, 16, 1
	v_add3_u32 v42, v100, v116, s8
                                        ; implicit-def: $vgpr100
; %bb.2655:                             ;   in Loop: Header=BB36_2645 Depth=4
	s_andn2_saveexec_b64 s[28:29], s[28:29]
; %bb.2656:                             ;   in Loop: Header=BB36_2645 Depth=4
	v_or_b32_e32 v116, 0x10000, v100
	v_cmp_eq_u32_sdwa vcc, v100, v3 src0_sel:WORD_0 src1_sel:DWORD
	s_nop 1
	v_cndmask_b32_e32 v42, v116, v100, vcc
; %bb.2657:                             ;   in Loop: Header=BB36_2645 Depth=4
	s_or_b64 exec, exec, s[28:29]
	v_and_b32_e32 v100, 0xffff0000, v101
	v_and_b32_e32 v101, 0xffff0000, v113
	v_max_f32_e32 v101, v101, v101
	v_max_f32_e32 v100, v100, v100
	v_min_f32_e32 v113, v100, v101
	v_max_f32_e32 v100, v100, v101
	v_cndmask_b32_e64 v100, v100, v113, s[22:23]
	v_and_b32_e32 v101, 0x7f800000, v100
	v_cmp_ne_u32_e32 vcc, s35, v101
                                        ; implicit-def: $vgpr113
	s_and_saveexec_b64 s[28:29], vcc
	s_xor_b64 s[28:29], exec, s[28:29]
; %bb.2658:                             ;   in Loop: Header=BB36_2645 Depth=4
	v_bfe_u32 v101, v100, 16, 1
	v_add3_u32 v113, v100, v101, s8
                                        ; implicit-def: $vgpr100
; %bb.2659:                             ;   in Loop: Header=BB36_2645 Depth=4
	s_andn2_saveexec_b64 s[28:29], s[28:29]
; %bb.2660:                             ;   in Loop: Header=BB36_2645 Depth=4
	v_or_b32_e32 v101, 0x10000, v100
	v_cmp_eq_u32_sdwa vcc, v100, v3 src0_sel:WORD_0 src1_sel:DWORD
	s_nop 1
	v_cndmask_b32_e32 v113, v101, v100, vcc
; %bb.2661:                             ;   in Loop: Header=BB36_2645 Depth=4
	s_or_b64 exec, exec, s[28:29]
	v_lshlrev_b32_e32 v100, 16, v102
	v_lshlrev_b32_e32 v101, 16, v114
	v_max_f32_e32 v101, v101, v101
	v_max_f32_e32 v100, v100, v100
	v_min_f32_e32 v116, v100, v101
	v_max_f32_e32 v100, v100, v101
	v_cndmask_b32_e64 v100, v100, v116, s[22:23]
	v_and_b32_e32 v101, 0x7f800000, v100
	v_cmp_ne_u32_e32 vcc, s35, v101
                                        ; implicit-def: $vgpr43
	s_and_saveexec_b64 s[28:29], vcc
	s_xor_b64 s[28:29], exec, s[28:29]
; %bb.2662:                             ;   in Loop: Header=BB36_2645 Depth=4
	v_bfe_u32 v101, v100, 16, 1
	v_add3_u32 v43, v100, v101, s8
                                        ; implicit-def: $vgpr100
; %bb.2663:                             ;   in Loop: Header=BB36_2645 Depth=4
	s_andn2_saveexec_b64 s[28:29], s[28:29]
; %bb.2664:                             ;   in Loop: Header=BB36_2645 Depth=4
	v_or_b32_e32 v101, 0x10000, v100
	v_cmp_eq_u32_sdwa vcc, v100, v3 src0_sel:WORD_0 src1_sel:DWORD
	s_nop 1
	v_cndmask_b32_e32 v43, v101, v100, vcc
; %bb.2665:                             ;   in Loop: Header=BB36_2645 Depth=4
	s_or_b64 exec, exec, s[28:29]
	v_and_b32_e32 v100, 0xffff0000, v102
	v_and_b32_e32 v101, 0xffff0000, v114
	v_max_f32_e32 v101, v101, v101
	v_max_f32_e32 v100, v100, v100
	v_min_f32_e32 v102, v100, v101
	v_max_f32_e32 v100, v100, v101
	v_cndmask_b32_e64 v100, v100, v102, s[22:23]
	v_and_b32_e32 v101, 0x7f800000, v100
	v_cmp_ne_u32_e32 vcc, s35, v101
                                        ; implicit-def: $vgpr102
	s_and_saveexec_b64 s[28:29], vcc
	s_xor_b64 s[28:29], exec, s[28:29]
; %bb.2666:                             ;   in Loop: Header=BB36_2645 Depth=4
	v_bfe_u32 v101, v100, 16, 1
	v_add3_u32 v102, v100, v101, s8
                                        ; implicit-def: $vgpr100
; %bb.2667:                             ;   in Loop: Header=BB36_2645 Depth=4
	s_andn2_saveexec_b64 s[28:29], s[28:29]
; %bb.2668:                             ;   in Loop: Header=BB36_2645 Depth=4
	v_or_b32_e32 v101, 0x10000, v100
	v_cmp_eq_u32_sdwa vcc, v100, v3 src0_sel:WORD_0 src1_sel:DWORD
	s_nop 1
	v_cndmask_b32_e32 v102, v101, v100, vcc
; %bb.2669:                             ;   in Loop: Header=BB36_2645 Depth=4
	s_or_b64 exec, exec, s[28:29]
	v_lshlrev_b32_e32 v100, 16, v103
	v_lshlrev_b32_e32 v101, 16, v115
	v_max_f32_e32 v101, v101, v101
	v_max_f32_e32 v100, v100, v100
	v_min_f32_e32 v114, v100, v101
	v_max_f32_e32 v100, v100, v101
	v_cndmask_b32_e64 v100, v100, v114, s[22:23]
	v_and_b32_e32 v101, 0x7f800000, v100
	v_cmp_ne_u32_e32 vcc, s35, v101
                                        ; implicit-def: $vgpr114
	s_and_saveexec_b64 s[28:29], vcc
	s_xor_b64 s[28:29], exec, s[28:29]
; %bb.2670:                             ;   in Loop: Header=BB36_2645 Depth=4
	v_bfe_u32 v101, v100, 16, 1
	v_add3_u32 v114, v100, v101, s8
                                        ; implicit-def: $vgpr100
; %bb.2671:                             ;   in Loop: Header=BB36_2645 Depth=4
	s_andn2_saveexec_b64 s[28:29], s[28:29]
; %bb.2672:                             ;   in Loop: Header=BB36_2645 Depth=4
	v_or_b32_e32 v101, 0x10000, v100
	v_cmp_eq_u32_sdwa vcc, v100, v3 src0_sel:WORD_0 src1_sel:DWORD
	s_nop 1
	v_cndmask_b32_e32 v114, v101, v100, vcc
; %bb.2673:                             ;   in Loop: Header=BB36_2645 Depth=4
	s_or_b64 exec, exec, s[28:29]
	v_and_b32_e32 v100, 0xffff0000, v103
	v_and_b32_e32 v101, 0xffff0000, v115
	v_max_f32_e32 v101, v101, v101
	v_max_f32_e32 v100, v100, v100
	v_min_f32_e32 v103, v100, v101
	v_max_f32_e32 v100, v100, v101
	v_cndmask_b32_e64 v100, v100, v103, s[22:23]
	v_and_b32_e32 v101, 0x7f800000, v100
	v_cmp_ne_u32_e32 vcc, s35, v101
                                        ; implicit-def: $vgpr103
	s_and_saveexec_b64 s[28:29], vcc
	s_xor_b64 s[28:29], exec, s[28:29]
; %bb.2674:                             ;   in Loop: Header=BB36_2645 Depth=4
	v_bfe_u32 v101, v100, 16, 1
	v_add3_u32 v103, v100, v101, s8
                                        ; implicit-def: $vgpr100
; %bb.2675:                             ;   in Loop: Header=BB36_2645 Depth=4
	s_andn2_saveexec_b64 s[28:29], s[28:29]
; %bb.2676:                             ;   in Loop: Header=BB36_2645 Depth=4
	v_or_b32_e32 v101, 0x10000, v100
	v_cmp_eq_u32_sdwa vcc, v100, v3 src0_sel:WORD_0 src1_sel:DWORD
	s_nop 1
	v_cndmask_b32_e32 v103, v101, v100, vcc
; %bb.2677:                             ;   in Loop: Header=BB36_2645 Depth=4
	s_or_b64 exec, exec, s[28:29]
	v_lshrrev_b32_e32 v30, 16, v30
	v_lshl_add_u64 v[100:101], v[118:119], 0, v[108:109]
	v_and_or_b32 v88, v112, s9, v30
	v_lshrrev_b32_e32 v30, 16, v43
	v_lshrrev_b32_e32 v115, 16, v42
	v_and_or_b32 v90, v102, s9, v30
	v_lshrrev_b32_e32 v30, 16, v114
	v_add_co_u32_e32 v102, vcc, 0xfffff000, v100
	v_and_or_b32 v89, v113, s9, v115
	v_and_or_b32 v91, v103, s9, v30
	v_addc_co_u32_e32 v103, vcc, -1, v101, vcc
	global_store_dwordx4 v[102:103], v[88:91], off offset:-3072
	s_waitcnt vmcnt(14)
	v_lshlrev_b32_e32 v30, 16, v84
	s_waitcnt vmcnt(13)
	v_lshlrev_b32_e32 v102, 16, v96
	v_max_f32_e32 v102, v102, v102
	v_max_f32_e32 v30, v30, v30
	v_min_f32_e32 v103, v30, v102
	v_max_f32_e32 v30, v30, v102
	v_cndmask_b32_e64 v102, v30, v103, s[22:23]
	v_and_b32_e32 v30, 0x7f800000, v102
	v_cmp_ne_u32_e32 vcc, s35, v30
                                        ; implicit-def: $vgpr30
	s_and_saveexec_b64 s[28:29], vcc
	s_xor_b64 s[28:29], exec, s[28:29]
; %bb.2678:                             ;   in Loop: Header=BB36_2645 Depth=4
	v_bfe_u32 v30, v102, 16, 1
	v_add3_u32 v30, v102, v30, s8
                                        ; implicit-def: $vgpr102
; %bb.2679:                             ;   in Loop: Header=BB36_2645 Depth=4
	s_andn2_saveexec_b64 s[28:29], s[28:29]
; %bb.2680:                             ;   in Loop: Header=BB36_2645 Depth=4
	v_or_b32_e32 v30, 0x10000, v102
	v_cmp_eq_u32_sdwa vcc, v102, v3 src0_sel:WORD_0 src1_sel:DWORD
	s_nop 1
	v_cndmask_b32_e32 v30, v30, v102, vcc
; %bb.2681:                             ;   in Loop: Header=BB36_2645 Depth=4
	s_or_b64 exec, exec, s[28:29]
	v_and_b32_e32 v84, 0xffff0000, v84
	v_and_b32_e32 v96, 0xffff0000, v96
	v_max_f32_e32 v96, v96, v96
	v_max_f32_e32 v84, v84, v84
	v_min_f32_e32 v102, v84, v96
	v_max_f32_e32 v84, v84, v96
	v_cndmask_b32_e64 v96, v84, v102, s[22:23]
	v_and_b32_e32 v84, 0x7f800000, v96
	v_cmp_ne_u32_e32 vcc, s35, v84
                                        ; implicit-def: $vgpr84
	s_and_saveexec_b64 s[28:29], vcc
	s_xor_b64 s[28:29], exec, s[28:29]
; %bb.2682:                             ;   in Loop: Header=BB36_2645 Depth=4
	v_bfe_u32 v84, v96, 16, 1
	v_add3_u32 v84, v96, v84, s8
                                        ; implicit-def: $vgpr96
; %bb.2683:                             ;   in Loop: Header=BB36_2645 Depth=4
	s_andn2_saveexec_b64 s[28:29], s[28:29]
; %bb.2684:                             ;   in Loop: Header=BB36_2645 Depth=4
	v_or_b32_e32 v84, 0x10000, v96
	v_cmp_eq_u32_sdwa vcc, v96, v3 src0_sel:WORD_0 src1_sel:DWORD
	s_nop 1
	v_cndmask_b32_e32 v84, v84, v96, vcc
; %bb.2685:                             ;   in Loop: Header=BB36_2645 Depth=4
	s_or_b64 exec, exec, s[28:29]
	v_lshlrev_b32_e32 v96, 16, v85
	v_lshlrev_b32_e32 v102, 16, v97
	v_max_f32_e32 v102, v102, v102
	v_max_f32_e32 v96, v96, v96
	v_min_f32_e32 v103, v96, v102
	v_max_f32_e32 v96, v96, v102
	v_cndmask_b32_e64 v102, v96, v103, s[22:23]
	v_and_b32_e32 v96, 0x7f800000, v102
	v_cmp_ne_u32_e32 vcc, s35, v96
                                        ; implicit-def: $vgpr96
	s_and_saveexec_b64 s[28:29], vcc
	s_xor_b64 s[28:29], exec, s[28:29]
; %bb.2686:                             ;   in Loop: Header=BB36_2645 Depth=4
	v_bfe_u32 v96, v102, 16, 1
	v_add3_u32 v96, v102, v96, s8
                                        ; implicit-def: $vgpr102
; %bb.2687:                             ;   in Loop: Header=BB36_2645 Depth=4
	s_andn2_saveexec_b64 s[28:29], s[28:29]
; %bb.2688:                             ;   in Loop: Header=BB36_2645 Depth=4
	v_or_b32_e32 v96, 0x10000, v102
	v_cmp_eq_u32_sdwa vcc, v102, v3 src0_sel:WORD_0 src1_sel:DWORD
	s_nop 1
	v_cndmask_b32_e32 v96, v96, v102, vcc
; %bb.2689:                             ;   in Loop: Header=BB36_2645 Depth=4
	s_or_b64 exec, exec, s[28:29]
	v_and_b32_e32 v85, 0xffff0000, v85
	v_and_b32_e32 v97, 0xffff0000, v97
	v_max_f32_e32 v97, v97, v97
	v_max_f32_e32 v85, v85, v85
	v_min_f32_e32 v102, v85, v97
	v_max_f32_e32 v85, v85, v97
	v_cndmask_b32_e64 v97, v85, v102, s[22:23]
	v_and_b32_e32 v85, 0x7f800000, v97
	v_cmp_ne_u32_e32 vcc, s35, v85
                                        ; implicit-def: $vgpr85
	s_and_saveexec_b64 s[28:29], vcc
	s_xor_b64 s[28:29], exec, s[28:29]
; %bb.2690:                             ;   in Loop: Header=BB36_2645 Depth=4
	v_bfe_u32 v85, v97, 16, 1
	v_add3_u32 v85, v97, v85, s8
                                        ; implicit-def: $vgpr97
; %bb.2691:                             ;   in Loop: Header=BB36_2645 Depth=4
	s_andn2_saveexec_b64 s[28:29], s[28:29]
; %bb.2692:                             ;   in Loop: Header=BB36_2645 Depth=4
	v_or_b32_e32 v85, 0x10000, v97
	v_cmp_eq_u32_sdwa vcc, v97, v3 src0_sel:WORD_0 src1_sel:DWORD
	s_nop 1
	v_cndmask_b32_e32 v85, v85, v97, vcc
; %bb.2693:                             ;   in Loop: Header=BB36_2645 Depth=4
	s_or_b64 exec, exec, s[28:29]
	v_lshlrev_b32_e32 v97, 16, v86
	v_lshlrev_b32_e32 v102, 16, v98
	v_max_f32_e32 v102, v102, v102
	v_max_f32_e32 v97, v97, v97
	v_min_f32_e32 v103, v97, v102
	v_max_f32_e32 v97, v97, v102
	v_cndmask_b32_e64 v102, v97, v103, s[22:23]
	v_and_b32_e32 v97, 0x7f800000, v102
	v_cmp_ne_u32_e32 vcc, s35, v97
                                        ; implicit-def: $vgpr97
	s_and_saveexec_b64 s[28:29], vcc
	s_xor_b64 s[28:29], exec, s[28:29]
; %bb.2694:                             ;   in Loop: Header=BB36_2645 Depth=4
	v_bfe_u32 v97, v102, 16, 1
	v_add3_u32 v97, v102, v97, s8
                                        ; implicit-def: $vgpr102
; %bb.2695:                             ;   in Loop: Header=BB36_2645 Depth=4
	s_andn2_saveexec_b64 s[28:29], s[28:29]
; %bb.2696:                             ;   in Loop: Header=BB36_2645 Depth=4
	v_or_b32_e32 v97, 0x10000, v102
	v_cmp_eq_u32_sdwa vcc, v102, v3 src0_sel:WORD_0 src1_sel:DWORD
	s_nop 1
	v_cndmask_b32_e32 v97, v97, v102, vcc
; %bb.2697:                             ;   in Loop: Header=BB36_2645 Depth=4
	s_or_b64 exec, exec, s[28:29]
	v_and_b32_e32 v86, 0xffff0000, v86
	v_and_b32_e32 v98, 0xffff0000, v98
	v_max_f32_e32 v98, v98, v98
	v_max_f32_e32 v86, v86, v86
	v_min_f32_e32 v102, v86, v98
	v_max_f32_e32 v86, v86, v98
	v_cndmask_b32_e64 v98, v86, v102, s[22:23]
	v_and_b32_e32 v86, 0x7f800000, v98
	v_cmp_ne_u32_e32 vcc, s35, v86
                                        ; implicit-def: $vgpr86
	s_and_saveexec_b64 s[28:29], vcc
	s_xor_b64 s[28:29], exec, s[28:29]
; %bb.2698:                             ;   in Loop: Header=BB36_2645 Depth=4
	v_bfe_u32 v86, v98, 16, 1
	v_add3_u32 v86, v98, v86, s8
                                        ; implicit-def: $vgpr98
; %bb.2699:                             ;   in Loop: Header=BB36_2645 Depth=4
	s_andn2_saveexec_b64 s[28:29], s[28:29]
; %bb.2700:                             ;   in Loop: Header=BB36_2645 Depth=4
	v_or_b32_e32 v86, 0x10000, v98
	v_cmp_eq_u32_sdwa vcc, v98, v3 src0_sel:WORD_0 src1_sel:DWORD
	s_nop 1
	v_cndmask_b32_e32 v86, v86, v98, vcc
; %bb.2701:                             ;   in Loop: Header=BB36_2645 Depth=4
	s_or_b64 exec, exec, s[28:29]
	v_lshlrev_b32_e32 v98, 16, v87
	v_lshlrev_b32_e32 v102, 16, v99
	v_max_f32_e32 v102, v102, v102
	v_max_f32_e32 v98, v98, v98
	v_min_f32_e32 v103, v98, v102
	v_max_f32_e32 v98, v98, v102
	v_cndmask_b32_e64 v102, v98, v103, s[22:23]
	v_and_b32_e32 v98, 0x7f800000, v102
	v_cmp_ne_u32_e32 vcc, s35, v98
                                        ; implicit-def: $vgpr98
	s_and_saveexec_b64 s[28:29], vcc
	s_xor_b64 s[28:29], exec, s[28:29]
; %bb.2702:                             ;   in Loop: Header=BB36_2645 Depth=4
	v_bfe_u32 v98, v102, 16, 1
	v_add3_u32 v98, v102, v98, s8
                                        ; implicit-def: $vgpr102
; %bb.2703:                             ;   in Loop: Header=BB36_2645 Depth=4
	s_andn2_saveexec_b64 s[28:29], s[28:29]
; %bb.2704:                             ;   in Loop: Header=BB36_2645 Depth=4
	v_or_b32_e32 v98, 0x10000, v102
	v_cmp_eq_u32_sdwa vcc, v102, v3 src0_sel:WORD_0 src1_sel:DWORD
	s_nop 1
	v_cndmask_b32_e32 v98, v98, v102, vcc
; %bb.2705:                             ;   in Loop: Header=BB36_2645 Depth=4
	s_or_b64 exec, exec, s[28:29]
	v_and_b32_e32 v87, 0xffff0000, v87
	v_and_b32_e32 v99, 0xffff0000, v99
	v_max_f32_e32 v99, v99, v99
	v_max_f32_e32 v87, v87, v87
	v_min_f32_e32 v102, v87, v99
	v_max_f32_e32 v87, v87, v99
	v_cndmask_b32_e64 v99, v87, v102, s[22:23]
	v_and_b32_e32 v87, 0x7f800000, v99
	v_cmp_ne_u32_e32 vcc, s35, v87
                                        ; implicit-def: $vgpr87
	s_and_saveexec_b64 s[28:29], vcc
	s_xor_b64 s[28:29], exec, s[28:29]
; %bb.2706:                             ;   in Loop: Header=BB36_2645 Depth=4
	v_bfe_u32 v87, v99, 16, 1
	v_add3_u32 v87, v99, v87, s8
                                        ; implicit-def: $vgpr99
; %bb.2707:                             ;   in Loop: Header=BB36_2645 Depth=4
	s_andn2_saveexec_b64 s[28:29], s[28:29]
; %bb.2708:                             ;   in Loop: Header=BB36_2645 Depth=4
	v_or_b32_e32 v87, 0x10000, v99
	v_cmp_eq_u32_sdwa vcc, v99, v3 src0_sel:WORD_0 src1_sel:DWORD
	s_nop 1
	v_cndmask_b32_e32 v87, v87, v99, vcc
; %bb.2709:                             ;   in Loop: Header=BB36_2645 Depth=4
	s_or_b64 exec, exec, s[28:29]
	v_lshrrev_b32_e32 v30, 16, v30
	v_lshrrev_b32_e32 v96, 16, v96
	v_and_or_b32 v84, v84, s9, v30
	v_lshrrev_b32_e32 v30, 16, v97
	v_and_or_b32 v85, v85, s9, v96
	v_and_or_b32 v86, v86, s9, v30
	v_lshrrev_b32_e32 v30, 16, v98
	v_add_co_u32_e32 v96, vcc, 0xfffff000, v100
	v_and_or_b32 v87, v87, s9, v30
	s_nop 0
	v_addc_co_u32_e32 v97, vcc, -1, v101, vcc
	global_store_dwordx4 v[96:97], v[84:87], off offset:-2048
	s_waitcnt vmcnt(13)
	v_lshlrev_b32_e32 v30, 16, v68
	v_max_f32_e32 v30, v30, v30
	s_waitcnt vmcnt(12)
	v_lshlrev_b32_e32 v84, 16, v80
	v_max_f32_e32 v84, v84, v84
	v_min_f32_e32 v85, v30, v84
	v_max_f32_e32 v30, v30, v84
	v_cndmask_b32_e64 v84, v30, v85, s[22:23]
	v_and_b32_e32 v30, 0x7f800000, v84
	v_cmp_ne_u32_e32 vcc, s35, v30
                                        ; implicit-def: $vgpr30
	s_and_saveexec_b64 s[28:29], vcc
	s_xor_b64 s[28:29], exec, s[28:29]
; %bb.2710:                             ;   in Loop: Header=BB36_2645 Depth=4
	v_bfe_u32 v30, v84, 16, 1
	v_add3_u32 v30, v84, v30, s8
                                        ; implicit-def: $vgpr84
; %bb.2711:                             ;   in Loop: Header=BB36_2645 Depth=4
	s_andn2_saveexec_b64 s[28:29], s[28:29]
; %bb.2712:                             ;   in Loop: Header=BB36_2645 Depth=4
	v_or_b32_e32 v30, 0x10000, v84
	v_cmp_eq_u32_sdwa vcc, v84, v3 src0_sel:WORD_0 src1_sel:DWORD
	s_nop 1
	v_cndmask_b32_e32 v30, v30, v84, vcc
; %bb.2713:                             ;   in Loop: Header=BB36_2645 Depth=4
	s_or_b64 exec, exec, s[28:29]
	v_and_b32_e32 v68, 0xffff0000, v68
	v_and_b32_e32 v80, 0xffff0000, v80
	v_max_f32_e32 v80, v80, v80
	v_max_f32_e32 v68, v68, v68
	v_min_f32_e32 v84, v68, v80
	v_max_f32_e32 v68, v68, v80
	v_cndmask_b32_e64 v80, v68, v84, s[22:23]
	v_and_b32_e32 v68, 0x7f800000, v80
	v_cmp_ne_u32_e32 vcc, s35, v68
                                        ; implicit-def: $vgpr68
	s_and_saveexec_b64 s[28:29], vcc
	s_xor_b64 s[28:29], exec, s[28:29]
; %bb.2714:                             ;   in Loop: Header=BB36_2645 Depth=4
	v_bfe_u32 v68, v80, 16, 1
	v_add3_u32 v68, v80, v68, s8
                                        ; implicit-def: $vgpr80
; %bb.2715:                             ;   in Loop: Header=BB36_2645 Depth=4
	s_andn2_saveexec_b64 s[28:29], s[28:29]
; %bb.2716:                             ;   in Loop: Header=BB36_2645 Depth=4
	v_or_b32_e32 v68, 0x10000, v80
	v_cmp_eq_u32_sdwa vcc, v80, v3 src0_sel:WORD_0 src1_sel:DWORD
	s_nop 1
	v_cndmask_b32_e32 v68, v68, v80, vcc
; %bb.2717:                             ;   in Loop: Header=BB36_2645 Depth=4
	s_or_b64 exec, exec, s[28:29]
	v_lshlrev_b32_e32 v80, 16, v69
	v_lshlrev_b32_e32 v84, 16, v81
	v_max_f32_e32 v84, v84, v84
	v_max_f32_e32 v80, v80, v80
	v_min_f32_e32 v85, v80, v84
	v_max_f32_e32 v80, v80, v84
	v_cndmask_b32_e64 v84, v80, v85, s[22:23]
	v_and_b32_e32 v80, 0x7f800000, v84
	v_cmp_ne_u32_e32 vcc, s35, v80
                                        ; implicit-def: $vgpr80
	s_and_saveexec_b64 s[28:29], vcc
	s_xor_b64 s[28:29], exec, s[28:29]
; %bb.2718:                             ;   in Loop: Header=BB36_2645 Depth=4
	v_bfe_u32 v80, v84, 16, 1
	v_add3_u32 v80, v84, v80, s8
                                        ; implicit-def: $vgpr84
; %bb.2719:                             ;   in Loop: Header=BB36_2645 Depth=4
	s_andn2_saveexec_b64 s[28:29], s[28:29]
; %bb.2720:                             ;   in Loop: Header=BB36_2645 Depth=4
	v_or_b32_e32 v80, 0x10000, v84
	v_cmp_eq_u32_sdwa vcc, v84, v3 src0_sel:WORD_0 src1_sel:DWORD
	s_nop 1
	v_cndmask_b32_e32 v80, v80, v84, vcc
; %bb.2721:                             ;   in Loop: Header=BB36_2645 Depth=4
	s_or_b64 exec, exec, s[28:29]
	v_and_b32_e32 v69, 0xffff0000, v69
	v_and_b32_e32 v81, 0xffff0000, v81
	v_max_f32_e32 v81, v81, v81
	v_max_f32_e32 v69, v69, v69
	v_min_f32_e32 v84, v69, v81
	v_max_f32_e32 v69, v69, v81
	v_cndmask_b32_e64 v81, v69, v84, s[22:23]
	v_and_b32_e32 v69, 0x7f800000, v81
	v_cmp_ne_u32_e32 vcc, s35, v69
                                        ; implicit-def: $vgpr69
	s_and_saveexec_b64 s[28:29], vcc
	s_xor_b64 s[28:29], exec, s[28:29]
; %bb.2722:                             ;   in Loop: Header=BB36_2645 Depth=4
	v_bfe_u32 v69, v81, 16, 1
	v_add3_u32 v69, v81, v69, s8
                                        ; implicit-def: $vgpr81
; %bb.2723:                             ;   in Loop: Header=BB36_2645 Depth=4
	s_andn2_saveexec_b64 s[28:29], s[28:29]
; %bb.2724:                             ;   in Loop: Header=BB36_2645 Depth=4
	v_or_b32_e32 v69, 0x10000, v81
	v_cmp_eq_u32_sdwa vcc, v81, v3 src0_sel:WORD_0 src1_sel:DWORD
	s_nop 1
	v_cndmask_b32_e32 v69, v69, v81, vcc
; %bb.2725:                             ;   in Loop: Header=BB36_2645 Depth=4
	s_or_b64 exec, exec, s[28:29]
	v_lshlrev_b32_e32 v81, 16, v70
	v_lshlrev_b32_e32 v84, 16, v82
	v_max_f32_e32 v84, v84, v84
	v_max_f32_e32 v81, v81, v81
	v_min_f32_e32 v85, v81, v84
	v_max_f32_e32 v81, v81, v84
	v_cndmask_b32_e64 v84, v81, v85, s[22:23]
	v_and_b32_e32 v81, 0x7f800000, v84
	v_cmp_ne_u32_e32 vcc, s35, v81
                                        ; implicit-def: $vgpr81
	s_and_saveexec_b64 s[28:29], vcc
	s_xor_b64 s[28:29], exec, s[28:29]
; %bb.2726:                             ;   in Loop: Header=BB36_2645 Depth=4
	v_bfe_u32 v81, v84, 16, 1
	v_add3_u32 v81, v84, v81, s8
                                        ; implicit-def: $vgpr84
; %bb.2727:                             ;   in Loop: Header=BB36_2645 Depth=4
	s_andn2_saveexec_b64 s[28:29], s[28:29]
; %bb.2728:                             ;   in Loop: Header=BB36_2645 Depth=4
	v_or_b32_e32 v81, 0x10000, v84
	v_cmp_eq_u32_sdwa vcc, v84, v3 src0_sel:WORD_0 src1_sel:DWORD
	s_nop 1
	v_cndmask_b32_e32 v81, v81, v84, vcc
; %bb.2729:                             ;   in Loop: Header=BB36_2645 Depth=4
	s_or_b64 exec, exec, s[28:29]
	v_and_b32_e32 v70, 0xffff0000, v70
	v_and_b32_e32 v82, 0xffff0000, v82
	v_max_f32_e32 v82, v82, v82
	v_max_f32_e32 v70, v70, v70
	v_min_f32_e32 v84, v70, v82
	v_max_f32_e32 v70, v70, v82
	v_cndmask_b32_e64 v82, v70, v84, s[22:23]
	v_and_b32_e32 v70, 0x7f800000, v82
	v_cmp_ne_u32_e32 vcc, s35, v70
                                        ; implicit-def: $vgpr70
	s_and_saveexec_b64 s[28:29], vcc
	s_xor_b64 s[28:29], exec, s[28:29]
; %bb.2730:                             ;   in Loop: Header=BB36_2645 Depth=4
	v_bfe_u32 v70, v82, 16, 1
	v_add3_u32 v70, v82, v70, s8
                                        ; implicit-def: $vgpr82
; %bb.2731:                             ;   in Loop: Header=BB36_2645 Depth=4
	s_andn2_saveexec_b64 s[28:29], s[28:29]
; %bb.2732:                             ;   in Loop: Header=BB36_2645 Depth=4
	v_or_b32_e32 v70, 0x10000, v82
	v_cmp_eq_u32_sdwa vcc, v82, v3 src0_sel:WORD_0 src1_sel:DWORD
	s_nop 1
	v_cndmask_b32_e32 v70, v70, v82, vcc
; %bb.2733:                             ;   in Loop: Header=BB36_2645 Depth=4
	s_or_b64 exec, exec, s[28:29]
	v_lshlrev_b32_e32 v82, 16, v71
	v_lshlrev_b32_e32 v84, 16, v83
	v_max_f32_e32 v84, v84, v84
	v_max_f32_e32 v82, v82, v82
	v_min_f32_e32 v85, v82, v84
	v_max_f32_e32 v82, v82, v84
	v_cndmask_b32_e64 v84, v82, v85, s[22:23]
	v_and_b32_e32 v82, 0x7f800000, v84
	v_cmp_ne_u32_e32 vcc, s35, v82
                                        ; implicit-def: $vgpr82
	s_and_saveexec_b64 s[28:29], vcc
	s_xor_b64 s[28:29], exec, s[28:29]
; %bb.2734:                             ;   in Loop: Header=BB36_2645 Depth=4
	v_bfe_u32 v82, v84, 16, 1
	v_add3_u32 v82, v84, v82, s8
                                        ; implicit-def: $vgpr84
; %bb.2735:                             ;   in Loop: Header=BB36_2645 Depth=4
	s_andn2_saveexec_b64 s[28:29], s[28:29]
; %bb.2736:                             ;   in Loop: Header=BB36_2645 Depth=4
	v_or_b32_e32 v82, 0x10000, v84
	v_cmp_eq_u32_sdwa vcc, v84, v3 src0_sel:WORD_0 src1_sel:DWORD
	s_nop 1
	v_cndmask_b32_e32 v82, v82, v84, vcc
; %bb.2737:                             ;   in Loop: Header=BB36_2645 Depth=4
	s_or_b64 exec, exec, s[28:29]
	v_and_b32_e32 v71, 0xffff0000, v71
	v_and_b32_e32 v83, 0xffff0000, v83
	v_max_f32_e32 v83, v83, v83
	v_max_f32_e32 v71, v71, v71
	v_min_f32_e32 v84, v71, v83
	v_max_f32_e32 v71, v71, v83
	v_cndmask_b32_e64 v83, v71, v84, s[22:23]
	v_and_b32_e32 v71, 0x7f800000, v83
	v_cmp_ne_u32_e32 vcc, s35, v71
                                        ; implicit-def: $vgpr71
	s_and_saveexec_b64 s[28:29], vcc
	s_xor_b64 s[28:29], exec, s[28:29]
; %bb.2738:                             ;   in Loop: Header=BB36_2645 Depth=4
	v_bfe_u32 v71, v83, 16, 1
	v_add3_u32 v71, v83, v71, s8
                                        ; implicit-def: $vgpr83
; %bb.2739:                             ;   in Loop: Header=BB36_2645 Depth=4
	s_andn2_saveexec_b64 s[28:29], s[28:29]
; %bb.2740:                             ;   in Loop: Header=BB36_2645 Depth=4
	v_or_b32_e32 v71, 0x10000, v83
	v_cmp_eq_u32_sdwa vcc, v83, v3 src0_sel:WORD_0 src1_sel:DWORD
	s_nop 1
	v_cndmask_b32_e32 v71, v71, v83, vcc
; %bb.2741:                             ;   in Loop: Header=BB36_2645 Depth=4
	s_or_b64 exec, exec, s[28:29]
	v_lshrrev_b32_e32 v30, 16, v30
	v_lshrrev_b32_e32 v80, 16, v80
	v_and_or_b32 v68, v68, s9, v30
	v_lshrrev_b32_e32 v30, 16, v81
	v_and_or_b32 v69, v69, s9, v80
	v_and_or_b32 v70, v70, s9, v30
	v_lshrrev_b32_e32 v30, 16, v82
	v_add_co_u32_e32 v80, vcc, 0xfffff000, v100
	v_and_or_b32 v71, v71, s9, v30
	s_nop 0
	v_addc_co_u32_e32 v81, vcc, -1, v101, vcc
	global_store_dwordx4 v[80:81], v[68:71], off offset:-1024
	s_waitcnt vmcnt(12)
	v_lshlrev_b32_e32 v30, 16, v52
	v_max_f32_e32 v30, v30, v30
	s_waitcnt vmcnt(11)
	v_lshlrev_b32_e32 v68, 16, v64
	v_max_f32_e32 v68, v68, v68
	v_min_f32_e32 v69, v30, v68
	v_max_f32_e32 v30, v30, v68
	v_cndmask_b32_e64 v68, v30, v69, s[22:23]
	v_and_b32_e32 v30, 0x7f800000, v68
	v_cmp_ne_u32_e32 vcc, s35, v30
                                        ; implicit-def: $vgpr30
	s_and_saveexec_b64 s[28:29], vcc
	s_xor_b64 s[28:29], exec, s[28:29]
; %bb.2742:                             ;   in Loop: Header=BB36_2645 Depth=4
	v_bfe_u32 v30, v68, 16, 1
	v_add3_u32 v30, v68, v30, s8
                                        ; implicit-def: $vgpr68
; %bb.2743:                             ;   in Loop: Header=BB36_2645 Depth=4
	s_andn2_saveexec_b64 s[28:29], s[28:29]
; %bb.2744:                             ;   in Loop: Header=BB36_2645 Depth=4
	v_or_b32_e32 v30, 0x10000, v68
	v_cmp_eq_u32_sdwa vcc, v68, v3 src0_sel:WORD_0 src1_sel:DWORD
	s_nop 1
	v_cndmask_b32_e32 v30, v30, v68, vcc
; %bb.2745:                             ;   in Loop: Header=BB36_2645 Depth=4
	s_or_b64 exec, exec, s[28:29]
	v_and_b32_e32 v52, 0xffff0000, v52
	v_and_b32_e32 v64, 0xffff0000, v64
	v_max_f32_e32 v64, v64, v64
	v_max_f32_e32 v52, v52, v52
	v_min_f32_e32 v68, v52, v64
	v_max_f32_e32 v52, v52, v64
	v_cndmask_b32_e64 v64, v52, v68, s[22:23]
	v_and_b32_e32 v52, 0x7f800000, v64
	v_cmp_ne_u32_e32 vcc, s35, v52
                                        ; implicit-def: $vgpr52
	s_and_saveexec_b64 s[28:29], vcc
	s_xor_b64 s[28:29], exec, s[28:29]
; %bb.2746:                             ;   in Loop: Header=BB36_2645 Depth=4
	v_bfe_u32 v52, v64, 16, 1
	v_add3_u32 v52, v64, v52, s8
                                        ; implicit-def: $vgpr64
; %bb.2747:                             ;   in Loop: Header=BB36_2645 Depth=4
	s_andn2_saveexec_b64 s[28:29], s[28:29]
; %bb.2748:                             ;   in Loop: Header=BB36_2645 Depth=4
	v_or_b32_e32 v52, 0x10000, v64
	v_cmp_eq_u32_sdwa vcc, v64, v3 src0_sel:WORD_0 src1_sel:DWORD
	s_nop 1
	v_cndmask_b32_e32 v52, v52, v64, vcc
; %bb.2749:                             ;   in Loop: Header=BB36_2645 Depth=4
	s_or_b64 exec, exec, s[28:29]
	v_lshlrev_b32_e32 v64, 16, v53
	v_lshlrev_b32_e32 v68, 16, v65
	v_max_f32_e32 v68, v68, v68
	v_max_f32_e32 v64, v64, v64
	v_min_f32_e32 v69, v64, v68
	v_max_f32_e32 v64, v64, v68
	v_cndmask_b32_e64 v68, v64, v69, s[22:23]
	v_and_b32_e32 v64, 0x7f800000, v68
	v_cmp_ne_u32_e32 vcc, s35, v64
                                        ; implicit-def: $vgpr64
	s_and_saveexec_b64 s[28:29], vcc
	s_xor_b64 s[28:29], exec, s[28:29]
; %bb.2750:                             ;   in Loop: Header=BB36_2645 Depth=4
	v_bfe_u32 v64, v68, 16, 1
	v_add3_u32 v64, v68, v64, s8
                                        ; implicit-def: $vgpr68
; %bb.2751:                             ;   in Loop: Header=BB36_2645 Depth=4
	s_andn2_saveexec_b64 s[28:29], s[28:29]
; %bb.2752:                             ;   in Loop: Header=BB36_2645 Depth=4
	v_or_b32_e32 v64, 0x10000, v68
	v_cmp_eq_u32_sdwa vcc, v68, v3 src0_sel:WORD_0 src1_sel:DWORD
	s_nop 1
	v_cndmask_b32_e32 v64, v64, v68, vcc
; %bb.2753:                             ;   in Loop: Header=BB36_2645 Depth=4
	s_or_b64 exec, exec, s[28:29]
	v_and_b32_e32 v53, 0xffff0000, v53
	v_and_b32_e32 v65, 0xffff0000, v65
	v_max_f32_e32 v65, v65, v65
	v_max_f32_e32 v53, v53, v53
	v_min_f32_e32 v68, v53, v65
	v_max_f32_e32 v53, v53, v65
	v_cndmask_b32_e64 v65, v53, v68, s[22:23]
	v_and_b32_e32 v53, 0x7f800000, v65
	v_cmp_ne_u32_e32 vcc, s35, v53
                                        ; implicit-def: $vgpr53
	s_and_saveexec_b64 s[28:29], vcc
	s_xor_b64 s[28:29], exec, s[28:29]
; %bb.2754:                             ;   in Loop: Header=BB36_2645 Depth=4
	v_bfe_u32 v53, v65, 16, 1
	v_add3_u32 v53, v65, v53, s8
                                        ; implicit-def: $vgpr65
; %bb.2755:                             ;   in Loop: Header=BB36_2645 Depth=4
	s_andn2_saveexec_b64 s[28:29], s[28:29]
; %bb.2756:                             ;   in Loop: Header=BB36_2645 Depth=4
	v_or_b32_e32 v53, 0x10000, v65
	v_cmp_eq_u32_sdwa vcc, v65, v3 src0_sel:WORD_0 src1_sel:DWORD
	s_nop 1
	v_cndmask_b32_e32 v53, v53, v65, vcc
; %bb.2757:                             ;   in Loop: Header=BB36_2645 Depth=4
	s_or_b64 exec, exec, s[28:29]
	v_lshlrev_b32_e32 v65, 16, v54
	v_lshlrev_b32_e32 v68, 16, v66
	v_max_f32_e32 v68, v68, v68
	v_max_f32_e32 v65, v65, v65
	v_min_f32_e32 v69, v65, v68
	v_max_f32_e32 v65, v65, v68
	v_cndmask_b32_e64 v68, v65, v69, s[22:23]
	v_and_b32_e32 v65, 0x7f800000, v68
	v_cmp_ne_u32_e32 vcc, s35, v65
                                        ; implicit-def: $vgpr65
	s_and_saveexec_b64 s[28:29], vcc
	s_xor_b64 s[28:29], exec, s[28:29]
; %bb.2758:                             ;   in Loop: Header=BB36_2645 Depth=4
	v_bfe_u32 v65, v68, 16, 1
	v_add3_u32 v65, v68, v65, s8
                                        ; implicit-def: $vgpr68
; %bb.2759:                             ;   in Loop: Header=BB36_2645 Depth=4
	s_andn2_saveexec_b64 s[28:29], s[28:29]
; %bb.2760:                             ;   in Loop: Header=BB36_2645 Depth=4
	v_or_b32_e32 v65, 0x10000, v68
	v_cmp_eq_u32_sdwa vcc, v68, v3 src0_sel:WORD_0 src1_sel:DWORD
	s_nop 1
	v_cndmask_b32_e32 v65, v65, v68, vcc
; %bb.2761:                             ;   in Loop: Header=BB36_2645 Depth=4
	s_or_b64 exec, exec, s[28:29]
	v_and_b32_e32 v54, 0xffff0000, v54
	v_and_b32_e32 v66, 0xffff0000, v66
	v_max_f32_e32 v66, v66, v66
	v_max_f32_e32 v54, v54, v54
	v_min_f32_e32 v68, v54, v66
	v_max_f32_e32 v54, v54, v66
	v_cndmask_b32_e64 v66, v54, v68, s[22:23]
	v_and_b32_e32 v54, 0x7f800000, v66
	v_cmp_ne_u32_e32 vcc, s35, v54
                                        ; implicit-def: $vgpr54
	s_and_saveexec_b64 s[28:29], vcc
	s_xor_b64 s[28:29], exec, s[28:29]
; %bb.2762:                             ;   in Loop: Header=BB36_2645 Depth=4
	v_bfe_u32 v54, v66, 16, 1
	v_add3_u32 v54, v66, v54, s8
                                        ; implicit-def: $vgpr66
; %bb.2763:                             ;   in Loop: Header=BB36_2645 Depth=4
	s_andn2_saveexec_b64 s[28:29], s[28:29]
; %bb.2764:                             ;   in Loop: Header=BB36_2645 Depth=4
	v_or_b32_e32 v54, 0x10000, v66
	v_cmp_eq_u32_sdwa vcc, v66, v3 src0_sel:WORD_0 src1_sel:DWORD
	s_nop 1
	v_cndmask_b32_e32 v54, v54, v66, vcc
; %bb.2765:                             ;   in Loop: Header=BB36_2645 Depth=4
	s_or_b64 exec, exec, s[28:29]
	v_lshlrev_b32_e32 v66, 16, v55
	v_lshlrev_b32_e32 v68, 16, v67
	v_max_f32_e32 v68, v68, v68
	v_max_f32_e32 v66, v66, v66
	v_min_f32_e32 v69, v66, v68
	v_max_f32_e32 v66, v66, v68
	v_cndmask_b32_e64 v68, v66, v69, s[22:23]
	v_and_b32_e32 v66, 0x7f800000, v68
	v_cmp_ne_u32_e32 vcc, s35, v66
                                        ; implicit-def: $vgpr66
	s_and_saveexec_b64 s[28:29], vcc
	s_xor_b64 s[28:29], exec, s[28:29]
; %bb.2766:                             ;   in Loop: Header=BB36_2645 Depth=4
	v_bfe_u32 v66, v68, 16, 1
	v_add3_u32 v66, v68, v66, s8
                                        ; implicit-def: $vgpr68
; %bb.2767:                             ;   in Loop: Header=BB36_2645 Depth=4
	s_andn2_saveexec_b64 s[28:29], s[28:29]
; %bb.2768:                             ;   in Loop: Header=BB36_2645 Depth=4
	v_or_b32_e32 v66, 0x10000, v68
	v_cmp_eq_u32_sdwa vcc, v68, v3 src0_sel:WORD_0 src1_sel:DWORD
	s_nop 1
	v_cndmask_b32_e32 v66, v66, v68, vcc
; %bb.2769:                             ;   in Loop: Header=BB36_2645 Depth=4
	s_or_b64 exec, exec, s[28:29]
	v_and_b32_e32 v55, 0xffff0000, v55
	v_and_b32_e32 v67, 0xffff0000, v67
	v_max_f32_e32 v67, v67, v67
	v_max_f32_e32 v55, v55, v55
	v_min_f32_e32 v68, v55, v67
	v_max_f32_e32 v55, v55, v67
	v_cndmask_b32_e64 v67, v55, v68, s[22:23]
	v_and_b32_e32 v55, 0x7f800000, v67
	v_cmp_ne_u32_e32 vcc, s35, v55
                                        ; implicit-def: $vgpr55
	s_and_saveexec_b64 s[28:29], vcc
	s_xor_b64 s[28:29], exec, s[28:29]
; %bb.2770:                             ;   in Loop: Header=BB36_2645 Depth=4
	v_bfe_u32 v55, v67, 16, 1
	v_add3_u32 v55, v67, v55, s8
                                        ; implicit-def: $vgpr67
; %bb.2771:                             ;   in Loop: Header=BB36_2645 Depth=4
	s_andn2_saveexec_b64 s[28:29], s[28:29]
; %bb.2772:                             ;   in Loop: Header=BB36_2645 Depth=4
	v_or_b32_e32 v55, 0x10000, v67
	v_cmp_eq_u32_sdwa vcc, v67, v3 src0_sel:WORD_0 src1_sel:DWORD
	s_nop 1
	v_cndmask_b32_e32 v55, v55, v67, vcc
; %bb.2773:                             ;   in Loop: Header=BB36_2645 Depth=4
	s_or_b64 exec, exec, s[28:29]
	v_lshrrev_b32_e32 v30, 16, v30
	v_and_or_b32 v52, v52, s9, v30
	v_lshrrev_b32_e32 v30, 16, v65
	v_lshrrev_b32_e32 v64, 16, v64
	v_and_or_b32 v54, v54, s9, v30
	v_lshrrev_b32_e32 v30, 16, v66
	v_and_or_b32 v53, v53, s9, v64
	v_and_or_b32 v55, v55, s9, v30
	global_store_dwordx4 v[100:101], v[52:55], off offset:-4096
	s_waitcnt vmcnt(11)
	v_lshlrev_b32_e32 v30, 16, v36
	v_max_f32_e32 v30, v30, v30
	s_waitcnt vmcnt(10)
	v_lshlrev_b32_e32 v52, 16, v48
	v_max_f32_e32 v52, v52, v52
	v_min_f32_e32 v53, v30, v52
	v_max_f32_e32 v30, v30, v52
	v_cndmask_b32_e64 v52, v30, v53, s[22:23]
	v_and_b32_e32 v30, 0x7f800000, v52
	v_cmp_ne_u32_e32 vcc, s35, v30
                                        ; implicit-def: $vgpr30
	s_and_saveexec_b64 s[28:29], vcc
	s_xor_b64 s[28:29], exec, s[28:29]
; %bb.2774:                             ;   in Loop: Header=BB36_2645 Depth=4
	v_bfe_u32 v30, v52, 16, 1
	v_add3_u32 v30, v52, v30, s8
                                        ; implicit-def: $vgpr52
; %bb.2775:                             ;   in Loop: Header=BB36_2645 Depth=4
	s_andn2_saveexec_b64 s[28:29], s[28:29]
; %bb.2776:                             ;   in Loop: Header=BB36_2645 Depth=4
	v_or_b32_e32 v30, 0x10000, v52
	v_cmp_eq_u32_sdwa vcc, v52, v3 src0_sel:WORD_0 src1_sel:DWORD
	s_nop 1
	v_cndmask_b32_e32 v30, v30, v52, vcc
; %bb.2777:                             ;   in Loop: Header=BB36_2645 Depth=4
	s_or_b64 exec, exec, s[28:29]
	v_and_b32_e32 v36, 0xffff0000, v36
	v_and_b32_e32 v48, 0xffff0000, v48
	v_max_f32_e32 v48, v48, v48
	v_max_f32_e32 v36, v36, v36
	v_min_f32_e32 v52, v36, v48
	v_max_f32_e32 v36, v36, v48
	v_cndmask_b32_e64 v48, v36, v52, s[22:23]
	v_and_b32_e32 v36, 0x7f800000, v48
	v_cmp_ne_u32_e32 vcc, s35, v36
                                        ; implicit-def: $vgpr36
	s_and_saveexec_b64 s[28:29], vcc
	s_xor_b64 s[28:29], exec, s[28:29]
; %bb.2778:                             ;   in Loop: Header=BB36_2645 Depth=4
	v_bfe_u32 v36, v48, 16, 1
	v_add3_u32 v36, v48, v36, s8
                                        ; implicit-def: $vgpr48
; %bb.2779:                             ;   in Loop: Header=BB36_2645 Depth=4
	s_andn2_saveexec_b64 s[28:29], s[28:29]
; %bb.2780:                             ;   in Loop: Header=BB36_2645 Depth=4
	v_or_b32_e32 v36, 0x10000, v48
	v_cmp_eq_u32_sdwa vcc, v48, v3 src0_sel:WORD_0 src1_sel:DWORD
	s_nop 1
	v_cndmask_b32_e32 v36, v36, v48, vcc
; %bb.2781:                             ;   in Loop: Header=BB36_2645 Depth=4
	s_or_b64 exec, exec, s[28:29]
	v_lshlrev_b32_e32 v48, 16, v37
	v_lshlrev_b32_e32 v52, 16, v49
	v_max_f32_e32 v52, v52, v52
	v_max_f32_e32 v48, v48, v48
	v_min_f32_e32 v53, v48, v52
	v_max_f32_e32 v48, v48, v52
	v_cndmask_b32_e64 v52, v48, v53, s[22:23]
	v_and_b32_e32 v48, 0x7f800000, v52
	v_cmp_ne_u32_e32 vcc, s35, v48
                                        ; implicit-def: $vgpr48
	s_and_saveexec_b64 s[28:29], vcc
	s_xor_b64 s[28:29], exec, s[28:29]
; %bb.2782:                             ;   in Loop: Header=BB36_2645 Depth=4
	v_bfe_u32 v48, v52, 16, 1
	v_add3_u32 v48, v52, v48, s8
                                        ; implicit-def: $vgpr52
; %bb.2783:                             ;   in Loop: Header=BB36_2645 Depth=4
	s_andn2_saveexec_b64 s[28:29], s[28:29]
; %bb.2784:                             ;   in Loop: Header=BB36_2645 Depth=4
	v_or_b32_e32 v48, 0x10000, v52
	v_cmp_eq_u32_sdwa vcc, v52, v3 src0_sel:WORD_0 src1_sel:DWORD
	s_nop 1
	v_cndmask_b32_e32 v48, v48, v52, vcc
; %bb.2785:                             ;   in Loop: Header=BB36_2645 Depth=4
	s_or_b64 exec, exec, s[28:29]
	v_and_b32_e32 v37, 0xffff0000, v37
	v_and_b32_e32 v49, 0xffff0000, v49
	v_max_f32_e32 v49, v49, v49
	v_max_f32_e32 v37, v37, v37
	v_min_f32_e32 v52, v37, v49
	v_max_f32_e32 v37, v37, v49
	v_cndmask_b32_e64 v49, v37, v52, s[22:23]
	v_and_b32_e32 v37, 0x7f800000, v49
	v_cmp_ne_u32_e32 vcc, s35, v37
                                        ; implicit-def: $vgpr37
	s_and_saveexec_b64 s[28:29], vcc
	s_xor_b64 s[28:29], exec, s[28:29]
; %bb.2786:                             ;   in Loop: Header=BB36_2645 Depth=4
	v_bfe_u32 v37, v49, 16, 1
	v_add3_u32 v37, v49, v37, s8
                                        ; implicit-def: $vgpr49
; %bb.2787:                             ;   in Loop: Header=BB36_2645 Depth=4
	s_andn2_saveexec_b64 s[28:29], s[28:29]
; %bb.2788:                             ;   in Loop: Header=BB36_2645 Depth=4
	v_or_b32_e32 v37, 0x10000, v49
	v_cmp_eq_u32_sdwa vcc, v49, v3 src0_sel:WORD_0 src1_sel:DWORD
	s_nop 1
	v_cndmask_b32_e32 v37, v37, v49, vcc
; %bb.2789:                             ;   in Loop: Header=BB36_2645 Depth=4
	s_or_b64 exec, exec, s[28:29]
	v_lshlrev_b32_e32 v49, 16, v38
	v_lshlrev_b32_e32 v52, 16, v50
	v_max_f32_e32 v52, v52, v52
	v_max_f32_e32 v49, v49, v49
	v_min_f32_e32 v53, v49, v52
	v_max_f32_e32 v49, v49, v52
	v_cndmask_b32_e64 v52, v49, v53, s[22:23]
	v_and_b32_e32 v49, 0x7f800000, v52
	v_cmp_ne_u32_e32 vcc, s35, v49
                                        ; implicit-def: $vgpr49
	s_and_saveexec_b64 s[28:29], vcc
	s_xor_b64 s[28:29], exec, s[28:29]
; %bb.2790:                             ;   in Loop: Header=BB36_2645 Depth=4
	v_bfe_u32 v49, v52, 16, 1
	v_add3_u32 v49, v52, v49, s8
                                        ; implicit-def: $vgpr52
; %bb.2791:                             ;   in Loop: Header=BB36_2645 Depth=4
	s_andn2_saveexec_b64 s[28:29], s[28:29]
; %bb.2792:                             ;   in Loop: Header=BB36_2645 Depth=4
	v_or_b32_e32 v49, 0x10000, v52
	v_cmp_eq_u32_sdwa vcc, v52, v3 src0_sel:WORD_0 src1_sel:DWORD
	s_nop 1
	v_cndmask_b32_e32 v49, v49, v52, vcc
; %bb.2793:                             ;   in Loop: Header=BB36_2645 Depth=4
	s_or_b64 exec, exec, s[28:29]
	v_and_b32_e32 v38, 0xffff0000, v38
	v_and_b32_e32 v50, 0xffff0000, v50
	v_max_f32_e32 v50, v50, v50
	v_max_f32_e32 v38, v38, v38
	v_min_f32_e32 v52, v38, v50
	v_max_f32_e32 v38, v38, v50
	v_cndmask_b32_e64 v50, v38, v52, s[22:23]
	v_and_b32_e32 v38, 0x7f800000, v50
	v_cmp_ne_u32_e32 vcc, s35, v38
                                        ; implicit-def: $vgpr38
	s_and_saveexec_b64 s[28:29], vcc
	s_xor_b64 s[28:29], exec, s[28:29]
; %bb.2794:                             ;   in Loop: Header=BB36_2645 Depth=4
	v_bfe_u32 v38, v50, 16, 1
	v_add3_u32 v38, v50, v38, s8
                                        ; implicit-def: $vgpr50
; %bb.2795:                             ;   in Loop: Header=BB36_2645 Depth=4
	s_andn2_saveexec_b64 s[28:29], s[28:29]
; %bb.2796:                             ;   in Loop: Header=BB36_2645 Depth=4
	v_or_b32_e32 v38, 0x10000, v50
	v_cmp_eq_u32_sdwa vcc, v50, v3 src0_sel:WORD_0 src1_sel:DWORD
	s_nop 1
	v_cndmask_b32_e32 v38, v38, v50, vcc
; %bb.2797:                             ;   in Loop: Header=BB36_2645 Depth=4
	s_or_b64 exec, exec, s[28:29]
	v_lshlrev_b32_e32 v50, 16, v39
	v_lshlrev_b32_e32 v52, 16, v51
	v_max_f32_e32 v52, v52, v52
	v_max_f32_e32 v50, v50, v50
	v_min_f32_e32 v53, v50, v52
	v_max_f32_e32 v50, v50, v52
	v_cndmask_b32_e64 v52, v50, v53, s[22:23]
	v_and_b32_e32 v50, 0x7f800000, v52
	v_cmp_ne_u32_e32 vcc, s35, v50
                                        ; implicit-def: $vgpr50
	s_and_saveexec_b64 s[28:29], vcc
	s_xor_b64 s[28:29], exec, s[28:29]
; %bb.2798:                             ;   in Loop: Header=BB36_2645 Depth=4
	v_bfe_u32 v50, v52, 16, 1
	v_add3_u32 v50, v52, v50, s8
                                        ; implicit-def: $vgpr52
; %bb.2799:                             ;   in Loop: Header=BB36_2645 Depth=4
	s_andn2_saveexec_b64 s[28:29], s[28:29]
; %bb.2800:                             ;   in Loop: Header=BB36_2645 Depth=4
	v_or_b32_e32 v50, 0x10000, v52
	v_cmp_eq_u32_sdwa vcc, v52, v3 src0_sel:WORD_0 src1_sel:DWORD
	s_nop 1
	v_cndmask_b32_e32 v50, v50, v52, vcc
; %bb.2801:                             ;   in Loop: Header=BB36_2645 Depth=4
	s_or_b64 exec, exec, s[28:29]
	v_and_b32_e32 v39, 0xffff0000, v39
	v_and_b32_e32 v51, 0xffff0000, v51
	v_max_f32_e32 v51, v51, v51
	v_max_f32_e32 v39, v39, v39
	v_min_f32_e32 v52, v39, v51
	v_max_f32_e32 v39, v39, v51
	v_cndmask_b32_e64 v51, v39, v52, s[22:23]
	v_and_b32_e32 v39, 0x7f800000, v51
	v_cmp_ne_u32_e32 vcc, s35, v39
                                        ; implicit-def: $vgpr39
	s_and_saveexec_b64 s[28:29], vcc
	s_xor_b64 s[28:29], exec, s[28:29]
; %bb.2802:                             ;   in Loop: Header=BB36_2645 Depth=4
	v_bfe_u32 v39, v51, 16, 1
	v_add3_u32 v39, v51, v39, s8
                                        ; implicit-def: $vgpr51
; %bb.2803:                             ;   in Loop: Header=BB36_2645 Depth=4
	s_andn2_saveexec_b64 s[28:29], s[28:29]
; %bb.2804:                             ;   in Loop: Header=BB36_2645 Depth=4
	v_or_b32_e32 v39, 0x10000, v51
	v_cmp_eq_u32_sdwa vcc, v51, v3 src0_sel:WORD_0 src1_sel:DWORD
	s_nop 1
	v_cndmask_b32_e32 v39, v39, v51, vcc
; %bb.2805:                             ;   in Loop: Header=BB36_2645 Depth=4
	s_or_b64 exec, exec, s[28:29]
	v_lshrrev_b32_e32 v30, 16, v30
	v_and_or_b32 v36, v36, s9, v30
	v_lshrrev_b32_e32 v30, 16, v49
	v_lshrrev_b32_e32 v48, 16, v48
	v_and_or_b32 v38, v38, s9, v30
	v_lshrrev_b32_e32 v30, 16, v50
	v_and_or_b32 v37, v37, s9, v48
	v_and_or_b32 v39, v39, s9, v30
	global_store_dwordx4 v[100:101], v[36:39], off offset:-3072
	s_waitcnt vmcnt(10)
	v_lshlrev_b32_e32 v30, 16, v24
	v_max_f32_e32 v30, v30, v30
	s_waitcnt vmcnt(9)
	v_lshlrev_b32_e32 v36, 16, v32
	v_max_f32_e32 v36, v36, v36
	v_min_f32_e32 v37, v30, v36
	v_max_f32_e32 v30, v30, v36
	v_cndmask_b32_e64 v36, v30, v37, s[22:23]
	v_and_b32_e32 v30, 0x7f800000, v36
	v_cmp_ne_u32_e32 vcc, s35, v30
                                        ; implicit-def: $vgpr30
	s_and_saveexec_b64 s[28:29], vcc
	s_xor_b64 s[28:29], exec, s[28:29]
; %bb.2806:                             ;   in Loop: Header=BB36_2645 Depth=4
	v_bfe_u32 v30, v36, 16, 1
	v_add3_u32 v30, v36, v30, s8
                                        ; implicit-def: $vgpr36
; %bb.2807:                             ;   in Loop: Header=BB36_2645 Depth=4
	s_andn2_saveexec_b64 s[28:29], s[28:29]
; %bb.2808:                             ;   in Loop: Header=BB36_2645 Depth=4
	v_or_b32_e32 v30, 0x10000, v36
	v_cmp_eq_u32_sdwa vcc, v36, v3 src0_sel:WORD_0 src1_sel:DWORD
	s_nop 1
	v_cndmask_b32_e32 v30, v30, v36, vcc
; %bb.2809:                             ;   in Loop: Header=BB36_2645 Depth=4
	s_or_b64 exec, exec, s[28:29]
	v_and_b32_e32 v24, 0xffff0000, v24
	v_and_b32_e32 v32, 0xffff0000, v32
	v_max_f32_e32 v32, v32, v32
	v_max_f32_e32 v24, v24, v24
	v_min_f32_e32 v36, v24, v32
	v_max_f32_e32 v24, v24, v32
	v_cndmask_b32_e64 v32, v24, v36, s[22:23]
	v_and_b32_e32 v24, 0x7f800000, v32
	v_cmp_ne_u32_e32 vcc, s35, v24
                                        ; implicit-def: $vgpr24
	s_and_saveexec_b64 s[28:29], vcc
	s_xor_b64 s[28:29], exec, s[28:29]
; %bb.2810:                             ;   in Loop: Header=BB36_2645 Depth=4
	v_bfe_u32 v24, v32, 16, 1
	v_add3_u32 v24, v32, v24, s8
                                        ; implicit-def: $vgpr32
; %bb.2811:                             ;   in Loop: Header=BB36_2645 Depth=4
	s_andn2_saveexec_b64 s[28:29], s[28:29]
; %bb.2812:                             ;   in Loop: Header=BB36_2645 Depth=4
	v_or_b32_e32 v24, 0x10000, v32
	v_cmp_eq_u32_sdwa vcc, v32, v3 src0_sel:WORD_0 src1_sel:DWORD
	s_nop 1
	v_cndmask_b32_e32 v24, v24, v32, vcc
; %bb.2813:                             ;   in Loop: Header=BB36_2645 Depth=4
	s_or_b64 exec, exec, s[28:29]
	v_lshlrev_b32_e32 v32, 16, v25
	v_lshlrev_b32_e32 v36, 16, v33
	v_max_f32_e32 v36, v36, v36
	v_max_f32_e32 v32, v32, v32
	v_min_f32_e32 v37, v32, v36
	v_max_f32_e32 v32, v32, v36
	v_cndmask_b32_e64 v36, v32, v37, s[22:23]
	v_and_b32_e32 v32, 0x7f800000, v36
	v_cmp_ne_u32_e32 vcc, s35, v32
                                        ; implicit-def: $vgpr32
	s_and_saveexec_b64 s[28:29], vcc
	s_xor_b64 s[28:29], exec, s[28:29]
; %bb.2814:                             ;   in Loop: Header=BB36_2645 Depth=4
	v_bfe_u32 v32, v36, 16, 1
	v_add3_u32 v32, v36, v32, s8
                                        ; implicit-def: $vgpr36
; %bb.2815:                             ;   in Loop: Header=BB36_2645 Depth=4
	s_andn2_saveexec_b64 s[28:29], s[28:29]
; %bb.2816:                             ;   in Loop: Header=BB36_2645 Depth=4
	v_or_b32_e32 v32, 0x10000, v36
	v_cmp_eq_u32_sdwa vcc, v36, v3 src0_sel:WORD_0 src1_sel:DWORD
	s_nop 1
	v_cndmask_b32_e32 v32, v32, v36, vcc
; %bb.2817:                             ;   in Loop: Header=BB36_2645 Depth=4
	s_or_b64 exec, exec, s[28:29]
	v_and_b32_e32 v25, 0xffff0000, v25
	v_and_b32_e32 v33, 0xffff0000, v33
	v_max_f32_e32 v33, v33, v33
	v_max_f32_e32 v25, v25, v25
	v_min_f32_e32 v36, v25, v33
	v_max_f32_e32 v25, v25, v33
	v_cndmask_b32_e64 v33, v25, v36, s[22:23]
	v_and_b32_e32 v25, 0x7f800000, v33
	v_cmp_ne_u32_e32 vcc, s35, v25
                                        ; implicit-def: $vgpr25
	s_and_saveexec_b64 s[28:29], vcc
	s_xor_b64 s[28:29], exec, s[28:29]
; %bb.2818:                             ;   in Loop: Header=BB36_2645 Depth=4
	v_bfe_u32 v25, v33, 16, 1
	v_add3_u32 v25, v33, v25, s8
                                        ; implicit-def: $vgpr33
; %bb.2819:                             ;   in Loop: Header=BB36_2645 Depth=4
	s_andn2_saveexec_b64 s[28:29], s[28:29]
; %bb.2820:                             ;   in Loop: Header=BB36_2645 Depth=4
	v_or_b32_e32 v25, 0x10000, v33
	v_cmp_eq_u32_sdwa vcc, v33, v3 src0_sel:WORD_0 src1_sel:DWORD
	s_nop 1
	v_cndmask_b32_e32 v25, v25, v33, vcc
; %bb.2821:                             ;   in Loop: Header=BB36_2645 Depth=4
	s_or_b64 exec, exec, s[28:29]
	v_lshlrev_b32_e32 v33, 16, v26
	v_lshlrev_b32_e32 v36, 16, v34
	v_max_f32_e32 v36, v36, v36
	v_max_f32_e32 v33, v33, v33
	v_min_f32_e32 v37, v33, v36
	v_max_f32_e32 v33, v33, v36
	v_cndmask_b32_e64 v36, v33, v37, s[22:23]
	v_and_b32_e32 v33, 0x7f800000, v36
	v_cmp_ne_u32_e32 vcc, s35, v33
                                        ; implicit-def: $vgpr33
	s_and_saveexec_b64 s[28:29], vcc
	s_xor_b64 s[28:29], exec, s[28:29]
; %bb.2822:                             ;   in Loop: Header=BB36_2645 Depth=4
	v_bfe_u32 v33, v36, 16, 1
	v_add3_u32 v33, v36, v33, s8
                                        ; implicit-def: $vgpr36
; %bb.2823:                             ;   in Loop: Header=BB36_2645 Depth=4
	s_andn2_saveexec_b64 s[28:29], s[28:29]
; %bb.2824:                             ;   in Loop: Header=BB36_2645 Depth=4
	v_or_b32_e32 v33, 0x10000, v36
	v_cmp_eq_u32_sdwa vcc, v36, v3 src0_sel:WORD_0 src1_sel:DWORD
	s_nop 1
	v_cndmask_b32_e32 v33, v33, v36, vcc
; %bb.2825:                             ;   in Loop: Header=BB36_2645 Depth=4
	s_or_b64 exec, exec, s[28:29]
	v_and_b32_e32 v26, 0xffff0000, v26
	v_and_b32_e32 v34, 0xffff0000, v34
	v_max_f32_e32 v34, v34, v34
	v_max_f32_e32 v26, v26, v26
	v_min_f32_e32 v36, v26, v34
	v_max_f32_e32 v26, v26, v34
	v_cndmask_b32_e64 v34, v26, v36, s[22:23]
	v_and_b32_e32 v26, 0x7f800000, v34
	v_cmp_ne_u32_e32 vcc, s35, v26
                                        ; implicit-def: $vgpr26
	s_and_saveexec_b64 s[28:29], vcc
	s_xor_b64 s[28:29], exec, s[28:29]
; %bb.2826:                             ;   in Loop: Header=BB36_2645 Depth=4
	v_bfe_u32 v26, v34, 16, 1
	v_add3_u32 v26, v34, v26, s8
                                        ; implicit-def: $vgpr34
; %bb.2827:                             ;   in Loop: Header=BB36_2645 Depth=4
	s_andn2_saveexec_b64 s[28:29], s[28:29]
; %bb.2828:                             ;   in Loop: Header=BB36_2645 Depth=4
	v_or_b32_e32 v26, 0x10000, v34
	v_cmp_eq_u32_sdwa vcc, v34, v3 src0_sel:WORD_0 src1_sel:DWORD
	s_nop 1
	v_cndmask_b32_e32 v26, v26, v34, vcc
; %bb.2829:                             ;   in Loop: Header=BB36_2645 Depth=4
	s_or_b64 exec, exec, s[28:29]
	v_lshlrev_b32_e32 v34, 16, v27
	v_lshlrev_b32_e32 v36, 16, v35
	v_max_f32_e32 v36, v36, v36
	v_max_f32_e32 v34, v34, v34
	v_min_f32_e32 v37, v34, v36
	v_max_f32_e32 v34, v34, v36
	v_cndmask_b32_e64 v36, v34, v37, s[22:23]
	v_and_b32_e32 v34, 0x7f800000, v36
	v_cmp_ne_u32_e32 vcc, s35, v34
                                        ; implicit-def: $vgpr34
	s_and_saveexec_b64 s[28:29], vcc
	s_xor_b64 s[28:29], exec, s[28:29]
; %bb.2830:                             ;   in Loop: Header=BB36_2645 Depth=4
	v_bfe_u32 v34, v36, 16, 1
	v_add3_u32 v34, v36, v34, s8
                                        ; implicit-def: $vgpr36
; %bb.2831:                             ;   in Loop: Header=BB36_2645 Depth=4
	s_andn2_saveexec_b64 s[28:29], s[28:29]
; %bb.2832:                             ;   in Loop: Header=BB36_2645 Depth=4
	v_or_b32_e32 v34, 0x10000, v36
	v_cmp_eq_u32_sdwa vcc, v36, v3 src0_sel:WORD_0 src1_sel:DWORD
	s_nop 1
	v_cndmask_b32_e32 v34, v34, v36, vcc
; %bb.2833:                             ;   in Loop: Header=BB36_2645 Depth=4
	s_or_b64 exec, exec, s[28:29]
	v_and_b32_e32 v27, 0xffff0000, v27
	v_and_b32_e32 v35, 0xffff0000, v35
	v_max_f32_e32 v35, v35, v35
	v_max_f32_e32 v27, v27, v27
	v_min_f32_e32 v36, v27, v35
	v_max_f32_e32 v27, v27, v35
	v_cndmask_b32_e64 v35, v27, v36, s[22:23]
	v_and_b32_e32 v27, 0x7f800000, v35
	v_cmp_ne_u32_e32 vcc, s35, v27
                                        ; implicit-def: $vgpr27
	s_and_saveexec_b64 s[28:29], vcc
	s_xor_b64 s[28:29], exec, s[28:29]
; %bb.2834:                             ;   in Loop: Header=BB36_2645 Depth=4
	v_bfe_u32 v27, v35, 16, 1
	v_add3_u32 v27, v35, v27, s8
                                        ; implicit-def: $vgpr35
; %bb.2835:                             ;   in Loop: Header=BB36_2645 Depth=4
	s_andn2_saveexec_b64 s[28:29], s[28:29]
; %bb.2836:                             ;   in Loop: Header=BB36_2645 Depth=4
	v_or_b32_e32 v27, 0x10000, v35
	v_cmp_eq_u32_sdwa vcc, v35, v3 src0_sel:WORD_0 src1_sel:DWORD
	s_nop 1
	v_cndmask_b32_e32 v27, v27, v35, vcc
; %bb.2837:                             ;   in Loop: Header=BB36_2645 Depth=4
	s_or_b64 exec, exec, s[28:29]
	v_lshrrev_b32_e32 v30, 16, v30
	v_and_or_b32 v24, v24, s9, v30
	v_lshrrev_b32_e32 v30, 16, v33
	v_lshrrev_b32_e32 v32, 16, v32
	v_and_or_b32 v26, v26, s9, v30
	v_lshrrev_b32_e32 v30, 16, v34
	v_and_or_b32 v25, v25, s9, v32
	v_and_or_b32 v27, v27, s9, v30
	global_store_dwordx4 v[100:101], v[24:27], off offset:-2048
	s_waitcnt vmcnt(9)
	s_nop 0
	v_lshlrev_b32_e32 v24, 16, v16
	s_waitcnt vmcnt(8)
	v_lshlrev_b32_e32 v25, 16, v20
	v_max_f32_e32 v25, v25, v25
	v_max_f32_e32 v24, v24, v24
	v_min_f32_e32 v26, v24, v25
	v_max_f32_e32 v24, v24, v25
	v_cndmask_b32_e64 v25, v24, v26, s[22:23]
	v_and_b32_e32 v24, 0x7f800000, v25
	v_cmp_ne_u32_e32 vcc, s35, v24
                                        ; implicit-def: $vgpr24
	s_and_saveexec_b64 s[28:29], vcc
	s_xor_b64 s[28:29], exec, s[28:29]
; %bb.2838:                             ;   in Loop: Header=BB36_2645 Depth=4
	v_bfe_u32 v24, v25, 16, 1
	v_add3_u32 v24, v25, v24, s8
                                        ; implicit-def: $vgpr25
; %bb.2839:                             ;   in Loop: Header=BB36_2645 Depth=4
	s_andn2_saveexec_b64 s[28:29], s[28:29]
; %bb.2840:                             ;   in Loop: Header=BB36_2645 Depth=4
	v_or_b32_e32 v24, 0x10000, v25
	v_cmp_eq_u32_sdwa vcc, v25, v3 src0_sel:WORD_0 src1_sel:DWORD
	s_nop 1
	v_cndmask_b32_e32 v24, v24, v25, vcc
; %bb.2841:                             ;   in Loop: Header=BB36_2645 Depth=4
	s_or_b64 exec, exec, s[28:29]
	v_and_b32_e32 v16, 0xffff0000, v16
	v_and_b32_e32 v20, 0xffff0000, v20
	v_max_f32_e32 v20, v20, v20
	v_max_f32_e32 v16, v16, v16
	v_min_f32_e32 v25, v16, v20
	v_max_f32_e32 v16, v16, v20
	v_cndmask_b32_e64 v20, v16, v25, s[22:23]
	v_and_b32_e32 v16, 0x7f800000, v20
	v_cmp_ne_u32_e32 vcc, s35, v16
                                        ; implicit-def: $vgpr16
	s_and_saveexec_b64 s[28:29], vcc
	s_xor_b64 s[28:29], exec, s[28:29]
; %bb.2842:                             ;   in Loop: Header=BB36_2645 Depth=4
	v_bfe_u32 v16, v20, 16, 1
	v_add3_u32 v16, v20, v16, s8
                                        ; implicit-def: $vgpr20
; %bb.2843:                             ;   in Loop: Header=BB36_2645 Depth=4
	s_andn2_saveexec_b64 s[28:29], s[28:29]
; %bb.2844:                             ;   in Loop: Header=BB36_2645 Depth=4
	v_or_b32_e32 v16, 0x10000, v20
	v_cmp_eq_u32_sdwa vcc, v20, v3 src0_sel:WORD_0 src1_sel:DWORD
	s_nop 1
	v_cndmask_b32_e32 v16, v16, v20, vcc
; %bb.2845:                             ;   in Loop: Header=BB36_2645 Depth=4
	s_or_b64 exec, exec, s[28:29]
	v_lshlrev_b32_e32 v20, 16, v17
	v_lshlrev_b32_e32 v25, 16, v21
	v_max_f32_e32 v25, v25, v25
	v_max_f32_e32 v20, v20, v20
	v_min_f32_e32 v26, v20, v25
	v_max_f32_e32 v20, v20, v25
	v_cndmask_b32_e64 v25, v20, v26, s[22:23]
	v_and_b32_e32 v20, 0x7f800000, v25
	v_cmp_ne_u32_e32 vcc, s35, v20
                                        ; implicit-def: $vgpr20
	s_and_saveexec_b64 s[28:29], vcc
	s_xor_b64 s[28:29], exec, s[28:29]
; %bb.2846:                             ;   in Loop: Header=BB36_2645 Depth=4
	v_bfe_u32 v20, v25, 16, 1
	v_add3_u32 v20, v25, v20, s8
                                        ; implicit-def: $vgpr25
; %bb.2847:                             ;   in Loop: Header=BB36_2645 Depth=4
	s_andn2_saveexec_b64 s[28:29], s[28:29]
; %bb.2848:                             ;   in Loop: Header=BB36_2645 Depth=4
	v_or_b32_e32 v20, 0x10000, v25
	v_cmp_eq_u32_sdwa vcc, v25, v3 src0_sel:WORD_0 src1_sel:DWORD
	s_nop 1
	v_cndmask_b32_e32 v20, v20, v25, vcc
; %bb.2849:                             ;   in Loop: Header=BB36_2645 Depth=4
	s_or_b64 exec, exec, s[28:29]
	v_and_b32_e32 v17, 0xffff0000, v17
	v_and_b32_e32 v21, 0xffff0000, v21
	v_max_f32_e32 v21, v21, v21
	v_max_f32_e32 v17, v17, v17
	v_min_f32_e32 v25, v17, v21
	v_max_f32_e32 v17, v17, v21
	v_cndmask_b32_e64 v21, v17, v25, s[22:23]
	v_and_b32_e32 v17, 0x7f800000, v21
	v_cmp_ne_u32_e32 vcc, s35, v17
                                        ; implicit-def: $vgpr17
	s_and_saveexec_b64 s[28:29], vcc
	s_xor_b64 s[28:29], exec, s[28:29]
; %bb.2850:                             ;   in Loop: Header=BB36_2645 Depth=4
	v_bfe_u32 v17, v21, 16, 1
	v_add3_u32 v17, v21, v17, s8
                                        ; implicit-def: $vgpr21
; %bb.2851:                             ;   in Loop: Header=BB36_2645 Depth=4
	s_andn2_saveexec_b64 s[28:29], s[28:29]
; %bb.2852:                             ;   in Loop: Header=BB36_2645 Depth=4
	v_or_b32_e32 v17, 0x10000, v21
	v_cmp_eq_u32_sdwa vcc, v21, v3 src0_sel:WORD_0 src1_sel:DWORD
	s_nop 1
	v_cndmask_b32_e32 v17, v17, v21, vcc
; %bb.2853:                             ;   in Loop: Header=BB36_2645 Depth=4
	s_or_b64 exec, exec, s[28:29]
	v_lshlrev_b32_e32 v21, 16, v18
	v_lshlrev_b32_e32 v25, 16, v22
	v_max_f32_e32 v25, v25, v25
	v_max_f32_e32 v21, v21, v21
	v_min_f32_e32 v26, v21, v25
	v_max_f32_e32 v21, v21, v25
	v_cndmask_b32_e64 v25, v21, v26, s[22:23]
	v_and_b32_e32 v21, 0x7f800000, v25
	v_cmp_ne_u32_e32 vcc, s35, v21
                                        ; implicit-def: $vgpr21
	s_and_saveexec_b64 s[28:29], vcc
	s_xor_b64 s[28:29], exec, s[28:29]
; %bb.2854:                             ;   in Loop: Header=BB36_2645 Depth=4
	v_bfe_u32 v21, v25, 16, 1
	v_add3_u32 v21, v25, v21, s8
                                        ; implicit-def: $vgpr25
; %bb.2855:                             ;   in Loop: Header=BB36_2645 Depth=4
	s_andn2_saveexec_b64 s[28:29], s[28:29]
; %bb.2856:                             ;   in Loop: Header=BB36_2645 Depth=4
	v_or_b32_e32 v21, 0x10000, v25
	v_cmp_eq_u32_sdwa vcc, v25, v3 src0_sel:WORD_0 src1_sel:DWORD
	s_nop 1
	v_cndmask_b32_e32 v21, v21, v25, vcc
; %bb.2857:                             ;   in Loop: Header=BB36_2645 Depth=4
	s_or_b64 exec, exec, s[28:29]
	v_and_b32_e32 v18, 0xffff0000, v18
	v_and_b32_e32 v22, 0xffff0000, v22
	v_max_f32_e32 v22, v22, v22
	v_max_f32_e32 v18, v18, v18
	v_min_f32_e32 v25, v18, v22
	v_max_f32_e32 v18, v18, v22
	v_cndmask_b32_e64 v22, v18, v25, s[22:23]
	v_and_b32_e32 v18, 0x7f800000, v22
	v_cmp_ne_u32_e32 vcc, s35, v18
                                        ; implicit-def: $vgpr18
	s_and_saveexec_b64 s[28:29], vcc
	s_xor_b64 s[28:29], exec, s[28:29]
; %bb.2858:                             ;   in Loop: Header=BB36_2645 Depth=4
	v_bfe_u32 v18, v22, 16, 1
	v_add3_u32 v18, v22, v18, s8
                                        ; implicit-def: $vgpr22
; %bb.2859:                             ;   in Loop: Header=BB36_2645 Depth=4
	s_andn2_saveexec_b64 s[28:29], s[28:29]
; %bb.2860:                             ;   in Loop: Header=BB36_2645 Depth=4
	v_or_b32_e32 v18, 0x10000, v22
	v_cmp_eq_u32_sdwa vcc, v22, v3 src0_sel:WORD_0 src1_sel:DWORD
	s_nop 1
	v_cndmask_b32_e32 v18, v18, v22, vcc
; %bb.2861:                             ;   in Loop: Header=BB36_2645 Depth=4
	s_or_b64 exec, exec, s[28:29]
	v_lshlrev_b32_e32 v22, 16, v19
	v_lshlrev_b32_e32 v25, 16, v23
	v_max_f32_e32 v25, v25, v25
	v_max_f32_e32 v22, v22, v22
	v_min_f32_e32 v26, v22, v25
	v_max_f32_e32 v22, v22, v25
	v_cndmask_b32_e64 v25, v22, v26, s[22:23]
	v_and_b32_e32 v22, 0x7f800000, v25
	v_cmp_ne_u32_e32 vcc, s35, v22
                                        ; implicit-def: $vgpr22
	s_and_saveexec_b64 s[28:29], vcc
	s_xor_b64 s[28:29], exec, s[28:29]
; %bb.2862:                             ;   in Loop: Header=BB36_2645 Depth=4
	v_bfe_u32 v22, v25, 16, 1
	v_add3_u32 v22, v25, v22, s8
                                        ; implicit-def: $vgpr25
; %bb.2863:                             ;   in Loop: Header=BB36_2645 Depth=4
	s_andn2_saveexec_b64 s[28:29], s[28:29]
; %bb.2864:                             ;   in Loop: Header=BB36_2645 Depth=4
	v_or_b32_e32 v22, 0x10000, v25
	v_cmp_eq_u32_sdwa vcc, v25, v3 src0_sel:WORD_0 src1_sel:DWORD
	s_nop 1
	v_cndmask_b32_e32 v22, v22, v25, vcc
; %bb.2865:                             ;   in Loop: Header=BB36_2645 Depth=4
	s_or_b64 exec, exec, s[28:29]
	v_and_b32_e32 v19, 0xffff0000, v19
	v_and_b32_e32 v23, 0xffff0000, v23
	v_max_f32_e32 v23, v23, v23
	v_max_f32_e32 v19, v19, v19
	v_min_f32_e32 v25, v19, v23
	v_max_f32_e32 v19, v19, v23
	v_cndmask_b32_e64 v23, v19, v25, s[22:23]
	v_and_b32_e32 v19, 0x7f800000, v23
	v_cmp_ne_u32_e32 vcc, s35, v19
                                        ; implicit-def: $vgpr19
	s_and_saveexec_b64 s[28:29], vcc
	s_xor_b64 s[28:29], exec, s[28:29]
; %bb.2866:                             ;   in Loop: Header=BB36_2645 Depth=4
	v_bfe_u32 v19, v23, 16, 1
	v_add3_u32 v19, v23, v19, s8
                                        ; implicit-def: $vgpr23
; %bb.2867:                             ;   in Loop: Header=BB36_2645 Depth=4
	s_andn2_saveexec_b64 s[28:29], s[28:29]
; %bb.2868:                             ;   in Loop: Header=BB36_2645 Depth=4
	v_or_b32_e32 v19, 0x10000, v23
	v_cmp_eq_u32_sdwa vcc, v23, v3 src0_sel:WORD_0 src1_sel:DWORD
	s_nop 1
	v_cndmask_b32_e32 v19, v19, v23, vcc
; %bb.2869:                             ;   in Loop: Header=BB36_2645 Depth=4
	s_or_b64 exec, exec, s[28:29]
	v_lshrrev_b32_e32 v20, 16, v20
	v_and_or_b32 v17, v17, s9, v20
	v_lshrrev_b32_e32 v20, 16, v24
	v_and_or_b32 v16, v16, s9, v20
	;; [unrolled: 2-line block ×4, first 2 shown]
	global_store_dwordx4 v[100:101], v[16:19], off offset:-1024
	s_waitcnt vmcnt(8)
	s_nop 0
	v_lshlrev_b32_e32 v16, 16, v8
	s_waitcnt vmcnt(7)
	v_lshlrev_b32_e32 v17, 16, v12
	v_max_f32_e32 v17, v17, v17
	v_max_f32_e32 v16, v16, v16
	v_min_f32_e32 v18, v16, v17
	v_max_f32_e32 v16, v16, v17
	v_cndmask_b32_e64 v17, v16, v18, s[22:23]
	v_and_b32_e32 v16, 0x7f800000, v17
	v_cmp_ne_u32_e32 vcc, s35, v16
                                        ; implicit-def: $vgpr16
	s_and_saveexec_b64 s[28:29], vcc
	s_xor_b64 s[28:29], exec, s[28:29]
; %bb.2870:                             ;   in Loop: Header=BB36_2645 Depth=4
	v_bfe_u32 v16, v17, 16, 1
	v_add3_u32 v16, v17, v16, s8
                                        ; implicit-def: $vgpr17
; %bb.2871:                             ;   in Loop: Header=BB36_2645 Depth=4
	s_andn2_saveexec_b64 s[28:29], s[28:29]
; %bb.2872:                             ;   in Loop: Header=BB36_2645 Depth=4
	v_or_b32_e32 v16, 0x10000, v17
	v_cmp_eq_u32_sdwa vcc, v17, v3 src0_sel:WORD_0 src1_sel:DWORD
	s_nop 1
	v_cndmask_b32_e32 v16, v16, v17, vcc
; %bb.2873:                             ;   in Loop: Header=BB36_2645 Depth=4
	s_or_b64 exec, exec, s[28:29]
	v_and_b32_e32 v8, 0xffff0000, v8
	v_and_b32_e32 v12, 0xffff0000, v12
	v_max_f32_e32 v12, v12, v12
	v_max_f32_e32 v8, v8, v8
	v_min_f32_e32 v17, v8, v12
	v_max_f32_e32 v8, v8, v12
	v_cndmask_b32_e64 v12, v8, v17, s[22:23]
	v_and_b32_e32 v8, 0x7f800000, v12
	v_cmp_ne_u32_e32 vcc, s35, v8
                                        ; implicit-def: $vgpr8
	s_and_saveexec_b64 s[28:29], vcc
	s_xor_b64 s[28:29], exec, s[28:29]
; %bb.2874:                             ;   in Loop: Header=BB36_2645 Depth=4
	v_bfe_u32 v8, v12, 16, 1
	v_add3_u32 v8, v12, v8, s8
                                        ; implicit-def: $vgpr12
; %bb.2875:                             ;   in Loop: Header=BB36_2645 Depth=4
	s_andn2_saveexec_b64 s[28:29], s[28:29]
; %bb.2876:                             ;   in Loop: Header=BB36_2645 Depth=4
	v_or_b32_e32 v8, 0x10000, v12
	v_cmp_eq_u32_sdwa vcc, v12, v3 src0_sel:WORD_0 src1_sel:DWORD
	s_nop 1
	v_cndmask_b32_e32 v8, v8, v12, vcc
; %bb.2877:                             ;   in Loop: Header=BB36_2645 Depth=4
	s_or_b64 exec, exec, s[28:29]
	v_lshlrev_b32_e32 v12, 16, v9
	v_lshlrev_b32_e32 v17, 16, v13
	v_max_f32_e32 v17, v17, v17
	v_max_f32_e32 v12, v12, v12
	v_min_f32_e32 v18, v12, v17
	v_max_f32_e32 v12, v12, v17
	v_cndmask_b32_e64 v17, v12, v18, s[22:23]
	v_and_b32_e32 v12, 0x7f800000, v17
	v_cmp_ne_u32_e32 vcc, s35, v12
                                        ; implicit-def: $vgpr12
	s_and_saveexec_b64 s[28:29], vcc
	s_xor_b64 s[28:29], exec, s[28:29]
; %bb.2878:                             ;   in Loop: Header=BB36_2645 Depth=4
	v_bfe_u32 v12, v17, 16, 1
	v_add3_u32 v12, v17, v12, s8
                                        ; implicit-def: $vgpr17
; %bb.2879:                             ;   in Loop: Header=BB36_2645 Depth=4
	s_andn2_saveexec_b64 s[28:29], s[28:29]
; %bb.2880:                             ;   in Loop: Header=BB36_2645 Depth=4
	v_or_b32_e32 v12, 0x10000, v17
	v_cmp_eq_u32_sdwa vcc, v17, v3 src0_sel:WORD_0 src1_sel:DWORD
	s_nop 1
	v_cndmask_b32_e32 v12, v12, v17, vcc
; %bb.2881:                             ;   in Loop: Header=BB36_2645 Depth=4
	s_or_b64 exec, exec, s[28:29]
	v_and_b32_e32 v9, 0xffff0000, v9
	v_and_b32_e32 v13, 0xffff0000, v13
	v_max_f32_e32 v13, v13, v13
	v_max_f32_e32 v9, v9, v9
	v_min_f32_e32 v17, v9, v13
	v_max_f32_e32 v9, v9, v13
	v_cndmask_b32_e64 v13, v9, v17, s[22:23]
	v_and_b32_e32 v9, 0x7f800000, v13
	v_cmp_ne_u32_e32 vcc, s35, v9
                                        ; implicit-def: $vgpr9
	s_and_saveexec_b64 s[28:29], vcc
	s_xor_b64 s[28:29], exec, s[28:29]
; %bb.2882:                             ;   in Loop: Header=BB36_2645 Depth=4
	v_bfe_u32 v9, v13, 16, 1
	v_add3_u32 v9, v13, v9, s8
                                        ; implicit-def: $vgpr13
; %bb.2883:                             ;   in Loop: Header=BB36_2645 Depth=4
	s_andn2_saveexec_b64 s[28:29], s[28:29]
; %bb.2884:                             ;   in Loop: Header=BB36_2645 Depth=4
	v_or_b32_e32 v9, 0x10000, v13
	v_cmp_eq_u32_sdwa vcc, v13, v3 src0_sel:WORD_0 src1_sel:DWORD
	s_nop 1
	v_cndmask_b32_e32 v9, v9, v13, vcc
; %bb.2885:                             ;   in Loop: Header=BB36_2645 Depth=4
	s_or_b64 exec, exec, s[28:29]
	v_lshlrev_b32_e32 v13, 16, v10
	v_lshlrev_b32_e32 v17, 16, v14
	v_max_f32_e32 v17, v17, v17
	v_max_f32_e32 v13, v13, v13
	v_min_f32_e32 v18, v13, v17
	v_max_f32_e32 v13, v13, v17
	v_cndmask_b32_e64 v17, v13, v18, s[22:23]
	v_and_b32_e32 v13, 0x7f800000, v17
	v_cmp_ne_u32_e32 vcc, s35, v13
                                        ; implicit-def: $vgpr13
	s_and_saveexec_b64 s[28:29], vcc
	s_xor_b64 s[28:29], exec, s[28:29]
; %bb.2886:                             ;   in Loop: Header=BB36_2645 Depth=4
	v_bfe_u32 v13, v17, 16, 1
	v_add3_u32 v13, v17, v13, s8
                                        ; implicit-def: $vgpr17
; %bb.2887:                             ;   in Loop: Header=BB36_2645 Depth=4
	s_andn2_saveexec_b64 s[28:29], s[28:29]
; %bb.2888:                             ;   in Loop: Header=BB36_2645 Depth=4
	v_or_b32_e32 v13, 0x10000, v17
	v_cmp_eq_u32_sdwa vcc, v17, v3 src0_sel:WORD_0 src1_sel:DWORD
	s_nop 1
	v_cndmask_b32_e32 v13, v13, v17, vcc
; %bb.2889:                             ;   in Loop: Header=BB36_2645 Depth=4
	s_or_b64 exec, exec, s[28:29]
	v_and_b32_e32 v10, 0xffff0000, v10
	v_and_b32_e32 v14, 0xffff0000, v14
	v_max_f32_e32 v14, v14, v14
	v_max_f32_e32 v10, v10, v10
	v_min_f32_e32 v17, v10, v14
	v_max_f32_e32 v10, v10, v14
	v_cndmask_b32_e64 v14, v10, v17, s[22:23]
	v_and_b32_e32 v10, 0x7f800000, v14
	v_cmp_ne_u32_e32 vcc, s35, v10
                                        ; implicit-def: $vgpr10
	s_and_saveexec_b64 s[28:29], vcc
	s_xor_b64 s[28:29], exec, s[28:29]
; %bb.2890:                             ;   in Loop: Header=BB36_2645 Depth=4
	v_bfe_u32 v10, v14, 16, 1
	v_add3_u32 v10, v14, v10, s8
                                        ; implicit-def: $vgpr14
; %bb.2891:                             ;   in Loop: Header=BB36_2645 Depth=4
	s_andn2_saveexec_b64 s[28:29], s[28:29]
; %bb.2892:                             ;   in Loop: Header=BB36_2645 Depth=4
	v_or_b32_e32 v10, 0x10000, v14
	v_cmp_eq_u32_sdwa vcc, v14, v3 src0_sel:WORD_0 src1_sel:DWORD
	s_nop 1
	v_cndmask_b32_e32 v10, v10, v14, vcc
; %bb.2893:                             ;   in Loop: Header=BB36_2645 Depth=4
	s_or_b64 exec, exec, s[28:29]
	v_lshlrev_b32_e32 v14, 16, v11
	v_lshlrev_b32_e32 v17, 16, v15
	v_max_f32_e32 v17, v17, v17
	v_max_f32_e32 v14, v14, v14
	v_min_f32_e32 v18, v14, v17
	v_max_f32_e32 v14, v14, v17
	v_cndmask_b32_e64 v17, v14, v18, s[22:23]
	v_and_b32_e32 v14, 0x7f800000, v17
	v_cmp_ne_u32_e32 vcc, s35, v14
                                        ; implicit-def: $vgpr14
	s_and_saveexec_b64 s[28:29], vcc
	s_xor_b64 s[28:29], exec, s[28:29]
; %bb.2894:                             ;   in Loop: Header=BB36_2645 Depth=4
	v_bfe_u32 v14, v17, 16, 1
	v_add3_u32 v14, v17, v14, s8
                                        ; implicit-def: $vgpr17
; %bb.2895:                             ;   in Loop: Header=BB36_2645 Depth=4
	s_andn2_saveexec_b64 s[28:29], s[28:29]
; %bb.2896:                             ;   in Loop: Header=BB36_2645 Depth=4
	v_or_b32_e32 v14, 0x10000, v17
	v_cmp_eq_u32_sdwa vcc, v17, v3 src0_sel:WORD_0 src1_sel:DWORD
	s_nop 1
	v_cndmask_b32_e32 v14, v14, v17, vcc
; %bb.2897:                             ;   in Loop: Header=BB36_2645 Depth=4
	s_or_b64 exec, exec, s[28:29]
	v_and_b32_e32 v11, 0xffff0000, v11
	v_and_b32_e32 v15, 0xffff0000, v15
	v_max_f32_e32 v15, v15, v15
	v_max_f32_e32 v11, v11, v11
	v_min_f32_e32 v17, v11, v15
	v_max_f32_e32 v11, v11, v15
	v_cndmask_b32_e64 v15, v11, v17, s[22:23]
	v_and_b32_e32 v11, 0x7f800000, v15
	v_cmp_ne_u32_e32 vcc, s35, v11
                                        ; implicit-def: $vgpr11
	s_and_saveexec_b64 s[28:29], vcc
	s_xor_b64 s[28:29], exec, s[28:29]
; %bb.2898:                             ;   in Loop: Header=BB36_2645 Depth=4
	v_bfe_u32 v11, v15, 16, 1
	v_add3_u32 v11, v15, v11, s8
                                        ; implicit-def: $vgpr15
; %bb.2899:                             ;   in Loop: Header=BB36_2645 Depth=4
	s_andn2_saveexec_b64 s[28:29], s[28:29]
	s_cbranch_execz .LBB36_2644
; %bb.2900:                             ;   in Loop: Header=BB36_2645 Depth=4
	v_or_b32_e32 v11, 0x10000, v15
	v_cmp_eq_u32_sdwa vcc, v15, v3 src0_sel:WORD_0 src1_sel:DWORD
	s_nop 1
	v_cndmask_b32_e32 v11, v11, v15, vcc
	s_branch .LBB36_2644
.LBB36_2901:                            ;   in Loop: Header=BB36_2338 Depth=3
	s_or_b64 exec, exec, s[26:27]
.LBB36_2902:                            ;   in Loop: Header=BB36_2338 Depth=3
	s_or_b64 exec, exec, s[24:25]
	v_lshlrev_b32_e32 v12, 13, v45
	v_cmp_ne_u32_e32 vcc, v2, v12
	s_mov_b64 s[22:23], 0
	v_mov_b32_e32 v14, 0
                                        ; implicit-def: $vgpr15
	s_and_saveexec_b64 s[64:65], vcc
	s_cbranch_execz .LBB36_2908
; %bb.2903:                             ;   in Loop: Header=BB36_2338 Depth=3
	scratch_load_dword v10, off, s33 offset:344 ; 4-byte Folded Reload
	v_lshlrev_b32_e32 v8, 6, v44
	v_sub_u32_e32 v9, v2, v12
	s_waitcnt vmcnt(0)
	v_and_b32_e32 v10, 63, v10
	v_sub_u32_e32 v8, v10, v8
	v_ashrrev_i32_e32 v10, 31, v8
	v_lshrrev_b32_e32 v10, 26, v10
	v_add_u32_e32 v10, v8, v10
	v_ashrrev_i32_e32 v11, 6, v10
	v_and_b32_e32 v10, 0xffffffc0, v10
	v_sub_u32_e32 v13, v8, v10
	v_ashrrev_i32_e32 v10, 31, v9
	v_lshrrev_b32_e32 v10, 22, v10
	v_add_u32_e32 v10, v9, v10
	v_and_b32_e32 v14, 0xfffffc00, v10
	v_lshlrev_b32_e32 v8, 4, v13
	v_sub_u32_e32 v15, v9, v14
	v_lshl_add_u32 v8, v11, 10, v8
	v_ashrrev_i32_e32 v16, 10, v10
	v_cmp_lt_i32_e32 vcc, 15, v15
	v_sub_u32_e32 v17, v9, v8
	s_nop 0
	v_addc_co_u32_e64 v9, s[22:23], 0, v16, vcc
	v_sub_u32_e32 v16, v9, v11
	v_cmp_lt_i32_e64 s[22:23], 15, v17
	s_and_saveexec_b64 s[66:67], s[22:23]
	s_cbranch_execz .LBB36_2907
; %bb.2904:                             ;   in Loop: Header=BB36_2338 Depth=3
	s_and_b32 s74, s71, 1
	v_add_u32_e32 v8, v8, v12
	s_cmp_eq_u64 s[74:75], 0
	v_ashrrev_i32_e32 v9, 31, v8
	s_mov_b64 s[68:69], 0
	s_cselect_b64 s[22:23], -1, 0
.LBB36_2905:                            ;   Parent Loop BB36_47 Depth=1
                                        ;     Parent Loop BB36_2335 Depth=2
                                        ;       Parent Loop BB36_2338 Depth=3
                                        ; =>      This Inner Loop Header: Depth=4
	v_lshl_add_u64 v[18:19], v[0:1], 0, v[8:9]
	global_load_dwordx4 v[18:21], v[18:19], off nt
	s_nop 0
	global_load_dwordx4 v[22:25], v[8:9], off nt
	v_sub_u32_e32 v17, v17, v76
	v_lshl_add_u64 v[10:11], v[118:119], 0, v[8:9]
	v_lshl_add_u64 v[8:9], v[8:9], 0, v[76:77]
	v_sub_u32_e32 v16, v16, v60
	s_waitcnt vmcnt(0)
	v_and_b32_e32 v26, 0xffff0000, v18
	v_and_b32_e32 v27, 0xffff0000, v22
	v_lshlrev_b32_e32 v18, 16, v18
	v_lshlrev_b32_e32 v22, 16, v22
	v_max_f32_e32 v22, v22, v22
	v_max_f32_e32 v18, v18, v18
	v_min_f32_e32 v30, v18, v22
	v_max_f32_e32 v18, v18, v22
	v_cndmask_b32_e64 v18, v18, v30, s[22:23]
	v_and_b32_e32 v22, 0x7f800000, v18
	v_cmp_eq_u32_e64 s[24:25], s35, v22
	v_bfe_u32 v22, v18, 16, 1
	v_cmp_eq_u32_sdwa s[26:27], v18, v3 src0_sel:WORD_0 src1_sel:DWORD
	v_or_b32_e32 v30, 0x10000, v18
	v_max_f32_e32 v27, v27, v27
	v_max_f32_e32 v26, v26, v26
	v_add3_u32 v22, v18, v22, s8
	v_cndmask_b32_e64 v18, v30, v18, s[26:27]
	v_min_f32_e32 v30, v26, v27
	v_max_f32_e32 v26, v26, v27
	v_cndmask_b32_e64 v26, v26, v30, s[22:23]
	v_and_b32_e32 v27, 0x7f800000, v26
	v_cmp_eq_u32_e64 s[26:27], s35, v27
	v_bfe_u32 v27, v26, 16, 1
	v_cmp_eq_u32_sdwa s[28:29], v26, v3 src0_sel:WORD_0 src1_sel:DWORD
	v_or_b32_e32 v30, 0x10000, v26
	v_add3_u32 v27, v26, v27, s8
	v_cndmask_b32_e64 v26, v30, v26, s[28:29]
	v_and_b32_e32 v30, 0xffff0000, v19
	v_and_b32_e32 v32, 0xffff0000, v23
	v_lshlrev_b32_e32 v19, 16, v19
	v_lshlrev_b32_e32 v23, 16, v23
	v_max_f32_e32 v23, v23, v23
	v_max_f32_e32 v19, v19, v19
	v_min_f32_e32 v33, v19, v23
	v_max_f32_e32 v19, v19, v23
	v_cndmask_b32_e64 v19, v19, v33, s[22:23]
	v_and_b32_e32 v23, 0x7f800000, v19
	v_cmp_eq_u32_e64 s[28:29], s35, v23
	v_bfe_u32 v23, v19, 16, 1
	v_cmp_eq_u32_sdwa s[40:41], v19, v3 src0_sel:WORD_0 src1_sel:DWORD
	v_or_b32_e32 v33, 0x10000, v19
	v_max_f32_e32 v32, v32, v32
	v_max_f32_e32 v30, v30, v30
	v_add3_u32 v23, v19, v23, s8
	v_cndmask_b32_e64 v19, v33, v19, s[40:41]
	v_min_f32_e32 v33, v30, v32
	v_max_f32_e32 v30, v30, v32
	v_cndmask_b32_e64 v30, v30, v33, s[22:23]
	v_and_b32_e32 v32, 0x7f800000, v30
	v_cmp_eq_u32_e64 s[40:41], s35, v32
	v_bfe_u32 v32, v30, 16, 1
	v_cmp_eq_u32_sdwa s[42:43], v30, v3 src0_sel:WORD_0 src1_sel:DWORD
	v_or_b32_e32 v33, 0x10000, v30
	v_add3_u32 v32, v30, v32, s8
	v_cndmask_b32_e64 v30, v33, v30, s[42:43]
	;; [unrolled: 28-line block ×4, first 2 shown]
	v_cndmask_b32_e64 v18, v22, v18, s[24:25]
	v_cndmask_b32_e64 v19, v23, v19, s[28:29]
	;; [unrolled: 1-line block ×8, first 2 shown]
	v_lshrrev_b32_e32 v19, 16, v19
	v_lshrrev_b32_e32 v18, 16, v18
	;; [unrolled: 1-line block ×4, first 2 shown]
	v_cmp_gt_i32_e64 s[24:25], 16, v17
	v_and_or_b32 v19, v23, s9, v19
	v_and_or_b32 v18, v22, s9, v18
	;; [unrolled: 1-line block ×4, first 2 shown]
	s_or_b64 s[68:69], s[24:25], s[68:69]
	global_store_dwordx4 v[10:11], v[18:21], off
	s_andn2_b64 exec, exec, s[68:69]
	s_cbranch_execnz .LBB36_2905
; %bb.2906:                             ;   in Loop: Header=BB36_2338 Depth=3
	s_or_b64 exec, exec, s[68:69]
.LBB36_2907:                            ;   in Loop: Header=BB36_2338 Depth=3
	s_or_b64 exec, exec, s[66:67]
	v_and_b32_e32 v2, 14, v2
	v_sub_u32_e32 v8, v15, v2
	v_cndmask_b32_e32 v8, 0, v8, vcc
	v_cndmask_b32_e32 v2, v15, v2, vcc
	v_cmp_lt_i32_e32 vcc, 0, v16
	v_add3_u32 v14, v14, v12, v8
	s_nop 0
	v_cndmask_b32_e32 v8, 0, v60, vcc
	v_sub_u32_e32 v8, v8, v16
	v_cmp_ne_u32_e32 vcc, 0, v2
	v_lshl_add_u32 v15, v8, 6, v13
	s_and_b64 s[22:23], vcc, exec
.LBB36_2908:                            ;   in Loop: Header=BB36_2338 Depth=3
	s_or_b64 exec, exec, s[64:65]
	s_and_saveexec_b64 s[24:25], s[22:23]
	s_cbranch_execz .LBB36_2981
.LBB36_2909:                            ;   in Loop: Header=BB36_2338 Depth=3
	s_waitcnt vmcnt(0)
	v_ashrrev_i32_e32 v8, 31, v15
	v_ashrrev_i32_e32 v9, 31, v2
	v_lshrrev_b32_e32 v8, 26, v8
	v_lshrrev_b32_e32 v9, 21, v9
	v_add_u32_e32 v8, v15, v8
	v_add_u32_e32 v9, v2, v9
	v_ashrrev_i32_e32 v16, 6, v8
	v_ashrrev_i32_e32 v18, 11, v9
	v_sub_u32_e32 v17, v18, v16
	v_cmp_lt_i32_e32 vcc, 0, v17
	s_and_saveexec_b64 s[26:27], vcc
	s_cbranch_execz .LBB36_2977
; %bb.2910:                             ;   in Loop: Header=BB36_2338 Depth=3
	v_and_b32_e32 v8, 0x7fffffc0, v8
	v_sub_u32_e32 v8, v15, v8
	v_lshlrev_b32_e32 v8, 1, v8
	v_lshlrev_b32_e32 v9, 11, v16
	v_add3_u32 v8, v8, v14, v9
	s_and_b32 s74, s71, 1
	v_ashrrev_i32_e32 v9, 31, v8
	s_cmp_eq_u64 s[74:75], 0
	s_mov_b64 s[28:29], 0
	s_cselect_b64 s[22:23], -1, 0
	v_lshl_add_u64 v[8:9], v[8:9], 0, s[50:51]
	s_branch .LBB36_2912
.LBB36_2911:                            ;   in Loop: Header=BB36_2912 Depth=4
	s_or_b64 exec, exec, s[40:41]
	v_sub_u32_e32 v17, v17, v60
	v_cmp_gt_i32_e32 vcc, 1, v17
	s_or_b64 s[28:29], vcc, s[28:29]
	v_lshl_add_u64 v[8:9], v[8:9], 0, v[120:121]
	flat_store_short_d16_hi v[10:11], v13 nt
	s_andn2_b64 exec, exec, s[28:29]
	s_cbranch_execz .LBB36_2976
.LBB36_2912:                            ;   Parent Loop BB36_47 Depth=1
                                        ;     Parent Loop BB36_2335 Depth=2
                                        ;       Parent Loop BB36_2338 Depth=3
                                        ; =>      This Inner Loop Header: Depth=4
	v_lshl_add_u64 v[10:11], v[0:1], 0, v[8:9]
	v_add_co_u32_e32 v12, vcc, 0xfffff900, v10
	s_movk_i32 s40, 0xf880
	s_nop 0
	v_addc_co_u32_e32 v13, vcc, -1, v11, vcc
	flat_load_ushort v66, v[12:13] nt
	v_add_co_u32_e32 v12, vcc, 0xfffff900, v8
	s_nop 1
	v_addc_co_u32_e32 v13, vcc, -1, v9, vcc
	flat_load_ushort v67, v[12:13] nt
	v_add_co_u32_e32 v12, vcc, 0xfffff980, v10
	;; [unrolled: 4-line block ×4, first 2 shown]
	s_nop 1
	v_addc_co_u32_e32 v13, vcc, -1, v11, vcc
	s_waitcnt lgkmcnt(0)
	flat_load_ushort v54, v[12:13] nt
	v_add_co_u32_e32 v12, vcc, 0xfffffa00, v8
	s_nop 1
	v_addc_co_u32_e32 v13, vcc, -1, v9, vcc
	flat_load_ushort v55, v[12:13] nt
	v_add_co_u32_e32 v12, vcc, 0xfffffa80, v10
	s_nop 1
	v_addc_co_u32_e32 v13, vcc, -1, v11, vcc
	;; [unrolled: 4-line block ×8, first 2 shown]
	v_add_co_u32_e32 v20, vcc, s82, v8
	flat_load_ushort v38, v[12:13] offset:896 nt
	s_nop 0
	v_addc_co_u32_e32 v21, vcc, -1, v9, vcc
	flat_load_ushort v39, v[20:21] nt
	v_add_co_u32_e32 v20, vcc, 0xfffffc80, v10
	s_nop 1
	v_addc_co_u32_e32 v21, vcc, -1, v11, vcc
	flat_load_ushort v36, v[20:21] nt
	v_add_co_u32_e32 v20, vcc, 0xfffffc80, v8
	;; [unrolled: 4-line block ×12, first 2 shown]
	s_nop 1
	v_addc_co_u32_e32 v21, vcc, -1, v9, vcc
	v_add_co_u32_e32 v68, vcc, s83, v8
	flat_load_ushort v24, v[20:21] nt
	s_nop 0
	flat_load_ushort v21, v[12:13] offset:1792 nt
	v_addc_co_u32_e32 v69, vcc, -1, v9, vcc
	flat_load_ushort v22, v[68:69] nt
	flat_load_ushort v19, v[10:11] nt
	;; [unrolled: 1-line block ×3, first 2 shown]
	s_nop 0
	flat_load_ushort v10, v[12:13] nt
	s_waitcnt vmcnt(0) lgkmcnt(0)
	v_lshlrev_b32_e32 v12, 16, v10
	v_add_co_u32_e32 v10, vcc, 0xfffff880, v8
	s_nop 1
	v_addc_co_u32_e32 v11, vcc, -1, v9, vcc
	flat_load_ushort v10, v[10:11] nt
	v_max_f32_e32 v11, v12, v12
	s_waitcnt vmcnt(0) lgkmcnt(0)
	v_lshlrev_b32_e32 v10, 16, v10
	v_max_f32_e32 v10, v10, v10
	v_min_f32_e32 v12, v11, v10
	v_max_f32_e32 v10, v11, v10
	v_cndmask_b32_e64 v10, v10, v12, s[22:23]
	v_and_b32_e32 v11, 0x7f800000, v10
	v_cmp_ne_u32_e32 vcc, s35, v11
                                        ; implicit-def: $vgpr12
	s_and_saveexec_b64 s[40:41], vcc
	s_xor_b64 s[40:41], exec, s[40:41]
; %bb.2913:                             ;   in Loop: Header=BB36_2912 Depth=4
	v_bfe_u32 v11, v10, 16, 1
	v_add3_u32 v12, v10, v11, s8
                                        ; implicit-def: $vgpr10
; %bb.2914:                             ;   in Loop: Header=BB36_2912 Depth=4
	s_andn2_saveexec_b64 s[40:41], s[40:41]
; %bb.2915:                             ;   in Loop: Header=BB36_2912 Depth=4
	v_or_b32_e32 v11, 0x10000, v10
	v_cmp_eq_u32_sdwa vcc, v10, v3 src0_sel:WORD_0 src1_sel:DWORD
	s_nop 1
	v_cndmask_b32_e32 v12, v11, v10, vcc
; %bb.2916:                             ;   in Loop: Header=BB36_2912 Depth=4
	s_or_b64 exec, exec, s[40:41]
	v_lshl_add_u64 v[10:11], v[118:119], 0, v[8:9]
	v_add_co_u32_e32 v68, vcc, 0xfffff880, v10
	v_lshlrev_b32_e32 v13, 16, v67
	s_nop 0
	v_addc_co_u32_e32 v69, vcc, -1, v11, vcc
	flat_store_short_d16_hi v[68:69], v12 nt
	v_lshlrev_b32_e32 v12, 16, v66
	v_max_f32_e32 v13, v13, v13
	v_max_f32_e32 v12, v12, v12
	v_min_f32_e32 v66, v12, v13
	v_max_f32_e32 v12, v12, v13
	v_cndmask_b32_e64 v13, v12, v66, s[22:23]
	v_and_b32_e32 v12, 0x7f800000, v13
	v_cmp_ne_u32_e32 vcc, s35, v12
                                        ; implicit-def: $vgpr12
	s_and_saveexec_b64 s[40:41], vcc
	s_xor_b64 s[40:41], exec, s[40:41]
; %bb.2917:                             ;   in Loop: Header=BB36_2912 Depth=4
	v_bfe_u32 v12, v13, 16, 1
	v_add3_u32 v12, v13, v12, s8
                                        ; implicit-def: $vgpr13
; %bb.2918:                             ;   in Loop: Header=BB36_2912 Depth=4
	s_andn2_saveexec_b64 s[40:41], s[40:41]
; %bb.2919:                             ;   in Loop: Header=BB36_2912 Depth=4
	v_or_b32_e32 v12, 0x10000, v13
	v_cmp_eq_u32_sdwa vcc, v13, v3 src0_sel:WORD_0 src1_sel:DWORD
	s_nop 1
	v_cndmask_b32_e32 v12, v12, v13, vcc
; %bb.2920:                             ;   in Loop: Header=BB36_2912 Depth=4
	s_or_b64 exec, exec, s[40:41]
	v_add_co_u32_e32 v66, vcc, 0xfffff900, v10
	v_lshlrev_b32_e32 v13, 16, v65
	s_nop 0
	v_addc_co_u32_e32 v67, vcc, -1, v11, vcc
	flat_store_short_d16_hi v[66:67], v12 nt
	v_lshlrev_b32_e32 v12, 16, v64
	v_max_f32_e32 v13, v13, v13
	v_max_f32_e32 v12, v12, v12
	v_min_f32_e32 v64, v12, v13
	v_max_f32_e32 v12, v12, v13
	v_cndmask_b32_e64 v13, v12, v64, s[22:23]
	v_and_b32_e32 v12, 0x7f800000, v13
	v_cmp_ne_u32_e32 vcc, s35, v12
                                        ; implicit-def: $vgpr12
	s_and_saveexec_b64 s[40:41], vcc
	s_xor_b64 s[40:41], exec, s[40:41]
; %bb.2921:                             ;   in Loop: Header=BB36_2912 Depth=4
	v_bfe_u32 v12, v13, 16, 1
	v_add3_u32 v12, v13, v12, s8
                                        ; implicit-def: $vgpr13
; %bb.2922:                             ;   in Loop: Header=BB36_2912 Depth=4
	s_andn2_saveexec_b64 s[40:41], s[40:41]
; %bb.2923:                             ;   in Loop: Header=BB36_2912 Depth=4
	v_or_b32_e32 v12, 0x10000, v13
	v_cmp_eq_u32_sdwa vcc, v13, v3 src0_sel:WORD_0 src1_sel:DWORD
	s_nop 1
	v_cndmask_b32_e32 v12, v12, v13, vcc
; %bb.2924:                             ;   in Loop: Header=BB36_2912 Depth=4
	s_or_b64 exec, exec, s[40:41]
	v_add_co_u32_e32 v64, vcc, 0xfffff980, v10
	v_lshlrev_b32_e32 v13, 16, v55
	s_nop 0
	v_addc_co_u32_e32 v65, vcc, -1, v11, vcc
	flat_store_short_d16_hi v[64:65], v12 nt
	v_lshlrev_b32_e32 v12, 16, v54
	v_max_f32_e32 v13, v13, v13
	v_max_f32_e32 v12, v12, v12
	v_min_f32_e32 v54, v12, v13
	v_max_f32_e32 v12, v12, v13
	v_cndmask_b32_e64 v13, v12, v54, s[22:23]
	v_and_b32_e32 v12, 0x7f800000, v13
	v_cmp_ne_u32_e32 vcc, s35, v12
                                        ; implicit-def: $vgpr12
	s_and_saveexec_b64 s[40:41], vcc
	s_xor_b64 s[40:41], exec, s[40:41]
; %bb.2925:                             ;   in Loop: Header=BB36_2912 Depth=4
	v_bfe_u32 v12, v13, 16, 1
	v_add3_u32 v12, v13, v12, s8
                                        ; implicit-def: $vgpr13
; %bb.2926:                             ;   in Loop: Header=BB36_2912 Depth=4
	s_andn2_saveexec_b64 s[40:41], s[40:41]
; %bb.2927:                             ;   in Loop: Header=BB36_2912 Depth=4
	v_or_b32_e32 v12, 0x10000, v13
	v_cmp_eq_u32_sdwa vcc, v13, v3 src0_sel:WORD_0 src1_sel:DWORD
	s_nop 1
	v_cndmask_b32_e32 v12, v12, v13, vcc
; %bb.2928:                             ;   in Loop: Header=BB36_2912 Depth=4
	s_or_b64 exec, exec, s[40:41]
	v_add_co_u32_e32 v54, vcc, 0xfffffa00, v10
	v_lshlrev_b32_e32 v13, 16, v53
	s_nop 0
	v_addc_co_u32_e32 v55, vcc, -1, v11, vcc
	flat_store_short_d16_hi v[54:55], v12 nt
	v_lshlrev_b32_e32 v12, 16, v52
	v_max_f32_e32 v13, v13, v13
	v_max_f32_e32 v12, v12, v12
	v_min_f32_e32 v52, v12, v13
	v_max_f32_e32 v12, v12, v13
	v_cndmask_b32_e64 v13, v12, v52, s[22:23]
	v_and_b32_e32 v12, 0x7f800000, v13
	v_cmp_ne_u32_e32 vcc, s35, v12
                                        ; implicit-def: $vgpr12
	s_and_saveexec_b64 s[40:41], vcc
	s_xor_b64 s[40:41], exec, s[40:41]
; %bb.2929:                             ;   in Loop: Header=BB36_2912 Depth=4
	v_bfe_u32 v12, v13, 16, 1
	v_add3_u32 v12, v13, v12, s8
                                        ; implicit-def: $vgpr13
; %bb.2930:                             ;   in Loop: Header=BB36_2912 Depth=4
	s_andn2_saveexec_b64 s[40:41], s[40:41]
; %bb.2931:                             ;   in Loop: Header=BB36_2912 Depth=4
	v_or_b32_e32 v12, 0x10000, v13
	v_cmp_eq_u32_sdwa vcc, v13, v3 src0_sel:WORD_0 src1_sel:DWORD
	s_nop 1
	v_cndmask_b32_e32 v12, v12, v13, vcc
; %bb.2932:                             ;   in Loop: Header=BB36_2912 Depth=4
	s_or_b64 exec, exec, s[40:41]
	v_add_co_u32_e32 v52, vcc, 0xfffffa80, v10
	v_lshlrev_b32_e32 v13, 16, v51
	s_nop 0
	v_addc_co_u32_e32 v53, vcc, -1, v11, vcc
	flat_store_short_d16_hi v[52:53], v12 nt
	v_lshlrev_b32_e32 v12, 16, v50
	v_max_f32_e32 v13, v13, v13
	v_max_f32_e32 v12, v12, v12
	v_min_f32_e32 v50, v12, v13
	v_max_f32_e32 v12, v12, v13
	v_cndmask_b32_e64 v13, v12, v50, s[22:23]
	v_and_b32_e32 v12, 0x7f800000, v13
	v_cmp_ne_u32_e32 vcc, s35, v12
                                        ; implicit-def: $vgpr12
	s_and_saveexec_b64 s[40:41], vcc
	s_xor_b64 s[40:41], exec, s[40:41]
; %bb.2933:                             ;   in Loop: Header=BB36_2912 Depth=4
	v_bfe_u32 v12, v13, 16, 1
	v_add3_u32 v12, v13, v12, s8
                                        ; implicit-def: $vgpr13
; %bb.2934:                             ;   in Loop: Header=BB36_2912 Depth=4
	s_andn2_saveexec_b64 s[40:41], s[40:41]
; %bb.2935:                             ;   in Loop: Header=BB36_2912 Depth=4
	v_or_b32_e32 v12, 0x10000, v13
	v_cmp_eq_u32_sdwa vcc, v13, v3 src0_sel:WORD_0 src1_sel:DWORD
	s_nop 1
	v_cndmask_b32_e32 v12, v12, v13, vcc
; %bb.2936:                             ;   in Loop: Header=BB36_2912 Depth=4
	s_or_b64 exec, exec, s[40:41]
	v_add_co_u32_e32 v50, vcc, 0xfffffb00, v10
	v_lshlrev_b32_e32 v13, 16, v49
	s_nop 0
	v_addc_co_u32_e32 v51, vcc, -1, v11, vcc
	flat_store_short_d16_hi v[50:51], v12 nt
	v_lshlrev_b32_e32 v12, 16, v48
	v_max_f32_e32 v13, v13, v13
	v_max_f32_e32 v12, v12, v12
	v_min_f32_e32 v48, v12, v13
	v_max_f32_e32 v12, v12, v13
	v_cndmask_b32_e64 v13, v12, v48, s[22:23]
	v_and_b32_e32 v12, 0x7f800000, v13
	v_cmp_ne_u32_e32 vcc, s35, v12
                                        ; implicit-def: $vgpr12
	s_and_saveexec_b64 s[40:41], vcc
	s_xor_b64 s[40:41], exec, s[40:41]
; %bb.2937:                             ;   in Loop: Header=BB36_2912 Depth=4
	v_bfe_u32 v12, v13, 16, 1
	v_add3_u32 v12, v13, v12, s8
                                        ; implicit-def: $vgpr13
; %bb.2938:                             ;   in Loop: Header=BB36_2912 Depth=4
	s_andn2_saveexec_b64 s[40:41], s[40:41]
; %bb.2939:                             ;   in Loop: Header=BB36_2912 Depth=4
	v_or_b32_e32 v12, 0x10000, v13
	v_cmp_eq_u32_sdwa vcc, v13, v3 src0_sel:WORD_0 src1_sel:DWORD
	s_nop 1
	v_cndmask_b32_e32 v12, v12, v13, vcc
; %bb.2940:                             ;   in Loop: Header=BB36_2912 Depth=4
	s_or_b64 exec, exec, s[40:41]
	v_add_co_u32_e32 v48, vcc, 0xfffffb80, v10
	v_lshlrev_b32_e32 v13, 16, v39
	s_nop 0
	v_addc_co_u32_e32 v49, vcc, -1, v11, vcc
	flat_store_short_d16_hi v[48:49], v12 nt
	v_lshlrev_b32_e32 v12, 16, v38
	v_max_f32_e32 v13, v13, v13
	v_max_f32_e32 v12, v12, v12
	v_min_f32_e32 v38, v12, v13
	v_max_f32_e32 v12, v12, v13
	v_cndmask_b32_e64 v13, v12, v38, s[22:23]
	v_and_b32_e32 v12, 0x7f800000, v13
	v_cmp_ne_u32_e32 vcc, s35, v12
                                        ; implicit-def: $vgpr12
	s_and_saveexec_b64 s[40:41], vcc
	s_xor_b64 s[40:41], exec, s[40:41]
; %bb.2941:                             ;   in Loop: Header=BB36_2912 Depth=4
	v_bfe_u32 v12, v13, 16, 1
	v_add3_u32 v12, v13, v12, s8
                                        ; implicit-def: $vgpr13
; %bb.2942:                             ;   in Loop: Header=BB36_2912 Depth=4
	s_andn2_saveexec_b64 s[40:41], s[40:41]
; %bb.2943:                             ;   in Loop: Header=BB36_2912 Depth=4
	v_or_b32_e32 v12, 0x10000, v13
	v_cmp_eq_u32_sdwa vcc, v13, v3 src0_sel:WORD_0 src1_sel:DWORD
	s_nop 1
	v_cndmask_b32_e32 v12, v12, v13, vcc
; %bb.2944:                             ;   in Loop: Header=BB36_2912 Depth=4
	s_or_b64 exec, exec, s[40:41]
	v_add_co_u32_e32 v38, vcc, 0xfffffc00, v10
	v_lshlrev_b32_e32 v13, 16, v37
	s_nop 0
	v_addc_co_u32_e32 v39, vcc, -1, v11, vcc
	flat_store_short_d16_hi v[38:39], v12 nt
	v_lshlrev_b32_e32 v12, 16, v36
	v_max_f32_e32 v13, v13, v13
	v_max_f32_e32 v12, v12, v12
	v_min_f32_e32 v36, v12, v13
	v_max_f32_e32 v12, v12, v13
	v_cndmask_b32_e64 v13, v12, v36, s[22:23]
	v_and_b32_e32 v12, 0x7f800000, v13
	v_cmp_ne_u32_e32 vcc, s35, v12
                                        ; implicit-def: $vgpr12
	s_and_saveexec_b64 s[40:41], vcc
	s_xor_b64 s[40:41], exec, s[40:41]
; %bb.2945:                             ;   in Loop: Header=BB36_2912 Depth=4
	v_bfe_u32 v12, v13, 16, 1
	v_add3_u32 v12, v13, v12, s8
                                        ; implicit-def: $vgpr13
; %bb.2946:                             ;   in Loop: Header=BB36_2912 Depth=4
	s_andn2_saveexec_b64 s[40:41], s[40:41]
; %bb.2947:                             ;   in Loop: Header=BB36_2912 Depth=4
	v_or_b32_e32 v12, 0x10000, v13
	v_cmp_eq_u32_sdwa vcc, v13, v3 src0_sel:WORD_0 src1_sel:DWORD
	s_nop 1
	v_cndmask_b32_e32 v12, v12, v13, vcc
; %bb.2948:                             ;   in Loop: Header=BB36_2912 Depth=4
	s_or_b64 exec, exec, s[40:41]
	v_add_co_u32_e32 v36, vcc, 0xfffffc80, v10
	v_lshlrev_b32_e32 v13, 16, v35
	s_nop 0
	v_addc_co_u32_e32 v37, vcc, -1, v11, vcc
	flat_store_short_d16_hi v[36:37], v12 nt
	v_lshlrev_b32_e32 v12, 16, v34
	v_max_f32_e32 v13, v13, v13
	v_max_f32_e32 v12, v12, v12
	v_min_f32_e32 v34, v12, v13
	v_max_f32_e32 v12, v12, v13
	v_cndmask_b32_e64 v13, v12, v34, s[22:23]
	v_and_b32_e32 v12, 0x7f800000, v13
	v_cmp_ne_u32_e32 vcc, s35, v12
                                        ; implicit-def: $vgpr12
	s_and_saveexec_b64 s[40:41], vcc
	s_xor_b64 s[40:41], exec, s[40:41]
; %bb.2949:                             ;   in Loop: Header=BB36_2912 Depth=4
	v_bfe_u32 v12, v13, 16, 1
	v_add3_u32 v12, v13, v12, s8
                                        ; implicit-def: $vgpr13
; %bb.2950:                             ;   in Loop: Header=BB36_2912 Depth=4
	s_andn2_saveexec_b64 s[40:41], s[40:41]
; %bb.2951:                             ;   in Loop: Header=BB36_2912 Depth=4
	v_or_b32_e32 v12, 0x10000, v13
	v_cmp_eq_u32_sdwa vcc, v13, v3 src0_sel:WORD_0 src1_sel:DWORD
	s_nop 1
	v_cndmask_b32_e32 v12, v12, v13, vcc
; %bb.2952:                             ;   in Loop: Header=BB36_2912 Depth=4
	s_or_b64 exec, exec, s[40:41]
	v_add_co_u32_e32 v34, vcc, 0xfffffd00, v10
	v_lshlrev_b32_e32 v13, 16, v33
	s_nop 0
	v_addc_co_u32_e32 v35, vcc, -1, v11, vcc
	flat_store_short_d16_hi v[34:35], v12 nt
	v_lshlrev_b32_e32 v12, 16, v32
	v_max_f32_e32 v13, v13, v13
	v_max_f32_e32 v12, v12, v12
	v_min_f32_e32 v32, v12, v13
	v_max_f32_e32 v12, v12, v13
	v_cndmask_b32_e64 v13, v12, v32, s[22:23]
	v_and_b32_e32 v12, 0x7f800000, v13
	v_cmp_ne_u32_e32 vcc, s35, v12
                                        ; implicit-def: $vgpr12
	s_and_saveexec_b64 s[40:41], vcc
	s_xor_b64 s[40:41], exec, s[40:41]
; %bb.2953:                             ;   in Loop: Header=BB36_2912 Depth=4
	v_bfe_u32 v12, v13, 16, 1
	v_add3_u32 v12, v13, v12, s8
                                        ; implicit-def: $vgpr13
; %bb.2954:                             ;   in Loop: Header=BB36_2912 Depth=4
	s_andn2_saveexec_b64 s[40:41], s[40:41]
; %bb.2955:                             ;   in Loop: Header=BB36_2912 Depth=4
	v_or_b32_e32 v12, 0x10000, v13
	v_cmp_eq_u32_sdwa vcc, v13, v3 src0_sel:WORD_0 src1_sel:DWORD
	s_nop 1
	v_cndmask_b32_e32 v12, v12, v13, vcc
; %bb.2956:                             ;   in Loop: Header=BB36_2912 Depth=4
	s_or_b64 exec, exec, s[40:41]
	v_add_co_u32_e32 v32, vcc, 0xfffffd80, v10
	v_lshlrev_b32_e32 v13, 16, v30
	s_nop 0
	v_addc_co_u32_e32 v33, vcc, -1, v11, vcc
	flat_store_short_d16_hi v[32:33], v12 nt
	v_lshlrev_b32_e32 v12, 16, v27
	v_max_f32_e32 v13, v13, v13
	v_max_f32_e32 v12, v12, v12
	v_min_f32_e32 v27, v12, v13
	v_max_f32_e32 v12, v12, v13
	v_cndmask_b32_e64 v13, v12, v27, s[22:23]
	v_and_b32_e32 v12, 0x7f800000, v13
	v_cmp_ne_u32_e32 vcc, s35, v12
                                        ; implicit-def: $vgpr12
	s_and_saveexec_b64 s[40:41], vcc
	s_xor_b64 s[40:41], exec, s[40:41]
; %bb.2957:                             ;   in Loop: Header=BB36_2912 Depth=4
	v_bfe_u32 v12, v13, 16, 1
	v_add3_u32 v12, v13, v12, s8
                                        ; implicit-def: $vgpr13
; %bb.2958:                             ;   in Loop: Header=BB36_2912 Depth=4
	s_andn2_saveexec_b64 s[40:41], s[40:41]
; %bb.2959:                             ;   in Loop: Header=BB36_2912 Depth=4
	v_or_b32_e32 v12, 0x10000, v13
	v_cmp_eq_u32_sdwa vcc, v13, v3 src0_sel:WORD_0 src1_sel:DWORD
	s_nop 1
	v_cndmask_b32_e32 v12, v12, v13, vcc
; %bb.2960:                             ;   in Loop: Header=BB36_2912 Depth=4
	s_or_b64 exec, exec, s[40:41]
	v_add_co_u32_e32 v32, vcc, 0xfffffe00, v10
	v_lshlrev_b32_e32 v13, 16, v26
	s_nop 0
	v_addc_co_u32_e32 v33, vcc, -1, v11, vcc
	flat_store_short_d16_hi v[32:33], v12 nt
	v_lshlrev_b32_e32 v12, 16, v25
	v_max_f32_e32 v13, v13, v13
	v_max_f32_e32 v12, v12, v12
	v_min_f32_e32 v25, v12, v13
	v_max_f32_e32 v12, v12, v13
	v_cndmask_b32_e64 v13, v12, v25, s[22:23]
	v_and_b32_e32 v12, 0x7f800000, v13
	v_cmp_ne_u32_e32 vcc, s35, v12
                                        ; implicit-def: $vgpr12
	s_and_saveexec_b64 s[40:41], vcc
	s_xor_b64 s[40:41], exec, s[40:41]
; %bb.2961:                             ;   in Loop: Header=BB36_2912 Depth=4
	v_bfe_u32 v12, v13, 16, 1
	v_add3_u32 v12, v13, v12, s8
                                        ; implicit-def: $vgpr13
; %bb.2962:                             ;   in Loop: Header=BB36_2912 Depth=4
	s_andn2_saveexec_b64 s[40:41], s[40:41]
; %bb.2963:                             ;   in Loop: Header=BB36_2912 Depth=4
	v_or_b32_e32 v12, 0x10000, v13
	v_cmp_eq_u32_sdwa vcc, v13, v3 src0_sel:WORD_0 src1_sel:DWORD
	s_nop 1
	v_cndmask_b32_e32 v12, v12, v13, vcc
; %bb.2964:                             ;   in Loop: Header=BB36_2912 Depth=4
	s_or_b64 exec, exec, s[40:41]
	v_add_co_u32_e32 v26, vcc, 0xfffffe80, v10
	v_lshlrev_b32_e32 v13, 16, v24
	s_nop 0
	v_addc_co_u32_e32 v27, vcc, -1, v11, vcc
	flat_store_short_d16_hi v[26:27], v12 nt
	v_lshlrev_b32_e32 v12, 16, v23
	v_max_f32_e32 v13, v13, v13
	v_max_f32_e32 v12, v12, v12
	v_min_f32_e32 v23, v12, v13
	v_max_f32_e32 v12, v12, v13
	v_cndmask_b32_e64 v13, v12, v23, s[22:23]
	v_and_b32_e32 v12, 0x7f800000, v13
	v_cmp_ne_u32_e32 vcc, s35, v12
                                        ; implicit-def: $vgpr12
	s_and_saveexec_b64 s[40:41], vcc
	s_xor_b64 s[40:41], exec, s[40:41]
; %bb.2965:                             ;   in Loop: Header=BB36_2912 Depth=4
	v_bfe_u32 v12, v13, 16, 1
	v_add3_u32 v12, v13, v12, s8
                                        ; implicit-def: $vgpr13
; %bb.2966:                             ;   in Loop: Header=BB36_2912 Depth=4
	s_andn2_saveexec_b64 s[40:41], s[40:41]
; %bb.2967:                             ;   in Loop: Header=BB36_2912 Depth=4
	v_or_b32_e32 v12, 0x10000, v13
	v_cmp_eq_u32_sdwa vcc, v13, v3 src0_sel:WORD_0 src1_sel:DWORD
	s_nop 1
	v_cndmask_b32_e32 v12, v12, v13, vcc
; %bb.2968:                             ;   in Loop: Header=BB36_2912 Depth=4
	s_or_b64 exec, exec, s[40:41]
	v_add_co_u32_e32 v24, vcc, 0xffffff00, v10
	v_lshlrev_b32_e32 v13, 16, v22
	s_nop 0
	v_addc_co_u32_e32 v25, vcc, -1, v11, vcc
	flat_store_short_d16_hi v[24:25], v12 nt
	v_lshlrev_b32_e32 v12, 16, v21
	v_max_f32_e32 v13, v13, v13
	v_max_f32_e32 v12, v12, v12
	v_min_f32_e32 v21, v12, v13
	v_max_f32_e32 v12, v12, v13
	v_cndmask_b32_e64 v13, v12, v21, s[22:23]
	v_and_b32_e32 v12, 0x7f800000, v13
	v_cmp_ne_u32_e32 vcc, s35, v12
                                        ; implicit-def: $vgpr12
	s_and_saveexec_b64 s[40:41], vcc
	s_xor_b64 s[40:41], exec, s[40:41]
; %bb.2969:                             ;   in Loop: Header=BB36_2912 Depth=4
	v_bfe_u32 v12, v13, 16, 1
	v_add3_u32 v12, v13, v12, s8
                                        ; implicit-def: $vgpr13
; %bb.2970:                             ;   in Loop: Header=BB36_2912 Depth=4
	s_andn2_saveexec_b64 s[40:41], s[40:41]
; %bb.2971:                             ;   in Loop: Header=BB36_2912 Depth=4
	v_or_b32_e32 v12, 0x10000, v13
	v_cmp_eq_u32_sdwa vcc, v13, v3 src0_sel:WORD_0 src1_sel:DWORD
	s_nop 1
	v_cndmask_b32_e32 v12, v12, v13, vcc
; %bb.2972:                             ;   in Loop: Header=BB36_2912 Depth=4
	s_or_b64 exec, exec, s[40:41]
	v_add_co_u32_e32 v22, vcc, 0xffffff80, v10
	v_lshlrev_b32_e32 v13, 16, v20
	s_nop 0
	v_addc_co_u32_e32 v23, vcc, -1, v11, vcc
	flat_store_short_d16_hi v[22:23], v12 nt
	v_lshlrev_b32_e32 v12, 16, v19
	v_max_f32_e32 v13, v13, v13
	v_max_f32_e32 v12, v12, v12
	v_min_f32_e32 v19, v12, v13
	v_max_f32_e32 v12, v12, v13
	v_cndmask_b32_e64 v12, v12, v19, s[22:23]
	v_and_b32_e32 v13, 0x7f800000, v12
	v_cmp_ne_u32_e32 vcc, s35, v13
                                        ; implicit-def: $vgpr13
	s_and_saveexec_b64 s[40:41], vcc
	s_xor_b64 s[40:41], exec, s[40:41]
; %bb.2973:                             ;   in Loop: Header=BB36_2912 Depth=4
	v_bfe_u32 v13, v12, 16, 1
	v_add3_u32 v13, v12, v13, s8
                                        ; implicit-def: $vgpr12
; %bb.2974:                             ;   in Loop: Header=BB36_2912 Depth=4
	s_andn2_saveexec_b64 s[40:41], s[40:41]
	s_cbranch_execz .LBB36_2911
; %bb.2975:                             ;   in Loop: Header=BB36_2912 Depth=4
	v_or_b32_e32 v13, 0x10000, v12
	v_cmp_eq_u32_sdwa vcc, v12, v3 src0_sel:WORD_0 src1_sel:DWORD
	s_nop 1
	v_cndmask_b32_e32 v13, v13, v12, vcc
	s_branch .LBB36_2911
.LBB36_2976:                            ;   in Loop: Header=BB36_2338 Depth=3
	s_or_b64 exec, exec, s[28:29]
.LBB36_2977:                            ;   in Loop: Header=BB36_2338 Depth=3
	s_or_b64 exec, exec, s[26:27]
	v_lshlrev_b32_e32 v8, 11, v18
	scratch_load_dwordx2 v[18:19], off, s33 offset:336 ; 8-byte Folded Reload
	v_cmp_ne_u32_e32 vcc, v2, v8
	s_and_b64 s[22:23], exec, vcc
	s_mov_b64 exec, s[22:23]
	s_cbranch_execz .LBB36_2981
; %bb.2978:                             ;   in Loop: Header=BB36_2338 Depth=3
	v_lshlrev_b32_e32 v9, 6, v16
	v_sub_u32_e32 v9, v15, v9
	v_lshlrev_b32_e32 v10, 6, v17
	v_sub_u32_e32 v9, v9, v10
	v_ashrrev_i32_e32 v10, 31, v9
	v_lshrrev_b32_e32 v10, 26, v10
	v_add_u32_e32 v10, v9, v10
	v_and_b32_e32 v11, 0x7fffffc0, v10
	v_sub_u32_e32 v9, v9, v11
	v_lshlrev_b32_e32 v10, 1, v10
	v_and_b32_e32 v10, 0xffffff80, v10
	v_lshlrev_b32_e32 v9, 1, v9
	v_add3_u32 v8, v10, v9, v8
	v_sub_u32_e32 v2, v2, v8
	v_cmp_lt_i32_e32 vcc, 1, v2
	s_and_b64 exec, exec, vcc
	s_cbranch_execz .LBB36_2981
; %bb.2979:                             ;   in Loop: Header=BB36_2338 Depth=3
	s_and_b32 s74, s71, 1
	v_add_u32_e32 v8, v8, v14
	s_cmp_eq_u64 s[74:75], 0
	v_ashrrev_i32_e32 v9, 31, v8
	s_mov_b64 s[26:27], 0
	s_cselect_b64 vcc, -1, 0
.LBB36_2980:                            ;   Parent Loop BB36_47 Depth=1
                                        ;     Parent Loop BB36_2335 Depth=2
                                        ;       Parent Loop BB36_2338 Depth=3
                                        ; =>      This Inner Loop Header: Depth=4
	v_lshl_add_u64 v[10:11], v[0:1], 0, v[8:9]
	flat_load_ushort v12, v[8:9] nt
	flat_load_ushort v13, v[10:11] nt
	s_waitcnt vmcnt(0)
	v_sub_u32_e32 v2, v2, v18
	v_cmp_gt_i32_e64 s[22:23], 2, v2
	s_or_b64 s[26:27], s[22:23], s[26:27]
	v_lshl_add_u64 v[10:11], v[118:119], 0, v[8:9]
	v_lshl_add_u64 v[8:9], v[8:9], 0, v[18:19]
	s_waitcnt lgkmcnt(0)
	v_lshlrev_b32_e32 v12, 16, v12
	v_lshlrev_b32_e32 v13, 16, v13
	v_max_f32_e32 v12, v12, v12
	v_max_f32_e32 v13, v13, v13
	v_min_f32_e32 v14, v13, v12
	v_max_f32_e32 v12, v13, v12
	v_cndmask_b32_e32 v12, v12, v14, vcc
	v_and_b32_e32 v13, 0x7f800000, v12
	v_bfe_u32 v14, v12, 16, 1
	v_or_b32_e32 v15, 0x10000, v12
	v_cmp_eq_u32_sdwa s[22:23], v12, v3 src0_sel:WORD_0 src1_sel:DWORD
	v_add3_u32 v14, v12, v14, s8
	s_nop 0
	v_cndmask_b32_e64 v12, v15, v12, s[22:23]
	v_cmp_eq_u32_e64 s[22:23], s35, v13
	s_nop 1
	v_cndmask_b32_e64 v12, v14, v12, s[22:23]
	flat_store_short_d16_hi v[10:11], v12 nt
	s_andn2_b64 exec, exec, s[26:27]
	s_cbranch_execnz .LBB36_2980
.LBB36_2981:                            ;   in Loop: Header=BB36_2338 Depth=3
	s_or_b64 exec, exec, s[24:25]
	v_cmp_lt_i32_e64 s[22:23], 0, v7
	s_and_saveexec_b64 s[24:25], s[4:5]
	s_cbranch_execz .LBB36_2414
.LBB36_2982:                            ;   in Loop: Header=BB36_2338 Depth=3
	s_and_saveexec_b64 s[26:27], s[76:77]
	s_xor_b64 s[26:27], exec, s[26:27]
	s_cbranch_execz .LBB36_2997
; %bb.2983:                             ;   in Loop: Header=BB36_2338 Depth=3
	s_and_saveexec_b64 s[28:29], s[12:13]
	s_cbranch_execz .LBB36_2996
; %bb.2984:                             ;   in Loop: Header=BB36_2338 Depth=3
	s_mov_b64 s[42:43], exec
	v_mbcnt_lo_u32_b32 v0, s42, 0
	v_mbcnt_hi_u32_b32 v0, s43, v0
	v_cmp_eq_u32_e32 vcc, 0, v0
	s_waitcnt lgkmcnt(0)
	s_and_saveexec_b64 s[40:41], vcc
	s_cbranch_execz .LBB36_2986
; %bb.2985:                             ;   in Loop: Header=BB36_2338 Depth=3
	s_bcnt1_i32_b64 s42, s[42:43]
	v_mov_b32_e32 v2, s42
	ds_add_u64 v0, v[2:3]
	s_trap 2
.LBB36_2986:                            ;   in Loop: Header=BB36_2338 Depth=3
	s_or_b64 exec, exec, s[40:41]
	s_trap 2
	ds_read_b64 v[0:1], v0
	s_waitcnt lgkmcnt(0)
	v_lshl_add_u64 v[56:57], v[56:57], 0, v[60:61]
	v_cmp_lt_u64_e32 vcc, v[0:1], v[56:57]
	s_and_saveexec_b64 s[40:41], vcc
	s_cbranch_execz .LBB36_2995
; %bb.2987:                             ;   in Loop: Header=BB36_2338 Depth=3
	s_mov_b32 s74, 0
	s_mov_b64 s[42:43], 0
                                        ; implicit-def: $sgpr44_sgpr45
                                        ; implicit-def: $sgpr46_sgpr47
	s_branch .LBB36_2989
.LBB36_2988:                            ;   in Loop: Header=BB36_2989 Depth=4
	s_or_b64 exec, exec, s[58:59]
	s_and_b64 s[56:57], exec, vcc
	s_or_b64 s[42:43], s[56:57], s[42:43]
	s_andn2_b64 s[44:45], s[44:45], exec
	s_and_b64 s[56:57], s[46:47], exec
	s_or_b64 s[44:45], s[44:45], s[56:57]
	s_andn2_b64 exec, exec, s[42:43]
	s_cbranch_execz .LBB36_2993
.LBB36_2989:                            ;   Parent Loop BB36_47 Depth=1
                                        ;     Parent Loop BB36_2335 Depth=2
                                        ;       Parent Loop BB36_2338 Depth=3
                                        ; =>      This Inner Loop Header: Depth=4
	s_add_i32 s74, s74, 1
	s_cmpk_lg_i32 s74, 0x2710
	s_cselect_b64 s[56:57], -1, 0
	s_and_b64 vcc, exec, s[56:57]
	s_cbranch_vccz .LBB36_2991
; %bb.2990:                             ;   in Loop: Header=BB36_2989 Depth=4
	s_mov_b64 vcc, -1
	s_or_b64 s[46:47], s[46:47], exec
	s_and_saveexec_b64 s[58:59], s[56:57]
	s_cbranch_execz .LBB36_2988
	s_branch .LBB36_2992
.LBB36_2991:                            ;   in Loop: Header=BB36_2989 Depth=4
	s_trap 2
	ds_read_b64 v[0:1], v0
	s_andn2_b64 s[56:57], s[56:57], exec
	s_mov_b32 s74, 0
	s_waitcnt vmcnt(0) lgkmcnt(0)
	flat_load_dword v0, v[0:1] sc0 sc1
	s_waitcnt vmcnt(0) lgkmcnt(0)
	buffer_inv sc0 sc1
	v_cmp_eq_u32_e32 vcc, 0, v0
	s_and_b64 s[58:59], vcc, exec
	s_or_b64 s[56:57], s[56:57], s[58:59]
	s_mov_b64 vcc, -1
	s_or_b64 s[46:47], s[46:47], exec
	s_and_saveexec_b64 s[58:59], s[56:57]
	s_cbranch_execz .LBB36_2988
.LBB36_2992:                            ;   in Loop: Header=BB36_2989 Depth=4
	s_sleep 1
	s_trap 2
	ds_read_b64 v[0:1], v0
	s_waitcnt lgkmcnt(0)
	s_andn2_b64 s[46:47], s[46:47], exec
	v_cmp_ge_u64_e32 vcc, v[0:1], v[56:57]
	s_orn2_b64 vcc, vcc, exec
	s_branch .LBB36_2988
.LBB36_2993:                            ;   in Loop: Header=BB36_2338 Depth=3
	s_or_b64 exec, exec, s[42:43]
	s_and_saveexec_b64 s[42:43], s[44:45]
	s_xor_b64 s[42:43], exec, s[42:43]
	s_cbranch_execz .LBB36_2995
; %bb.2994:                             ;   in Loop: Header=BB36_2338 Depth=3
	v_mov_b32_e32 v0, 1
	ds_write_b32 v0, v0
	s_trap 2
.LBB36_2995:                            ;   in Loop: Header=BB36_2338 Depth=3
	s_or_b64 exec, exec, s[40:41]
	;;#ASMSTART
	s_wakeup
	;;#ASMEND
.LBB36_2996:                            ;   in Loop: Header=BB36_2338 Depth=3
	s_or_b64 exec, exec, s[28:29]
.LBB36_2997:                            ;   in Loop: Header=BB36_2338 Depth=3
	s_andn2_saveexec_b64 s[26:27], s[26:27]
	s_cbranch_execz .LBB36_2999
; %bb.2998:                             ;   in Loop: Header=BB36_2338 Depth=3
	s_waitcnt lgkmcnt(0)
	s_barrier
.LBB36_2999:                            ;   in Loop: Header=BB36_2338 Depth=3
	s_or_b64 exec, exec, s[26:27]
	s_or_b64 exec, exec, s[24:25]
                                        ; implicit-def: $vgpr0
	s_and_saveexec_b64 s[24:25], s[20:21]
	s_xor_b64 s[24:25], exec, s[24:25]
	s_cbranch_execnz .LBB36_2415
.LBB36_3000:                            ;   in Loop: Header=BB36_2338 Depth=3
	s_andn2_saveexec_b64 s[22:23], s[24:25]
	s_cbranch_execz .LBB36_3019
.LBB36_3001:                            ;   in Loop: Header=BB36_2338 Depth=3
	s_and_saveexec_b64 s[24:25], s[76:77]
	s_xor_b64 s[24:25], exec, s[24:25]
	s_cbranch_execz .LBB36_3016
; %bb.3002:                             ;   in Loop: Header=BB36_2338 Depth=3
	s_and_saveexec_b64 s[26:27], s[12:13]
	s_cbranch_execz .LBB36_3015
; %bb.3003:                             ;   in Loop: Header=BB36_2338 Depth=3
	s_mov_b64 s[40:41], exec
	v_mbcnt_lo_u32_b32 v0, s40, 0
	v_mbcnt_hi_u32_b32 v0, s41, v0
	v_cmp_eq_u32_e32 vcc, 0, v0
	;;#ASMSTART
	s_waitcnt lgkmcnt(0) vmcnt(0)
	;;#ASMEND
	s_and_saveexec_b64 s[28:29], vcc
	s_cbranch_execz .LBB36_3005
; %bb.3004:                             ;   in Loop: Header=BB36_2338 Depth=3
	s_bcnt1_i32_b64 s40, s[40:41]
	v_mov_b32_e32 v2, s40
	s_waitcnt lgkmcnt(0)
	ds_add_u64 v0, v[2:3]
	s_trap 2
.LBB36_3005:                            ;   in Loop: Header=BB36_2338 Depth=3
	s_or_b64 exec, exec, s[28:29]
	s_trap 2
	ds_read_b64 v[0:1], v0
	s_waitcnt lgkmcnt(0)
	v_lshl_add_u64 v[56:57], v[56:57], 0, v[60:61]
	v_cmp_lt_u64_e32 vcc, v[0:1], v[56:57]
	s_and_saveexec_b64 s[28:29], vcc
	s_cbranch_execz .LBB36_3014
; %bb.3006:                             ;   in Loop: Header=BB36_2338 Depth=3
	s_mov_b32 s74, 0
	s_mov_b64 s[40:41], 0
                                        ; implicit-def: $sgpr42_sgpr43
                                        ; implicit-def: $sgpr44_sgpr45
	s_branch .LBB36_3008
.LBB36_3007:                            ;   in Loop: Header=BB36_3008 Depth=4
	s_or_b64 exec, exec, s[56:57]
	s_and_b64 s[46:47], exec, s[58:59]
	s_or_b64 s[40:41], s[46:47], s[40:41]
	s_andn2_b64 s[42:43], s[42:43], exec
	s_and_b64 s[46:47], s[44:45], exec
	s_or_b64 s[42:43], s[42:43], s[46:47]
	s_andn2_b64 exec, exec, s[40:41]
	s_cbranch_execz .LBB36_3012
.LBB36_3008:                            ;   Parent Loop BB36_47 Depth=1
                                        ;     Parent Loop BB36_2335 Depth=2
                                        ;       Parent Loop BB36_2338 Depth=3
                                        ; =>      This Inner Loop Header: Depth=4
	s_add_i32 s74, s74, 1
	s_cmpk_lg_i32 s74, 0x2710
	s_cselect_b64 s[46:47], -1, 0
	s_and_b64 vcc, exec, s[46:47]
	s_cbranch_vccz .LBB36_3010
; %bb.3009:                             ;   in Loop: Header=BB36_3008 Depth=4
	s_mov_b64 s[58:59], -1
	s_or_b64 s[44:45], s[44:45], exec
	s_and_saveexec_b64 s[56:57], s[46:47]
	s_cbranch_execz .LBB36_3007
	s_branch .LBB36_3011
.LBB36_3010:                            ;   in Loop: Header=BB36_3008 Depth=4
	s_trap 2
	ds_read_b64 v[0:1], v0
	s_andn2_b64 s[46:47], s[46:47], exec
	s_mov_b32 s74, 0
	s_waitcnt vmcnt(0) lgkmcnt(0)
	flat_load_dword v0, v[0:1] sc0 sc1
	s_waitcnt vmcnt(0) lgkmcnt(0)
	buffer_inv sc0 sc1
	v_cmp_eq_u32_e32 vcc, 0, v0
	s_and_b64 s[56:57], vcc, exec
	s_or_b64 s[46:47], s[46:47], s[56:57]
	s_mov_b64 s[58:59], -1
	s_or_b64 s[44:45], s[44:45], exec
	s_and_saveexec_b64 s[56:57], s[46:47]
	s_cbranch_execz .LBB36_3007
.LBB36_3011:                            ;   in Loop: Header=BB36_3008 Depth=4
	s_sleep 1
	s_trap 2
	ds_read_b64 v[0:1], v0
	s_waitcnt lgkmcnt(0)
	s_andn2_b64 s[44:45], s[44:45], exec
	v_cmp_ge_u64_e32 vcc, v[0:1], v[56:57]
	s_orn2_b64 s[58:59], vcc, exec
	s_branch .LBB36_3007
.LBB36_3012:                            ;   in Loop: Header=BB36_2338 Depth=3
	s_or_b64 exec, exec, s[40:41]
	s_and_saveexec_b64 s[40:41], s[42:43]
	s_xor_b64 s[40:41], exec, s[40:41]
	s_cbranch_execz .LBB36_3014
; %bb.3013:                             ;   in Loop: Header=BB36_2338 Depth=3
	v_mov_b32_e32 v0, 1
	ds_write_b32 v0, v0
	s_trap 2
.LBB36_3014:                            ;   in Loop: Header=BB36_2338 Depth=3
	s_or_b64 exec, exec, s[28:29]
	;;#ASMSTART
	s_wakeup
	;;#ASMEND
.LBB36_3015:                            ;   in Loop: Header=BB36_2338 Depth=3
	s_or_b64 exec, exec, s[26:27]
.LBB36_3016:                            ;   in Loop: Header=BB36_2338 Depth=3
	s_andn2_saveexec_b64 s[24:25], s[24:25]
	s_cbranch_execz .LBB36_3018
; %bb.3017:                             ;   in Loop: Header=BB36_2338 Depth=3
	;;#ASMSTART
	s_waitcnt lgkmcnt(0) vmcnt(0)
	;;#ASMEND
	s_barrier
.LBB36_3018:                            ;   in Loop: Header=BB36_2338 Depth=3
	s_or_b64 exec, exec, s[24:25]
	v_and_b32_e32 v0, 16, v79
.LBB36_3019:                            ;   in Loop: Header=BB36_2338 Depth=3
	s_or_b64 exec, exec, s[22:23]
	v_cmp_ne_u32_e32 vcc, 0, v0
	s_xor_b64 s[22:23], s[6:7], -1
	s_and_b64 s[24:25], vcc, s[22:23]
	s_and_saveexec_b64 s[22:23], s[24:25]
	s_cbranch_execz .LBB36_3021
; %bb.3020:                             ;   in Loop: Header=BB36_2338 Depth=3
	scratch_load_dwordx2 v[0:1], off, s33 offset:296 ; 8-byte Folded Reload
	v_mov_b32_e32 v2, 1
	s_waitcnt vmcnt(0)
	flat_store_dword v[0:1], v2 sc0 sc1
.LBB36_3021:                            ;   in Loop: Header=BB36_2338 Depth=3
	s_or_b64 exec, exec, s[22:23]
	v_and_b32_e32 v0, 48, v79
	v_cmp_ne_u32_e32 vcc, 0, v0
	s_and_saveexec_b64 s[22:23], vcc
	s_cbranch_execz .LBB36_2337
; %bb.3022:                             ;   in Loop: Header=BB36_2338 Depth=3
	v_lshl_add_u64 v[4:5], v[4:5], 0, 2
	flat_store_dwordx2 v[40:41], v[4:5] sc0 sc1
	s_branch .LBB36_2337
.LBB36_3023:                            ;   in Loop: Header=BB36_2335 Depth=2
	s_or_b64 exec, exec, s[52:53]
.LBB36_3024:                            ;   in Loop: Header=BB36_2335 Depth=2
	s_or_b64 exec, exec, s[60:61]
	v_cmp_gt_i32_e32 vcc, 2, v2
	s_and_saveexec_b64 s[24:25], vcc
	s_cbranch_execz .LBB36_3100
; %bb.3025:                             ;   in Loop: Header=BB36_2335 Depth=2
	v_cmp_eq_u32_e64 s[28:29], 0, v2
	s_mov_b64 s[26:27], 0
	s_branch .LBB36_3027
.LBB36_3026:                            ;   in Loop: Header=BB36_3027 Depth=3
	s_or_b64 exec, exec, s[22:23]
	v_add_u32_e32 v72, v58, v72
	s_mov_b64 s[28:29], 0
	s_andn2_b64 exec, exec, s[26:27]
	s_cbranch_execz .LBB36_3099
.LBB36_3027:                            ;   Parent Loop BB36_47 Depth=1
                                        ;     Parent Loop BB36_2335 Depth=2
                                        ; =>    This Loop Header: Depth=3
                                        ;         Child Loop BB36_3033 Depth 4
                                        ;         Child Loop BB36_3061 Depth 4
	;; [unrolled: 1-line block ×3, first 2 shown]
	v_sub_u32_e32 v0, v6, v72
	v_min_i32_e32 v58, v58, v0
	v_and_b32_e32 v0, 12, v79
	v_cmp_ne_u32_e32 vcc, 0, v0
	s_and_saveexec_b64 s[40:41], vcc
	s_cbranch_execz .LBB36_3053
; %bb.3028:                             ;   in Loop: Header=BB36_3027 Depth=3
	v_and_b32_e32 v2, 8, v79
	s_waitcnt lgkmcnt(0)
	v_lshl_add_u64 v[8:9], v[46:47], 0, v[2:3]
	v_lshl_add_u64 v[0:1], v[4:5], 0, 2
	v_cmp_lt_u64_e32 vcc, v[8:9], v[0:1]
	s_and_saveexec_b64 s[42:43], vcc
	s_cbranch_execz .LBB36_3040
; %bb.3029:                             ;   in Loop: Header=BB36_3027 Depth=3
	v_and_b32_e32 v5, 64, v79
	s_mov_b32 s73, 0
	v_cmp_eq_u32_e32 vcc, 0, v5
	s_mov_b64 s[44:45], 0
                                        ; implicit-def: $sgpr46_sgpr47
                                        ; implicit-def: $sgpr56_sgpr57
                                        ; implicit-def: $sgpr58_sgpr59
	s_branch .LBB36_3033
.LBB36_3030:                            ;   in Loop: Header=BB36_3033 Depth=4
	s_waitcnt vmcnt(0) lgkmcnt(0)
	v_lshl_add_u64 v[8:9], v[46:47], 0, v[2:3]
	v_cmp_ge_u64_e64 s[22:23], v[8:9], v[0:1]
	s_or_b64 s[54:55], s[54:55], exec
	s_orn2_b64 s[52:53], s[22:23], exec
.LBB36_3031:                            ;   in Loop: Header=BB36_3033 Depth=4
	s_or_b64 exec, exec, s[66:67]
	s_andn2_b64 s[22:23], s[58:59], exec
	s_and_b64 s[58:59], s[54:55], exec
	s_or_b64 s[58:59], s[22:23], s[58:59]
	s_andn2_b64 s[22:23], s[56:57], exec
	s_and_b64 s[56:57], s[52:53], exec
	s_or_b64 s[56:57], s[22:23], s[56:57]
.LBB36_3032:                            ;   in Loop: Header=BB36_3033 Depth=4
	s_or_b64 exec, exec, s[60:61]
	s_and_b64 s[22:23], exec, s[56:57]
	s_or_b64 s[44:45], s[22:23], s[44:45]
	s_andn2_b64 s[22:23], s[46:47], exec
	s_and_b64 s[46:47], s[58:59], exec
	s_or_b64 s[46:47], s[22:23], s[46:47]
	s_andn2_b64 exec, exec, s[44:45]
	s_cbranch_execz .LBB36_3037
.LBB36_3033:                            ;   Parent Loop BB36_47 Depth=1
                                        ;     Parent Loop BB36_2335 Depth=2
                                        ;       Parent Loop BB36_3027 Depth=3
                                        ; =>      This Inner Loop Header: Depth=4
	s_sleep 1
	s_waitcnt vmcnt(0) lgkmcnt(0)
	flat_load_dwordx2 v[46:47], v[40:41] sc0 sc1
	s_or_b64 s[58:59], s[58:59], exec
	s_or_b64 s[56:57], s[56:57], exec
                                        ; implicit-def: $vgpr5
	s_and_saveexec_b64 s[60:61], vcc
	s_cbranch_execz .LBB36_3032
; %bb.3034:                             ;   in Loop: Header=BB36_3033 Depth=4
	s_cmpk_lt_i32 s73, 0x270f
	s_cselect_b64 s[64:65], -1, 0
	s_cmpk_gt_i32 s73, 0x270e
	s_mov_b64 s[52:53], -1
	s_cbranch_scc0 .LBB36_3036
; %bb.3035:                             ;   in Loop: Header=BB36_3033 Depth=4
	s_trap 2
	ds_read_b64 v[8:9], v0
	s_andn2_b64 s[64:65], s[64:65], exec
	s_mov_b32 s73, 0
	s_mov_b64 s[54:55], 0
	s_waitcnt vmcnt(0) lgkmcnt(0)
	flat_load_dword v5, v[8:9] sc0 sc1
	s_waitcnt vmcnt(0) lgkmcnt(0)
	buffer_inv sc0 sc1
	v_cmp_eq_u32_e64 s[22:23], 0, v5
	s_and_b64 s[22:23], s[22:23], exec
	s_or_b64 s[64:65], s[64:65], s[22:23]
	s_and_saveexec_b64 s[66:67], s[64:65]
	s_cbranch_execz .LBB36_3031
	s_branch .LBB36_3030
.LBB36_3036:                            ;   in Loop: Header=BB36_3033 Depth=4
	s_add_i32 s73, s73, 1
	s_mov_b64 s[54:55], -1
                                        ; implicit-def: $vgpr5
	s_and_saveexec_b64 s[66:67], s[64:65]
	s_cbranch_execz .LBB36_3031
	s_branch .LBB36_3030
.LBB36_3037:                            ;   in Loop: Header=BB36_3027 Depth=3
	s_or_b64 exec, exec, s[44:45]
	s_xor_b64 s[22:23], s[46:47], -1
	s_and_saveexec_b64 s[44:45], s[22:23]
	s_xor_b64 s[22:23], exec, s[44:45]
	s_cbranch_execz .LBB36_3039
; %bb.3038:                             ;   in Loop: Header=BB36_3027 Depth=3
	v_or_b32_e32 v79, 64, v79
	s_waitcnt lgkmcnt(0)
	ds_write_b32 v0, v5
	s_trap 2
.LBB36_3039:                            ;   in Loop: Header=BB36_3027 Depth=3
	s_or_b64 exec, exec, s[22:23]
.LBB36_3040:                            ;   in Loop: Header=BB36_3027 Depth=3
	s_or_b64 exec, exec, s[42:43]
	v_and_b32_e32 v5, 0x108, v79
	v_cmp_ne_u32_e32 vcc, s34, v5
	;;#ASMSTART
	s_wakeup
	;;#ASMEND
                                        ; implicit-def: $vgpr8_vgpr9
	s_and_saveexec_b64 s[22:23], vcc
	s_xor_b64 s[22:23], exec, s[22:23]
; %bb.3041:                             ;   in Loop: Header=BB36_3027 Depth=3
	v_and_b32_e32 v8, 7, v4
	v_mov_b32_e32 v9, v3
                                        ; implicit-def: $vgpr4_vgpr5
; %bb.3042:                             ;   in Loop: Header=BB36_3027 Depth=3
	s_andn2_saveexec_b64 s[22:23], s[22:23]
	s_cbranch_execz .LBB36_3044
; %bb.3043:                             ;   in Loop: Header=BB36_3027 Depth=3
	scratch_load_dwordx4 v[10:13], off, s33 offset:280 ; 16-byte Folded Reload
	v_and_b32_e32 v8, 7, v4
	v_ashrrev_i32_e32 v59, 31, v58
	v_mov_b32_e32 v9, v3
	s_waitcnt vmcnt(0)
	v_mad_u64_u32 v[4:5], s[42:43], v8, 24, v[10:11]
	v_lshlrev_b64 v[10:11], 1, v[58:59]
	v_mov_b32_e32 v59, v31
	flat_store_dwordx2 v[4:5], v[10:11] offset:8
.LBB36_3044:                            ;   in Loop: Header=BB36_3027 Depth=3
	s_or_b64 exec, exec, s[22:23]
	v_and_b32_e32 v4, 0x100, v79
	v_cmp_ne_u32_e32 vcc, 0, v4
	s_mov_b64 s[22:23], -1
                                        ; implicit-def: $vgpr4_vgpr5
	s_and_saveexec_b64 s[42:43], vcc
	s_cbranch_execz .LBB36_3048
; %bb.3045:                             ;   in Loop: Header=BB36_3027 Depth=3
	scratch_load_dwordx4 v[10:13], off, s33 offset:280 ; 16-byte Folded Reload
	s_waitcnt vmcnt(0)
	v_mad_u64_u32 v[10:11], s[22:23], v8, 24, v[10:11]
	v_mov_b32_e32 v4, v11
	v_mad_u64_u32 v[4:5], s[22:23], v9, 24, v[4:5]
	v_mov_b32_e32 v11, v4
	flat_load_dword v4, v[10:11]
	s_waitcnt vmcnt(0) lgkmcnt(0)
	v_cmp_ne_u32_e32 vcc, 1, v4
	v_cmp_eq_u32_e64 s[22:23], 1, v4
                                        ; implicit-def: $vgpr4_vgpr5
	s_and_saveexec_b64 s[44:45], s[22:23]
	s_cbranch_execz .LBB36_3047
; %bb.3046:                             ;   in Loop: Header=BB36_3027 Depth=3
	flat_load_dword v4, v[10:11] offset:4 sc0 sc1
	s_waitcnt vmcnt(0) lgkmcnt(0)
	v_ashrrev_i32_e32 v5, 31, v4
	v_lshrrev_b64 v[4:5], 1, v[4:5]
.LBB36_3047:                            ;   in Loop: Header=BB36_3027 Depth=3
	s_or_b64 exec, exec, s[44:45]
	s_orn2_b64 s[22:23], vcc, exec
.LBB36_3048:                            ;   in Loop: Header=BB36_3027 Depth=3
	s_or_b64 exec, exec, s[42:43]
	s_and_saveexec_b64 s[42:43], s[22:23]
	s_cbranch_execz .LBB36_3050
; %bb.3049:                             ;   in Loop: Header=BB36_3027 Depth=3
	scratch_load_dwordx2 v[4:5], off, s33 offset:348 ; 8-byte Folded Reload
	scratch_load_dwordx2 v[10:11], off, s33 offset:372 ; 8-byte Folded Reload
	s_waitcnt vmcnt(0)
	v_mul_lo_u32 v7, v9, v4
	v_mul_lo_u32 v9, v8, v11
	v_mad_u64_u32 v[4:5], s[22:23], v8, v4, 0
	v_add3_u32 v5, v5, v9, v7
.LBB36_3050:                            ;   in Loop: Header=BB36_3027 Depth=3
	s_or_b64 exec, exec, s[42:43]
	scratch_load_dwordx2 v[8:9], off, s33 offset:264 ; 8-byte Folded Reload
	v_cmp_eq_u32_e32 vcc, 0, v2
	v_mov_b32_e32 v2, 0xd0
	v_mov_b32_e32 v7, 0x88
	v_cndmask_b32_e32 v2, v2, v7, vcc
	v_add_u32_e32 v2, v0, v2
	s_waitcnt vmcnt(0)
	v_lshl_add_u64 v[4:5], v[4:5], 1, v[8:9]
	ds_write_b64 v2, v[4:5] offset:584
	v_and_b32_e32 v2, 0x2000, v79
	v_cmp_ne_u32_e32 vcc, 0, v2
	s_and_saveexec_b64 s[22:23], vcc
	s_cbranch_execz .LBB36_3052
; %bb.3051:                             ;   in Loop: Header=BB36_3027 Depth=3
	ds_read_b64 v[4:5], v0 offset:872
	s_waitcnt lgkmcnt(0)
	v_lshl_add_u64 v[4:5], v[4:5], 0, 1
	ds_write_b64 v0, v[4:5] offset:872
.LBB36_3052:                            ;   in Loop: Header=BB36_3027 Depth=3
	s_or_b64 exec, exec, s[22:23]
	v_mov_b64_e32 v[4:5], v[0:1]
.LBB36_3053:                            ;   in Loop: Header=BB36_3027 Depth=3
	s_or_b64 exec, exec, s[40:41]
	s_xor_b64 s[22:23], s[28:29], -1
	s_and_b64 s[22:23], exec, s[22:23]
	s_or_b64 s[26:27], s[22:23], s[26:27]
	s_and_saveexec_b64 s[22:23], s[4:5]
	s_cbranch_execz .LBB36_3072
; %bb.3054:                             ;   in Loop: Header=BB36_3027 Depth=3
	s_and_saveexec_b64 s[28:29], s[76:77]
	s_xor_b64 s[28:29], exec, s[28:29]
	s_cbranch_execz .LBB36_3069
; %bb.3055:                             ;   in Loop: Header=BB36_3027 Depth=3
	s_and_saveexec_b64 s[40:41], s[12:13]
	s_cbranch_execz .LBB36_3068
; %bb.3056:                             ;   in Loop: Header=BB36_3027 Depth=3
	s_mov_b64 s[44:45], exec
	v_mbcnt_lo_u32_b32 v0, s44, 0
	v_mbcnt_hi_u32_b32 v0, s45, v0
	v_cmp_eq_u32_e32 vcc, 0, v0
	s_waitcnt lgkmcnt(0)
	s_and_saveexec_b64 s[42:43], vcc
	s_cbranch_execz .LBB36_3058
; %bb.3057:                             ;   in Loop: Header=BB36_3027 Depth=3
	s_bcnt1_i32_b64 s44, s[44:45]
	v_mov_b32_e32 v2, s44
	ds_add_u64 v0, v[2:3]
	s_trap 2
.LBB36_3058:                            ;   in Loop: Header=BB36_3027 Depth=3
	s_or_b64 exec, exec, s[42:43]
	s_trap 2
	ds_read_b64 v[0:1], v0
	s_waitcnt lgkmcnt(0)
	v_lshl_add_u64 v[56:57], v[56:57], 0, v[60:61]
	v_cmp_lt_u64_e32 vcc, v[0:1], v[56:57]
	s_and_saveexec_b64 s[42:43], vcc
	s_cbranch_execz .LBB36_3067
; %bb.3059:                             ;   in Loop: Header=BB36_3027 Depth=3
	s_mov_b32 s73, 0
	s_mov_b64 s[44:45], 0
                                        ; implicit-def: $sgpr46_sgpr47
                                        ; implicit-def: $sgpr56_sgpr57
	s_branch .LBB36_3061
.LBB36_3060:                            ;   in Loop: Header=BB36_3061 Depth=4
	s_or_b64 exec, exec, s[60:61]
	s_and_b64 s[58:59], exec, vcc
	s_or_b64 s[44:45], s[58:59], s[44:45]
	s_andn2_b64 s[46:47], s[46:47], exec
	s_and_b64 s[58:59], s[56:57], exec
	s_or_b64 s[46:47], s[46:47], s[58:59]
	s_andn2_b64 exec, exec, s[44:45]
	s_cbranch_execz .LBB36_3065
.LBB36_3061:                            ;   Parent Loop BB36_47 Depth=1
                                        ;     Parent Loop BB36_2335 Depth=2
                                        ;       Parent Loop BB36_3027 Depth=3
                                        ; =>      This Inner Loop Header: Depth=4
	s_add_i32 s73, s73, 1
	s_cmpk_lg_i32 s73, 0x2710
	s_cselect_b64 s[58:59], -1, 0
	s_and_b64 vcc, exec, s[58:59]
	s_cbranch_vccz .LBB36_3063
; %bb.3062:                             ;   in Loop: Header=BB36_3061 Depth=4
	s_mov_b64 vcc, -1
	s_or_b64 s[56:57], s[56:57], exec
	s_and_saveexec_b64 s[60:61], s[58:59]
	s_cbranch_execz .LBB36_3060
	s_branch .LBB36_3064
.LBB36_3063:                            ;   in Loop: Header=BB36_3061 Depth=4
	s_trap 2
	ds_read_b64 v[0:1], v0
	s_andn2_b64 s[58:59], s[58:59], exec
	s_mov_b32 s73, 0
	s_waitcnt vmcnt(0) lgkmcnt(0)
	flat_load_dword v0, v[0:1] sc0 sc1
	s_waitcnt vmcnt(0) lgkmcnt(0)
	buffer_inv sc0 sc1
	v_cmp_eq_u32_e32 vcc, 0, v0
	s_and_b64 s[60:61], vcc, exec
	s_or_b64 s[58:59], s[58:59], s[60:61]
	s_mov_b64 vcc, -1
	s_or_b64 s[56:57], s[56:57], exec
	s_and_saveexec_b64 s[60:61], s[58:59]
	s_cbranch_execz .LBB36_3060
.LBB36_3064:                            ;   in Loop: Header=BB36_3061 Depth=4
	s_sleep 1
	s_trap 2
	ds_read_b64 v[0:1], v0
	s_waitcnt lgkmcnt(0)
	s_andn2_b64 s[56:57], s[56:57], exec
	v_cmp_ge_u64_e32 vcc, v[0:1], v[56:57]
	s_orn2_b64 vcc, vcc, exec
	s_branch .LBB36_3060
.LBB36_3065:                            ;   in Loop: Header=BB36_3027 Depth=3
	s_or_b64 exec, exec, s[44:45]
	s_and_saveexec_b64 s[44:45], s[46:47]
	s_xor_b64 s[44:45], exec, s[44:45]
	s_cbranch_execz .LBB36_3067
; %bb.3066:                             ;   in Loop: Header=BB36_3027 Depth=3
	v_mov_b32_e32 v0, 1
	ds_write_b32 v0, v0
	s_trap 2
.LBB36_3067:                            ;   in Loop: Header=BB36_3027 Depth=3
	s_or_b64 exec, exec, s[42:43]
	;;#ASMSTART
	s_wakeup
	;;#ASMEND
.LBB36_3068:                            ;   in Loop: Header=BB36_3027 Depth=3
	s_or_b64 exec, exec, s[40:41]
.LBB36_3069:                            ;   in Loop: Header=BB36_3027 Depth=3
	s_andn2_saveexec_b64 s[28:29], s[28:29]
	s_cbranch_execz .LBB36_3071
; %bb.3070:                             ;   in Loop: Header=BB36_3027 Depth=3
	s_waitcnt lgkmcnt(0)
	s_barrier
.LBB36_3071:                            ;   in Loop: Header=BB36_3027 Depth=3
	s_or_b64 exec, exec, s[28:29]
.LBB36_3072:                            ;   in Loop: Header=BB36_3027 Depth=3
	s_or_b64 exec, exec, s[22:23]
                                        ; implicit-def: $vgpr0
	s_and_saveexec_b64 s[22:23], s[20:21]
	s_xor_b64 s[22:23], exec, s[22:23]
	s_cbranch_execz .LBB36_3076
; %bb.3073:                             ;   in Loop: Header=BB36_3027 Depth=3
	s_trap 2
	ds_read_b32 v1, v0
	v_cmp_lt_i32_e32 vcc, 0, v58
	v_and_b32_e32 v2, 16, v79
	v_and_b32_e32 v0, 16, v79
	s_waitcnt lgkmcnt(0)
	v_readfirstlane_b32 s28, v1
	s_cmp_eq_u32 s28, 0
	s_cselect_b64 s[28:29], -1, 0
	s_and_b64 s[28:29], vcc, s[28:29]
	v_cmp_ne_u32_e32 vcc, 0, v2
	s_and_b64 s[40:41], vcc, s[28:29]
	s_and_saveexec_b64 s[28:29], s[40:41]
	s_cbranch_execz .LBB36_3075
; %bb.3074:                             ;   in Loop: Header=BB36_3027 Depth=3
	v_mov_b32_e32 v0, 1
	buffer_wbl2 sc1
	s_waitcnt vmcnt(0)
	buffer_inv sc1
.LBB36_3075:                            ;   in Loop: Header=BB36_3027 Depth=3
	s_or_b64 exec, exec, s[28:29]
	s_andn2_saveexec_b64 s[22:23], s[22:23]
	s_cbranch_execz .LBB36_3095
	s_branch .LBB36_3077
.LBB36_3076:                            ;   in Loop: Header=BB36_3027 Depth=3
	s_andn2_saveexec_b64 s[22:23], s[22:23]
	s_cbranch_execz .LBB36_3095
.LBB36_3077:                            ;   in Loop: Header=BB36_3027 Depth=3
	s_and_saveexec_b64 s[28:29], s[76:77]
	s_xor_b64 s[28:29], exec, s[28:29]
	s_cbranch_execz .LBB36_3092
; %bb.3078:                             ;   in Loop: Header=BB36_3027 Depth=3
	s_and_saveexec_b64 s[40:41], s[12:13]
	s_cbranch_execz .LBB36_3091
; %bb.3079:                             ;   in Loop: Header=BB36_3027 Depth=3
	s_mov_b64 s[44:45], exec
	v_mbcnt_lo_u32_b32 v0, s44, 0
	v_mbcnt_hi_u32_b32 v0, s45, v0
	v_cmp_eq_u32_e32 vcc, 0, v0
	;;#ASMSTART
	s_waitcnt lgkmcnt(0) vmcnt(0)
	;;#ASMEND
	s_and_saveexec_b64 s[42:43], vcc
	s_cbranch_execz .LBB36_3081
; %bb.3080:                             ;   in Loop: Header=BB36_3027 Depth=3
	s_bcnt1_i32_b64 s44, s[44:45]
	v_mov_b32_e32 v2, s44
	s_waitcnt lgkmcnt(0)
	ds_add_u64 v0, v[2:3]
	s_trap 2
.LBB36_3081:                            ;   in Loop: Header=BB36_3027 Depth=3
	s_or_b64 exec, exec, s[42:43]
	s_trap 2
	ds_read_b64 v[0:1], v0
	s_waitcnt lgkmcnt(0)
	v_lshl_add_u64 v[56:57], v[56:57], 0, v[60:61]
	v_cmp_lt_u64_e32 vcc, v[0:1], v[56:57]
	s_and_saveexec_b64 s[42:43], vcc
	s_cbranch_execz .LBB36_3090
; %bb.3082:                             ;   in Loop: Header=BB36_3027 Depth=3
	s_mov_b32 s73, 0
	s_mov_b64 s[44:45], 0
                                        ; implicit-def: $sgpr46_sgpr47
                                        ; implicit-def: $sgpr56_sgpr57
	s_branch .LBB36_3084
.LBB36_3083:                            ;   in Loop: Header=BB36_3084 Depth=4
	s_or_b64 exec, exec, s[60:61]
	s_and_b64 s[58:59], exec, vcc
	s_or_b64 s[44:45], s[58:59], s[44:45]
	s_andn2_b64 s[46:47], s[46:47], exec
	s_and_b64 s[58:59], s[56:57], exec
	s_or_b64 s[46:47], s[46:47], s[58:59]
	s_andn2_b64 exec, exec, s[44:45]
	s_cbranch_execz .LBB36_3088
.LBB36_3084:                            ;   Parent Loop BB36_47 Depth=1
                                        ;     Parent Loop BB36_2335 Depth=2
                                        ;       Parent Loop BB36_3027 Depth=3
                                        ; =>      This Inner Loop Header: Depth=4
	s_add_i32 s73, s73, 1
	s_cmpk_lg_i32 s73, 0x2710
	s_cselect_b64 s[58:59], -1, 0
	s_and_b64 vcc, exec, s[58:59]
	s_cbranch_vccz .LBB36_3086
; %bb.3085:                             ;   in Loop: Header=BB36_3084 Depth=4
	s_mov_b64 vcc, -1
	s_or_b64 s[56:57], s[56:57], exec
	s_and_saveexec_b64 s[60:61], s[58:59]
	s_cbranch_execz .LBB36_3083
	s_branch .LBB36_3087
.LBB36_3086:                            ;   in Loop: Header=BB36_3084 Depth=4
	s_trap 2
	ds_read_b64 v[0:1], v0
	s_andn2_b64 s[58:59], s[58:59], exec
	s_mov_b32 s73, 0
	s_waitcnt vmcnt(0) lgkmcnt(0)
	flat_load_dword v0, v[0:1] sc0 sc1
	s_waitcnt vmcnt(0) lgkmcnt(0)
	buffer_inv sc0 sc1
	v_cmp_eq_u32_e32 vcc, 0, v0
	s_and_b64 s[60:61], vcc, exec
	s_or_b64 s[58:59], s[58:59], s[60:61]
	s_mov_b64 vcc, -1
	s_or_b64 s[56:57], s[56:57], exec
	s_and_saveexec_b64 s[60:61], s[58:59]
	s_cbranch_execz .LBB36_3083
.LBB36_3087:                            ;   in Loop: Header=BB36_3084 Depth=4
	s_sleep 1
	s_trap 2
	ds_read_b64 v[0:1], v0
	s_waitcnt lgkmcnt(0)
	s_andn2_b64 s[56:57], s[56:57], exec
	v_cmp_ge_u64_e32 vcc, v[0:1], v[56:57]
	s_orn2_b64 vcc, vcc, exec
	s_branch .LBB36_3083
.LBB36_3088:                            ;   in Loop: Header=BB36_3027 Depth=3
	s_or_b64 exec, exec, s[44:45]
	s_and_saveexec_b64 s[44:45], s[46:47]
	s_xor_b64 s[44:45], exec, s[44:45]
	s_cbranch_execz .LBB36_3090
; %bb.3089:                             ;   in Loop: Header=BB36_3027 Depth=3
	v_mov_b32_e32 v0, 1
	ds_write_b32 v0, v0
	s_trap 2
.LBB36_3090:                            ;   in Loop: Header=BB36_3027 Depth=3
	s_or_b64 exec, exec, s[42:43]
	;;#ASMSTART
	s_wakeup
	;;#ASMEND
.LBB36_3091:                            ;   in Loop: Header=BB36_3027 Depth=3
	s_or_b64 exec, exec, s[40:41]
.LBB36_3092:                            ;   in Loop: Header=BB36_3027 Depth=3
	s_andn2_saveexec_b64 s[28:29], s[28:29]
	s_cbranch_execz .LBB36_3094
; %bb.3093:                             ;   in Loop: Header=BB36_3027 Depth=3
	;;#ASMSTART
	s_waitcnt lgkmcnt(0) vmcnt(0)
	;;#ASMEND
	s_barrier
.LBB36_3094:                            ;   in Loop: Header=BB36_3027 Depth=3
	s_or_b64 exec, exec, s[28:29]
	v_and_b32_e32 v0, 16, v79
.LBB36_3095:                            ;   in Loop: Header=BB36_3027 Depth=3
	s_or_b64 exec, exec, s[22:23]
	v_cmp_ne_u32_e32 vcc, 0, v0
	s_xor_b64 s[22:23], s[6:7], -1
	s_and_b64 s[28:29], vcc, s[22:23]
	s_and_saveexec_b64 s[22:23], s[28:29]
	s_cbranch_execz .LBB36_3097
; %bb.3096:                             ;   in Loop: Header=BB36_3027 Depth=3
	scratch_load_dwordx2 v[0:1], off, s33 offset:296 ; 8-byte Folded Reload
	v_mov_b32_e32 v2, 1
	s_waitcnt vmcnt(0)
	flat_store_dword v[0:1], v2 sc0 sc1
.LBB36_3097:                            ;   in Loop: Header=BB36_3027 Depth=3
	s_or_b64 exec, exec, s[22:23]
	v_and_b32_e32 v0, 48, v79
	v_cmp_ne_u32_e32 vcc, 0, v0
	s_and_saveexec_b64 s[22:23], vcc
	s_cbranch_execz .LBB36_3026
; %bb.3098:                             ;   in Loop: Header=BB36_3027 Depth=3
	v_lshl_add_u64 v[4:5], v[4:5], 0, 2
	flat_store_dwordx2 v[40:41], v[4:5] sc0 sc1
	s_branch .LBB36_3026
.LBB36_3099:                            ;   in Loop: Header=BB36_2335 Depth=2
	s_or_b64 exec, exec, s[26:27]
.LBB36_3100:                            ;   in Loop: Header=BB36_2335 Depth=2
	s_or_b64 exec, exec, s[24:25]
	scratch_load_dwordx2 v[42:43], off, s33 offset:412 ; 8-byte Folded Reload
	s_add_i32 s22, s70, 1
	s_cmp_eq_u32 s70, s62
	s_cbranch_scc1 .LBB36_3102
; %bb.3101:                             ;   in Loop: Header=BB36_2335 Depth=2
	s_mov_b32 s70, s22
	s_branch .LBB36_2335
.LBB36_3102:                            ;   in Loop: Header=BB36_47 Depth=1
	scratch_load_dwordx2 v[6:7], off, s33 offset:420 ; 8-byte Folded Reload
	s_waitcnt vmcnt(0)
	v_mul_lo_u32 v0, v7, s72
	v_mul_lo_u32 v1, v6, s37
	v_mad_u64_u32 v[8:9], s[22:23], v6, s72, 0
	v_add3_u32 v9, v9, v1, v0
	scratch_load_dwordx2 v[0:1], off, s33 offset:404 ; 8-byte Folded Reload
	s_waitcnt vmcnt(0)
	v_sub_co_u32_e32 v0, vcc, v0, v8
	s_nop 1
	v_subb_co_u32_e32 v1, vcc, v1, v9, vcc
	v_cmp_lt_i64_e32 vcc, v[6:7], v[0:1]
	v_mov_b32_e32 v1, 0
	s_nop 0
	v_cndmask_b32_e32 v0, v0, v6, vcc
	v_max_i32_e32 v6, 0, v0
	v_add_u32_e32 v2, 31, v6
	v_ashrrev_i32_e32 v7, 31, v2
	v_lshrrev_b32_e32 v7, 27, v7
	v_add_u32_e32 v2, v2, v7
	v_ashrrev_i32_e32 v2, 5, v2
	v_lshlrev_b32_e32 v2, 4, v2
	v_cmp_lt_i32_e32 vcc, 0, v0
	v_max_i32_e32 v7, s87, v2
	s_and_b64 s[22:23], s[48:49], vcc
	v_mov_b32_e32 v0, 0
	s_and_saveexec_b64 s[60:61], s[22:23]
	s_cbranch_execz .LBB36_3560
; %bb.3103:                             ;   in Loop: Header=BB36_47 Depth=1
	scratch_load_dwordx2 v[0:1], off, s33 offset:380 ; 8-byte Folded Reload
	s_mov_b32 s73, 1
	s_mov_b64 s[54:55], -1
	s_mov_b64 s[52:53], 0
	s_waitcnt vmcnt(0)
	v_lshl_add_u64 v[8:9], v[8:9], 0, v[0:1]
	v_mov_b32_e32 v0, 0
	v_lshlrev_b64 v[62:63], 1, v[8:9]
	s_branch .LBB36_3105
.LBB36_3104:                            ;   in Loop: Header=BB36_3105 Depth=2
	s_or_b64 exec, exec, s[22:23]
	v_add_u32_e32 v0, v7, v0
	v_cmp_ge_i32_e32 vcc, v0, v6
	s_xor_b64 s[22:23], s[54:55], -1
	s_or_b64 s[22:23], s[22:23], vcc
	s_and_b64 s[22:23], exec, s[22:23]
	s_or_b64 s[52:53], s[22:23], s[52:53]
	s_mov_b64 s[54:55], 0
	v_mov_b32_e32 v1, s73
	s_mov_b32 s73, 2
	s_andn2_b64 exec, exec, s[52:53]
	s_cbranch_execz .LBB36_3559
.LBB36_3105:                            ;   Parent Loop BB36_47 Depth=1
                                        ; =>  This Loop Header: Depth=2
                                        ;       Child Loop BB36_3113 Depth 3
                                        ;       Child Loop BB36_3137 Depth 3
	;; [unrolled: 1-line block ×9, first 2 shown]
	s_and_saveexec_b64 s[22:23], s[0:1]
	s_cbranch_execz .LBB36_3107
; %bb.3106:                             ;   in Loop: Header=BB36_3105 Depth=2
	s_trap 2
	ds_read_b128 v[8:11], v0
	v_ashrrev_i32_e32 v1, 31, v0
	v_lshlrev_b64 v[12:13], 1, v[0:1]
	s_waitcnt lgkmcnt(0)
	v_lshl_add_u64 v[8:9], v[8:9], 0, v[62:63]
	v_lshl_add_u64 v[14:15], v[10:11], 0, v[62:63]
	;; [unrolled: 1-line block ×3, first 2 shown]
	ds_write_b64 v0, v[8:9]
	v_lshl_add_u64 v[8:9], v[14:15], 0, v[12:13]
	v_cmp_ne_u64_e32 vcc, 0, v[10:11]
	s_nop 1
	v_cndmask_b32_e32 v9, 0, v9, vcc
	v_cndmask_b32_e32 v8, 0, v8, vcc
	ds_write_b64 v0, v[8:9]
.LBB36_3107:                            ;   in Loop: Header=BB36_3105 Depth=2
	s_or_b64 exec, exec, s[22:23]
	v_and_b32_e32 v1, 4, v79
	v_cmp_ne_u32_e32 vcc, 0, v1
	s_and_saveexec_b64 s[24:25], vcc
	s_cbranch_execz .LBB36_3129
; %bb.3108:                             ;   in Loop: Header=BB36_3105 Depth=2
	v_lshl_add_u64 v[8:9], v[4:5], 0, 2
	s_waitcnt lgkmcnt(0)
	v_cmp_lt_u64_e32 vcc, v[46:47], v[8:9]
	s_and_saveexec_b64 s[26:27], vcc
	s_cbranch_execz .LBB36_3120
; %bb.3109:                             ;   in Loop: Header=BB36_3105 Depth=2
	v_and_b32_e32 v1, 64, v79
	s_mov_b32 s74, 0
	v_cmp_eq_u32_e32 vcc, 0, v1
	s_mov_b64 s[28:29], 0
                                        ; implicit-def: $sgpr40_sgpr41
                                        ; implicit-def: $sgpr42_sgpr43
                                        ; implicit-def: $sgpr44_sgpr45
	s_branch .LBB36_3113
.LBB36_3110:                            ;   in Loop: Header=BB36_3113 Depth=3
	s_waitcnt vmcnt(0) lgkmcnt(0)
	v_cmp_ge_u64_e64 s[22:23], v[46:47], v[8:9]
	s_or_b64 s[58:59], s[58:59], exec
	s_orn2_b64 s[56:57], s[22:23], exec
.LBB36_3111:                            ;   in Loop: Header=BB36_3113 Depth=3
	s_or_b64 exec, exec, s[66:67]
	s_andn2_b64 s[22:23], s[44:45], exec
	s_and_b64 s[44:45], s[58:59], exec
	s_or_b64 s[44:45], s[22:23], s[44:45]
	s_andn2_b64 s[22:23], s[42:43], exec
	s_and_b64 s[42:43], s[56:57], exec
	s_or_b64 s[42:43], s[22:23], s[42:43]
.LBB36_3112:                            ;   in Loop: Header=BB36_3113 Depth=3
	s_or_b64 exec, exec, s[46:47]
	s_and_b64 s[22:23], exec, s[42:43]
	s_or_b64 s[28:29], s[22:23], s[28:29]
	s_andn2_b64 s[22:23], s[40:41], exec
	s_and_b64 s[40:41], s[44:45], exec
	s_or_b64 s[40:41], s[22:23], s[40:41]
	s_andn2_b64 exec, exec, s[28:29]
	s_cbranch_execz .LBB36_3117
.LBB36_3113:                            ;   Parent Loop BB36_47 Depth=1
                                        ;     Parent Loop BB36_3105 Depth=2
                                        ; =>    This Inner Loop Header: Depth=3
	s_sleep 1
	s_waitcnt vmcnt(0) lgkmcnt(0)
	flat_load_dwordx2 v[46:47], v[40:41] sc0 sc1
	s_or_b64 s[44:45], s[44:45], exec
	s_or_b64 s[42:43], s[42:43], exec
                                        ; implicit-def: $vgpr1
	s_and_saveexec_b64 s[46:47], vcc
	s_cbranch_execz .LBB36_3112
; %bb.3114:                             ;   in Loop: Header=BB36_3113 Depth=3
	s_cmpk_lt_i32 s74, 0x270f
	s_cselect_b64 s[64:65], -1, 0
	s_cmpk_gt_i32 s74, 0x270e
	s_mov_b64 s[56:57], -1
	s_cbranch_scc0 .LBB36_3116
; %bb.3115:                             ;   in Loop: Header=BB36_3113 Depth=3
	s_trap 2
	ds_read_b64 v[10:11], v0
	s_andn2_b64 s[64:65], s[64:65], exec
	s_mov_b32 s74, 0
	s_mov_b64 s[58:59], 0
	s_waitcnt vmcnt(0) lgkmcnt(0)
	flat_load_dword v1, v[10:11] sc0 sc1
	s_waitcnt vmcnt(0) lgkmcnt(0)
	buffer_inv sc0 sc1
	v_cmp_eq_u32_e64 s[22:23], 0, v1
	s_and_b64 s[22:23], s[22:23], exec
	s_or_b64 s[64:65], s[64:65], s[22:23]
	s_and_saveexec_b64 s[66:67], s[64:65]
	s_cbranch_execz .LBB36_3111
	s_branch .LBB36_3110
.LBB36_3116:                            ;   in Loop: Header=BB36_3113 Depth=3
	s_add_i32 s74, s74, 1
	s_mov_b64 s[58:59], -1
                                        ; implicit-def: $vgpr1
	s_and_saveexec_b64 s[66:67], s[64:65]
	s_cbranch_execz .LBB36_3111
	s_branch .LBB36_3110
.LBB36_3117:                            ;   in Loop: Header=BB36_3105 Depth=2
	s_or_b64 exec, exec, s[28:29]
	s_xor_b64 s[22:23], s[40:41], -1
	s_and_saveexec_b64 s[28:29], s[22:23]
	s_xor_b64 s[22:23], exec, s[28:29]
	s_cbranch_execz .LBB36_3119
; %bb.3118:                             ;   in Loop: Header=BB36_3105 Depth=2
	v_or_b32_e32 v79, 64, v79
	s_waitcnt lgkmcnt(0)
	ds_write_b32 v0, v1
	s_trap 2
.LBB36_3119:                            ;   in Loop: Header=BB36_3105 Depth=2
	s_or_b64 exec, exec, s[22:23]
.LBB36_3120:                            ;   in Loop: Header=BB36_3105 Depth=2
	s_or_b64 exec, exec, s[26:27]
	v_and_b32_e32 v1, 0x100, v79
	v_cmp_ne_u32_e32 vcc, 0, v1
	v_and_b32_e32 v1, 7, v4
	s_mov_b64 s[22:23], -1
	;;#ASMSTART
	s_wakeup
	;;#ASMEND
                                        ; implicit-def: $vgpr4_vgpr5
	s_and_saveexec_b64 s[26:27], vcc
	s_cbranch_execz .LBB36_3124
; %bb.3121:                             ;   in Loop: Header=BB36_3105 Depth=2
	scratch_load_dwordx4 v[10:13], off, s33 offset:280 ; 16-byte Folded Reload
                                        ; implicit-def: $vgpr4_vgpr5
	s_waitcnt vmcnt(0)
	v_mad_u64_u32 v[10:11], s[22:23], v1, 24, v[10:11]
	flat_load_dword v2, v[10:11]
	s_waitcnt vmcnt(0) lgkmcnt(0)
	v_cmp_ne_u32_e32 vcc, 1, v2
	v_cmp_eq_u32_e64 s[22:23], 1, v2
	s_and_saveexec_b64 s[28:29], s[22:23]
	s_cbranch_execz .LBB36_3123
; %bb.3122:                             ;   in Loop: Header=BB36_3105 Depth=2
	flat_load_dword v4, v[10:11] offset:4 sc0 sc1
	s_waitcnt vmcnt(0) lgkmcnt(0)
	v_ashrrev_i32_e32 v5, 31, v4
	v_lshrrev_b64 v[4:5], 1, v[4:5]
.LBB36_3123:                            ;   in Loop: Header=BB36_3105 Depth=2
	s_or_b64 exec, exec, s[28:29]
	s_orn2_b64 s[22:23], vcc, exec
.LBB36_3124:                            ;   in Loop: Header=BB36_3105 Depth=2
	s_or_b64 exec, exec, s[26:27]
	s_and_saveexec_b64 s[26:27], s[22:23]
	s_cbranch_execz .LBB36_3126
; %bb.3125:                             ;   in Loop: Header=BB36_3105 Depth=2
	scratch_load_dwordx2 v[4:5], off, s33 offset:348 ; 8-byte Folded Reload
	s_waitcnt vmcnt(0)
	v_mad_i64_i32 v[4:5], s[22:23], v1, v4, 0
.LBB36_3126:                            ;   in Loop: Header=BB36_3105 Depth=2
	s_or_b64 exec, exec, s[26:27]
	scratch_load_dwordx2 v[10:11], off, s33 offset:264 ; 8-byte Folded Reload
	v_and_b32_e32 v1, 0x2000, v79
	v_cmp_ne_u32_e32 vcc, 0, v1
	s_waitcnt vmcnt(0)
	v_lshl_add_u64 v[4:5], v[4:5], 1, v[10:11]
	ds_write_b64 v0, v[4:5] offset:720
	s_and_saveexec_b64 s[22:23], vcc
	s_cbranch_execz .LBB36_3128
; %bb.3127:                             ;   in Loop: Header=BB36_3105 Depth=2
	ds_read_b64 v[4:5], v0 offset:872
	s_waitcnt lgkmcnt(0)
	v_lshl_add_u64 v[4:5], v[4:5], 0, 1
	ds_write_b64 v0, v[4:5] offset:872
.LBB36_3128:                            ;   in Loop: Header=BB36_3105 Depth=2
	s_or_b64 exec, exec, s[22:23]
	v_mov_b64_e32 v[4:5], v[8:9]
.LBB36_3129:                            ;   in Loop: Header=BB36_3105 Depth=2
	s_or_b64 exec, exec, s[24:25]
	s_and_saveexec_b64 s[22:23], s[4:5]
	s_cbranch_execz .LBB36_3148
; %bb.3130:                             ;   in Loop: Header=BB36_3105 Depth=2
	s_and_saveexec_b64 s[24:25], s[76:77]
	s_xor_b64 s[24:25], exec, s[24:25]
	s_cbranch_execz .LBB36_3145
; %bb.3131:                             ;   in Loop: Header=BB36_3105 Depth=2
	s_and_saveexec_b64 s[26:27], s[12:13]
	s_cbranch_execz .LBB36_3144
; %bb.3132:                             ;   in Loop: Header=BB36_3105 Depth=2
	s_mov_b64 s[40:41], exec
	v_mbcnt_lo_u32_b32 v1, s40, 0
	v_mbcnt_hi_u32_b32 v1, s41, v1
	v_cmp_eq_u32_e32 vcc, 0, v1
	s_waitcnt lgkmcnt(0)
	s_and_saveexec_b64 s[28:29], vcc
	s_cbranch_execz .LBB36_3134
; %bb.3133:                             ;   in Loop: Header=BB36_3105 Depth=2
	s_bcnt1_i32_b64 s40, s[40:41]
	v_mov_b32_e32 v2, s40
	ds_add_u64 v0, v[2:3]
	s_trap 2
.LBB36_3134:                            ;   in Loop: Header=BB36_3105 Depth=2
	s_or_b64 exec, exec, s[28:29]
	s_trap 2
	ds_read_b64 v[8:9], v0
	s_waitcnt lgkmcnt(0)
	v_lshl_add_u64 v[56:57], v[56:57], 0, v[60:61]
	v_cmp_lt_u64_e32 vcc, v[8:9], v[56:57]
	s_and_saveexec_b64 s[28:29], vcc
	s_cbranch_execz .LBB36_3143
; %bb.3135:                             ;   in Loop: Header=BB36_3105 Depth=2
	s_mov_b32 s74, 0
	s_mov_b64 s[40:41], 0
                                        ; implicit-def: $sgpr42_sgpr43
                                        ; implicit-def: $sgpr44_sgpr45
	s_branch .LBB36_3137
.LBB36_3136:                            ;   in Loop: Header=BB36_3137 Depth=3
	s_or_b64 exec, exec, s[56:57]
	s_and_b64 s[46:47], exec, s[58:59]
	s_or_b64 s[40:41], s[46:47], s[40:41]
	s_andn2_b64 s[42:43], s[42:43], exec
	s_and_b64 s[46:47], s[44:45], exec
	s_or_b64 s[42:43], s[42:43], s[46:47]
	s_andn2_b64 exec, exec, s[40:41]
	s_cbranch_execz .LBB36_3141
.LBB36_3137:                            ;   Parent Loop BB36_47 Depth=1
                                        ;     Parent Loop BB36_3105 Depth=2
                                        ; =>    This Inner Loop Header: Depth=3
	s_add_i32 s74, s74, 1
	s_cmpk_lg_i32 s74, 0x2710
	s_cselect_b64 s[46:47], -1, 0
	s_and_b64 vcc, exec, s[46:47]
	s_cbranch_vccz .LBB36_3139
; %bb.3138:                             ;   in Loop: Header=BB36_3137 Depth=3
	s_mov_b64 s[58:59], -1
	s_or_b64 s[44:45], s[44:45], exec
	s_and_saveexec_b64 s[56:57], s[46:47]
	s_cbranch_execz .LBB36_3136
	s_branch .LBB36_3140
.LBB36_3139:                            ;   in Loop: Header=BB36_3137 Depth=3
	s_trap 2
	ds_read_b64 v[8:9], v0
	s_andn2_b64 s[46:47], s[46:47], exec
	s_mov_b32 s74, 0
	s_waitcnt lgkmcnt(0)
	flat_load_dword v1, v[8:9] sc0 sc1
	s_waitcnt vmcnt(0) lgkmcnt(0)
	buffer_inv sc0 sc1
	v_cmp_eq_u32_e32 vcc, 0, v1
	s_and_b64 s[56:57], vcc, exec
	s_or_b64 s[46:47], s[46:47], s[56:57]
	s_mov_b64 s[58:59], -1
	s_or_b64 s[44:45], s[44:45], exec
	s_and_saveexec_b64 s[56:57], s[46:47]
	s_cbranch_execz .LBB36_3136
.LBB36_3140:                            ;   in Loop: Header=BB36_3137 Depth=3
	s_sleep 1
	s_trap 2
	ds_read_b64 v[8:9], v0
	s_waitcnt lgkmcnt(0)
	s_andn2_b64 s[44:45], s[44:45], exec
	v_cmp_ge_u64_e32 vcc, v[8:9], v[56:57]
	s_orn2_b64 s[58:59], vcc, exec
	s_branch .LBB36_3136
.LBB36_3141:                            ;   in Loop: Header=BB36_3105 Depth=2
	s_or_b64 exec, exec, s[40:41]
	s_and_saveexec_b64 s[40:41], s[42:43]
	s_xor_b64 s[40:41], exec, s[40:41]
	s_cbranch_execz .LBB36_3143
; %bb.3142:                             ;   in Loop: Header=BB36_3105 Depth=2
	v_mov_b32_e32 v1, 1
	ds_write_b32 v0, v1
	s_trap 2
.LBB36_3143:                            ;   in Loop: Header=BB36_3105 Depth=2
	s_or_b64 exec, exec, s[28:29]
	;;#ASMSTART
	s_wakeup
	;;#ASMEND
.LBB36_3144:                            ;   in Loop: Header=BB36_3105 Depth=2
	s_or_b64 exec, exec, s[26:27]
.LBB36_3145:                            ;   in Loop: Header=BB36_3105 Depth=2
	s_andn2_saveexec_b64 s[24:25], s[24:25]
	s_cbranch_execz .LBB36_3147
; %bb.3146:                             ;   in Loop: Header=BB36_3105 Depth=2
	s_waitcnt lgkmcnt(0)
	s_barrier
.LBB36_3147:                            ;   in Loop: Header=BB36_3105 Depth=2
	s_or_b64 exec, exec, s[24:25]
.LBB36_3148:                            ;   in Loop: Header=BB36_3105 Depth=2
	s_or_b64 exec, exec, s[22:23]
	s_trap 2
	ds_read_b32 v1, v0
	v_and_b32_e32 v2, 0x4000, v79
	v_cmp_ne_u32_e32 vcc, 0, v2
	s_xor_b64 s[22:23], s[2:3], -1
	s_and_b64 s[24:25], s[22:23], vcc
	s_and_saveexec_b64 s[22:23], s[24:25]
	s_cbranch_execz .LBB36_3167
; %bb.3149:                             ;   in Loop: Header=BB36_3105 Depth=2
	s_and_saveexec_b64 s[24:25], s[76:77]
	s_xor_b64 s[24:25], exec, s[24:25]
	s_cbranch_execz .LBB36_3164
; %bb.3150:                             ;   in Loop: Header=BB36_3105 Depth=2
	s_and_saveexec_b64 s[26:27], s[12:13]
	s_cbranch_execz .LBB36_3163
; %bb.3151:                             ;   in Loop: Header=BB36_3105 Depth=2
	s_mov_b64 s[40:41], exec
	v_mbcnt_lo_u32_b32 v2, s40, 0
	v_mbcnt_hi_u32_b32 v2, s41, v2
	v_cmp_eq_u32_e32 vcc, 0, v2
	s_waitcnt lgkmcnt(0)
	s_and_saveexec_b64 s[28:29], vcc
	s_cbranch_execz .LBB36_3153
; %bb.3152:                             ;   in Loop: Header=BB36_3105 Depth=2
	s_bcnt1_i32_b64 s40, s[40:41]
	v_mov_b32_e32 v2, s40
	ds_add_u64 v0, v[2:3]
	s_trap 2
.LBB36_3153:                            ;   in Loop: Header=BB36_3105 Depth=2
	s_or_b64 exec, exec, s[28:29]
	s_trap 2
	ds_read_b64 v[8:9], v0
	s_waitcnt lgkmcnt(0)
	v_lshl_add_u64 v[56:57], v[56:57], 0, v[60:61]
	v_cmp_lt_u64_e32 vcc, v[8:9], v[56:57]
	s_and_saveexec_b64 s[28:29], vcc
	s_cbranch_execz .LBB36_3162
; %bb.3154:                             ;   in Loop: Header=BB36_3105 Depth=2
	s_mov_b32 s74, 0
	s_mov_b64 s[40:41], 0
                                        ; implicit-def: $sgpr42_sgpr43
                                        ; implicit-def: $sgpr44_sgpr45
	s_branch .LBB36_3156
.LBB36_3155:                            ;   in Loop: Header=BB36_3156 Depth=3
	s_or_b64 exec, exec, s[56:57]
	s_and_b64 s[46:47], exec, s[58:59]
	s_or_b64 s[40:41], s[46:47], s[40:41]
	s_andn2_b64 s[42:43], s[42:43], exec
	s_and_b64 s[46:47], s[44:45], exec
	s_or_b64 s[42:43], s[42:43], s[46:47]
	s_andn2_b64 exec, exec, s[40:41]
	s_cbranch_execz .LBB36_3160
.LBB36_3156:                            ;   Parent Loop BB36_47 Depth=1
                                        ;     Parent Loop BB36_3105 Depth=2
                                        ; =>    This Inner Loop Header: Depth=3
	s_add_i32 s74, s74, 1
	s_cmpk_lg_i32 s74, 0x2710
	s_cselect_b64 s[46:47], -1, 0
	s_and_b64 vcc, exec, s[46:47]
	s_cbranch_vccz .LBB36_3158
; %bb.3157:                             ;   in Loop: Header=BB36_3156 Depth=3
	s_mov_b64 s[58:59], -1
	s_or_b64 s[44:45], s[44:45], exec
	s_and_saveexec_b64 s[56:57], s[46:47]
	s_cbranch_execz .LBB36_3155
	s_branch .LBB36_3159
.LBB36_3158:                            ;   in Loop: Header=BB36_3156 Depth=3
	s_trap 2
	ds_read_b64 v[8:9], v0
	s_andn2_b64 s[46:47], s[46:47], exec
	s_mov_b32 s74, 0
	s_waitcnt lgkmcnt(0)
	flat_load_dword v2, v[8:9] sc0 sc1
	s_waitcnt vmcnt(0) lgkmcnt(0)
	buffer_inv sc0 sc1
	v_cmp_eq_u32_e32 vcc, 0, v2
	s_and_b64 s[56:57], vcc, exec
	s_or_b64 s[46:47], s[46:47], s[56:57]
	s_mov_b64 s[58:59], -1
	s_or_b64 s[44:45], s[44:45], exec
	s_and_saveexec_b64 s[56:57], s[46:47]
	s_cbranch_execz .LBB36_3155
.LBB36_3159:                            ;   in Loop: Header=BB36_3156 Depth=3
	s_sleep 1
	s_trap 2
	ds_read_b64 v[8:9], v0
	s_waitcnt lgkmcnt(0)
	s_andn2_b64 s[44:45], s[44:45], exec
	v_cmp_ge_u64_e32 vcc, v[8:9], v[56:57]
	s_orn2_b64 s[58:59], vcc, exec
	s_branch .LBB36_3155
.LBB36_3160:                            ;   in Loop: Header=BB36_3105 Depth=2
	s_or_b64 exec, exec, s[40:41]
	s_and_saveexec_b64 s[40:41], s[42:43]
	s_xor_b64 s[40:41], exec, s[40:41]
	s_cbranch_execz .LBB36_3162
; %bb.3161:                             ;   in Loop: Header=BB36_3105 Depth=2
	v_mov_b32_e32 v2, 1
	ds_write_b32 v0, v2
	s_trap 2
.LBB36_3162:                            ;   in Loop: Header=BB36_3105 Depth=2
	s_or_b64 exec, exec, s[28:29]
	;;#ASMSTART
	s_wakeup
	;;#ASMEND
.LBB36_3163:                            ;   in Loop: Header=BB36_3105 Depth=2
	s_or_b64 exec, exec, s[26:27]
.LBB36_3164:                            ;   in Loop: Header=BB36_3105 Depth=2
	s_andn2_saveexec_b64 s[24:25], s[24:25]
	s_cbranch_execz .LBB36_3166
; %bb.3165:                             ;   in Loop: Header=BB36_3105 Depth=2
	s_waitcnt lgkmcnt(0)
	s_barrier
.LBB36_3166:                            ;   in Loop: Header=BB36_3105 Depth=2
	s_or_b64 exec, exec, s[24:25]
.LBB36_3167:                            ;   in Loop: Header=BB36_3105 Depth=2
	s_or_b64 exec, exec, s[22:23]
	s_trap 2
	ds_read_b64 v[118:119], v0
	v_sub_u32_e32 v2, v6, v0
	v_min_i32_e32 v7, v7, v2
	s_waitcnt lgkmcnt(0)
	v_cmp_eq_u64_e32 vcc, 0, v[118:119]
	s_cbranch_vccnz .LBB36_3175
; %bb.3168:                             ;   in Loop: Header=BB36_3105 Depth=2
	s_trap 2
	ds_read_b64 v[72:73], v0
	s_waitcnt lgkmcnt(0)
	v_cmp_eq_u64_e32 vcc, 0, v[72:73]
	s_cbranch_vccnz .LBB36_3175
; %bb.3169:                             ;   in Loop: Header=BB36_3105 Depth=2
	s_trap 2
	ds_read_b64 v[124:125], v0
	s_mov_b64 s[24:25], -1
	s_waitcnt lgkmcnt(0)
	v_readfirstlane_b32 s70, v124
	s_and_saveexec_b64 s[22:23], s[16:17]
	s_cbranch_execz .LBB36_3171
; %bb.3170:                             ;   in Loop: Header=BB36_3105 Depth=2
	ds_read_b32 v2, v0 offset:720
	s_waitcnt lgkmcnt(0)
	v_and_b32_e32 v2, 15, v2
	v_cmp_eq_u32_e32 vcc, 0, v2
	s_orn2_b64 s[24:25], vcc, exec
.LBB36_3171:                            ;   in Loop: Header=BB36_3105 Depth=2
	s_or_b64 exec, exec, s[22:23]
	s_and_saveexec_b64 s[22:23], s[14:15]
	s_cbranch_execz .LBB36_3173
; %bb.3172:                             ;   in Loop: Header=BB36_3105 Depth=2
	ds_read_b32 v2, v0 offset:784
	s_waitcnt lgkmcnt(0)
	v_and_b32_e32 v2, 15, v2
	v_cmp_eq_u32_e32 vcc, 0, v2
	s_and_b64 s[26:27], s[24:25], vcc
	s_andn2_b64 s[24:25], s[24:25], exec
	s_and_b64 s[26:27], s[26:27], exec
	s_or_b64 s[24:25], s[24:25], s[26:27]
.LBB36_3173:                            ;   in Loop: Header=BB36_3105 Depth=2
	s_or_b64 exec, exec, s[22:23]
	v_cmp_eq_u32_e32 vcc, 0, v1
	s_xor_b64 s[24:25], s[24:25], -1
	v_cndmask_b32_e64 v8, 0, 1, s[24:25]
	v_cndmask_b32_e32 v1, 0, v7, vcc
	v_lshlrev_b32_e32 v2, 1, v1
	s_mov_b64 s[22:23], -1
	v_cmp_ne_u32_e32 vcc, 0, v8
	v_mov_b32_e32 v18, 0
	s_cbranch_vccz .LBB36_3180
; %bb.3174:                             ;   in Loop: Header=BB36_3105 Depth=2
	scratch_load_dword v19, off, s33 offset:344 ; 4-byte Folded Reload
	s_and_saveexec_b64 s[24:25], s[22:23]
	s_cbranch_execnz .LBB36_3447
	s_branch .LBB36_3519
.LBB36_3175:                            ;   in Loop: Header=BB36_3105 Depth=2
	s_mov_b64 s[22:23], 0
	s_and_saveexec_b64 s[24:25], s[4:5]
	s_cbranch_execnz .LBB36_3520
.LBB36_3176:                            ;   in Loop: Header=BB36_3105 Depth=2
	s_or_b64 exec, exec, s[24:25]
	s_and_saveexec_b64 s[24:25], s[20:21]
	s_xor_b64 s[24:25], exec, s[24:25]
	s_cbranch_execz .LBB36_3538
.LBB36_3177:                            ;   in Loop: Header=BB36_3105 Depth=2
	v_and_b32_e32 v1, 16, v79
	v_cmp_ne_u32_e32 vcc, 0, v1
	s_and_b64 s[26:27], vcc, s[22:23]
	s_and_saveexec_b64 s[22:23], s[26:27]
	s_cbranch_execz .LBB36_3179
; %bb.3178:                             ;   in Loop: Header=BB36_3105 Depth=2
	buffer_wbl2 sc1
	s_waitcnt vmcnt(0) lgkmcnt(0)
	buffer_inv sc1
.LBB36_3179:                            ;   in Loop: Header=BB36_3105 Depth=2
	s_or_b64 exec, exec, s[22:23]
	s_andn2_saveexec_b64 s[22:23], s[24:25]
	s_cbranch_execz .LBB36_3557
	s_branch .LBB36_3539
.LBB36_3180:                            ;   in Loop: Header=BB36_3105 Depth=2
	v_ashrrev_i32_e32 v8, 31, v2
	v_lshrrev_b32_e32 v8, 19, v8
	v_add_u32_e32 v8, v2, v8
	v_ashrrev_i32_e32 v45, 13, v8
	scratch_load_dword v8, off, s33 offset:344 ; 4-byte Folded Reload
	s_waitcnt vmcnt(0)
	v_lshrrev_b32_e32 v8, 6, v8
	v_sub_u32_e32 v44, v45, v8
	v_cmp_lt_i32_e32 vcc, 0, v44
	s_and_saveexec_b64 s[24:25], vcc
	s_cbranch_execz .LBB36_3440
; %bb.3181:                             ;   in Loop: Header=BB36_3105 Depth=2
	s_and_b32 s74, s70, 1
	s_cmp_eq_u64 s[74:75], 0
	s_mov_b64 s[26:27], 0
	s_cselect_b64 s[22:23], -1, 0
	v_mov_b64_e32 v[108:109], v[72:73]
	v_mov_b64_e32 v[58:59], v[118:119]
	;; [unrolled: 1-line block ×3, first 2 shown]
	s_branch .LBB36_3183
.LBB36_3182:                            ;   in Loop: Header=BB36_3183 Depth=3
	s_or_b64 exec, exec, s[28:29]
	v_lshrrev_b32_e32 v12, 16, v12
	v_and_or_b32 v9, v9, s9, v12
	v_lshrrev_b32_e32 v12, 16, v16
	v_and_or_b32 v8, v8, s9, v12
	v_lshrrev_b32_e32 v12, 16, v13
	v_and_or_b32 v10, v10, s9, v12
	v_lshrrev_b32_e32 v12, 16, v14
	v_and_or_b32 v11, v11, s9, v12
	v_add_co_u32_e32 v12, vcc, 0x1000, v100
	v_sub_u32_e32 v44, v44, v60
	s_nop 0
	v_addc_co_u32_e32 v13, vcc, 0, v101, vcc
	global_store_dwordx4 v[12:13], v[8:11], off offset:3072
	scratch_load_dwordx2 v[8:9], off, s33 offset:328 ; 8-byte Folded Reload
	v_cmp_gt_i32_e32 vcc, 1, v44
	s_or_b64 s[26:27], vcc, s[26:27]
	s_waitcnt vmcnt(0)
	v_lshl_add_u64 v[74:75], v[74:75], 0, v[8:9]
	v_lshl_add_u64 v[58:59], v[58:59], 0, v[8:9]
	;; [unrolled: 1-line block ×3, first 2 shown]
	s_andn2_b64 exec, exec, s[26:27]
	s_cbranch_execz .LBB36_3439
.LBB36_3183:                            ;   Parent Loop BB36_47 Depth=1
                                        ;     Parent Loop BB36_3105 Depth=2
                                        ; =>    This Inner Loop Header: Depth=3
	scratch_load_dwordx2 v[10:11], off, s33 offset:396 ; 8-byte Folded Reload
	s_waitcnt vmcnt(0)
	v_lshl_add_u64 v[8:9], v[10:11], 0, v[74:75]
	v_lshl_add_u64 v[10:11], v[10:11], 0, v[58:59]
	global_load_dwordx4 v[100:103], v[10:11], off nt
	global_load_dwordx4 v[84:87], v[10:11], off offset:1024 nt
	global_load_dwordx4 v[112:115], v[8:9], off nt
	global_load_dwordx4 v[96:99], v[8:9], off offset:1024 nt
	global_load_dwordx4 v[68:71], v[10:11], off offset:2048 nt
	;; [unrolled: 1-line block ×5, first 2 shown]
	v_add_co_u32_e32 v10, vcc, s63, v10
	s_waitcnt vmcnt(7)
	v_lshlrev_b32_e32 v30, 16, v100
	v_addc_co_u32_e32 v11, vcc, 0, v11, vcc
	v_add_co_u32_e32 v12, vcc, s63, v8
	s_waitcnt vmcnt(5)
	v_lshlrev_b32_e32 v116, 16, v112
	v_addc_co_u32_e32 v13, vcc, 0, v9, vcc
	global_load_dwordx4 v[36:39], v[10:11], off nt
	global_load_dwordx4 v[24:27], v[10:11], off offset:1024 nt
	global_load_dwordx4 v[48:51], v[12:13], off nt
	global_load_dwordx4 v[32:35], v[12:13], off offset:1024 nt
	global_load_dwordx4 v[16:19], v[10:11], off offset:2048 nt
	s_nop 0
	global_load_dwordx4 v[8:11], v[10:11], off offset:3072 nt
	s_nop 0
	;; [unrolled: 2-line block ×3, first 2 shown]
	global_load_dwordx4 v[12:15], v[12:13], off offset:3072 nt
	v_max_f32_e32 v116, v116, v116
	v_max_f32_e32 v30, v30, v30
	v_min_f32_e32 v117, v30, v116
	v_max_f32_e32 v30, v30, v116
	v_cndmask_b32_e64 v116, v30, v117, s[22:23]
	v_and_b32_e32 v30, 0x7f800000, v116
	v_cmp_ne_u32_e32 vcc, s35, v30
                                        ; implicit-def: $vgpr30
	s_and_saveexec_b64 s[28:29], vcc
	s_xor_b64 s[28:29], exec, s[28:29]
; %bb.3184:                             ;   in Loop: Header=BB36_3183 Depth=3
	v_bfe_u32 v30, v116, 16, 1
	v_add3_u32 v30, v116, v30, s8
                                        ; implicit-def: $vgpr116
; %bb.3185:                             ;   in Loop: Header=BB36_3183 Depth=3
	s_andn2_saveexec_b64 s[28:29], s[28:29]
; %bb.3186:                             ;   in Loop: Header=BB36_3183 Depth=3
	v_or_b32_e32 v30, 0x10000, v116
	v_cmp_eq_u32_sdwa vcc, v116, v3 src0_sel:WORD_0 src1_sel:DWORD
	s_nop 1
	v_cndmask_b32_e32 v30, v30, v116, vcc
; %bb.3187:                             ;   in Loop: Header=BB36_3183 Depth=3
	s_or_b64 exec, exec, s[28:29]
	v_and_b32_e32 v100, 0xffff0000, v100
	v_and_b32_e32 v112, 0xffff0000, v112
	v_max_f32_e32 v112, v112, v112
	v_max_f32_e32 v100, v100, v100
	v_min_f32_e32 v116, v100, v112
	v_max_f32_e32 v100, v100, v112
	v_cndmask_b32_e64 v100, v100, v116, s[22:23]
	v_and_b32_e32 v112, 0x7f800000, v100
	v_cmp_ne_u32_e32 vcc, s35, v112
                                        ; implicit-def: $vgpr112
	s_and_saveexec_b64 s[28:29], vcc
	s_xor_b64 s[28:29], exec, s[28:29]
; %bb.3188:                             ;   in Loop: Header=BB36_3183 Depth=3
	v_bfe_u32 v112, v100, 16, 1
	v_add3_u32 v112, v100, v112, s8
                                        ; implicit-def: $vgpr100
; %bb.3189:                             ;   in Loop: Header=BB36_3183 Depth=3
	s_andn2_saveexec_b64 s[28:29], s[28:29]
; %bb.3190:                             ;   in Loop: Header=BB36_3183 Depth=3
	v_or_b32_e32 v112, 0x10000, v100
	v_cmp_eq_u32_sdwa vcc, v100, v3 src0_sel:WORD_0 src1_sel:DWORD
	s_nop 1
	v_cndmask_b32_e32 v112, v112, v100, vcc
; %bb.3191:                             ;   in Loop: Header=BB36_3183 Depth=3
	s_or_b64 exec, exec, s[28:29]
	v_lshlrev_b32_e32 v100, 16, v101
	v_lshlrev_b32_e32 v116, 16, v113
	v_max_f32_e32 v116, v116, v116
	v_max_f32_e32 v100, v100, v100
	v_min_f32_e32 v117, v100, v116
	v_max_f32_e32 v100, v100, v116
	v_cndmask_b32_e64 v100, v100, v117, s[22:23]
	v_and_b32_e32 v116, 0x7f800000, v100
	v_cmp_ne_u32_e32 vcc, s35, v116
                                        ; implicit-def: $vgpr42
	s_and_saveexec_b64 s[28:29], vcc
	s_xor_b64 s[28:29], exec, s[28:29]
; %bb.3192:                             ;   in Loop: Header=BB36_3183 Depth=3
	v_bfe_u32 v116, v100, 16, 1
	v_add3_u32 v42, v100, v116, s8
                                        ; implicit-def: $vgpr100
; %bb.3193:                             ;   in Loop: Header=BB36_3183 Depth=3
	s_andn2_saveexec_b64 s[28:29], s[28:29]
; %bb.3194:                             ;   in Loop: Header=BB36_3183 Depth=3
	v_or_b32_e32 v116, 0x10000, v100
	v_cmp_eq_u32_sdwa vcc, v100, v3 src0_sel:WORD_0 src1_sel:DWORD
	s_nop 1
	v_cndmask_b32_e32 v42, v116, v100, vcc
; %bb.3195:                             ;   in Loop: Header=BB36_3183 Depth=3
	s_or_b64 exec, exec, s[28:29]
	v_and_b32_e32 v100, 0xffff0000, v101
	v_and_b32_e32 v101, 0xffff0000, v113
	v_max_f32_e32 v101, v101, v101
	v_max_f32_e32 v100, v100, v100
	v_min_f32_e32 v113, v100, v101
	v_max_f32_e32 v100, v100, v101
	v_cndmask_b32_e64 v100, v100, v113, s[22:23]
	v_and_b32_e32 v101, 0x7f800000, v100
	v_cmp_ne_u32_e32 vcc, s35, v101
                                        ; implicit-def: $vgpr113
	s_and_saveexec_b64 s[28:29], vcc
	s_xor_b64 s[28:29], exec, s[28:29]
; %bb.3196:                             ;   in Loop: Header=BB36_3183 Depth=3
	v_bfe_u32 v101, v100, 16, 1
	v_add3_u32 v113, v100, v101, s8
                                        ; implicit-def: $vgpr100
; %bb.3197:                             ;   in Loop: Header=BB36_3183 Depth=3
	s_andn2_saveexec_b64 s[28:29], s[28:29]
; %bb.3198:                             ;   in Loop: Header=BB36_3183 Depth=3
	v_or_b32_e32 v101, 0x10000, v100
	v_cmp_eq_u32_sdwa vcc, v100, v3 src0_sel:WORD_0 src1_sel:DWORD
	s_nop 1
	v_cndmask_b32_e32 v113, v101, v100, vcc
; %bb.3199:                             ;   in Loop: Header=BB36_3183 Depth=3
	s_or_b64 exec, exec, s[28:29]
	v_lshlrev_b32_e32 v100, 16, v102
	v_lshlrev_b32_e32 v101, 16, v114
	v_max_f32_e32 v101, v101, v101
	v_max_f32_e32 v100, v100, v100
	v_min_f32_e32 v116, v100, v101
	v_max_f32_e32 v100, v100, v101
	v_cndmask_b32_e64 v100, v100, v116, s[22:23]
	v_and_b32_e32 v101, 0x7f800000, v100
	v_cmp_ne_u32_e32 vcc, s35, v101
                                        ; implicit-def: $vgpr43
	s_and_saveexec_b64 s[28:29], vcc
	s_xor_b64 s[28:29], exec, s[28:29]
; %bb.3200:                             ;   in Loop: Header=BB36_3183 Depth=3
	v_bfe_u32 v101, v100, 16, 1
	v_add3_u32 v43, v100, v101, s8
                                        ; implicit-def: $vgpr100
; %bb.3201:                             ;   in Loop: Header=BB36_3183 Depth=3
	s_andn2_saveexec_b64 s[28:29], s[28:29]
; %bb.3202:                             ;   in Loop: Header=BB36_3183 Depth=3
	v_or_b32_e32 v101, 0x10000, v100
	v_cmp_eq_u32_sdwa vcc, v100, v3 src0_sel:WORD_0 src1_sel:DWORD
	s_nop 1
	v_cndmask_b32_e32 v43, v101, v100, vcc
; %bb.3203:                             ;   in Loop: Header=BB36_3183 Depth=3
	s_or_b64 exec, exec, s[28:29]
	v_and_b32_e32 v100, 0xffff0000, v102
	v_and_b32_e32 v101, 0xffff0000, v114
	v_max_f32_e32 v101, v101, v101
	v_max_f32_e32 v100, v100, v100
	v_min_f32_e32 v102, v100, v101
	v_max_f32_e32 v100, v100, v101
	v_cndmask_b32_e64 v100, v100, v102, s[22:23]
	v_and_b32_e32 v101, 0x7f800000, v100
	v_cmp_ne_u32_e32 vcc, s35, v101
                                        ; implicit-def: $vgpr102
	s_and_saveexec_b64 s[28:29], vcc
	s_xor_b64 s[28:29], exec, s[28:29]
; %bb.3204:                             ;   in Loop: Header=BB36_3183 Depth=3
	v_bfe_u32 v101, v100, 16, 1
	v_add3_u32 v102, v100, v101, s8
                                        ; implicit-def: $vgpr100
; %bb.3205:                             ;   in Loop: Header=BB36_3183 Depth=3
	s_andn2_saveexec_b64 s[28:29], s[28:29]
; %bb.3206:                             ;   in Loop: Header=BB36_3183 Depth=3
	v_or_b32_e32 v101, 0x10000, v100
	v_cmp_eq_u32_sdwa vcc, v100, v3 src0_sel:WORD_0 src1_sel:DWORD
	s_nop 1
	v_cndmask_b32_e32 v102, v101, v100, vcc
; %bb.3207:                             ;   in Loop: Header=BB36_3183 Depth=3
	s_or_b64 exec, exec, s[28:29]
	v_lshlrev_b32_e32 v100, 16, v103
	v_lshlrev_b32_e32 v101, 16, v115
	v_max_f32_e32 v101, v101, v101
	v_max_f32_e32 v100, v100, v100
	v_min_f32_e32 v114, v100, v101
	v_max_f32_e32 v100, v100, v101
	v_cndmask_b32_e64 v100, v100, v114, s[22:23]
	v_and_b32_e32 v101, 0x7f800000, v100
	v_cmp_ne_u32_e32 vcc, s35, v101
                                        ; implicit-def: $vgpr114
	s_and_saveexec_b64 s[28:29], vcc
	s_xor_b64 s[28:29], exec, s[28:29]
; %bb.3208:                             ;   in Loop: Header=BB36_3183 Depth=3
	v_bfe_u32 v101, v100, 16, 1
	v_add3_u32 v114, v100, v101, s8
                                        ; implicit-def: $vgpr100
; %bb.3209:                             ;   in Loop: Header=BB36_3183 Depth=3
	s_andn2_saveexec_b64 s[28:29], s[28:29]
; %bb.3210:                             ;   in Loop: Header=BB36_3183 Depth=3
	v_or_b32_e32 v101, 0x10000, v100
	v_cmp_eq_u32_sdwa vcc, v100, v3 src0_sel:WORD_0 src1_sel:DWORD
	s_nop 1
	v_cndmask_b32_e32 v114, v101, v100, vcc
; %bb.3211:                             ;   in Loop: Header=BB36_3183 Depth=3
	s_or_b64 exec, exec, s[28:29]
	v_and_b32_e32 v100, 0xffff0000, v103
	v_and_b32_e32 v101, 0xffff0000, v115
	v_max_f32_e32 v101, v101, v101
	v_max_f32_e32 v100, v100, v100
	v_min_f32_e32 v103, v100, v101
	v_max_f32_e32 v100, v100, v101
	v_cndmask_b32_e64 v100, v100, v103, s[22:23]
	v_and_b32_e32 v101, 0x7f800000, v100
	v_cmp_ne_u32_e32 vcc, s35, v101
                                        ; implicit-def: $vgpr103
	s_and_saveexec_b64 s[28:29], vcc
	s_xor_b64 s[28:29], exec, s[28:29]
; %bb.3212:                             ;   in Loop: Header=BB36_3183 Depth=3
	v_bfe_u32 v101, v100, 16, 1
	v_add3_u32 v103, v100, v101, s8
                                        ; implicit-def: $vgpr100
; %bb.3213:                             ;   in Loop: Header=BB36_3183 Depth=3
	s_andn2_saveexec_b64 s[28:29], s[28:29]
; %bb.3214:                             ;   in Loop: Header=BB36_3183 Depth=3
	v_or_b32_e32 v101, 0x10000, v100
	v_cmp_eq_u32_sdwa vcc, v100, v3 src0_sel:WORD_0 src1_sel:DWORD
	s_nop 1
	v_cndmask_b32_e32 v103, v101, v100, vcc
; %bb.3215:                             ;   in Loop: Header=BB36_3183 Depth=3
	s_or_b64 exec, exec, s[28:29]
	scratch_load_dwordx2 v[100:101], off, s33 offset:396 ; 8-byte Folded Reload
	v_lshrrev_b32_e32 v30, 16, v30
	v_and_or_b32 v88, v112, s9, v30
	v_lshrrev_b32_e32 v30, 16, v43
	v_and_or_b32 v90, v102, s9, v30
	;; [unrolled: 2-line block ×3, first 2 shown]
	v_lshlrev_b32_e32 v30, 16, v84
	s_waitcnt vmcnt(13)
	v_lshlrev_b32_e32 v102, 16, v96
	v_max_f32_e32 v102, v102, v102
	v_max_f32_e32 v30, v30, v30
	v_min_f32_e32 v103, v30, v102
	v_max_f32_e32 v30, v30, v102
	v_cndmask_b32_e64 v102, v30, v103, s[22:23]
	v_lshrrev_b32_e32 v115, 16, v42
	v_and_b32_e32 v30, 0x7f800000, v102
	v_and_or_b32 v89, v113, s9, v115
	v_cmp_ne_u32_e32 vcc, s35, v30
                                        ; implicit-def: $vgpr30
	s_waitcnt vmcnt(0)
	v_lshl_add_u64 v[100:101], v[100:101], 0, v[108:109]
	global_store_dwordx4 v[100:101], v[88:91], off
	s_and_saveexec_b64 s[28:29], vcc
	s_xor_b64 s[28:29], exec, s[28:29]
; %bb.3216:                             ;   in Loop: Header=BB36_3183 Depth=3
	v_bfe_u32 v30, v102, 16, 1
	v_add3_u32 v30, v102, v30, s8
                                        ; implicit-def: $vgpr102
; %bb.3217:                             ;   in Loop: Header=BB36_3183 Depth=3
	s_andn2_saveexec_b64 s[28:29], s[28:29]
; %bb.3218:                             ;   in Loop: Header=BB36_3183 Depth=3
	v_or_b32_e32 v30, 0x10000, v102
	v_cmp_eq_u32_sdwa vcc, v102, v3 src0_sel:WORD_0 src1_sel:DWORD
	s_nop 1
	v_cndmask_b32_e32 v30, v30, v102, vcc
; %bb.3219:                             ;   in Loop: Header=BB36_3183 Depth=3
	s_or_b64 exec, exec, s[28:29]
	v_and_b32_e32 v84, 0xffff0000, v84
	v_and_b32_e32 v96, 0xffff0000, v96
	v_max_f32_e32 v96, v96, v96
	v_max_f32_e32 v84, v84, v84
	v_min_f32_e32 v102, v84, v96
	v_max_f32_e32 v84, v84, v96
	v_cndmask_b32_e64 v96, v84, v102, s[22:23]
	v_and_b32_e32 v84, 0x7f800000, v96
	v_cmp_ne_u32_e32 vcc, s35, v84
                                        ; implicit-def: $vgpr84
	s_and_saveexec_b64 s[28:29], vcc
	s_xor_b64 s[28:29], exec, s[28:29]
; %bb.3220:                             ;   in Loop: Header=BB36_3183 Depth=3
	v_bfe_u32 v84, v96, 16, 1
	v_add3_u32 v84, v96, v84, s8
                                        ; implicit-def: $vgpr96
; %bb.3221:                             ;   in Loop: Header=BB36_3183 Depth=3
	s_andn2_saveexec_b64 s[28:29], s[28:29]
; %bb.3222:                             ;   in Loop: Header=BB36_3183 Depth=3
	v_or_b32_e32 v84, 0x10000, v96
	v_cmp_eq_u32_sdwa vcc, v96, v3 src0_sel:WORD_0 src1_sel:DWORD
	s_nop 1
	v_cndmask_b32_e32 v84, v84, v96, vcc
; %bb.3223:                             ;   in Loop: Header=BB36_3183 Depth=3
	s_or_b64 exec, exec, s[28:29]
	v_lshlrev_b32_e32 v96, 16, v85
	v_lshlrev_b32_e32 v102, 16, v97
	v_max_f32_e32 v102, v102, v102
	v_max_f32_e32 v96, v96, v96
	v_min_f32_e32 v103, v96, v102
	v_max_f32_e32 v96, v96, v102
	v_cndmask_b32_e64 v102, v96, v103, s[22:23]
	v_and_b32_e32 v96, 0x7f800000, v102
	v_cmp_ne_u32_e32 vcc, s35, v96
                                        ; implicit-def: $vgpr96
	s_and_saveexec_b64 s[28:29], vcc
	s_xor_b64 s[28:29], exec, s[28:29]
; %bb.3224:                             ;   in Loop: Header=BB36_3183 Depth=3
	v_bfe_u32 v96, v102, 16, 1
	v_add3_u32 v96, v102, v96, s8
                                        ; implicit-def: $vgpr102
; %bb.3225:                             ;   in Loop: Header=BB36_3183 Depth=3
	s_andn2_saveexec_b64 s[28:29], s[28:29]
; %bb.3226:                             ;   in Loop: Header=BB36_3183 Depth=3
	v_or_b32_e32 v96, 0x10000, v102
	v_cmp_eq_u32_sdwa vcc, v102, v3 src0_sel:WORD_0 src1_sel:DWORD
	s_nop 1
	v_cndmask_b32_e32 v96, v96, v102, vcc
; %bb.3227:                             ;   in Loop: Header=BB36_3183 Depth=3
	s_or_b64 exec, exec, s[28:29]
	v_and_b32_e32 v85, 0xffff0000, v85
	v_and_b32_e32 v97, 0xffff0000, v97
	v_max_f32_e32 v97, v97, v97
	v_max_f32_e32 v85, v85, v85
	v_min_f32_e32 v102, v85, v97
	v_max_f32_e32 v85, v85, v97
	v_cndmask_b32_e64 v97, v85, v102, s[22:23]
	v_and_b32_e32 v85, 0x7f800000, v97
	v_cmp_ne_u32_e32 vcc, s35, v85
                                        ; implicit-def: $vgpr85
	s_and_saveexec_b64 s[28:29], vcc
	s_xor_b64 s[28:29], exec, s[28:29]
; %bb.3228:                             ;   in Loop: Header=BB36_3183 Depth=3
	v_bfe_u32 v85, v97, 16, 1
	v_add3_u32 v85, v97, v85, s8
                                        ; implicit-def: $vgpr97
; %bb.3229:                             ;   in Loop: Header=BB36_3183 Depth=3
	s_andn2_saveexec_b64 s[28:29], s[28:29]
; %bb.3230:                             ;   in Loop: Header=BB36_3183 Depth=3
	v_or_b32_e32 v85, 0x10000, v97
	v_cmp_eq_u32_sdwa vcc, v97, v3 src0_sel:WORD_0 src1_sel:DWORD
	s_nop 1
	v_cndmask_b32_e32 v85, v85, v97, vcc
; %bb.3231:                             ;   in Loop: Header=BB36_3183 Depth=3
	s_or_b64 exec, exec, s[28:29]
	v_lshlrev_b32_e32 v97, 16, v86
	v_lshlrev_b32_e32 v102, 16, v98
	v_max_f32_e32 v102, v102, v102
	v_max_f32_e32 v97, v97, v97
	v_min_f32_e32 v103, v97, v102
	v_max_f32_e32 v97, v97, v102
	v_cndmask_b32_e64 v102, v97, v103, s[22:23]
	v_and_b32_e32 v97, 0x7f800000, v102
	v_cmp_ne_u32_e32 vcc, s35, v97
                                        ; implicit-def: $vgpr97
	s_and_saveexec_b64 s[28:29], vcc
	s_xor_b64 s[28:29], exec, s[28:29]
; %bb.3232:                             ;   in Loop: Header=BB36_3183 Depth=3
	v_bfe_u32 v97, v102, 16, 1
	v_add3_u32 v97, v102, v97, s8
                                        ; implicit-def: $vgpr102
; %bb.3233:                             ;   in Loop: Header=BB36_3183 Depth=3
	s_andn2_saveexec_b64 s[28:29], s[28:29]
; %bb.3234:                             ;   in Loop: Header=BB36_3183 Depth=3
	v_or_b32_e32 v97, 0x10000, v102
	v_cmp_eq_u32_sdwa vcc, v102, v3 src0_sel:WORD_0 src1_sel:DWORD
	s_nop 1
	v_cndmask_b32_e32 v97, v97, v102, vcc
; %bb.3235:                             ;   in Loop: Header=BB36_3183 Depth=3
	s_or_b64 exec, exec, s[28:29]
	v_and_b32_e32 v86, 0xffff0000, v86
	v_and_b32_e32 v98, 0xffff0000, v98
	v_max_f32_e32 v98, v98, v98
	v_max_f32_e32 v86, v86, v86
	v_min_f32_e32 v102, v86, v98
	v_max_f32_e32 v86, v86, v98
	v_cndmask_b32_e64 v98, v86, v102, s[22:23]
	v_and_b32_e32 v86, 0x7f800000, v98
	v_cmp_ne_u32_e32 vcc, s35, v86
                                        ; implicit-def: $vgpr86
	s_and_saveexec_b64 s[28:29], vcc
	s_xor_b64 s[28:29], exec, s[28:29]
; %bb.3236:                             ;   in Loop: Header=BB36_3183 Depth=3
	v_bfe_u32 v86, v98, 16, 1
	v_add3_u32 v86, v98, v86, s8
                                        ; implicit-def: $vgpr98
; %bb.3237:                             ;   in Loop: Header=BB36_3183 Depth=3
	s_andn2_saveexec_b64 s[28:29], s[28:29]
; %bb.3238:                             ;   in Loop: Header=BB36_3183 Depth=3
	v_or_b32_e32 v86, 0x10000, v98
	v_cmp_eq_u32_sdwa vcc, v98, v3 src0_sel:WORD_0 src1_sel:DWORD
	s_nop 1
	v_cndmask_b32_e32 v86, v86, v98, vcc
; %bb.3239:                             ;   in Loop: Header=BB36_3183 Depth=3
	s_or_b64 exec, exec, s[28:29]
	v_lshlrev_b32_e32 v98, 16, v87
	v_lshlrev_b32_e32 v102, 16, v99
	v_max_f32_e32 v102, v102, v102
	v_max_f32_e32 v98, v98, v98
	v_min_f32_e32 v103, v98, v102
	v_max_f32_e32 v98, v98, v102
	v_cndmask_b32_e64 v102, v98, v103, s[22:23]
	v_and_b32_e32 v98, 0x7f800000, v102
	v_cmp_ne_u32_e32 vcc, s35, v98
                                        ; implicit-def: $vgpr98
	s_and_saveexec_b64 s[28:29], vcc
	s_xor_b64 s[28:29], exec, s[28:29]
; %bb.3240:                             ;   in Loop: Header=BB36_3183 Depth=3
	v_bfe_u32 v98, v102, 16, 1
	v_add3_u32 v98, v102, v98, s8
                                        ; implicit-def: $vgpr102
; %bb.3241:                             ;   in Loop: Header=BB36_3183 Depth=3
	s_andn2_saveexec_b64 s[28:29], s[28:29]
; %bb.3242:                             ;   in Loop: Header=BB36_3183 Depth=3
	v_or_b32_e32 v98, 0x10000, v102
	v_cmp_eq_u32_sdwa vcc, v102, v3 src0_sel:WORD_0 src1_sel:DWORD
	s_nop 1
	v_cndmask_b32_e32 v98, v98, v102, vcc
; %bb.3243:                             ;   in Loop: Header=BB36_3183 Depth=3
	s_or_b64 exec, exec, s[28:29]
	v_and_b32_e32 v87, 0xffff0000, v87
	v_and_b32_e32 v99, 0xffff0000, v99
	v_max_f32_e32 v99, v99, v99
	v_max_f32_e32 v87, v87, v87
	v_min_f32_e32 v102, v87, v99
	v_max_f32_e32 v87, v87, v99
	v_cndmask_b32_e64 v99, v87, v102, s[22:23]
	v_and_b32_e32 v87, 0x7f800000, v99
	v_cmp_ne_u32_e32 vcc, s35, v87
                                        ; implicit-def: $vgpr87
	s_and_saveexec_b64 s[28:29], vcc
	s_xor_b64 s[28:29], exec, s[28:29]
; %bb.3244:                             ;   in Loop: Header=BB36_3183 Depth=3
	v_bfe_u32 v87, v99, 16, 1
	v_add3_u32 v87, v99, v87, s8
                                        ; implicit-def: $vgpr99
; %bb.3245:                             ;   in Loop: Header=BB36_3183 Depth=3
	s_andn2_saveexec_b64 s[28:29], s[28:29]
; %bb.3246:                             ;   in Loop: Header=BB36_3183 Depth=3
	v_or_b32_e32 v87, 0x10000, v99
	v_cmp_eq_u32_sdwa vcc, v99, v3 src0_sel:WORD_0 src1_sel:DWORD
	s_nop 1
	v_cndmask_b32_e32 v87, v87, v99, vcc
; %bb.3247:                             ;   in Loop: Header=BB36_3183 Depth=3
	s_or_b64 exec, exec, s[28:29]
	v_lshrrev_b32_e32 v30, 16, v30
	v_and_or_b32 v84, v84, s9, v30
	v_lshrrev_b32_e32 v30, 16, v97
	v_lshrrev_b32_e32 v96, 16, v96
	v_and_or_b32 v86, v86, s9, v30
	v_lshrrev_b32_e32 v30, 16, v98
	v_and_or_b32 v85, v85, s9, v96
	v_and_or_b32 v87, v87, s9, v30
	global_store_dwordx4 v[100:101], v[84:87], off offset:1024
	v_lshlrev_b32_e32 v30, 16, v68
	v_max_f32_e32 v30, v30, v30
	v_lshlrev_b32_e32 v84, 16, v80
	v_max_f32_e32 v84, v84, v84
	v_min_f32_e32 v85, v30, v84
	v_max_f32_e32 v30, v30, v84
	v_cndmask_b32_e64 v84, v30, v85, s[22:23]
	v_and_b32_e32 v30, 0x7f800000, v84
	v_cmp_ne_u32_e32 vcc, s35, v30
                                        ; implicit-def: $vgpr30
	s_and_saveexec_b64 s[28:29], vcc
	s_xor_b64 s[28:29], exec, s[28:29]
; %bb.3248:                             ;   in Loop: Header=BB36_3183 Depth=3
	v_bfe_u32 v30, v84, 16, 1
	v_add3_u32 v30, v84, v30, s8
                                        ; implicit-def: $vgpr84
; %bb.3249:                             ;   in Loop: Header=BB36_3183 Depth=3
	s_andn2_saveexec_b64 s[28:29], s[28:29]
; %bb.3250:                             ;   in Loop: Header=BB36_3183 Depth=3
	v_or_b32_e32 v30, 0x10000, v84
	v_cmp_eq_u32_sdwa vcc, v84, v3 src0_sel:WORD_0 src1_sel:DWORD
	s_nop 1
	v_cndmask_b32_e32 v30, v30, v84, vcc
; %bb.3251:                             ;   in Loop: Header=BB36_3183 Depth=3
	s_or_b64 exec, exec, s[28:29]
	v_and_b32_e32 v68, 0xffff0000, v68
	v_and_b32_e32 v80, 0xffff0000, v80
	v_max_f32_e32 v80, v80, v80
	v_max_f32_e32 v68, v68, v68
	v_min_f32_e32 v84, v68, v80
	v_max_f32_e32 v68, v68, v80
	v_cndmask_b32_e64 v80, v68, v84, s[22:23]
	v_and_b32_e32 v68, 0x7f800000, v80
	v_cmp_ne_u32_e32 vcc, s35, v68
                                        ; implicit-def: $vgpr68
	s_and_saveexec_b64 s[28:29], vcc
	s_xor_b64 s[28:29], exec, s[28:29]
; %bb.3252:                             ;   in Loop: Header=BB36_3183 Depth=3
	v_bfe_u32 v68, v80, 16, 1
	v_add3_u32 v68, v80, v68, s8
                                        ; implicit-def: $vgpr80
; %bb.3253:                             ;   in Loop: Header=BB36_3183 Depth=3
	s_andn2_saveexec_b64 s[28:29], s[28:29]
; %bb.3254:                             ;   in Loop: Header=BB36_3183 Depth=3
	v_or_b32_e32 v68, 0x10000, v80
	v_cmp_eq_u32_sdwa vcc, v80, v3 src0_sel:WORD_0 src1_sel:DWORD
	s_nop 1
	v_cndmask_b32_e32 v68, v68, v80, vcc
; %bb.3255:                             ;   in Loop: Header=BB36_3183 Depth=3
	s_or_b64 exec, exec, s[28:29]
	v_lshlrev_b32_e32 v80, 16, v69
	v_lshlrev_b32_e32 v84, 16, v81
	v_max_f32_e32 v84, v84, v84
	v_max_f32_e32 v80, v80, v80
	v_min_f32_e32 v85, v80, v84
	v_max_f32_e32 v80, v80, v84
	v_cndmask_b32_e64 v84, v80, v85, s[22:23]
	v_and_b32_e32 v80, 0x7f800000, v84
	v_cmp_ne_u32_e32 vcc, s35, v80
                                        ; implicit-def: $vgpr80
	s_and_saveexec_b64 s[28:29], vcc
	s_xor_b64 s[28:29], exec, s[28:29]
; %bb.3256:                             ;   in Loop: Header=BB36_3183 Depth=3
	v_bfe_u32 v80, v84, 16, 1
	v_add3_u32 v80, v84, v80, s8
                                        ; implicit-def: $vgpr84
; %bb.3257:                             ;   in Loop: Header=BB36_3183 Depth=3
	s_andn2_saveexec_b64 s[28:29], s[28:29]
; %bb.3258:                             ;   in Loop: Header=BB36_3183 Depth=3
	v_or_b32_e32 v80, 0x10000, v84
	v_cmp_eq_u32_sdwa vcc, v84, v3 src0_sel:WORD_0 src1_sel:DWORD
	s_nop 1
	v_cndmask_b32_e32 v80, v80, v84, vcc
; %bb.3259:                             ;   in Loop: Header=BB36_3183 Depth=3
	s_or_b64 exec, exec, s[28:29]
	v_and_b32_e32 v69, 0xffff0000, v69
	v_and_b32_e32 v81, 0xffff0000, v81
	v_max_f32_e32 v81, v81, v81
	v_max_f32_e32 v69, v69, v69
	v_min_f32_e32 v84, v69, v81
	v_max_f32_e32 v69, v69, v81
	v_cndmask_b32_e64 v81, v69, v84, s[22:23]
	v_and_b32_e32 v69, 0x7f800000, v81
	v_cmp_ne_u32_e32 vcc, s35, v69
                                        ; implicit-def: $vgpr69
	s_and_saveexec_b64 s[28:29], vcc
	s_xor_b64 s[28:29], exec, s[28:29]
; %bb.3260:                             ;   in Loop: Header=BB36_3183 Depth=3
	v_bfe_u32 v69, v81, 16, 1
	v_add3_u32 v69, v81, v69, s8
                                        ; implicit-def: $vgpr81
; %bb.3261:                             ;   in Loop: Header=BB36_3183 Depth=3
	s_andn2_saveexec_b64 s[28:29], s[28:29]
; %bb.3262:                             ;   in Loop: Header=BB36_3183 Depth=3
	v_or_b32_e32 v69, 0x10000, v81
	v_cmp_eq_u32_sdwa vcc, v81, v3 src0_sel:WORD_0 src1_sel:DWORD
	s_nop 1
	v_cndmask_b32_e32 v69, v69, v81, vcc
; %bb.3263:                             ;   in Loop: Header=BB36_3183 Depth=3
	s_or_b64 exec, exec, s[28:29]
	v_lshlrev_b32_e32 v81, 16, v70
	v_lshlrev_b32_e32 v84, 16, v82
	v_max_f32_e32 v84, v84, v84
	v_max_f32_e32 v81, v81, v81
	v_min_f32_e32 v85, v81, v84
	v_max_f32_e32 v81, v81, v84
	v_cndmask_b32_e64 v84, v81, v85, s[22:23]
	v_and_b32_e32 v81, 0x7f800000, v84
	v_cmp_ne_u32_e32 vcc, s35, v81
                                        ; implicit-def: $vgpr81
	s_and_saveexec_b64 s[28:29], vcc
	s_xor_b64 s[28:29], exec, s[28:29]
; %bb.3264:                             ;   in Loop: Header=BB36_3183 Depth=3
	v_bfe_u32 v81, v84, 16, 1
	v_add3_u32 v81, v84, v81, s8
                                        ; implicit-def: $vgpr84
; %bb.3265:                             ;   in Loop: Header=BB36_3183 Depth=3
	s_andn2_saveexec_b64 s[28:29], s[28:29]
; %bb.3266:                             ;   in Loop: Header=BB36_3183 Depth=3
	v_or_b32_e32 v81, 0x10000, v84
	v_cmp_eq_u32_sdwa vcc, v84, v3 src0_sel:WORD_0 src1_sel:DWORD
	s_nop 1
	v_cndmask_b32_e32 v81, v81, v84, vcc
; %bb.3267:                             ;   in Loop: Header=BB36_3183 Depth=3
	s_or_b64 exec, exec, s[28:29]
	v_and_b32_e32 v70, 0xffff0000, v70
	v_and_b32_e32 v82, 0xffff0000, v82
	v_max_f32_e32 v82, v82, v82
	v_max_f32_e32 v70, v70, v70
	v_min_f32_e32 v84, v70, v82
	v_max_f32_e32 v70, v70, v82
	v_cndmask_b32_e64 v82, v70, v84, s[22:23]
	v_and_b32_e32 v70, 0x7f800000, v82
	v_cmp_ne_u32_e32 vcc, s35, v70
                                        ; implicit-def: $vgpr70
	s_and_saveexec_b64 s[28:29], vcc
	s_xor_b64 s[28:29], exec, s[28:29]
; %bb.3268:                             ;   in Loop: Header=BB36_3183 Depth=3
	v_bfe_u32 v70, v82, 16, 1
	v_add3_u32 v70, v82, v70, s8
                                        ; implicit-def: $vgpr82
; %bb.3269:                             ;   in Loop: Header=BB36_3183 Depth=3
	s_andn2_saveexec_b64 s[28:29], s[28:29]
; %bb.3270:                             ;   in Loop: Header=BB36_3183 Depth=3
	v_or_b32_e32 v70, 0x10000, v82
	v_cmp_eq_u32_sdwa vcc, v82, v3 src0_sel:WORD_0 src1_sel:DWORD
	s_nop 1
	v_cndmask_b32_e32 v70, v70, v82, vcc
; %bb.3271:                             ;   in Loop: Header=BB36_3183 Depth=3
	s_or_b64 exec, exec, s[28:29]
	v_lshlrev_b32_e32 v82, 16, v71
	v_lshlrev_b32_e32 v84, 16, v83
	v_max_f32_e32 v84, v84, v84
	v_max_f32_e32 v82, v82, v82
	v_min_f32_e32 v85, v82, v84
	v_max_f32_e32 v82, v82, v84
	v_cndmask_b32_e64 v84, v82, v85, s[22:23]
	v_and_b32_e32 v82, 0x7f800000, v84
	v_cmp_ne_u32_e32 vcc, s35, v82
                                        ; implicit-def: $vgpr82
	s_and_saveexec_b64 s[28:29], vcc
	s_xor_b64 s[28:29], exec, s[28:29]
; %bb.3272:                             ;   in Loop: Header=BB36_3183 Depth=3
	v_bfe_u32 v82, v84, 16, 1
	v_add3_u32 v82, v84, v82, s8
                                        ; implicit-def: $vgpr84
; %bb.3273:                             ;   in Loop: Header=BB36_3183 Depth=3
	s_andn2_saveexec_b64 s[28:29], s[28:29]
; %bb.3274:                             ;   in Loop: Header=BB36_3183 Depth=3
	v_or_b32_e32 v82, 0x10000, v84
	v_cmp_eq_u32_sdwa vcc, v84, v3 src0_sel:WORD_0 src1_sel:DWORD
	s_nop 1
	v_cndmask_b32_e32 v82, v82, v84, vcc
; %bb.3275:                             ;   in Loop: Header=BB36_3183 Depth=3
	s_or_b64 exec, exec, s[28:29]
	v_and_b32_e32 v71, 0xffff0000, v71
	v_and_b32_e32 v83, 0xffff0000, v83
	v_max_f32_e32 v83, v83, v83
	v_max_f32_e32 v71, v71, v71
	v_min_f32_e32 v84, v71, v83
	v_max_f32_e32 v71, v71, v83
	v_cndmask_b32_e64 v83, v71, v84, s[22:23]
	v_and_b32_e32 v71, 0x7f800000, v83
	v_cmp_ne_u32_e32 vcc, s35, v71
                                        ; implicit-def: $vgpr71
	s_and_saveexec_b64 s[28:29], vcc
	s_xor_b64 s[28:29], exec, s[28:29]
; %bb.3276:                             ;   in Loop: Header=BB36_3183 Depth=3
	v_bfe_u32 v71, v83, 16, 1
	v_add3_u32 v71, v83, v71, s8
                                        ; implicit-def: $vgpr83
; %bb.3277:                             ;   in Loop: Header=BB36_3183 Depth=3
	s_andn2_saveexec_b64 s[28:29], s[28:29]
; %bb.3278:                             ;   in Loop: Header=BB36_3183 Depth=3
	v_or_b32_e32 v71, 0x10000, v83
	v_cmp_eq_u32_sdwa vcc, v83, v3 src0_sel:WORD_0 src1_sel:DWORD
	s_nop 1
	v_cndmask_b32_e32 v71, v71, v83, vcc
; %bb.3279:                             ;   in Loop: Header=BB36_3183 Depth=3
	s_or_b64 exec, exec, s[28:29]
	v_lshrrev_b32_e32 v30, 16, v30
	v_and_or_b32 v68, v68, s9, v30
	v_lshrrev_b32_e32 v30, 16, v81
	v_lshrrev_b32_e32 v80, 16, v80
	v_and_or_b32 v70, v70, s9, v30
	v_lshrrev_b32_e32 v30, 16, v82
	v_and_or_b32 v69, v69, s9, v80
	v_and_or_b32 v71, v71, s9, v30
	global_store_dwordx4 v[100:101], v[68:71], off offset:2048
	v_lshlrev_b32_e32 v30, 16, v52
	v_max_f32_e32 v30, v30, v30
	v_lshlrev_b32_e32 v68, 16, v64
	v_max_f32_e32 v68, v68, v68
	v_min_f32_e32 v69, v30, v68
	v_max_f32_e32 v30, v30, v68
	v_cndmask_b32_e64 v68, v30, v69, s[22:23]
	v_and_b32_e32 v30, 0x7f800000, v68
	v_cmp_ne_u32_e32 vcc, s35, v30
                                        ; implicit-def: $vgpr30
	s_and_saveexec_b64 s[28:29], vcc
	s_xor_b64 s[28:29], exec, s[28:29]
; %bb.3280:                             ;   in Loop: Header=BB36_3183 Depth=3
	v_bfe_u32 v30, v68, 16, 1
	v_add3_u32 v30, v68, v30, s8
                                        ; implicit-def: $vgpr68
; %bb.3281:                             ;   in Loop: Header=BB36_3183 Depth=3
	s_andn2_saveexec_b64 s[28:29], s[28:29]
; %bb.3282:                             ;   in Loop: Header=BB36_3183 Depth=3
	v_or_b32_e32 v30, 0x10000, v68
	v_cmp_eq_u32_sdwa vcc, v68, v3 src0_sel:WORD_0 src1_sel:DWORD
	s_nop 1
	v_cndmask_b32_e32 v30, v30, v68, vcc
; %bb.3283:                             ;   in Loop: Header=BB36_3183 Depth=3
	s_or_b64 exec, exec, s[28:29]
	v_and_b32_e32 v52, 0xffff0000, v52
	v_and_b32_e32 v64, 0xffff0000, v64
	v_max_f32_e32 v64, v64, v64
	v_max_f32_e32 v52, v52, v52
	v_min_f32_e32 v68, v52, v64
	v_max_f32_e32 v52, v52, v64
	v_cndmask_b32_e64 v64, v52, v68, s[22:23]
	v_and_b32_e32 v52, 0x7f800000, v64
	v_cmp_ne_u32_e32 vcc, s35, v52
                                        ; implicit-def: $vgpr52
	s_and_saveexec_b64 s[28:29], vcc
	s_xor_b64 s[28:29], exec, s[28:29]
; %bb.3284:                             ;   in Loop: Header=BB36_3183 Depth=3
	v_bfe_u32 v52, v64, 16, 1
	v_add3_u32 v52, v64, v52, s8
                                        ; implicit-def: $vgpr64
; %bb.3285:                             ;   in Loop: Header=BB36_3183 Depth=3
	s_andn2_saveexec_b64 s[28:29], s[28:29]
; %bb.3286:                             ;   in Loop: Header=BB36_3183 Depth=3
	v_or_b32_e32 v52, 0x10000, v64
	v_cmp_eq_u32_sdwa vcc, v64, v3 src0_sel:WORD_0 src1_sel:DWORD
	s_nop 1
	v_cndmask_b32_e32 v52, v52, v64, vcc
; %bb.3287:                             ;   in Loop: Header=BB36_3183 Depth=3
	s_or_b64 exec, exec, s[28:29]
	v_lshlrev_b32_e32 v64, 16, v53
	v_lshlrev_b32_e32 v68, 16, v65
	v_max_f32_e32 v68, v68, v68
	v_max_f32_e32 v64, v64, v64
	v_min_f32_e32 v69, v64, v68
	v_max_f32_e32 v64, v64, v68
	v_cndmask_b32_e64 v68, v64, v69, s[22:23]
	v_and_b32_e32 v64, 0x7f800000, v68
	v_cmp_ne_u32_e32 vcc, s35, v64
                                        ; implicit-def: $vgpr64
	s_and_saveexec_b64 s[28:29], vcc
	s_xor_b64 s[28:29], exec, s[28:29]
; %bb.3288:                             ;   in Loop: Header=BB36_3183 Depth=3
	v_bfe_u32 v64, v68, 16, 1
	v_add3_u32 v64, v68, v64, s8
                                        ; implicit-def: $vgpr68
; %bb.3289:                             ;   in Loop: Header=BB36_3183 Depth=3
	s_andn2_saveexec_b64 s[28:29], s[28:29]
; %bb.3290:                             ;   in Loop: Header=BB36_3183 Depth=3
	v_or_b32_e32 v64, 0x10000, v68
	v_cmp_eq_u32_sdwa vcc, v68, v3 src0_sel:WORD_0 src1_sel:DWORD
	s_nop 1
	v_cndmask_b32_e32 v64, v64, v68, vcc
; %bb.3291:                             ;   in Loop: Header=BB36_3183 Depth=3
	s_or_b64 exec, exec, s[28:29]
	v_and_b32_e32 v53, 0xffff0000, v53
	v_and_b32_e32 v65, 0xffff0000, v65
	v_max_f32_e32 v65, v65, v65
	v_max_f32_e32 v53, v53, v53
	v_min_f32_e32 v68, v53, v65
	v_max_f32_e32 v53, v53, v65
	v_cndmask_b32_e64 v65, v53, v68, s[22:23]
	v_and_b32_e32 v53, 0x7f800000, v65
	v_cmp_ne_u32_e32 vcc, s35, v53
                                        ; implicit-def: $vgpr53
	s_and_saveexec_b64 s[28:29], vcc
	s_xor_b64 s[28:29], exec, s[28:29]
; %bb.3292:                             ;   in Loop: Header=BB36_3183 Depth=3
	v_bfe_u32 v53, v65, 16, 1
	v_add3_u32 v53, v65, v53, s8
                                        ; implicit-def: $vgpr65
; %bb.3293:                             ;   in Loop: Header=BB36_3183 Depth=3
	s_andn2_saveexec_b64 s[28:29], s[28:29]
; %bb.3294:                             ;   in Loop: Header=BB36_3183 Depth=3
	v_or_b32_e32 v53, 0x10000, v65
	v_cmp_eq_u32_sdwa vcc, v65, v3 src0_sel:WORD_0 src1_sel:DWORD
	s_nop 1
	v_cndmask_b32_e32 v53, v53, v65, vcc
; %bb.3295:                             ;   in Loop: Header=BB36_3183 Depth=3
	s_or_b64 exec, exec, s[28:29]
	v_lshlrev_b32_e32 v65, 16, v54
	v_lshlrev_b32_e32 v68, 16, v66
	v_max_f32_e32 v68, v68, v68
	v_max_f32_e32 v65, v65, v65
	v_min_f32_e32 v69, v65, v68
	v_max_f32_e32 v65, v65, v68
	v_cndmask_b32_e64 v68, v65, v69, s[22:23]
	v_and_b32_e32 v65, 0x7f800000, v68
	v_cmp_ne_u32_e32 vcc, s35, v65
                                        ; implicit-def: $vgpr65
	s_and_saveexec_b64 s[28:29], vcc
	s_xor_b64 s[28:29], exec, s[28:29]
; %bb.3296:                             ;   in Loop: Header=BB36_3183 Depth=3
	v_bfe_u32 v65, v68, 16, 1
	v_add3_u32 v65, v68, v65, s8
                                        ; implicit-def: $vgpr68
; %bb.3297:                             ;   in Loop: Header=BB36_3183 Depth=3
	s_andn2_saveexec_b64 s[28:29], s[28:29]
; %bb.3298:                             ;   in Loop: Header=BB36_3183 Depth=3
	v_or_b32_e32 v65, 0x10000, v68
	v_cmp_eq_u32_sdwa vcc, v68, v3 src0_sel:WORD_0 src1_sel:DWORD
	s_nop 1
	v_cndmask_b32_e32 v65, v65, v68, vcc
; %bb.3299:                             ;   in Loop: Header=BB36_3183 Depth=3
	s_or_b64 exec, exec, s[28:29]
	v_and_b32_e32 v54, 0xffff0000, v54
	v_and_b32_e32 v66, 0xffff0000, v66
	v_max_f32_e32 v66, v66, v66
	v_max_f32_e32 v54, v54, v54
	v_min_f32_e32 v68, v54, v66
	v_max_f32_e32 v54, v54, v66
	v_cndmask_b32_e64 v66, v54, v68, s[22:23]
	v_and_b32_e32 v54, 0x7f800000, v66
	v_cmp_ne_u32_e32 vcc, s35, v54
                                        ; implicit-def: $vgpr54
	s_and_saveexec_b64 s[28:29], vcc
	s_xor_b64 s[28:29], exec, s[28:29]
; %bb.3300:                             ;   in Loop: Header=BB36_3183 Depth=3
	v_bfe_u32 v54, v66, 16, 1
	v_add3_u32 v54, v66, v54, s8
                                        ; implicit-def: $vgpr66
; %bb.3301:                             ;   in Loop: Header=BB36_3183 Depth=3
	s_andn2_saveexec_b64 s[28:29], s[28:29]
; %bb.3302:                             ;   in Loop: Header=BB36_3183 Depth=3
	v_or_b32_e32 v54, 0x10000, v66
	v_cmp_eq_u32_sdwa vcc, v66, v3 src0_sel:WORD_0 src1_sel:DWORD
	s_nop 1
	v_cndmask_b32_e32 v54, v54, v66, vcc
; %bb.3303:                             ;   in Loop: Header=BB36_3183 Depth=3
	s_or_b64 exec, exec, s[28:29]
	v_lshlrev_b32_e32 v66, 16, v55
	v_lshlrev_b32_e32 v68, 16, v67
	v_max_f32_e32 v68, v68, v68
	v_max_f32_e32 v66, v66, v66
	v_min_f32_e32 v69, v66, v68
	v_max_f32_e32 v66, v66, v68
	v_cndmask_b32_e64 v68, v66, v69, s[22:23]
	v_and_b32_e32 v66, 0x7f800000, v68
	v_cmp_ne_u32_e32 vcc, s35, v66
                                        ; implicit-def: $vgpr66
	s_and_saveexec_b64 s[28:29], vcc
	s_xor_b64 s[28:29], exec, s[28:29]
; %bb.3304:                             ;   in Loop: Header=BB36_3183 Depth=3
	v_bfe_u32 v66, v68, 16, 1
	v_add3_u32 v66, v68, v66, s8
                                        ; implicit-def: $vgpr68
; %bb.3305:                             ;   in Loop: Header=BB36_3183 Depth=3
	s_andn2_saveexec_b64 s[28:29], s[28:29]
; %bb.3306:                             ;   in Loop: Header=BB36_3183 Depth=3
	v_or_b32_e32 v66, 0x10000, v68
	v_cmp_eq_u32_sdwa vcc, v68, v3 src0_sel:WORD_0 src1_sel:DWORD
	s_nop 1
	v_cndmask_b32_e32 v66, v66, v68, vcc
; %bb.3307:                             ;   in Loop: Header=BB36_3183 Depth=3
	s_or_b64 exec, exec, s[28:29]
	v_and_b32_e32 v55, 0xffff0000, v55
	v_and_b32_e32 v67, 0xffff0000, v67
	v_max_f32_e32 v67, v67, v67
	v_max_f32_e32 v55, v55, v55
	v_min_f32_e32 v68, v55, v67
	v_max_f32_e32 v55, v55, v67
	v_cndmask_b32_e64 v67, v55, v68, s[22:23]
	v_and_b32_e32 v55, 0x7f800000, v67
	v_cmp_ne_u32_e32 vcc, s35, v55
                                        ; implicit-def: $vgpr55
	s_and_saveexec_b64 s[28:29], vcc
	s_xor_b64 s[28:29], exec, s[28:29]
; %bb.3308:                             ;   in Loop: Header=BB36_3183 Depth=3
	v_bfe_u32 v55, v67, 16, 1
	v_add3_u32 v55, v67, v55, s8
                                        ; implicit-def: $vgpr67
; %bb.3309:                             ;   in Loop: Header=BB36_3183 Depth=3
	s_andn2_saveexec_b64 s[28:29], s[28:29]
; %bb.3310:                             ;   in Loop: Header=BB36_3183 Depth=3
	v_or_b32_e32 v55, 0x10000, v67
	v_cmp_eq_u32_sdwa vcc, v67, v3 src0_sel:WORD_0 src1_sel:DWORD
	s_nop 1
	v_cndmask_b32_e32 v55, v55, v67, vcc
; %bb.3311:                             ;   in Loop: Header=BB36_3183 Depth=3
	s_or_b64 exec, exec, s[28:29]
	v_lshrrev_b32_e32 v30, 16, v30
	v_and_or_b32 v52, v52, s9, v30
	v_lshrrev_b32_e32 v30, 16, v65
	v_lshrrev_b32_e32 v64, 16, v64
	v_and_or_b32 v54, v54, s9, v30
	v_lshrrev_b32_e32 v30, 16, v66
	v_and_or_b32 v53, v53, s9, v64
	v_and_or_b32 v55, v55, s9, v30
	global_store_dwordx4 v[100:101], v[52:55], off offset:3072
	v_lshlrev_b32_e32 v30, 16, v36
	v_max_f32_e32 v30, v30, v30
	v_lshlrev_b32_e32 v52, 16, v48
	v_max_f32_e32 v52, v52, v52
	v_min_f32_e32 v53, v30, v52
	v_max_f32_e32 v30, v30, v52
	v_cndmask_b32_e64 v52, v30, v53, s[22:23]
	v_and_b32_e32 v30, 0x7f800000, v52
	v_cmp_ne_u32_e32 vcc, s35, v30
                                        ; implicit-def: $vgpr30
	s_and_saveexec_b64 s[28:29], vcc
	s_xor_b64 s[28:29], exec, s[28:29]
; %bb.3312:                             ;   in Loop: Header=BB36_3183 Depth=3
	v_bfe_u32 v30, v52, 16, 1
	v_add3_u32 v30, v52, v30, s8
                                        ; implicit-def: $vgpr52
; %bb.3313:                             ;   in Loop: Header=BB36_3183 Depth=3
	s_andn2_saveexec_b64 s[28:29], s[28:29]
; %bb.3314:                             ;   in Loop: Header=BB36_3183 Depth=3
	v_or_b32_e32 v30, 0x10000, v52
	v_cmp_eq_u32_sdwa vcc, v52, v3 src0_sel:WORD_0 src1_sel:DWORD
	s_nop 1
	v_cndmask_b32_e32 v30, v30, v52, vcc
; %bb.3315:                             ;   in Loop: Header=BB36_3183 Depth=3
	s_or_b64 exec, exec, s[28:29]
	v_and_b32_e32 v36, 0xffff0000, v36
	v_and_b32_e32 v48, 0xffff0000, v48
	v_max_f32_e32 v48, v48, v48
	v_max_f32_e32 v36, v36, v36
	v_min_f32_e32 v52, v36, v48
	v_max_f32_e32 v36, v36, v48
	v_cndmask_b32_e64 v48, v36, v52, s[22:23]
	v_and_b32_e32 v36, 0x7f800000, v48
	v_cmp_ne_u32_e32 vcc, s35, v36
                                        ; implicit-def: $vgpr36
	s_and_saveexec_b64 s[28:29], vcc
	s_xor_b64 s[28:29], exec, s[28:29]
; %bb.3316:                             ;   in Loop: Header=BB36_3183 Depth=3
	v_bfe_u32 v36, v48, 16, 1
	v_add3_u32 v36, v48, v36, s8
                                        ; implicit-def: $vgpr48
; %bb.3317:                             ;   in Loop: Header=BB36_3183 Depth=3
	s_andn2_saveexec_b64 s[28:29], s[28:29]
; %bb.3318:                             ;   in Loop: Header=BB36_3183 Depth=3
	v_or_b32_e32 v36, 0x10000, v48
	v_cmp_eq_u32_sdwa vcc, v48, v3 src0_sel:WORD_0 src1_sel:DWORD
	s_nop 1
	v_cndmask_b32_e32 v36, v36, v48, vcc
; %bb.3319:                             ;   in Loop: Header=BB36_3183 Depth=3
	s_or_b64 exec, exec, s[28:29]
	v_lshlrev_b32_e32 v48, 16, v37
	v_lshlrev_b32_e32 v52, 16, v49
	v_max_f32_e32 v52, v52, v52
	v_max_f32_e32 v48, v48, v48
	v_min_f32_e32 v53, v48, v52
	v_max_f32_e32 v48, v48, v52
	v_cndmask_b32_e64 v52, v48, v53, s[22:23]
	v_and_b32_e32 v48, 0x7f800000, v52
	v_cmp_ne_u32_e32 vcc, s35, v48
                                        ; implicit-def: $vgpr48
	s_and_saveexec_b64 s[28:29], vcc
	s_xor_b64 s[28:29], exec, s[28:29]
; %bb.3320:                             ;   in Loop: Header=BB36_3183 Depth=3
	v_bfe_u32 v48, v52, 16, 1
	v_add3_u32 v48, v52, v48, s8
                                        ; implicit-def: $vgpr52
; %bb.3321:                             ;   in Loop: Header=BB36_3183 Depth=3
	s_andn2_saveexec_b64 s[28:29], s[28:29]
; %bb.3322:                             ;   in Loop: Header=BB36_3183 Depth=3
	v_or_b32_e32 v48, 0x10000, v52
	v_cmp_eq_u32_sdwa vcc, v52, v3 src0_sel:WORD_0 src1_sel:DWORD
	s_nop 1
	v_cndmask_b32_e32 v48, v48, v52, vcc
; %bb.3323:                             ;   in Loop: Header=BB36_3183 Depth=3
	s_or_b64 exec, exec, s[28:29]
	v_and_b32_e32 v37, 0xffff0000, v37
	v_and_b32_e32 v49, 0xffff0000, v49
	v_max_f32_e32 v49, v49, v49
	v_max_f32_e32 v37, v37, v37
	v_min_f32_e32 v52, v37, v49
	v_max_f32_e32 v37, v37, v49
	v_cndmask_b32_e64 v49, v37, v52, s[22:23]
	v_and_b32_e32 v37, 0x7f800000, v49
	v_cmp_ne_u32_e32 vcc, s35, v37
                                        ; implicit-def: $vgpr37
	s_and_saveexec_b64 s[28:29], vcc
	s_xor_b64 s[28:29], exec, s[28:29]
; %bb.3324:                             ;   in Loop: Header=BB36_3183 Depth=3
	v_bfe_u32 v37, v49, 16, 1
	v_add3_u32 v37, v49, v37, s8
                                        ; implicit-def: $vgpr49
; %bb.3325:                             ;   in Loop: Header=BB36_3183 Depth=3
	s_andn2_saveexec_b64 s[28:29], s[28:29]
; %bb.3326:                             ;   in Loop: Header=BB36_3183 Depth=3
	v_or_b32_e32 v37, 0x10000, v49
	v_cmp_eq_u32_sdwa vcc, v49, v3 src0_sel:WORD_0 src1_sel:DWORD
	s_nop 1
	v_cndmask_b32_e32 v37, v37, v49, vcc
; %bb.3327:                             ;   in Loop: Header=BB36_3183 Depth=3
	s_or_b64 exec, exec, s[28:29]
	v_lshlrev_b32_e32 v49, 16, v38
	v_lshlrev_b32_e32 v52, 16, v50
	v_max_f32_e32 v52, v52, v52
	v_max_f32_e32 v49, v49, v49
	v_min_f32_e32 v53, v49, v52
	v_max_f32_e32 v49, v49, v52
	v_cndmask_b32_e64 v52, v49, v53, s[22:23]
	v_and_b32_e32 v49, 0x7f800000, v52
	v_cmp_ne_u32_e32 vcc, s35, v49
                                        ; implicit-def: $vgpr49
	s_and_saveexec_b64 s[28:29], vcc
	s_xor_b64 s[28:29], exec, s[28:29]
; %bb.3328:                             ;   in Loop: Header=BB36_3183 Depth=3
	v_bfe_u32 v49, v52, 16, 1
	v_add3_u32 v49, v52, v49, s8
                                        ; implicit-def: $vgpr52
; %bb.3329:                             ;   in Loop: Header=BB36_3183 Depth=3
	s_andn2_saveexec_b64 s[28:29], s[28:29]
; %bb.3330:                             ;   in Loop: Header=BB36_3183 Depth=3
	v_or_b32_e32 v49, 0x10000, v52
	v_cmp_eq_u32_sdwa vcc, v52, v3 src0_sel:WORD_0 src1_sel:DWORD
	s_nop 1
	v_cndmask_b32_e32 v49, v49, v52, vcc
; %bb.3331:                             ;   in Loop: Header=BB36_3183 Depth=3
	s_or_b64 exec, exec, s[28:29]
	v_and_b32_e32 v38, 0xffff0000, v38
	v_and_b32_e32 v50, 0xffff0000, v50
	v_max_f32_e32 v50, v50, v50
	v_max_f32_e32 v38, v38, v38
	v_min_f32_e32 v52, v38, v50
	v_max_f32_e32 v38, v38, v50
	v_cndmask_b32_e64 v50, v38, v52, s[22:23]
	v_and_b32_e32 v38, 0x7f800000, v50
	v_cmp_ne_u32_e32 vcc, s35, v38
                                        ; implicit-def: $vgpr38
	s_and_saveexec_b64 s[28:29], vcc
	s_xor_b64 s[28:29], exec, s[28:29]
; %bb.3332:                             ;   in Loop: Header=BB36_3183 Depth=3
	v_bfe_u32 v38, v50, 16, 1
	v_add3_u32 v38, v50, v38, s8
                                        ; implicit-def: $vgpr50
; %bb.3333:                             ;   in Loop: Header=BB36_3183 Depth=3
	s_andn2_saveexec_b64 s[28:29], s[28:29]
; %bb.3334:                             ;   in Loop: Header=BB36_3183 Depth=3
	v_or_b32_e32 v38, 0x10000, v50
	v_cmp_eq_u32_sdwa vcc, v50, v3 src0_sel:WORD_0 src1_sel:DWORD
	s_nop 1
	v_cndmask_b32_e32 v38, v38, v50, vcc
; %bb.3335:                             ;   in Loop: Header=BB36_3183 Depth=3
	s_or_b64 exec, exec, s[28:29]
	v_lshlrev_b32_e32 v50, 16, v39
	v_lshlrev_b32_e32 v52, 16, v51
	v_max_f32_e32 v52, v52, v52
	v_max_f32_e32 v50, v50, v50
	v_min_f32_e32 v53, v50, v52
	v_max_f32_e32 v50, v50, v52
	v_cndmask_b32_e64 v52, v50, v53, s[22:23]
	v_and_b32_e32 v50, 0x7f800000, v52
	v_cmp_ne_u32_e32 vcc, s35, v50
                                        ; implicit-def: $vgpr50
	s_and_saveexec_b64 s[28:29], vcc
	s_xor_b64 s[28:29], exec, s[28:29]
; %bb.3336:                             ;   in Loop: Header=BB36_3183 Depth=3
	v_bfe_u32 v50, v52, 16, 1
	v_add3_u32 v50, v52, v50, s8
                                        ; implicit-def: $vgpr52
; %bb.3337:                             ;   in Loop: Header=BB36_3183 Depth=3
	s_andn2_saveexec_b64 s[28:29], s[28:29]
; %bb.3338:                             ;   in Loop: Header=BB36_3183 Depth=3
	v_or_b32_e32 v50, 0x10000, v52
	v_cmp_eq_u32_sdwa vcc, v52, v3 src0_sel:WORD_0 src1_sel:DWORD
	s_nop 1
	v_cndmask_b32_e32 v50, v50, v52, vcc
; %bb.3339:                             ;   in Loop: Header=BB36_3183 Depth=3
	s_or_b64 exec, exec, s[28:29]
	v_and_b32_e32 v39, 0xffff0000, v39
	v_and_b32_e32 v51, 0xffff0000, v51
	v_max_f32_e32 v51, v51, v51
	v_max_f32_e32 v39, v39, v39
	v_min_f32_e32 v52, v39, v51
	v_max_f32_e32 v39, v39, v51
	v_cndmask_b32_e64 v51, v39, v52, s[22:23]
	v_and_b32_e32 v39, 0x7f800000, v51
	v_cmp_ne_u32_e32 vcc, s35, v39
                                        ; implicit-def: $vgpr39
	s_and_saveexec_b64 s[28:29], vcc
	s_xor_b64 s[28:29], exec, s[28:29]
; %bb.3340:                             ;   in Loop: Header=BB36_3183 Depth=3
	v_bfe_u32 v39, v51, 16, 1
	v_add3_u32 v39, v51, v39, s8
                                        ; implicit-def: $vgpr51
; %bb.3341:                             ;   in Loop: Header=BB36_3183 Depth=3
	s_andn2_saveexec_b64 s[28:29], s[28:29]
; %bb.3342:                             ;   in Loop: Header=BB36_3183 Depth=3
	v_or_b32_e32 v39, 0x10000, v51
	v_cmp_eq_u32_sdwa vcc, v51, v3 src0_sel:WORD_0 src1_sel:DWORD
	s_nop 1
	v_cndmask_b32_e32 v39, v39, v51, vcc
; %bb.3343:                             ;   in Loop: Header=BB36_3183 Depth=3
	s_or_b64 exec, exec, s[28:29]
	v_lshrrev_b32_e32 v30, 16, v30
	v_lshrrev_b32_e32 v48, 16, v48
	v_and_or_b32 v36, v36, s9, v30
	v_lshrrev_b32_e32 v30, 16, v49
	v_and_or_b32 v37, v37, s9, v48
	v_and_or_b32 v38, v38, s9, v30
	v_lshrrev_b32_e32 v30, 16, v50
	v_add_co_u32_e32 v48, vcc, 0x1000, v100
	v_and_or_b32 v39, v39, s9, v30
	s_nop 0
	v_addc_co_u32_e32 v49, vcc, 0, v101, vcc
	global_store_dwordx4 v[48:49], v[36:39], off
	v_lshlrev_b32_e32 v30, 16, v24
	v_max_f32_e32 v30, v30, v30
	v_lshlrev_b32_e32 v36, 16, v32
	v_max_f32_e32 v36, v36, v36
	v_min_f32_e32 v37, v30, v36
	v_max_f32_e32 v30, v30, v36
	v_cndmask_b32_e64 v36, v30, v37, s[22:23]
	v_and_b32_e32 v30, 0x7f800000, v36
	v_cmp_ne_u32_e32 vcc, s35, v30
                                        ; implicit-def: $vgpr30
	s_and_saveexec_b64 s[28:29], vcc
	s_xor_b64 s[28:29], exec, s[28:29]
; %bb.3344:                             ;   in Loop: Header=BB36_3183 Depth=3
	v_bfe_u32 v30, v36, 16, 1
	v_add3_u32 v30, v36, v30, s8
                                        ; implicit-def: $vgpr36
; %bb.3345:                             ;   in Loop: Header=BB36_3183 Depth=3
	s_andn2_saveexec_b64 s[28:29], s[28:29]
; %bb.3346:                             ;   in Loop: Header=BB36_3183 Depth=3
	v_or_b32_e32 v30, 0x10000, v36
	v_cmp_eq_u32_sdwa vcc, v36, v3 src0_sel:WORD_0 src1_sel:DWORD
	s_nop 1
	v_cndmask_b32_e32 v30, v30, v36, vcc
; %bb.3347:                             ;   in Loop: Header=BB36_3183 Depth=3
	s_or_b64 exec, exec, s[28:29]
	v_and_b32_e32 v24, 0xffff0000, v24
	v_and_b32_e32 v32, 0xffff0000, v32
	v_max_f32_e32 v32, v32, v32
	v_max_f32_e32 v24, v24, v24
	v_min_f32_e32 v36, v24, v32
	v_max_f32_e32 v24, v24, v32
	v_cndmask_b32_e64 v32, v24, v36, s[22:23]
	v_and_b32_e32 v24, 0x7f800000, v32
	v_cmp_ne_u32_e32 vcc, s35, v24
                                        ; implicit-def: $vgpr24
	s_and_saveexec_b64 s[28:29], vcc
	s_xor_b64 s[28:29], exec, s[28:29]
; %bb.3348:                             ;   in Loop: Header=BB36_3183 Depth=3
	v_bfe_u32 v24, v32, 16, 1
	v_add3_u32 v24, v32, v24, s8
                                        ; implicit-def: $vgpr32
; %bb.3349:                             ;   in Loop: Header=BB36_3183 Depth=3
	s_andn2_saveexec_b64 s[28:29], s[28:29]
; %bb.3350:                             ;   in Loop: Header=BB36_3183 Depth=3
	v_or_b32_e32 v24, 0x10000, v32
	v_cmp_eq_u32_sdwa vcc, v32, v3 src0_sel:WORD_0 src1_sel:DWORD
	s_nop 1
	v_cndmask_b32_e32 v24, v24, v32, vcc
; %bb.3351:                             ;   in Loop: Header=BB36_3183 Depth=3
	s_or_b64 exec, exec, s[28:29]
	v_lshlrev_b32_e32 v32, 16, v25
	v_lshlrev_b32_e32 v36, 16, v33
	v_max_f32_e32 v36, v36, v36
	v_max_f32_e32 v32, v32, v32
	v_min_f32_e32 v37, v32, v36
	v_max_f32_e32 v32, v32, v36
	v_cndmask_b32_e64 v36, v32, v37, s[22:23]
	v_and_b32_e32 v32, 0x7f800000, v36
	v_cmp_ne_u32_e32 vcc, s35, v32
                                        ; implicit-def: $vgpr32
	s_and_saveexec_b64 s[28:29], vcc
	s_xor_b64 s[28:29], exec, s[28:29]
; %bb.3352:                             ;   in Loop: Header=BB36_3183 Depth=3
	v_bfe_u32 v32, v36, 16, 1
	v_add3_u32 v32, v36, v32, s8
                                        ; implicit-def: $vgpr36
; %bb.3353:                             ;   in Loop: Header=BB36_3183 Depth=3
	s_andn2_saveexec_b64 s[28:29], s[28:29]
; %bb.3354:                             ;   in Loop: Header=BB36_3183 Depth=3
	v_or_b32_e32 v32, 0x10000, v36
	v_cmp_eq_u32_sdwa vcc, v36, v3 src0_sel:WORD_0 src1_sel:DWORD
	s_nop 1
	v_cndmask_b32_e32 v32, v32, v36, vcc
; %bb.3355:                             ;   in Loop: Header=BB36_3183 Depth=3
	s_or_b64 exec, exec, s[28:29]
	v_and_b32_e32 v25, 0xffff0000, v25
	v_and_b32_e32 v33, 0xffff0000, v33
	v_max_f32_e32 v33, v33, v33
	v_max_f32_e32 v25, v25, v25
	v_min_f32_e32 v36, v25, v33
	v_max_f32_e32 v25, v25, v33
	v_cndmask_b32_e64 v33, v25, v36, s[22:23]
	v_and_b32_e32 v25, 0x7f800000, v33
	v_cmp_ne_u32_e32 vcc, s35, v25
                                        ; implicit-def: $vgpr25
	s_and_saveexec_b64 s[28:29], vcc
	s_xor_b64 s[28:29], exec, s[28:29]
; %bb.3356:                             ;   in Loop: Header=BB36_3183 Depth=3
	v_bfe_u32 v25, v33, 16, 1
	v_add3_u32 v25, v33, v25, s8
                                        ; implicit-def: $vgpr33
; %bb.3357:                             ;   in Loop: Header=BB36_3183 Depth=3
	s_andn2_saveexec_b64 s[28:29], s[28:29]
; %bb.3358:                             ;   in Loop: Header=BB36_3183 Depth=3
	v_or_b32_e32 v25, 0x10000, v33
	v_cmp_eq_u32_sdwa vcc, v33, v3 src0_sel:WORD_0 src1_sel:DWORD
	s_nop 1
	v_cndmask_b32_e32 v25, v25, v33, vcc
; %bb.3359:                             ;   in Loop: Header=BB36_3183 Depth=3
	s_or_b64 exec, exec, s[28:29]
	v_lshlrev_b32_e32 v33, 16, v26
	v_lshlrev_b32_e32 v36, 16, v34
	v_max_f32_e32 v36, v36, v36
	v_max_f32_e32 v33, v33, v33
	v_min_f32_e32 v37, v33, v36
	v_max_f32_e32 v33, v33, v36
	v_cndmask_b32_e64 v36, v33, v37, s[22:23]
	v_and_b32_e32 v33, 0x7f800000, v36
	v_cmp_ne_u32_e32 vcc, s35, v33
                                        ; implicit-def: $vgpr33
	s_and_saveexec_b64 s[28:29], vcc
	s_xor_b64 s[28:29], exec, s[28:29]
; %bb.3360:                             ;   in Loop: Header=BB36_3183 Depth=3
	v_bfe_u32 v33, v36, 16, 1
	v_add3_u32 v33, v36, v33, s8
                                        ; implicit-def: $vgpr36
; %bb.3361:                             ;   in Loop: Header=BB36_3183 Depth=3
	s_andn2_saveexec_b64 s[28:29], s[28:29]
; %bb.3362:                             ;   in Loop: Header=BB36_3183 Depth=3
	v_or_b32_e32 v33, 0x10000, v36
	v_cmp_eq_u32_sdwa vcc, v36, v3 src0_sel:WORD_0 src1_sel:DWORD
	s_nop 1
	v_cndmask_b32_e32 v33, v33, v36, vcc
; %bb.3363:                             ;   in Loop: Header=BB36_3183 Depth=3
	s_or_b64 exec, exec, s[28:29]
	v_and_b32_e32 v26, 0xffff0000, v26
	v_and_b32_e32 v34, 0xffff0000, v34
	v_max_f32_e32 v34, v34, v34
	v_max_f32_e32 v26, v26, v26
	v_min_f32_e32 v36, v26, v34
	v_max_f32_e32 v26, v26, v34
	v_cndmask_b32_e64 v34, v26, v36, s[22:23]
	v_and_b32_e32 v26, 0x7f800000, v34
	v_cmp_ne_u32_e32 vcc, s35, v26
                                        ; implicit-def: $vgpr26
	s_and_saveexec_b64 s[28:29], vcc
	s_xor_b64 s[28:29], exec, s[28:29]
; %bb.3364:                             ;   in Loop: Header=BB36_3183 Depth=3
	v_bfe_u32 v26, v34, 16, 1
	v_add3_u32 v26, v34, v26, s8
                                        ; implicit-def: $vgpr34
; %bb.3365:                             ;   in Loop: Header=BB36_3183 Depth=3
	s_andn2_saveexec_b64 s[28:29], s[28:29]
; %bb.3366:                             ;   in Loop: Header=BB36_3183 Depth=3
	v_or_b32_e32 v26, 0x10000, v34
	v_cmp_eq_u32_sdwa vcc, v34, v3 src0_sel:WORD_0 src1_sel:DWORD
	s_nop 1
	v_cndmask_b32_e32 v26, v26, v34, vcc
; %bb.3367:                             ;   in Loop: Header=BB36_3183 Depth=3
	s_or_b64 exec, exec, s[28:29]
	v_lshlrev_b32_e32 v34, 16, v27
	v_lshlrev_b32_e32 v36, 16, v35
	v_max_f32_e32 v36, v36, v36
	v_max_f32_e32 v34, v34, v34
	v_min_f32_e32 v37, v34, v36
	v_max_f32_e32 v34, v34, v36
	v_cndmask_b32_e64 v36, v34, v37, s[22:23]
	v_and_b32_e32 v34, 0x7f800000, v36
	v_cmp_ne_u32_e32 vcc, s35, v34
                                        ; implicit-def: $vgpr34
	s_and_saveexec_b64 s[28:29], vcc
	s_xor_b64 s[28:29], exec, s[28:29]
; %bb.3368:                             ;   in Loop: Header=BB36_3183 Depth=3
	v_bfe_u32 v34, v36, 16, 1
	v_add3_u32 v34, v36, v34, s8
                                        ; implicit-def: $vgpr36
; %bb.3369:                             ;   in Loop: Header=BB36_3183 Depth=3
	s_andn2_saveexec_b64 s[28:29], s[28:29]
; %bb.3370:                             ;   in Loop: Header=BB36_3183 Depth=3
	v_or_b32_e32 v34, 0x10000, v36
	v_cmp_eq_u32_sdwa vcc, v36, v3 src0_sel:WORD_0 src1_sel:DWORD
	s_nop 1
	v_cndmask_b32_e32 v34, v34, v36, vcc
; %bb.3371:                             ;   in Loop: Header=BB36_3183 Depth=3
	s_or_b64 exec, exec, s[28:29]
	v_and_b32_e32 v27, 0xffff0000, v27
	v_and_b32_e32 v35, 0xffff0000, v35
	v_max_f32_e32 v35, v35, v35
	v_max_f32_e32 v27, v27, v27
	v_min_f32_e32 v36, v27, v35
	v_max_f32_e32 v27, v27, v35
	v_cndmask_b32_e64 v35, v27, v36, s[22:23]
	v_and_b32_e32 v27, 0x7f800000, v35
	v_cmp_ne_u32_e32 vcc, s35, v27
                                        ; implicit-def: $vgpr27
	s_and_saveexec_b64 s[28:29], vcc
	s_xor_b64 s[28:29], exec, s[28:29]
; %bb.3372:                             ;   in Loop: Header=BB36_3183 Depth=3
	v_bfe_u32 v27, v35, 16, 1
	v_add3_u32 v27, v35, v27, s8
                                        ; implicit-def: $vgpr35
; %bb.3373:                             ;   in Loop: Header=BB36_3183 Depth=3
	s_andn2_saveexec_b64 s[28:29], s[28:29]
; %bb.3374:                             ;   in Loop: Header=BB36_3183 Depth=3
	v_or_b32_e32 v27, 0x10000, v35
	v_cmp_eq_u32_sdwa vcc, v35, v3 src0_sel:WORD_0 src1_sel:DWORD
	s_nop 1
	v_cndmask_b32_e32 v27, v27, v35, vcc
; %bb.3375:                             ;   in Loop: Header=BB36_3183 Depth=3
	s_or_b64 exec, exec, s[28:29]
	v_lshrrev_b32_e32 v30, 16, v30
	v_lshrrev_b32_e32 v32, 16, v32
	v_and_or_b32 v24, v24, s9, v30
	v_lshrrev_b32_e32 v30, 16, v33
	v_and_or_b32 v25, v25, s9, v32
	v_and_or_b32 v26, v26, s9, v30
	v_lshrrev_b32_e32 v30, 16, v34
	v_add_co_u32_e32 v32, vcc, 0x1000, v100
	v_and_or_b32 v27, v27, s9, v30
	s_nop 0
	v_addc_co_u32_e32 v33, vcc, 0, v101, vcc
	global_store_dwordx4 v[32:33], v[24:27], off offset:1024
	s_nop 1
	v_lshlrev_b32_e32 v24, 16, v16
	v_lshlrev_b32_e32 v25, 16, v20
	v_max_f32_e32 v25, v25, v25
	v_max_f32_e32 v24, v24, v24
	v_min_f32_e32 v26, v24, v25
	v_max_f32_e32 v24, v24, v25
	v_cndmask_b32_e64 v25, v24, v26, s[22:23]
	v_and_b32_e32 v24, 0x7f800000, v25
	v_cmp_ne_u32_e32 vcc, s35, v24
                                        ; implicit-def: $vgpr24
	s_and_saveexec_b64 s[28:29], vcc
	s_xor_b64 s[28:29], exec, s[28:29]
; %bb.3376:                             ;   in Loop: Header=BB36_3183 Depth=3
	v_bfe_u32 v24, v25, 16, 1
	v_add3_u32 v24, v25, v24, s8
                                        ; implicit-def: $vgpr25
; %bb.3377:                             ;   in Loop: Header=BB36_3183 Depth=3
	s_andn2_saveexec_b64 s[28:29], s[28:29]
; %bb.3378:                             ;   in Loop: Header=BB36_3183 Depth=3
	v_or_b32_e32 v24, 0x10000, v25
	v_cmp_eq_u32_sdwa vcc, v25, v3 src0_sel:WORD_0 src1_sel:DWORD
	s_nop 1
	v_cndmask_b32_e32 v24, v24, v25, vcc
; %bb.3379:                             ;   in Loop: Header=BB36_3183 Depth=3
	s_or_b64 exec, exec, s[28:29]
	v_and_b32_e32 v16, 0xffff0000, v16
	v_and_b32_e32 v20, 0xffff0000, v20
	v_max_f32_e32 v20, v20, v20
	v_max_f32_e32 v16, v16, v16
	v_min_f32_e32 v25, v16, v20
	v_max_f32_e32 v16, v16, v20
	v_cndmask_b32_e64 v20, v16, v25, s[22:23]
	v_and_b32_e32 v16, 0x7f800000, v20
	v_cmp_ne_u32_e32 vcc, s35, v16
                                        ; implicit-def: $vgpr16
	s_and_saveexec_b64 s[28:29], vcc
	s_xor_b64 s[28:29], exec, s[28:29]
; %bb.3380:                             ;   in Loop: Header=BB36_3183 Depth=3
	v_bfe_u32 v16, v20, 16, 1
	v_add3_u32 v16, v20, v16, s8
                                        ; implicit-def: $vgpr20
; %bb.3381:                             ;   in Loop: Header=BB36_3183 Depth=3
	s_andn2_saveexec_b64 s[28:29], s[28:29]
; %bb.3382:                             ;   in Loop: Header=BB36_3183 Depth=3
	v_or_b32_e32 v16, 0x10000, v20
	v_cmp_eq_u32_sdwa vcc, v20, v3 src0_sel:WORD_0 src1_sel:DWORD
	s_nop 1
	v_cndmask_b32_e32 v16, v16, v20, vcc
; %bb.3383:                             ;   in Loop: Header=BB36_3183 Depth=3
	s_or_b64 exec, exec, s[28:29]
	v_lshlrev_b32_e32 v20, 16, v17
	v_lshlrev_b32_e32 v25, 16, v21
	v_max_f32_e32 v25, v25, v25
	v_max_f32_e32 v20, v20, v20
	v_min_f32_e32 v26, v20, v25
	v_max_f32_e32 v20, v20, v25
	v_cndmask_b32_e64 v25, v20, v26, s[22:23]
	v_and_b32_e32 v20, 0x7f800000, v25
	v_cmp_ne_u32_e32 vcc, s35, v20
                                        ; implicit-def: $vgpr20
	s_and_saveexec_b64 s[28:29], vcc
	s_xor_b64 s[28:29], exec, s[28:29]
; %bb.3384:                             ;   in Loop: Header=BB36_3183 Depth=3
	v_bfe_u32 v20, v25, 16, 1
	v_add3_u32 v20, v25, v20, s8
                                        ; implicit-def: $vgpr25
; %bb.3385:                             ;   in Loop: Header=BB36_3183 Depth=3
	s_andn2_saveexec_b64 s[28:29], s[28:29]
; %bb.3386:                             ;   in Loop: Header=BB36_3183 Depth=3
	v_or_b32_e32 v20, 0x10000, v25
	v_cmp_eq_u32_sdwa vcc, v25, v3 src0_sel:WORD_0 src1_sel:DWORD
	s_nop 1
	v_cndmask_b32_e32 v20, v20, v25, vcc
; %bb.3387:                             ;   in Loop: Header=BB36_3183 Depth=3
	s_or_b64 exec, exec, s[28:29]
	v_and_b32_e32 v17, 0xffff0000, v17
	v_and_b32_e32 v21, 0xffff0000, v21
	v_max_f32_e32 v21, v21, v21
	v_max_f32_e32 v17, v17, v17
	v_min_f32_e32 v25, v17, v21
	v_max_f32_e32 v17, v17, v21
	v_cndmask_b32_e64 v21, v17, v25, s[22:23]
	v_and_b32_e32 v17, 0x7f800000, v21
	v_cmp_ne_u32_e32 vcc, s35, v17
                                        ; implicit-def: $vgpr17
	s_and_saveexec_b64 s[28:29], vcc
	s_xor_b64 s[28:29], exec, s[28:29]
; %bb.3388:                             ;   in Loop: Header=BB36_3183 Depth=3
	v_bfe_u32 v17, v21, 16, 1
	v_add3_u32 v17, v21, v17, s8
                                        ; implicit-def: $vgpr21
; %bb.3389:                             ;   in Loop: Header=BB36_3183 Depth=3
	s_andn2_saveexec_b64 s[28:29], s[28:29]
; %bb.3390:                             ;   in Loop: Header=BB36_3183 Depth=3
	v_or_b32_e32 v17, 0x10000, v21
	v_cmp_eq_u32_sdwa vcc, v21, v3 src0_sel:WORD_0 src1_sel:DWORD
	s_nop 1
	v_cndmask_b32_e32 v17, v17, v21, vcc
; %bb.3391:                             ;   in Loop: Header=BB36_3183 Depth=3
	s_or_b64 exec, exec, s[28:29]
	v_lshlrev_b32_e32 v21, 16, v18
	v_lshlrev_b32_e32 v25, 16, v22
	v_max_f32_e32 v25, v25, v25
	v_max_f32_e32 v21, v21, v21
	v_min_f32_e32 v26, v21, v25
	v_max_f32_e32 v21, v21, v25
	v_cndmask_b32_e64 v25, v21, v26, s[22:23]
	v_and_b32_e32 v21, 0x7f800000, v25
	v_cmp_ne_u32_e32 vcc, s35, v21
                                        ; implicit-def: $vgpr21
	s_and_saveexec_b64 s[28:29], vcc
	s_xor_b64 s[28:29], exec, s[28:29]
; %bb.3392:                             ;   in Loop: Header=BB36_3183 Depth=3
	v_bfe_u32 v21, v25, 16, 1
	v_add3_u32 v21, v25, v21, s8
                                        ; implicit-def: $vgpr25
; %bb.3393:                             ;   in Loop: Header=BB36_3183 Depth=3
	s_andn2_saveexec_b64 s[28:29], s[28:29]
; %bb.3394:                             ;   in Loop: Header=BB36_3183 Depth=3
	v_or_b32_e32 v21, 0x10000, v25
	v_cmp_eq_u32_sdwa vcc, v25, v3 src0_sel:WORD_0 src1_sel:DWORD
	s_nop 1
	v_cndmask_b32_e32 v21, v21, v25, vcc
; %bb.3395:                             ;   in Loop: Header=BB36_3183 Depth=3
	s_or_b64 exec, exec, s[28:29]
	v_and_b32_e32 v18, 0xffff0000, v18
	v_and_b32_e32 v22, 0xffff0000, v22
	v_max_f32_e32 v22, v22, v22
	v_max_f32_e32 v18, v18, v18
	v_min_f32_e32 v25, v18, v22
	v_max_f32_e32 v18, v18, v22
	v_cndmask_b32_e64 v22, v18, v25, s[22:23]
	v_and_b32_e32 v18, 0x7f800000, v22
	v_cmp_ne_u32_e32 vcc, s35, v18
                                        ; implicit-def: $vgpr18
	s_and_saveexec_b64 s[28:29], vcc
	s_xor_b64 s[28:29], exec, s[28:29]
; %bb.3396:                             ;   in Loop: Header=BB36_3183 Depth=3
	v_bfe_u32 v18, v22, 16, 1
	v_add3_u32 v18, v22, v18, s8
                                        ; implicit-def: $vgpr22
; %bb.3397:                             ;   in Loop: Header=BB36_3183 Depth=3
	s_andn2_saveexec_b64 s[28:29], s[28:29]
; %bb.3398:                             ;   in Loop: Header=BB36_3183 Depth=3
	v_or_b32_e32 v18, 0x10000, v22
	v_cmp_eq_u32_sdwa vcc, v22, v3 src0_sel:WORD_0 src1_sel:DWORD
	s_nop 1
	v_cndmask_b32_e32 v18, v18, v22, vcc
; %bb.3399:                             ;   in Loop: Header=BB36_3183 Depth=3
	s_or_b64 exec, exec, s[28:29]
	v_lshlrev_b32_e32 v22, 16, v19
	v_lshlrev_b32_e32 v25, 16, v23
	v_max_f32_e32 v25, v25, v25
	v_max_f32_e32 v22, v22, v22
	v_min_f32_e32 v26, v22, v25
	v_max_f32_e32 v22, v22, v25
	v_cndmask_b32_e64 v25, v22, v26, s[22:23]
	v_and_b32_e32 v22, 0x7f800000, v25
	v_cmp_ne_u32_e32 vcc, s35, v22
                                        ; implicit-def: $vgpr22
	s_and_saveexec_b64 s[28:29], vcc
	s_xor_b64 s[28:29], exec, s[28:29]
; %bb.3400:                             ;   in Loop: Header=BB36_3183 Depth=3
	v_bfe_u32 v22, v25, 16, 1
	v_add3_u32 v22, v25, v22, s8
                                        ; implicit-def: $vgpr25
; %bb.3401:                             ;   in Loop: Header=BB36_3183 Depth=3
	s_andn2_saveexec_b64 s[28:29], s[28:29]
; %bb.3402:                             ;   in Loop: Header=BB36_3183 Depth=3
	v_or_b32_e32 v22, 0x10000, v25
	v_cmp_eq_u32_sdwa vcc, v25, v3 src0_sel:WORD_0 src1_sel:DWORD
	s_nop 1
	v_cndmask_b32_e32 v22, v22, v25, vcc
; %bb.3403:                             ;   in Loop: Header=BB36_3183 Depth=3
	s_or_b64 exec, exec, s[28:29]
	v_and_b32_e32 v19, 0xffff0000, v19
	v_and_b32_e32 v23, 0xffff0000, v23
	v_max_f32_e32 v23, v23, v23
	v_max_f32_e32 v19, v19, v19
	v_min_f32_e32 v25, v19, v23
	v_max_f32_e32 v19, v19, v23
	v_cndmask_b32_e64 v23, v19, v25, s[22:23]
	v_and_b32_e32 v19, 0x7f800000, v23
	v_cmp_ne_u32_e32 vcc, s35, v19
                                        ; implicit-def: $vgpr19
	s_and_saveexec_b64 s[28:29], vcc
	s_xor_b64 s[28:29], exec, s[28:29]
; %bb.3404:                             ;   in Loop: Header=BB36_3183 Depth=3
	v_bfe_u32 v19, v23, 16, 1
	v_add3_u32 v19, v23, v19, s8
                                        ; implicit-def: $vgpr23
; %bb.3405:                             ;   in Loop: Header=BB36_3183 Depth=3
	s_andn2_saveexec_b64 s[28:29], s[28:29]
; %bb.3406:                             ;   in Loop: Header=BB36_3183 Depth=3
	v_or_b32_e32 v19, 0x10000, v23
	v_cmp_eq_u32_sdwa vcc, v23, v3 src0_sel:WORD_0 src1_sel:DWORD
	s_nop 1
	v_cndmask_b32_e32 v19, v19, v23, vcc
; %bb.3407:                             ;   in Loop: Header=BB36_3183 Depth=3
	s_or_b64 exec, exec, s[28:29]
	v_lshrrev_b32_e32 v20, 16, v20
	v_and_or_b32 v17, v17, s9, v20
	v_lshrrev_b32_e32 v20, 16, v24
	v_and_or_b32 v16, v16, s9, v20
	;; [unrolled: 2-line block ×4, first 2 shown]
	v_add_co_u32_e32 v20, vcc, 0x1000, v100
	s_nop 1
	v_addc_co_u32_e32 v21, vcc, 0, v101, vcc
	global_store_dwordx4 v[20:21], v[16:19], off offset:2048
	s_nop 1
	v_lshlrev_b32_e32 v16, 16, v8
	v_lshlrev_b32_e32 v17, 16, v12
	v_max_f32_e32 v17, v17, v17
	v_max_f32_e32 v16, v16, v16
	v_min_f32_e32 v18, v16, v17
	v_max_f32_e32 v16, v16, v17
	v_cndmask_b32_e64 v17, v16, v18, s[22:23]
	v_and_b32_e32 v16, 0x7f800000, v17
	v_cmp_ne_u32_e32 vcc, s35, v16
                                        ; implicit-def: $vgpr16
	s_and_saveexec_b64 s[28:29], vcc
	s_xor_b64 s[28:29], exec, s[28:29]
; %bb.3408:                             ;   in Loop: Header=BB36_3183 Depth=3
	v_bfe_u32 v16, v17, 16, 1
	v_add3_u32 v16, v17, v16, s8
                                        ; implicit-def: $vgpr17
; %bb.3409:                             ;   in Loop: Header=BB36_3183 Depth=3
	s_andn2_saveexec_b64 s[28:29], s[28:29]
; %bb.3410:                             ;   in Loop: Header=BB36_3183 Depth=3
	v_or_b32_e32 v16, 0x10000, v17
	v_cmp_eq_u32_sdwa vcc, v17, v3 src0_sel:WORD_0 src1_sel:DWORD
	s_nop 1
	v_cndmask_b32_e32 v16, v16, v17, vcc
; %bb.3411:                             ;   in Loop: Header=BB36_3183 Depth=3
	s_or_b64 exec, exec, s[28:29]
	v_and_b32_e32 v8, 0xffff0000, v8
	v_and_b32_e32 v12, 0xffff0000, v12
	v_max_f32_e32 v12, v12, v12
	v_max_f32_e32 v8, v8, v8
	v_min_f32_e32 v17, v8, v12
	v_max_f32_e32 v8, v8, v12
	v_cndmask_b32_e64 v12, v8, v17, s[22:23]
	v_and_b32_e32 v8, 0x7f800000, v12
	v_cmp_ne_u32_e32 vcc, s35, v8
                                        ; implicit-def: $vgpr8
	s_and_saveexec_b64 s[28:29], vcc
	s_xor_b64 s[28:29], exec, s[28:29]
; %bb.3412:                             ;   in Loop: Header=BB36_3183 Depth=3
	v_bfe_u32 v8, v12, 16, 1
	v_add3_u32 v8, v12, v8, s8
                                        ; implicit-def: $vgpr12
; %bb.3413:                             ;   in Loop: Header=BB36_3183 Depth=3
	s_andn2_saveexec_b64 s[28:29], s[28:29]
; %bb.3414:                             ;   in Loop: Header=BB36_3183 Depth=3
	v_or_b32_e32 v8, 0x10000, v12
	v_cmp_eq_u32_sdwa vcc, v12, v3 src0_sel:WORD_0 src1_sel:DWORD
	s_nop 1
	v_cndmask_b32_e32 v8, v8, v12, vcc
; %bb.3415:                             ;   in Loop: Header=BB36_3183 Depth=3
	s_or_b64 exec, exec, s[28:29]
	v_lshlrev_b32_e32 v12, 16, v9
	v_lshlrev_b32_e32 v17, 16, v13
	v_max_f32_e32 v17, v17, v17
	v_max_f32_e32 v12, v12, v12
	v_min_f32_e32 v18, v12, v17
	v_max_f32_e32 v12, v12, v17
	v_cndmask_b32_e64 v17, v12, v18, s[22:23]
	v_and_b32_e32 v12, 0x7f800000, v17
	v_cmp_ne_u32_e32 vcc, s35, v12
                                        ; implicit-def: $vgpr12
	s_and_saveexec_b64 s[28:29], vcc
	s_xor_b64 s[28:29], exec, s[28:29]
; %bb.3416:                             ;   in Loop: Header=BB36_3183 Depth=3
	v_bfe_u32 v12, v17, 16, 1
	v_add3_u32 v12, v17, v12, s8
                                        ; implicit-def: $vgpr17
; %bb.3417:                             ;   in Loop: Header=BB36_3183 Depth=3
	s_andn2_saveexec_b64 s[28:29], s[28:29]
; %bb.3418:                             ;   in Loop: Header=BB36_3183 Depth=3
	v_or_b32_e32 v12, 0x10000, v17
	v_cmp_eq_u32_sdwa vcc, v17, v3 src0_sel:WORD_0 src1_sel:DWORD
	s_nop 1
	v_cndmask_b32_e32 v12, v12, v17, vcc
; %bb.3419:                             ;   in Loop: Header=BB36_3183 Depth=3
	s_or_b64 exec, exec, s[28:29]
	v_and_b32_e32 v9, 0xffff0000, v9
	v_and_b32_e32 v13, 0xffff0000, v13
	v_max_f32_e32 v13, v13, v13
	v_max_f32_e32 v9, v9, v9
	v_min_f32_e32 v17, v9, v13
	v_max_f32_e32 v9, v9, v13
	v_cndmask_b32_e64 v13, v9, v17, s[22:23]
	v_and_b32_e32 v9, 0x7f800000, v13
	v_cmp_ne_u32_e32 vcc, s35, v9
                                        ; implicit-def: $vgpr9
	s_and_saveexec_b64 s[28:29], vcc
	s_xor_b64 s[28:29], exec, s[28:29]
; %bb.3420:                             ;   in Loop: Header=BB36_3183 Depth=3
	v_bfe_u32 v9, v13, 16, 1
	v_add3_u32 v9, v13, v9, s8
                                        ; implicit-def: $vgpr13
; %bb.3421:                             ;   in Loop: Header=BB36_3183 Depth=3
	s_andn2_saveexec_b64 s[28:29], s[28:29]
; %bb.3422:                             ;   in Loop: Header=BB36_3183 Depth=3
	v_or_b32_e32 v9, 0x10000, v13
	v_cmp_eq_u32_sdwa vcc, v13, v3 src0_sel:WORD_0 src1_sel:DWORD
	s_nop 1
	v_cndmask_b32_e32 v9, v9, v13, vcc
; %bb.3423:                             ;   in Loop: Header=BB36_3183 Depth=3
	s_or_b64 exec, exec, s[28:29]
	v_lshlrev_b32_e32 v13, 16, v10
	v_lshlrev_b32_e32 v17, 16, v14
	v_max_f32_e32 v17, v17, v17
	v_max_f32_e32 v13, v13, v13
	v_min_f32_e32 v18, v13, v17
	v_max_f32_e32 v13, v13, v17
	v_cndmask_b32_e64 v17, v13, v18, s[22:23]
	v_and_b32_e32 v13, 0x7f800000, v17
	v_cmp_ne_u32_e32 vcc, s35, v13
                                        ; implicit-def: $vgpr13
	s_and_saveexec_b64 s[28:29], vcc
	s_xor_b64 s[28:29], exec, s[28:29]
; %bb.3424:                             ;   in Loop: Header=BB36_3183 Depth=3
	v_bfe_u32 v13, v17, 16, 1
	v_add3_u32 v13, v17, v13, s8
                                        ; implicit-def: $vgpr17
; %bb.3425:                             ;   in Loop: Header=BB36_3183 Depth=3
	s_andn2_saveexec_b64 s[28:29], s[28:29]
; %bb.3426:                             ;   in Loop: Header=BB36_3183 Depth=3
	v_or_b32_e32 v13, 0x10000, v17
	v_cmp_eq_u32_sdwa vcc, v17, v3 src0_sel:WORD_0 src1_sel:DWORD
	s_nop 1
	v_cndmask_b32_e32 v13, v13, v17, vcc
; %bb.3427:                             ;   in Loop: Header=BB36_3183 Depth=3
	s_or_b64 exec, exec, s[28:29]
	v_and_b32_e32 v10, 0xffff0000, v10
	v_and_b32_e32 v14, 0xffff0000, v14
	v_max_f32_e32 v14, v14, v14
	v_max_f32_e32 v10, v10, v10
	v_min_f32_e32 v17, v10, v14
	v_max_f32_e32 v10, v10, v14
	v_cndmask_b32_e64 v14, v10, v17, s[22:23]
	v_and_b32_e32 v10, 0x7f800000, v14
	v_cmp_ne_u32_e32 vcc, s35, v10
                                        ; implicit-def: $vgpr10
	s_and_saveexec_b64 s[28:29], vcc
	s_xor_b64 s[28:29], exec, s[28:29]
; %bb.3428:                             ;   in Loop: Header=BB36_3183 Depth=3
	v_bfe_u32 v10, v14, 16, 1
	v_add3_u32 v10, v14, v10, s8
                                        ; implicit-def: $vgpr14
; %bb.3429:                             ;   in Loop: Header=BB36_3183 Depth=3
	s_andn2_saveexec_b64 s[28:29], s[28:29]
; %bb.3430:                             ;   in Loop: Header=BB36_3183 Depth=3
	v_or_b32_e32 v10, 0x10000, v14
	v_cmp_eq_u32_sdwa vcc, v14, v3 src0_sel:WORD_0 src1_sel:DWORD
	s_nop 1
	v_cndmask_b32_e32 v10, v10, v14, vcc
; %bb.3431:                             ;   in Loop: Header=BB36_3183 Depth=3
	s_or_b64 exec, exec, s[28:29]
	v_lshlrev_b32_e32 v14, 16, v11
	v_lshlrev_b32_e32 v17, 16, v15
	v_max_f32_e32 v17, v17, v17
	v_max_f32_e32 v14, v14, v14
	v_min_f32_e32 v18, v14, v17
	v_max_f32_e32 v14, v14, v17
	v_cndmask_b32_e64 v17, v14, v18, s[22:23]
	v_and_b32_e32 v14, 0x7f800000, v17
	v_cmp_ne_u32_e32 vcc, s35, v14
                                        ; implicit-def: $vgpr14
	s_and_saveexec_b64 s[28:29], vcc
	s_xor_b64 s[28:29], exec, s[28:29]
; %bb.3432:                             ;   in Loop: Header=BB36_3183 Depth=3
	v_bfe_u32 v14, v17, 16, 1
	v_add3_u32 v14, v17, v14, s8
                                        ; implicit-def: $vgpr17
; %bb.3433:                             ;   in Loop: Header=BB36_3183 Depth=3
	s_andn2_saveexec_b64 s[28:29], s[28:29]
; %bb.3434:                             ;   in Loop: Header=BB36_3183 Depth=3
	v_or_b32_e32 v14, 0x10000, v17
	v_cmp_eq_u32_sdwa vcc, v17, v3 src0_sel:WORD_0 src1_sel:DWORD
	s_nop 1
	v_cndmask_b32_e32 v14, v14, v17, vcc
; %bb.3435:                             ;   in Loop: Header=BB36_3183 Depth=3
	s_or_b64 exec, exec, s[28:29]
	v_and_b32_e32 v11, 0xffff0000, v11
	v_and_b32_e32 v15, 0xffff0000, v15
	v_max_f32_e32 v15, v15, v15
	v_max_f32_e32 v11, v11, v11
	v_min_f32_e32 v17, v11, v15
	v_max_f32_e32 v11, v11, v15
	v_cndmask_b32_e64 v15, v11, v17, s[22:23]
	v_and_b32_e32 v11, 0x7f800000, v15
	v_cmp_ne_u32_e32 vcc, s35, v11
                                        ; implicit-def: $vgpr11
	s_and_saveexec_b64 s[28:29], vcc
	s_xor_b64 s[28:29], exec, s[28:29]
; %bb.3436:                             ;   in Loop: Header=BB36_3183 Depth=3
	v_bfe_u32 v11, v15, 16, 1
	v_add3_u32 v11, v15, v11, s8
                                        ; implicit-def: $vgpr15
; %bb.3437:                             ;   in Loop: Header=BB36_3183 Depth=3
	s_andn2_saveexec_b64 s[28:29], s[28:29]
	s_cbranch_execz .LBB36_3182
; %bb.3438:                             ;   in Loop: Header=BB36_3183 Depth=3
	v_or_b32_e32 v11, 0x10000, v15
	v_cmp_eq_u32_sdwa vcc, v15, v3 src0_sel:WORD_0 src1_sel:DWORD
	s_nop 1
	v_cndmask_b32_e32 v11, v11, v15, vcc
	s_branch .LBB36_3182
.LBB36_3439:                            ;   in Loop: Header=BB36_3105 Depth=2
	s_or_b64 exec, exec, s[26:27]
	scratch_load_dwordx2 v[42:43], off, s33 offset:412 ; 8-byte Folded Reload
	v_mov_b32_e32 v59, v31
.LBB36_3440:                            ;   in Loop: Header=BB36_3105 Depth=2
	s_or_b64 exec, exec, s[24:25]
	v_lshlrev_b32_e32 v12, 13, v45
	v_cmp_ne_u32_e32 vcc, v2, v12
	s_mov_b64 s[22:23], 0
	v_mov_b32_e32 v18, 0
                                        ; implicit-def: $vgpr19
	s_and_saveexec_b64 s[64:65], vcc
	s_cbranch_execz .LBB36_3446
; %bb.3441:                             ;   in Loop: Header=BB36_3105 Depth=2
	scratch_load_dword v10, off, s33 offset:344 ; 4-byte Folded Reload
	v_lshlrev_b32_e32 v8, 6, v44
	v_sub_u32_e32 v9, v2, v12
	s_waitcnt vmcnt(0)
	v_and_b32_e32 v10, 63, v10
	v_sub_u32_e32 v8, v10, v8
	v_ashrrev_i32_e32 v10, 31, v8
	v_lshrrev_b32_e32 v10, 26, v10
	v_add_u32_e32 v10, v8, v10
	v_ashrrev_i32_e32 v11, 6, v10
	v_and_b32_e32 v10, 0xffffffc0, v10
	v_sub_u32_e32 v13, v8, v10
	v_ashrrev_i32_e32 v10, 31, v9
	v_lshrrev_b32_e32 v10, 22, v10
	v_add_u32_e32 v10, v9, v10
	v_and_b32_e32 v14, 0xfffffc00, v10
	v_lshlrev_b32_e32 v8, 4, v13
	v_sub_u32_e32 v15, v9, v14
	v_lshl_add_u32 v8, v11, 10, v8
	v_ashrrev_i32_e32 v16, 10, v10
	v_cmp_lt_i32_e32 vcc, 15, v15
	v_sub_u32_e32 v17, v9, v8
	s_nop 0
	v_addc_co_u32_e64 v9, s[22:23], 0, v16, vcc
	v_sub_u32_e32 v16, v9, v11
	v_cmp_lt_i32_e64 s[22:23], 15, v17
	s_and_saveexec_b64 s[66:67], s[22:23]
	s_cbranch_execz .LBB36_3445
; %bb.3442:                             ;   in Loop: Header=BB36_3105 Depth=2
	scratch_load_dwordx2 v[38:39], off, s33 offset:312 ; 8-byte Folded Reload
	s_and_b32 s74, s70, 1
	v_add_u32_e32 v8, v8, v12
	s_cmp_eq_u64 s[74:75], 0
	v_ashrrev_i32_e32 v9, 31, v8
	s_mov_b64 s[68:69], 0
	s_cselect_b64 s[22:23], -1, 0
.LBB36_3443:                            ;   Parent Loop BB36_47 Depth=1
                                        ;     Parent Loop BB36_3105 Depth=2
                                        ; =>    This Inner Loop Header: Depth=3
	v_lshl_add_u64 v[22:23], v[124:125], 0, v[8:9]
	v_lshl_add_u64 v[18:19], v[118:119], 0, v[8:9]
	global_load_dwordx4 v[18:21], v[18:19], off nt
	s_nop 0
	global_load_dwordx4 v[22:25], v[22:23], off nt
	v_sub_u32_e32 v17, v17, v76
	v_lshl_add_u64 v[10:11], v[72:73], 0, v[8:9]
	v_sub_u32_e32 v16, v16, v60
	s_waitcnt vmcnt(2)
	v_lshl_add_u64 v[8:9], v[8:9], 0, v[38:39]
	s_waitcnt vmcnt(1)
	v_and_b32_e32 v26, 0xffff0000, v18
	s_waitcnt vmcnt(0)
	v_and_b32_e32 v27, 0xffff0000, v22
	v_lshlrev_b32_e32 v18, 16, v18
	v_lshlrev_b32_e32 v22, 16, v22
	v_max_f32_e32 v22, v22, v22
	v_max_f32_e32 v18, v18, v18
	v_min_f32_e32 v30, v18, v22
	v_max_f32_e32 v18, v18, v22
	v_cndmask_b32_e64 v18, v18, v30, s[22:23]
	v_and_b32_e32 v22, 0x7f800000, v18
	v_cmp_eq_u32_e64 s[24:25], s35, v22
	v_bfe_u32 v22, v18, 16, 1
	v_cmp_eq_u32_sdwa s[26:27], v18, v3 src0_sel:WORD_0 src1_sel:DWORD
	v_or_b32_e32 v30, 0x10000, v18
	v_max_f32_e32 v27, v27, v27
	v_max_f32_e32 v26, v26, v26
	v_add3_u32 v22, v18, v22, s8
	v_cndmask_b32_e64 v18, v30, v18, s[26:27]
	v_min_f32_e32 v30, v26, v27
	v_max_f32_e32 v26, v26, v27
	v_cndmask_b32_e64 v26, v26, v30, s[22:23]
	v_and_b32_e32 v27, 0x7f800000, v26
	v_cmp_eq_u32_e64 s[26:27], s35, v27
	v_bfe_u32 v27, v26, 16, 1
	v_cmp_eq_u32_sdwa s[28:29], v26, v3 src0_sel:WORD_0 src1_sel:DWORD
	v_or_b32_e32 v30, 0x10000, v26
	v_add3_u32 v27, v26, v27, s8
	v_cndmask_b32_e64 v26, v30, v26, s[28:29]
	v_and_b32_e32 v30, 0xffff0000, v19
	v_and_b32_e32 v32, 0xffff0000, v23
	v_lshlrev_b32_e32 v19, 16, v19
	v_lshlrev_b32_e32 v23, 16, v23
	v_max_f32_e32 v23, v23, v23
	v_max_f32_e32 v19, v19, v19
	v_min_f32_e32 v33, v19, v23
	v_max_f32_e32 v19, v19, v23
	v_cndmask_b32_e64 v19, v19, v33, s[22:23]
	v_and_b32_e32 v23, 0x7f800000, v19
	v_cmp_eq_u32_e64 s[28:29], s35, v23
	v_bfe_u32 v23, v19, 16, 1
	v_cmp_eq_u32_sdwa s[40:41], v19, v3 src0_sel:WORD_0 src1_sel:DWORD
	v_or_b32_e32 v33, 0x10000, v19
	v_max_f32_e32 v32, v32, v32
	v_max_f32_e32 v30, v30, v30
	v_add3_u32 v23, v19, v23, s8
	v_cndmask_b32_e64 v19, v33, v19, s[40:41]
	v_min_f32_e32 v33, v30, v32
	v_max_f32_e32 v30, v30, v32
	v_cndmask_b32_e64 v30, v30, v33, s[22:23]
	v_and_b32_e32 v32, 0x7f800000, v30
	v_cmp_eq_u32_e64 s[40:41], s35, v32
	v_bfe_u32 v32, v30, 16, 1
	v_cmp_eq_u32_sdwa s[42:43], v30, v3 src0_sel:WORD_0 src1_sel:DWORD
	v_or_b32_e32 v33, 0x10000, v30
	v_add3_u32 v32, v30, v32, s8
	v_cndmask_b32_e64 v30, v33, v30, s[42:43]
	v_and_b32_e32 v33, 0xffff0000, v20
	;; [unrolled: 28-line block ×3, first 2 shown]
	v_and_b32_e32 v36, 0xffff0000, v25
	v_lshlrev_b32_e32 v21, 16, v21
	v_lshlrev_b32_e32 v25, 16, v25
	v_max_f32_e32 v25, v25, v25
	v_max_f32_e32 v21, v21, v21
	v_min_f32_e32 v37, v21, v25
	v_max_f32_e32 v21, v21, v25
	v_cndmask_b32_e64 v21, v21, v37, s[22:23]
	v_and_b32_e32 v25, 0x7f800000, v21
	v_cmp_eq_u32_e64 s[46:47], s35, v25
	v_bfe_u32 v25, v21, 16, 1
	v_cmp_eq_u32_sdwa s[56:57], v21, v3 src0_sel:WORD_0 src1_sel:DWORD
	v_or_b32_e32 v37, 0x10000, v21
	v_max_f32_e32 v36, v36, v36
	v_max_f32_e32 v35, v35, v35
	v_add3_u32 v25, v21, v25, s8
	v_cndmask_b32_e64 v21, v37, v21, s[56:57]
	v_min_f32_e32 v37, v35, v36
	v_max_f32_e32 v35, v35, v36
	v_cndmask_b32_e64 v35, v35, v37, s[22:23]
	v_and_b32_e32 v36, 0x7f800000, v35
	v_cmp_eq_u32_e64 s[56:57], s35, v36
	v_bfe_u32 v36, v35, 16, 1
	v_cmp_eq_u32_sdwa s[58:59], v35, v3 src0_sel:WORD_0 src1_sel:DWORD
	v_or_b32_e32 v37, 0x10000, v35
	v_add3_u32 v36, v35, v36, s8
	v_cndmask_b32_e64 v35, v37, v35, s[58:59]
	v_cndmask_b32_e64 v18, v22, v18, s[24:25]
	;; [unrolled: 1-line block ×9, first 2 shown]
	v_lshrrev_b32_e32 v19, 16, v19
	v_lshrrev_b32_e32 v18, 16, v18
	v_lshrrev_b32_e32 v20, 16, v20
	v_lshrrev_b32_e32 v21, 16, v21
	v_cmp_gt_i32_e64 s[24:25], 16, v17
	v_and_or_b32 v19, v23, s9, v19
	v_and_or_b32 v18, v22, s9, v18
	;; [unrolled: 1-line block ×4, first 2 shown]
	s_or_b64 s[68:69], s[24:25], s[68:69]
	global_store_dwordx4 v[10:11], v[18:21], off
	s_andn2_b64 exec, exec, s[68:69]
	s_cbranch_execnz .LBB36_3443
; %bb.3444:                             ;   in Loop: Header=BB36_3105 Depth=2
	s_or_b64 exec, exec, s[68:69]
.LBB36_3445:                            ;   in Loop: Header=BB36_3105 Depth=2
	s_or_b64 exec, exec, s[66:67]
	v_and_b32_e32 v2, 14, v2
	v_sub_u32_e32 v8, v15, v2
	v_cndmask_b32_e32 v8, 0, v8, vcc
	v_cndmask_b32_e32 v2, v15, v2, vcc
	v_cmp_lt_i32_e32 vcc, 0, v16
	v_add3_u32 v18, v14, v12, v8
	s_nop 0
	v_cndmask_b32_e32 v8, 0, v60, vcc
	v_sub_u32_e32 v8, v8, v16
	v_cmp_ne_u32_e32 vcc, 0, v2
	v_lshl_add_u32 v19, v8, 6, v13
	s_and_b64 s[22:23], vcc, exec
.LBB36_3446:                            ;   in Loop: Header=BB36_3105 Depth=2
	s_or_b64 exec, exec, s[64:65]
	s_and_saveexec_b64 s[24:25], s[22:23]
	s_cbranch_execz .LBB36_3519
.LBB36_3447:                            ;   in Loop: Header=BB36_3105 Depth=2
	s_waitcnt vmcnt(0)
	v_ashrrev_i32_e32 v8, 31, v19
	v_ashrrev_i32_e32 v9, 31, v2
	v_lshrrev_b32_e32 v8, 26, v8
	v_lshrrev_b32_e32 v9, 21, v9
	v_add_u32_e32 v8, v19, v8
	v_add_u32_e32 v9, v2, v9
	v_ashrrev_i32_e32 v20, 6, v8
	v_ashrrev_i32_e32 v22, 11, v9
	v_sub_u32_e32 v21, v22, v20
	v_cmp_lt_i32_e32 vcc, 0, v21
	s_and_saveexec_b64 s[26:27], vcc
	s_cbranch_execz .LBB36_3515
; %bb.3448:                             ;   in Loop: Header=BB36_3105 Depth=2
	v_and_b32_e32 v8, 0x7fffffc0, v8
	v_sub_u32_e32 v8, v19, v8
	v_lshlrev_b32_e32 v8, 1, v8
	v_lshlrev_b32_e32 v9, 11, v20
	s_and_b32 s74, s70, 1
	v_add3_u32 v8, v8, v18, v9
	s_cmp_eq_u64 s[74:75], 0
	v_ashrrev_i32_e32 v9, 31, v8
	s_mov_b64 s[28:29], 0
	s_cselect_b64 vcc, -1, 0
	v_mov_b64_e32 v[10:11], v[72:73]
	v_mov_b64_e32 v[12:13], v[118:119]
	;; [unrolled: 1-line block ×3, first 2 shown]
	s_branch .LBB36_3450
.LBB36_3449:                            ;   in Loop: Header=BB36_3450 Depth=3
	s_or_b64 exec, exec, s[40:41]
	v_sub_u32_e32 v21, v21, v60
	v_cmp_gt_i32_e64 s[22:23], 1, v21
	v_lshl_add_u64 v[14:15], v[14:15], 0, v[120:121]
	v_lshl_add_u64 v[12:13], v[12:13], 0, v[120:121]
	s_or_b64 s[28:29], s[22:23], s[28:29]
	v_lshl_add_u64 v[10:11], v[10:11], 0, v[120:121]
	flat_store_short_d16_hi v[16:17], v24 offset:1920 nt
	s_andn2_b64 exec, exec, s[28:29]
	s_cbranch_execz .LBB36_3514
.LBB36_3450:                            ;   Parent Loop BB36_47 Depth=1
                                        ;     Parent Loop BB36_3105 Depth=2
                                        ; =>    This Inner Loop Header: Depth=3
	v_lshl_add_u64 v[80:81], v[8:9], 0, v[12:13]
	v_lshl_add_u64 v[16:17], v[8:9], 0, v[14:15]
	flat_load_ushort v48, v[80:81] offset:1024 nt
	flat_load_ushort v38, v[80:81] offset:1152 nt
	;; [unrolled: 1-line block ×15, first 2 shown]
	s_nop 0
	flat_load_ushort v80, v[80:81] nt
	s_nop 0
	flat_load_ushort v71, v[16:17] offset:128 nt
	flat_load_ushort v69, v[16:17] offset:256 nt
	;; [unrolled: 1-line block ×7, first 2 shown]
	flat_load_ushort v81, v[16:17] nt
	flat_load_ushort v49, v[16:17] offset:1024 nt
	flat_load_ushort v39, v[16:17] offset:1152 nt
	;; [unrolled: 1-line block ×8, first 2 shown]
	s_waitcnt vmcnt(0) lgkmcnt(0)
	v_lshlrev_b32_e32 v16, 16, v80
	v_max_f32_e32 v16, v16, v16
	v_lshlrev_b32_e32 v17, 16, v81
	v_max_f32_e32 v17, v17, v17
	v_min_f32_e32 v80, v16, v17
	v_max_f32_e32 v16, v16, v17
	v_cndmask_b32_e32 v16, v16, v80, vcc
	v_and_b32_e32 v17, 0x7f800000, v16
	v_cmp_ne_u32_e64 s[22:23], s35, v17
                                        ; implicit-def: $vgpr80
	s_and_saveexec_b64 s[40:41], s[22:23]
	s_xor_b64 s[22:23], exec, s[40:41]
; %bb.3451:                             ;   in Loop: Header=BB36_3450 Depth=3
	v_bfe_u32 v17, v16, 16, 1
	v_add3_u32 v80, v16, v17, s8
                                        ; implicit-def: $vgpr16
; %bb.3452:                             ;   in Loop: Header=BB36_3450 Depth=3
	s_andn2_saveexec_b64 s[40:41], s[22:23]
; %bb.3453:                             ;   in Loop: Header=BB36_3450 Depth=3
	v_or_b32_e32 v17, 0x10000, v16
	v_cmp_eq_u32_sdwa s[22:23], v16, v3 src0_sel:WORD_0 src1_sel:DWORD
	s_nop 1
	v_cndmask_b32_e64 v80, v17, v16, s[22:23]
; %bb.3454:                             ;   in Loop: Header=BB36_3450 Depth=3
	s_or_b64 exec, exec, s[40:41]
	v_lshlrev_b32_e32 v70, 16, v70
	v_lshlrev_b32_e32 v71, 16, v71
	v_lshl_add_u64 v[16:17], v[8:9], 0, v[10:11]
	v_max_f32_e32 v71, v71, v71
	v_max_f32_e32 v70, v70, v70
	flat_store_short_d16_hi v[16:17], v80 nt
	v_min_f32_e32 v80, v70, v71
	v_max_f32_e32 v70, v70, v71
	v_cndmask_b32_e32 v70, v70, v80, vcc
	v_and_b32_e32 v71, 0x7f800000, v70
	v_cmp_ne_u32_e64 s[22:23], s35, v71
                                        ; implicit-def: $vgpr71
	s_and_saveexec_b64 s[40:41], s[22:23]
	s_xor_b64 s[22:23], exec, s[40:41]
; %bb.3455:                             ;   in Loop: Header=BB36_3450 Depth=3
	v_bfe_u32 v71, v70, 16, 1
	v_add3_u32 v71, v70, v71, s8
                                        ; implicit-def: $vgpr70
; %bb.3456:                             ;   in Loop: Header=BB36_3450 Depth=3
	s_andn2_saveexec_b64 s[40:41], s[22:23]
; %bb.3457:                             ;   in Loop: Header=BB36_3450 Depth=3
	v_or_b32_e32 v71, 0x10000, v70
	v_cmp_eq_u32_sdwa s[22:23], v70, v3 src0_sel:WORD_0 src1_sel:DWORD
	s_nop 1
	v_cndmask_b32_e64 v71, v71, v70, s[22:23]
; %bb.3458:                             ;   in Loop: Header=BB36_3450 Depth=3
	s_or_b64 exec, exec, s[40:41]
	v_lshlrev_b32_e32 v68, 16, v68
	v_lshlrev_b32_e32 v69, 16, v69
	v_max_f32_e32 v69, v69, v69
	v_max_f32_e32 v68, v68, v68
	v_min_f32_e32 v70, v68, v69
	v_max_f32_e32 v68, v68, v69
	v_cndmask_b32_e32 v68, v68, v70, vcc
	v_and_b32_e32 v69, 0x7f800000, v68
	v_cmp_ne_u32_e64 s[22:23], s35, v69
	flat_store_short_d16_hi v[16:17], v71 offset:128 nt
                                        ; implicit-def: $vgpr69
	s_and_saveexec_b64 s[40:41], s[22:23]
	s_xor_b64 s[22:23], exec, s[40:41]
; %bb.3459:                             ;   in Loop: Header=BB36_3450 Depth=3
	v_bfe_u32 v69, v68, 16, 1
	v_add3_u32 v69, v68, v69, s8
                                        ; implicit-def: $vgpr68
; %bb.3460:                             ;   in Loop: Header=BB36_3450 Depth=3
	s_andn2_saveexec_b64 s[40:41], s[22:23]
; %bb.3461:                             ;   in Loop: Header=BB36_3450 Depth=3
	v_or_b32_e32 v69, 0x10000, v68
	v_cmp_eq_u32_sdwa s[22:23], v68, v3 src0_sel:WORD_0 src1_sel:DWORD
	s_nop 1
	v_cndmask_b32_e64 v69, v69, v68, s[22:23]
; %bb.3462:                             ;   in Loop: Header=BB36_3450 Depth=3
	s_or_b64 exec, exec, s[40:41]
	v_lshlrev_b32_e32 v66, 16, v66
	v_lshlrev_b32_e32 v67, 16, v67
	v_max_f32_e32 v67, v67, v67
	v_max_f32_e32 v66, v66, v66
	v_min_f32_e32 v68, v66, v67
	v_max_f32_e32 v66, v66, v67
	v_cndmask_b32_e32 v66, v66, v68, vcc
	v_and_b32_e32 v67, 0x7f800000, v66
	v_cmp_ne_u32_e64 s[22:23], s35, v67
	flat_store_short_d16_hi v[16:17], v69 offset:256 nt
                                        ; implicit-def: $vgpr67
	s_and_saveexec_b64 s[40:41], s[22:23]
	s_xor_b64 s[22:23], exec, s[40:41]
; %bb.3463:                             ;   in Loop: Header=BB36_3450 Depth=3
	v_bfe_u32 v67, v66, 16, 1
	v_add3_u32 v67, v66, v67, s8
                                        ; implicit-def: $vgpr66
; %bb.3464:                             ;   in Loop: Header=BB36_3450 Depth=3
	s_andn2_saveexec_b64 s[40:41], s[22:23]
; %bb.3465:                             ;   in Loop: Header=BB36_3450 Depth=3
	v_or_b32_e32 v67, 0x10000, v66
	v_cmp_eq_u32_sdwa s[22:23], v66, v3 src0_sel:WORD_0 src1_sel:DWORD
	s_nop 1
	v_cndmask_b32_e64 v67, v67, v66, s[22:23]
; %bb.3466:                             ;   in Loop: Header=BB36_3450 Depth=3
	s_or_b64 exec, exec, s[40:41]
	v_lshlrev_b32_e32 v64, 16, v64
	v_lshlrev_b32_e32 v65, 16, v65
	v_max_f32_e32 v65, v65, v65
	v_max_f32_e32 v64, v64, v64
	v_min_f32_e32 v66, v64, v65
	v_max_f32_e32 v64, v64, v65
	v_cndmask_b32_e32 v64, v64, v66, vcc
	v_and_b32_e32 v65, 0x7f800000, v64
	v_cmp_ne_u32_e64 s[22:23], s35, v65
	flat_store_short_d16_hi v[16:17], v67 offset:384 nt
                                        ; implicit-def: $vgpr65
	s_and_saveexec_b64 s[40:41], s[22:23]
	s_xor_b64 s[22:23], exec, s[40:41]
; %bb.3467:                             ;   in Loop: Header=BB36_3450 Depth=3
	v_bfe_u32 v65, v64, 16, 1
	v_add3_u32 v65, v64, v65, s8
                                        ; implicit-def: $vgpr64
; %bb.3468:                             ;   in Loop: Header=BB36_3450 Depth=3
	s_andn2_saveexec_b64 s[40:41], s[22:23]
; %bb.3469:                             ;   in Loop: Header=BB36_3450 Depth=3
	v_or_b32_e32 v65, 0x10000, v64
	v_cmp_eq_u32_sdwa s[22:23], v64, v3 src0_sel:WORD_0 src1_sel:DWORD
	s_nop 1
	v_cndmask_b32_e64 v65, v65, v64, s[22:23]
; %bb.3470:                             ;   in Loop: Header=BB36_3450 Depth=3
	s_or_b64 exec, exec, s[40:41]
	v_lshlrev_b32_e32 v54, 16, v54
	v_lshlrev_b32_e32 v55, 16, v55
	v_max_f32_e32 v55, v55, v55
	v_max_f32_e32 v54, v54, v54
	v_min_f32_e32 v64, v54, v55
	v_max_f32_e32 v54, v54, v55
	v_cndmask_b32_e32 v54, v54, v64, vcc
	v_and_b32_e32 v55, 0x7f800000, v54
	v_cmp_ne_u32_e64 s[22:23], s35, v55
	flat_store_short_d16_hi v[16:17], v65 offset:512 nt
                                        ; implicit-def: $vgpr55
	s_and_saveexec_b64 s[40:41], s[22:23]
	s_xor_b64 s[22:23], exec, s[40:41]
; %bb.3471:                             ;   in Loop: Header=BB36_3450 Depth=3
	v_bfe_u32 v55, v54, 16, 1
	v_add3_u32 v55, v54, v55, s8
                                        ; implicit-def: $vgpr54
; %bb.3472:                             ;   in Loop: Header=BB36_3450 Depth=3
	s_andn2_saveexec_b64 s[40:41], s[22:23]
; %bb.3473:                             ;   in Loop: Header=BB36_3450 Depth=3
	v_or_b32_e32 v55, 0x10000, v54
	v_cmp_eq_u32_sdwa s[22:23], v54, v3 src0_sel:WORD_0 src1_sel:DWORD
	s_nop 1
	v_cndmask_b32_e64 v55, v55, v54, s[22:23]
; %bb.3474:                             ;   in Loop: Header=BB36_3450 Depth=3
	s_or_b64 exec, exec, s[40:41]
	v_lshlrev_b32_e32 v52, 16, v52
	v_lshlrev_b32_e32 v53, 16, v53
	v_max_f32_e32 v53, v53, v53
	v_max_f32_e32 v52, v52, v52
	v_min_f32_e32 v54, v52, v53
	v_max_f32_e32 v52, v52, v53
	v_cndmask_b32_e32 v52, v52, v54, vcc
	v_and_b32_e32 v53, 0x7f800000, v52
	v_cmp_ne_u32_e64 s[22:23], s35, v53
	flat_store_short_d16_hi v[16:17], v55 offset:640 nt
                                        ; implicit-def: $vgpr53
	s_and_saveexec_b64 s[40:41], s[22:23]
	s_xor_b64 s[22:23], exec, s[40:41]
; %bb.3475:                             ;   in Loop: Header=BB36_3450 Depth=3
	v_bfe_u32 v53, v52, 16, 1
	v_add3_u32 v53, v52, v53, s8
                                        ; implicit-def: $vgpr52
; %bb.3476:                             ;   in Loop: Header=BB36_3450 Depth=3
	s_andn2_saveexec_b64 s[40:41], s[22:23]
; %bb.3477:                             ;   in Loop: Header=BB36_3450 Depth=3
	v_or_b32_e32 v53, 0x10000, v52
	v_cmp_eq_u32_sdwa s[22:23], v52, v3 src0_sel:WORD_0 src1_sel:DWORD
	s_nop 1
	v_cndmask_b32_e64 v53, v53, v52, s[22:23]
; %bb.3478:                             ;   in Loop: Header=BB36_3450 Depth=3
	s_or_b64 exec, exec, s[40:41]
	v_lshlrev_b32_e32 v50, 16, v50
	v_lshlrev_b32_e32 v51, 16, v51
	v_max_f32_e32 v51, v51, v51
	v_max_f32_e32 v50, v50, v50
	v_min_f32_e32 v52, v50, v51
	v_max_f32_e32 v50, v50, v51
	v_cndmask_b32_e32 v50, v50, v52, vcc
	v_and_b32_e32 v51, 0x7f800000, v50
	v_cmp_ne_u32_e64 s[22:23], s35, v51
	flat_store_short_d16_hi v[16:17], v53 offset:768 nt
                                        ; implicit-def: $vgpr51
	s_and_saveexec_b64 s[40:41], s[22:23]
	s_xor_b64 s[22:23], exec, s[40:41]
; %bb.3479:                             ;   in Loop: Header=BB36_3450 Depth=3
	v_bfe_u32 v51, v50, 16, 1
	v_add3_u32 v51, v50, v51, s8
                                        ; implicit-def: $vgpr50
; %bb.3480:                             ;   in Loop: Header=BB36_3450 Depth=3
	s_andn2_saveexec_b64 s[40:41], s[22:23]
; %bb.3481:                             ;   in Loop: Header=BB36_3450 Depth=3
	v_or_b32_e32 v51, 0x10000, v50
	v_cmp_eq_u32_sdwa s[22:23], v50, v3 src0_sel:WORD_0 src1_sel:DWORD
	s_nop 1
	v_cndmask_b32_e64 v51, v51, v50, s[22:23]
; %bb.3482:                             ;   in Loop: Header=BB36_3450 Depth=3
	s_or_b64 exec, exec, s[40:41]
	v_lshlrev_b32_e32 v48, 16, v48
	v_lshlrev_b32_e32 v49, 16, v49
	v_max_f32_e32 v49, v49, v49
	v_max_f32_e32 v48, v48, v48
	v_min_f32_e32 v50, v48, v49
	v_max_f32_e32 v48, v48, v49
	v_cndmask_b32_e32 v48, v48, v50, vcc
	v_and_b32_e32 v49, 0x7f800000, v48
	v_cmp_ne_u32_e64 s[22:23], s35, v49
	flat_store_short_d16_hi v[16:17], v51 offset:896 nt
                                        ; implicit-def: $vgpr49
	s_and_saveexec_b64 s[40:41], s[22:23]
	s_xor_b64 s[22:23], exec, s[40:41]
; %bb.3483:                             ;   in Loop: Header=BB36_3450 Depth=3
	v_bfe_u32 v49, v48, 16, 1
	v_add3_u32 v49, v48, v49, s8
                                        ; implicit-def: $vgpr48
; %bb.3484:                             ;   in Loop: Header=BB36_3450 Depth=3
	s_andn2_saveexec_b64 s[40:41], s[22:23]
; %bb.3485:                             ;   in Loop: Header=BB36_3450 Depth=3
	v_or_b32_e32 v49, 0x10000, v48
	v_cmp_eq_u32_sdwa s[22:23], v48, v3 src0_sel:WORD_0 src1_sel:DWORD
	s_nop 1
	v_cndmask_b32_e64 v49, v49, v48, s[22:23]
; %bb.3486:                             ;   in Loop: Header=BB36_3450 Depth=3
	s_or_b64 exec, exec, s[40:41]
	v_lshlrev_b32_e32 v38, 16, v38
	v_lshlrev_b32_e32 v39, 16, v39
	v_max_f32_e32 v39, v39, v39
	v_max_f32_e32 v38, v38, v38
	v_min_f32_e32 v48, v38, v39
	v_max_f32_e32 v38, v38, v39
	v_cndmask_b32_e32 v38, v38, v48, vcc
	v_and_b32_e32 v39, 0x7f800000, v38
	v_cmp_ne_u32_e64 s[22:23], s35, v39
	flat_store_short_d16_hi v[16:17], v49 offset:1024 nt
                                        ; implicit-def: $vgpr39
	s_and_saveexec_b64 s[40:41], s[22:23]
	s_xor_b64 s[22:23], exec, s[40:41]
; %bb.3487:                             ;   in Loop: Header=BB36_3450 Depth=3
	v_bfe_u32 v39, v38, 16, 1
	v_add3_u32 v39, v38, v39, s8
                                        ; implicit-def: $vgpr38
; %bb.3488:                             ;   in Loop: Header=BB36_3450 Depth=3
	s_andn2_saveexec_b64 s[40:41], s[22:23]
; %bb.3489:                             ;   in Loop: Header=BB36_3450 Depth=3
	v_or_b32_e32 v39, 0x10000, v38
	v_cmp_eq_u32_sdwa s[22:23], v38, v3 src0_sel:WORD_0 src1_sel:DWORD
	s_nop 1
	v_cndmask_b32_e64 v39, v39, v38, s[22:23]
; %bb.3490:                             ;   in Loop: Header=BB36_3450 Depth=3
	s_or_b64 exec, exec, s[40:41]
	v_lshlrev_b32_e32 v36, 16, v36
	v_lshlrev_b32_e32 v37, 16, v37
	v_max_f32_e32 v37, v37, v37
	v_max_f32_e32 v36, v36, v36
	v_min_f32_e32 v38, v36, v37
	v_max_f32_e32 v36, v36, v37
	v_cndmask_b32_e32 v36, v36, v38, vcc
	v_and_b32_e32 v37, 0x7f800000, v36
	v_cmp_ne_u32_e64 s[22:23], s35, v37
	flat_store_short_d16_hi v[16:17], v39 offset:1152 nt
                                        ; implicit-def: $vgpr37
	s_and_saveexec_b64 s[40:41], s[22:23]
	s_xor_b64 s[22:23], exec, s[40:41]
; %bb.3491:                             ;   in Loop: Header=BB36_3450 Depth=3
	v_bfe_u32 v37, v36, 16, 1
	v_add3_u32 v37, v36, v37, s8
                                        ; implicit-def: $vgpr36
; %bb.3492:                             ;   in Loop: Header=BB36_3450 Depth=3
	s_andn2_saveexec_b64 s[40:41], s[22:23]
; %bb.3493:                             ;   in Loop: Header=BB36_3450 Depth=3
	v_or_b32_e32 v37, 0x10000, v36
	v_cmp_eq_u32_sdwa s[22:23], v36, v3 src0_sel:WORD_0 src1_sel:DWORD
	s_nop 1
	v_cndmask_b32_e64 v37, v37, v36, s[22:23]
; %bb.3494:                             ;   in Loop: Header=BB36_3450 Depth=3
	s_or_b64 exec, exec, s[40:41]
	v_lshlrev_b32_e32 v34, 16, v34
	v_lshlrev_b32_e32 v35, 16, v35
	v_max_f32_e32 v35, v35, v35
	v_max_f32_e32 v34, v34, v34
	v_min_f32_e32 v36, v34, v35
	v_max_f32_e32 v34, v34, v35
	v_cndmask_b32_e32 v34, v34, v36, vcc
	v_and_b32_e32 v35, 0x7f800000, v34
	v_cmp_ne_u32_e64 s[22:23], s35, v35
	flat_store_short_d16_hi v[16:17], v37 offset:1280 nt
                                        ; implicit-def: $vgpr35
	s_and_saveexec_b64 s[40:41], s[22:23]
	s_xor_b64 s[22:23], exec, s[40:41]
; %bb.3495:                             ;   in Loop: Header=BB36_3450 Depth=3
	v_bfe_u32 v35, v34, 16, 1
	v_add3_u32 v35, v34, v35, s8
                                        ; implicit-def: $vgpr34
; %bb.3496:                             ;   in Loop: Header=BB36_3450 Depth=3
	s_andn2_saveexec_b64 s[40:41], s[22:23]
; %bb.3497:                             ;   in Loop: Header=BB36_3450 Depth=3
	v_or_b32_e32 v35, 0x10000, v34
	v_cmp_eq_u32_sdwa s[22:23], v34, v3 src0_sel:WORD_0 src1_sel:DWORD
	s_nop 1
	v_cndmask_b32_e64 v35, v35, v34, s[22:23]
; %bb.3498:                             ;   in Loop: Header=BB36_3450 Depth=3
	s_or_b64 exec, exec, s[40:41]
	v_lshlrev_b32_e32 v32, 16, v32
	v_lshlrev_b32_e32 v33, 16, v33
	v_max_f32_e32 v33, v33, v33
	v_max_f32_e32 v32, v32, v32
	v_min_f32_e32 v34, v32, v33
	v_max_f32_e32 v32, v32, v33
	v_cndmask_b32_e32 v32, v32, v34, vcc
	v_and_b32_e32 v33, 0x7f800000, v32
	v_cmp_ne_u32_e64 s[22:23], s35, v33
	flat_store_short_d16_hi v[16:17], v35 offset:1408 nt
                                        ; implicit-def: $vgpr33
	s_and_saveexec_b64 s[40:41], s[22:23]
	s_xor_b64 s[22:23], exec, s[40:41]
; %bb.3499:                             ;   in Loop: Header=BB36_3450 Depth=3
	v_bfe_u32 v33, v32, 16, 1
	v_add3_u32 v33, v32, v33, s8
                                        ; implicit-def: $vgpr32
; %bb.3500:                             ;   in Loop: Header=BB36_3450 Depth=3
	s_andn2_saveexec_b64 s[40:41], s[22:23]
; %bb.3501:                             ;   in Loop: Header=BB36_3450 Depth=3
	v_or_b32_e32 v33, 0x10000, v32
	v_cmp_eq_u32_sdwa s[22:23], v32, v3 src0_sel:WORD_0 src1_sel:DWORD
	s_nop 1
	v_cndmask_b32_e64 v33, v33, v32, s[22:23]
; %bb.3502:                             ;   in Loop: Header=BB36_3450 Depth=3
	s_or_b64 exec, exec, s[40:41]
	v_lshlrev_b32_e32 v27, 16, v27
	v_lshlrev_b32_e32 v30, 16, v30
	v_max_f32_e32 v30, v30, v30
	v_max_f32_e32 v27, v27, v27
	v_min_f32_e32 v32, v27, v30
	v_max_f32_e32 v27, v27, v30
	v_cndmask_b32_e32 v27, v27, v32, vcc
	v_and_b32_e32 v30, 0x7f800000, v27
	v_cmp_ne_u32_e64 s[22:23], s35, v30
	flat_store_short_d16_hi v[16:17], v33 offset:1536 nt
                                        ; implicit-def: $vgpr30
	s_and_saveexec_b64 s[40:41], s[22:23]
	s_xor_b64 s[22:23], exec, s[40:41]
; %bb.3503:                             ;   in Loop: Header=BB36_3450 Depth=3
	v_bfe_u32 v30, v27, 16, 1
	v_add3_u32 v30, v27, v30, s8
                                        ; implicit-def: $vgpr27
; %bb.3504:                             ;   in Loop: Header=BB36_3450 Depth=3
	s_andn2_saveexec_b64 s[40:41], s[22:23]
; %bb.3505:                             ;   in Loop: Header=BB36_3450 Depth=3
	v_or_b32_e32 v30, 0x10000, v27
	v_cmp_eq_u32_sdwa s[22:23], v27, v3 src0_sel:WORD_0 src1_sel:DWORD
	s_nop 1
	v_cndmask_b32_e64 v30, v30, v27, s[22:23]
; %bb.3506:                             ;   in Loop: Header=BB36_3450 Depth=3
	s_or_b64 exec, exec, s[40:41]
	v_lshlrev_b32_e32 v25, 16, v25
	v_lshlrev_b32_e32 v26, 16, v26
	v_max_f32_e32 v26, v26, v26
	v_max_f32_e32 v25, v25, v25
	v_min_f32_e32 v27, v25, v26
	v_max_f32_e32 v25, v25, v26
	v_cndmask_b32_e32 v25, v25, v27, vcc
	v_and_b32_e32 v26, 0x7f800000, v25
	v_cmp_ne_u32_e64 s[22:23], s35, v26
	flat_store_short_d16_hi v[16:17], v30 offset:1664 nt
                                        ; implicit-def: $vgpr26
	s_and_saveexec_b64 s[40:41], s[22:23]
	s_xor_b64 s[22:23], exec, s[40:41]
; %bb.3507:                             ;   in Loop: Header=BB36_3450 Depth=3
	v_bfe_u32 v26, v25, 16, 1
	v_add3_u32 v26, v25, v26, s8
                                        ; implicit-def: $vgpr25
; %bb.3508:                             ;   in Loop: Header=BB36_3450 Depth=3
	s_andn2_saveexec_b64 s[40:41], s[22:23]
; %bb.3509:                             ;   in Loop: Header=BB36_3450 Depth=3
	v_or_b32_e32 v26, 0x10000, v25
	v_cmp_eq_u32_sdwa s[22:23], v25, v3 src0_sel:WORD_0 src1_sel:DWORD
	s_nop 1
	v_cndmask_b32_e64 v26, v26, v25, s[22:23]
; %bb.3510:                             ;   in Loop: Header=BB36_3450 Depth=3
	s_or_b64 exec, exec, s[40:41]
	v_lshlrev_b32_e32 v23, 16, v23
	v_lshlrev_b32_e32 v24, 16, v24
	v_max_f32_e32 v24, v24, v24
	v_max_f32_e32 v23, v23, v23
	v_min_f32_e32 v25, v23, v24
	v_max_f32_e32 v23, v23, v24
	v_cndmask_b32_e32 v23, v23, v25, vcc
	v_and_b32_e32 v24, 0x7f800000, v23
	v_cmp_ne_u32_e64 s[22:23], s35, v24
	flat_store_short_d16_hi v[16:17], v26 offset:1792 nt
                                        ; implicit-def: $vgpr24
	s_and_saveexec_b64 s[40:41], s[22:23]
	s_xor_b64 s[22:23], exec, s[40:41]
; %bb.3511:                             ;   in Loop: Header=BB36_3450 Depth=3
	v_bfe_u32 v24, v23, 16, 1
	v_add3_u32 v24, v23, v24, s8
                                        ; implicit-def: $vgpr23
; %bb.3512:                             ;   in Loop: Header=BB36_3450 Depth=3
	s_andn2_saveexec_b64 s[40:41], s[22:23]
	s_cbranch_execz .LBB36_3449
; %bb.3513:                             ;   in Loop: Header=BB36_3450 Depth=3
	v_or_b32_e32 v24, 0x10000, v23
	v_cmp_eq_u32_sdwa s[22:23], v23, v3 src0_sel:WORD_0 src1_sel:DWORD
	s_nop 1
	v_cndmask_b32_e64 v24, v24, v23, s[22:23]
	s_branch .LBB36_3449
.LBB36_3514:                            ;   in Loop: Header=BB36_3105 Depth=2
	s_or_b64 exec, exec, s[28:29]
.LBB36_3515:                            ;   in Loop: Header=BB36_3105 Depth=2
	s_or_b64 exec, exec, s[26:27]
	v_lshlrev_b32_e32 v8, 11, v22
	scratch_load_dwordx2 v[16:17], off, s33 offset:336 ; 8-byte Folded Reload
	scratch_load_dwordx2 v[22:23], off, s33 offset:256 ; 8-byte Folded Reload
	v_cmp_ne_u32_e32 vcc, v2, v8
	s_and_b64 s[22:23], exec, vcc
	s_mov_b64 exec, s[22:23]
	s_cbranch_execz .LBB36_3519
; %bb.3516:                             ;   in Loop: Header=BB36_3105 Depth=2
	v_lshlrev_b32_e32 v9, 6, v20
	v_sub_u32_e32 v9, v19, v9
	v_lshlrev_b32_e32 v10, 6, v21
	v_sub_u32_e32 v9, v9, v10
	v_ashrrev_i32_e32 v10, 31, v9
	v_lshrrev_b32_e32 v10, 26, v10
	v_add_u32_e32 v10, v9, v10
	v_and_b32_e32 v11, 0x7fffffc0, v10
	v_sub_u32_e32 v9, v9, v11
	v_lshlrev_b32_e32 v10, 1, v10
	v_and_b32_e32 v10, 0xffffff80, v10
	v_lshlrev_b32_e32 v9, 1, v9
	v_add3_u32 v8, v10, v9, v8
	v_sub_u32_e32 v2, v2, v8
	v_cmp_lt_i32_e32 vcc, 1, v2
	s_and_b64 exec, exec, vcc
	s_cbranch_execz .LBB36_3519
; %bb.3517:                             ;   in Loop: Header=BB36_3105 Depth=2
	s_and_b32 s74, s70, 1
	v_add_u32_e32 v8, v8, v18
	s_cmp_eq_u64 s[74:75], 0
	v_ashrrev_i32_e32 v9, 31, v8
	s_mov_b64 s[26:27], 0
	s_cselect_b64 vcc, -1, 0
.LBB36_3518:                            ;   Parent Loop BB36_47 Depth=1
                                        ;     Parent Loop BB36_3105 Depth=2
                                        ; =>    This Inner Loop Header: Depth=3
	v_lshl_add_u64 v[12:13], v[118:119], 0, v[8:9]
	v_lshl_add_u64 v[10:11], v[124:125], 0, v[8:9]
	flat_load_ushort v12, v[12:13] nt
	s_nop 0
	flat_load_ushort v13, v[10:11] nt
	s_waitcnt vmcnt(0)
	v_sub_u32_e32 v2, v2, v16
	v_cmp_gt_i32_e64 s[22:23], 2, v2
	s_or_b64 s[26:27], s[22:23], s[26:27]
	v_lshl_add_u64 v[10:11], v[72:73], 0, v[8:9]
	v_lshl_add_u64 v[8:9], v[8:9], 0, v[22:23]
	s_waitcnt lgkmcnt(0)
	v_lshlrev_b32_e32 v12, 16, v12
	v_lshlrev_b32_e32 v13, 16, v13
	v_max_f32_e32 v13, v13, v13
	v_max_f32_e32 v12, v12, v12
	v_min_f32_e32 v14, v12, v13
	v_max_f32_e32 v12, v12, v13
	v_cndmask_b32_e32 v12, v12, v14, vcc
	v_and_b32_e32 v13, 0x7f800000, v12
	v_bfe_u32 v14, v12, 16, 1
	v_or_b32_e32 v15, 0x10000, v12
	v_cmp_eq_u32_sdwa s[22:23], v12, v3 src0_sel:WORD_0 src1_sel:DWORD
	v_add3_u32 v14, v12, v14, s8
	s_nop 0
	v_cndmask_b32_e64 v12, v15, v12, s[22:23]
	v_cmp_eq_u32_e64 s[22:23], s35, v13
	s_nop 1
	v_cndmask_b32_e64 v12, v14, v12, s[22:23]
	flat_store_short_d16_hi v[10:11], v12 nt
	s_andn2_b64 exec, exec, s[26:27]
	s_cbranch_execnz .LBB36_3518
.LBB36_3519:                            ;   in Loop: Header=BB36_3105 Depth=2
	s_or_b64 exec, exec, s[24:25]
	v_cmp_lt_i32_e64 s[22:23], 0, v1
	s_and_saveexec_b64 s[24:25], s[4:5]
	s_cbranch_execz .LBB36_3176
.LBB36_3520:                            ;   in Loop: Header=BB36_3105 Depth=2
	s_and_saveexec_b64 s[26:27], s[76:77]
	s_xor_b64 s[26:27], exec, s[26:27]
	s_cbranch_execz .LBB36_3535
; %bb.3521:                             ;   in Loop: Header=BB36_3105 Depth=2
	s_and_saveexec_b64 s[28:29], s[12:13]
	s_cbranch_execz .LBB36_3534
; %bb.3522:                             ;   in Loop: Header=BB36_3105 Depth=2
	s_mov_b64 s[42:43], exec
	v_mbcnt_lo_u32_b32 v1, s42, 0
	v_mbcnt_hi_u32_b32 v1, s43, v1
	v_cmp_eq_u32_e32 vcc, 0, v1
	s_waitcnt lgkmcnt(0)
	s_and_saveexec_b64 s[40:41], vcc
	s_cbranch_execz .LBB36_3524
; %bb.3523:                             ;   in Loop: Header=BB36_3105 Depth=2
	s_bcnt1_i32_b64 s42, s[42:43]
	v_mov_b32_e32 v2, s42
	ds_add_u64 v0, v[2:3]
	s_trap 2
.LBB36_3524:                            ;   in Loop: Header=BB36_3105 Depth=2
	s_or_b64 exec, exec, s[40:41]
	s_trap 2
	ds_read_b64 v[8:9], v0
	s_waitcnt lgkmcnt(0)
	v_lshl_add_u64 v[56:57], v[56:57], 0, v[60:61]
	v_cmp_lt_u64_e32 vcc, v[8:9], v[56:57]
	s_and_saveexec_b64 s[40:41], vcc
	s_cbranch_execz .LBB36_3533
; %bb.3525:                             ;   in Loop: Header=BB36_3105 Depth=2
	s_mov_b32 s74, 0
	s_mov_b64 s[42:43], 0
                                        ; implicit-def: $sgpr44_sgpr45
                                        ; implicit-def: $sgpr46_sgpr47
	s_branch .LBB36_3527
.LBB36_3526:                            ;   in Loop: Header=BB36_3527 Depth=3
	s_or_b64 exec, exec, s[58:59]
	s_and_b64 s[56:57], exec, vcc
	s_or_b64 s[42:43], s[56:57], s[42:43]
	s_andn2_b64 s[44:45], s[44:45], exec
	s_and_b64 s[56:57], s[46:47], exec
	s_or_b64 s[44:45], s[44:45], s[56:57]
	s_andn2_b64 exec, exec, s[42:43]
	s_cbranch_execz .LBB36_3531
.LBB36_3527:                            ;   Parent Loop BB36_47 Depth=1
                                        ;     Parent Loop BB36_3105 Depth=2
                                        ; =>    This Inner Loop Header: Depth=3
	s_add_i32 s74, s74, 1
	s_cmpk_lg_i32 s74, 0x2710
	s_cselect_b64 s[56:57], -1, 0
	s_and_b64 vcc, exec, s[56:57]
	s_cbranch_vccz .LBB36_3529
; %bb.3528:                             ;   in Loop: Header=BB36_3527 Depth=3
	s_mov_b64 vcc, -1
	s_or_b64 s[46:47], s[46:47], exec
	s_and_saveexec_b64 s[58:59], s[56:57]
	s_cbranch_execz .LBB36_3526
	s_branch .LBB36_3530
.LBB36_3529:                            ;   in Loop: Header=BB36_3527 Depth=3
	s_trap 2
	ds_read_b64 v[8:9], v0
	s_andn2_b64 s[56:57], s[56:57], exec
	s_mov_b32 s74, 0
	s_waitcnt vmcnt(0) lgkmcnt(0)
	flat_load_dword v1, v[8:9] sc0 sc1
	s_waitcnt vmcnt(0) lgkmcnt(0)
	buffer_inv sc0 sc1
	v_cmp_eq_u32_e32 vcc, 0, v1
	s_and_b64 s[58:59], vcc, exec
	s_or_b64 s[56:57], s[56:57], s[58:59]
	s_mov_b64 vcc, -1
	s_or_b64 s[46:47], s[46:47], exec
	s_and_saveexec_b64 s[58:59], s[56:57]
	s_cbranch_execz .LBB36_3526
.LBB36_3530:                            ;   in Loop: Header=BB36_3527 Depth=3
	s_sleep 1
	s_trap 2
	ds_read_b64 v[8:9], v0
	s_waitcnt lgkmcnt(0)
	s_andn2_b64 s[46:47], s[46:47], exec
	v_cmp_ge_u64_e32 vcc, v[8:9], v[56:57]
	s_orn2_b64 vcc, vcc, exec
	s_branch .LBB36_3526
.LBB36_3531:                            ;   in Loop: Header=BB36_3105 Depth=2
	s_or_b64 exec, exec, s[42:43]
	s_and_saveexec_b64 s[42:43], s[44:45]
	s_xor_b64 s[42:43], exec, s[42:43]
	s_cbranch_execz .LBB36_3533
; %bb.3532:                             ;   in Loop: Header=BB36_3105 Depth=2
	v_mov_b32_e32 v1, 1
	ds_write_b32 v0, v1
	s_trap 2
.LBB36_3533:                            ;   in Loop: Header=BB36_3105 Depth=2
	s_or_b64 exec, exec, s[40:41]
	;;#ASMSTART
	s_wakeup
	;;#ASMEND
.LBB36_3534:                            ;   in Loop: Header=BB36_3105 Depth=2
	s_or_b64 exec, exec, s[28:29]
.LBB36_3535:                            ;   in Loop: Header=BB36_3105 Depth=2
	s_andn2_saveexec_b64 s[26:27], s[26:27]
	s_cbranch_execz .LBB36_3537
; %bb.3536:                             ;   in Loop: Header=BB36_3105 Depth=2
	s_waitcnt lgkmcnt(0)
	s_barrier
.LBB36_3537:                            ;   in Loop: Header=BB36_3105 Depth=2
	s_or_b64 exec, exec, s[26:27]
	s_or_b64 exec, exec, s[24:25]
	s_and_saveexec_b64 s[24:25], s[20:21]
	s_xor_b64 s[24:25], exec, s[24:25]
	s_cbranch_execnz .LBB36_3177
.LBB36_3538:                            ;   in Loop: Header=BB36_3105 Depth=2
	s_andn2_saveexec_b64 s[22:23], s[24:25]
	s_cbranch_execz .LBB36_3557
.LBB36_3539:                            ;   in Loop: Header=BB36_3105 Depth=2
	s_and_saveexec_b64 s[24:25], s[76:77]
	s_xor_b64 s[24:25], exec, s[24:25]
	s_cbranch_execz .LBB36_3554
; %bb.3540:                             ;   in Loop: Header=BB36_3105 Depth=2
	s_and_saveexec_b64 s[26:27], s[12:13]
	s_cbranch_execz .LBB36_3553
; %bb.3541:                             ;   in Loop: Header=BB36_3105 Depth=2
	s_mov_b64 s[40:41], exec
	v_mbcnt_lo_u32_b32 v1, s40, 0
	v_mbcnt_hi_u32_b32 v1, s41, v1
	v_cmp_eq_u32_e32 vcc, 0, v1
	;;#ASMSTART
	s_waitcnt lgkmcnt(0) vmcnt(0)
	;;#ASMEND
	s_and_saveexec_b64 s[28:29], vcc
	s_cbranch_execz .LBB36_3543
; %bb.3542:                             ;   in Loop: Header=BB36_3105 Depth=2
	s_bcnt1_i32_b64 s40, s[40:41]
	v_mov_b32_e32 v2, s40
	s_waitcnt lgkmcnt(0)
	ds_add_u64 v0, v[2:3]
	s_trap 2
.LBB36_3543:                            ;   in Loop: Header=BB36_3105 Depth=2
	s_or_b64 exec, exec, s[28:29]
	s_trap 2
	ds_read_b64 v[8:9], v0
	s_waitcnt lgkmcnt(0)
	v_lshl_add_u64 v[56:57], v[56:57], 0, v[60:61]
	v_cmp_lt_u64_e32 vcc, v[8:9], v[56:57]
	s_and_saveexec_b64 s[28:29], vcc
	s_cbranch_execz .LBB36_3552
; %bb.3544:                             ;   in Loop: Header=BB36_3105 Depth=2
	s_mov_b32 s74, 0
	s_mov_b64 s[40:41], 0
                                        ; implicit-def: $sgpr42_sgpr43
                                        ; implicit-def: $sgpr44_sgpr45
	s_branch .LBB36_3546
.LBB36_3545:                            ;   in Loop: Header=BB36_3546 Depth=3
	s_or_b64 exec, exec, s[56:57]
	s_and_b64 s[46:47], exec, s[58:59]
	s_or_b64 s[40:41], s[46:47], s[40:41]
	s_andn2_b64 s[42:43], s[42:43], exec
	s_and_b64 s[46:47], s[44:45], exec
	s_or_b64 s[42:43], s[42:43], s[46:47]
	s_andn2_b64 exec, exec, s[40:41]
	s_cbranch_execz .LBB36_3550
.LBB36_3546:                            ;   Parent Loop BB36_47 Depth=1
                                        ;     Parent Loop BB36_3105 Depth=2
                                        ; =>    This Inner Loop Header: Depth=3
	s_add_i32 s74, s74, 1
	s_cmpk_lg_i32 s74, 0x2710
	s_cselect_b64 s[46:47], -1, 0
	s_and_b64 vcc, exec, s[46:47]
	s_cbranch_vccz .LBB36_3548
; %bb.3547:                             ;   in Loop: Header=BB36_3546 Depth=3
	s_mov_b64 s[58:59], -1
	s_or_b64 s[44:45], s[44:45], exec
	s_and_saveexec_b64 s[56:57], s[46:47]
	s_cbranch_execz .LBB36_3545
	s_branch .LBB36_3549
.LBB36_3548:                            ;   in Loop: Header=BB36_3546 Depth=3
	s_trap 2
	ds_read_b64 v[8:9], v0
	s_andn2_b64 s[46:47], s[46:47], exec
	s_mov_b32 s74, 0
	s_waitcnt vmcnt(0) lgkmcnt(0)
	flat_load_dword v1, v[8:9] sc0 sc1
	s_waitcnt vmcnt(0) lgkmcnt(0)
	buffer_inv sc0 sc1
	v_cmp_eq_u32_e32 vcc, 0, v1
	s_and_b64 s[56:57], vcc, exec
	s_or_b64 s[46:47], s[46:47], s[56:57]
	s_mov_b64 s[58:59], -1
	s_or_b64 s[44:45], s[44:45], exec
	s_and_saveexec_b64 s[56:57], s[46:47]
	s_cbranch_execz .LBB36_3545
.LBB36_3549:                            ;   in Loop: Header=BB36_3546 Depth=3
	s_sleep 1
	s_trap 2
	ds_read_b64 v[8:9], v0
	s_waitcnt lgkmcnt(0)
	s_andn2_b64 s[44:45], s[44:45], exec
	v_cmp_ge_u64_e32 vcc, v[8:9], v[56:57]
	s_orn2_b64 s[58:59], vcc, exec
	s_branch .LBB36_3545
.LBB36_3550:                            ;   in Loop: Header=BB36_3105 Depth=2
	s_or_b64 exec, exec, s[40:41]
	s_and_saveexec_b64 s[40:41], s[42:43]
	s_xor_b64 s[40:41], exec, s[40:41]
	s_cbranch_execz .LBB36_3552
; %bb.3551:                             ;   in Loop: Header=BB36_3105 Depth=2
	v_mov_b32_e32 v1, 1
	ds_write_b32 v0, v1
	s_trap 2
.LBB36_3552:                            ;   in Loop: Header=BB36_3105 Depth=2
	s_or_b64 exec, exec, s[28:29]
	;;#ASMSTART
	s_wakeup
	;;#ASMEND
.LBB36_3553:                            ;   in Loop: Header=BB36_3105 Depth=2
	s_or_b64 exec, exec, s[26:27]
.LBB36_3554:                            ;   in Loop: Header=BB36_3105 Depth=2
	s_andn2_saveexec_b64 s[24:25], s[24:25]
	s_cbranch_execz .LBB36_3556
; %bb.3555:                             ;   in Loop: Header=BB36_3105 Depth=2
	;;#ASMSTART
	s_waitcnt lgkmcnt(0) vmcnt(0)
	;;#ASMEND
	s_barrier
.LBB36_3556:                            ;   in Loop: Header=BB36_3105 Depth=2
	s_or_b64 exec, exec, s[24:25]
.LBB36_3557:                            ;   in Loop: Header=BB36_3105 Depth=2
	s_or_b64 exec, exec, s[22:23]
	v_and_b32_e32 v1, 32, v79
	v_cmp_ne_u32_e32 vcc, 0, v1
	s_and_saveexec_b64 s[22:23], vcc
	s_cbranch_execz .LBB36_3104
; %bb.3558:                             ;   in Loop: Header=BB36_3105 Depth=2
	v_lshl_add_u64 v[4:5], v[4:5], 0, 2
	flat_store_dwordx2 v[40:41], v[4:5] sc0 sc1
	s_branch .LBB36_3104
.LBB36_3559:                            ;   in Loop: Header=BB36_47 Depth=1
	s_or_b64 exec, exec, s[52:53]
.LBB36_3560:                            ;   in Loop: Header=BB36_47 Depth=1
	s_or_b64 exec, exec, s[60:61]
	v_cmp_gt_i32_e32 vcc, 2, v1
	s_and_saveexec_b64 s[24:25], vcc
	s_cbranch_execz .LBB36_46
; %bb.3561:                             ;   in Loop: Header=BB36_47 Depth=1
	v_cmp_eq_u32_e64 s[28:29], 0, v1
	s_mov_b64 s[26:27], 0
	s_branch .LBB36_3563
.LBB36_3562:                            ;   in Loop: Header=BB36_3563 Depth=2
	s_or_b64 exec, exec, s[22:23]
	v_add_u32_e32 v0, v7, v0
	s_mov_b64 s[28:29], 0
	s_andn2_b64 exec, exec, s[26:27]
	s_cbranch_execz .LBB36_45
.LBB36_3563:                            ;   Parent Loop BB36_47 Depth=1
                                        ; =>  This Loop Header: Depth=2
                                        ;       Child Loop BB36_3569 Depth 3
                                        ;       Child Loop BB36_3593 Depth 3
	;; [unrolled: 1-line block ×3, first 2 shown]
	v_and_b32_e32 v1, 4, v79
	v_cmp_ne_u32_e32 vcc, 0, v1
	s_and_saveexec_b64 s[40:41], vcc
	s_cbranch_execz .LBB36_3585
; %bb.3564:                             ;   in Loop: Header=BB36_3563 Depth=2
	v_lshl_add_u64 v[8:9], v[4:5], 0, 2
	s_waitcnt lgkmcnt(0)
	v_cmp_lt_u64_e32 vcc, v[46:47], v[8:9]
	s_and_saveexec_b64 s[42:43], vcc
	s_cbranch_execz .LBB36_3576
; %bb.3565:                             ;   in Loop: Header=BB36_3563 Depth=2
	v_and_b32_e32 v1, 64, v79
	s_mov_b32 s73, 0
	v_cmp_eq_u32_e32 vcc, 0, v1
	s_mov_b64 s[44:45], 0
                                        ; implicit-def: $sgpr46_sgpr47
                                        ; implicit-def: $sgpr56_sgpr57
                                        ; implicit-def: $sgpr58_sgpr59
	s_branch .LBB36_3569
.LBB36_3566:                            ;   in Loop: Header=BB36_3569 Depth=3
	s_waitcnt vmcnt(0) lgkmcnt(0)
	v_cmp_ge_u64_e64 s[22:23], v[46:47], v[8:9]
	s_or_b64 s[54:55], s[54:55], exec
	s_orn2_b64 s[52:53], s[22:23], exec
.LBB36_3567:                            ;   in Loop: Header=BB36_3569 Depth=3
	s_or_b64 exec, exec, s[66:67]
	s_andn2_b64 s[22:23], s[58:59], exec
	s_and_b64 s[58:59], s[54:55], exec
	s_or_b64 s[58:59], s[22:23], s[58:59]
	s_andn2_b64 s[22:23], s[56:57], exec
	s_and_b64 s[56:57], s[52:53], exec
	s_or_b64 s[56:57], s[22:23], s[56:57]
.LBB36_3568:                            ;   in Loop: Header=BB36_3569 Depth=3
	s_or_b64 exec, exec, s[60:61]
	s_and_b64 s[22:23], exec, s[56:57]
	s_or_b64 s[44:45], s[22:23], s[44:45]
	s_andn2_b64 s[22:23], s[46:47], exec
	s_and_b64 s[46:47], s[58:59], exec
	s_or_b64 s[46:47], s[22:23], s[46:47]
	s_andn2_b64 exec, exec, s[44:45]
	s_cbranch_execz .LBB36_3573
.LBB36_3569:                            ;   Parent Loop BB36_47 Depth=1
                                        ;     Parent Loop BB36_3563 Depth=2
                                        ; =>    This Inner Loop Header: Depth=3
	s_sleep 1
	s_waitcnt vmcnt(0) lgkmcnt(0)
	flat_load_dwordx2 v[46:47], v[40:41] sc0 sc1
	s_or_b64 s[58:59], s[58:59], exec
	s_or_b64 s[56:57], s[56:57], exec
                                        ; implicit-def: $vgpr1
	s_and_saveexec_b64 s[60:61], vcc
	s_cbranch_execz .LBB36_3568
; %bb.3570:                             ;   in Loop: Header=BB36_3569 Depth=3
	s_cmpk_lt_i32 s73, 0x270f
	s_cselect_b64 s[64:65], -1, 0
	s_cmpk_gt_i32 s73, 0x270e
	s_mov_b64 s[52:53], -1
	s_cbranch_scc0 .LBB36_3572
; %bb.3571:                             ;   in Loop: Header=BB36_3569 Depth=3
	s_trap 2
	ds_read_b64 v[10:11], v0
	s_andn2_b64 s[64:65], s[64:65], exec
	s_mov_b32 s73, 0
	s_mov_b64 s[54:55], 0
	s_waitcnt vmcnt(0) lgkmcnt(0)
	flat_load_dword v1, v[10:11] sc0 sc1
	s_waitcnt vmcnt(0) lgkmcnt(0)
	buffer_inv sc0 sc1
	v_cmp_eq_u32_e64 s[22:23], 0, v1
	s_and_b64 s[22:23], s[22:23], exec
	s_or_b64 s[64:65], s[64:65], s[22:23]
	s_and_saveexec_b64 s[66:67], s[64:65]
	s_cbranch_execz .LBB36_3567
	s_branch .LBB36_3566
.LBB36_3572:                            ;   in Loop: Header=BB36_3569 Depth=3
	s_add_i32 s73, s73, 1
	s_mov_b64 s[54:55], -1
                                        ; implicit-def: $vgpr1
	s_and_saveexec_b64 s[66:67], s[64:65]
	s_cbranch_execz .LBB36_3567
	s_branch .LBB36_3566
.LBB36_3573:                            ;   in Loop: Header=BB36_3563 Depth=2
	s_or_b64 exec, exec, s[44:45]
	s_xor_b64 s[22:23], s[46:47], -1
	s_and_saveexec_b64 s[44:45], s[22:23]
	s_xor_b64 s[22:23], exec, s[44:45]
	s_cbranch_execz .LBB36_3575
; %bb.3574:                             ;   in Loop: Header=BB36_3563 Depth=2
	v_or_b32_e32 v79, 64, v79
	s_waitcnt lgkmcnt(0)
	ds_write_b32 v0, v1
	s_trap 2
.LBB36_3575:                            ;   in Loop: Header=BB36_3563 Depth=2
	s_or_b64 exec, exec, s[22:23]
.LBB36_3576:                            ;   in Loop: Header=BB36_3563 Depth=2
	s_or_b64 exec, exec, s[42:43]
	v_and_b32_e32 v1, 0x100, v79
	v_cmp_ne_u32_e32 vcc, 0, v1
	v_and_b32_e32 v1, 7, v4
	s_mov_b64 s[22:23], -1
	;;#ASMSTART
	s_wakeup
	;;#ASMEND
                                        ; implicit-def: $vgpr4_vgpr5
	s_and_saveexec_b64 s[42:43], vcc
	s_cbranch_execz .LBB36_3580
; %bb.3577:                             ;   in Loop: Header=BB36_3563 Depth=2
	scratch_load_dwordx4 v[10:13], off, s33 offset:280 ; 16-byte Folded Reload
                                        ; implicit-def: $vgpr4_vgpr5
	s_waitcnt vmcnt(0)
	v_mad_u64_u32 v[10:11], s[22:23], v1, 24, v[10:11]
	flat_load_dword v2, v[10:11]
	s_waitcnt vmcnt(0) lgkmcnt(0)
	v_cmp_ne_u32_e32 vcc, 1, v2
	v_cmp_eq_u32_e64 s[22:23], 1, v2
	s_and_saveexec_b64 s[44:45], s[22:23]
	s_cbranch_execz .LBB36_3579
; %bb.3578:                             ;   in Loop: Header=BB36_3563 Depth=2
	flat_load_dword v4, v[10:11] offset:4 sc0 sc1
	s_waitcnt vmcnt(0) lgkmcnt(0)
	v_ashrrev_i32_e32 v5, 31, v4
	v_lshrrev_b64 v[4:5], 1, v[4:5]
.LBB36_3579:                            ;   in Loop: Header=BB36_3563 Depth=2
	s_or_b64 exec, exec, s[44:45]
	s_orn2_b64 s[22:23], vcc, exec
.LBB36_3580:                            ;   in Loop: Header=BB36_3563 Depth=2
	s_or_b64 exec, exec, s[42:43]
	s_and_saveexec_b64 s[42:43], s[22:23]
	s_cbranch_execz .LBB36_3582
; %bb.3581:                             ;   in Loop: Header=BB36_3563 Depth=2
	scratch_load_dwordx2 v[4:5], off, s33 offset:348 ; 8-byte Folded Reload
	s_waitcnt vmcnt(0)
	v_mad_i64_i32 v[4:5], s[22:23], v1, v4, 0
.LBB36_3582:                            ;   in Loop: Header=BB36_3563 Depth=2
	s_or_b64 exec, exec, s[42:43]
	scratch_load_dwordx2 v[10:11], off, s33 offset:264 ; 8-byte Folded Reload
	v_and_b32_e32 v1, 0x2000, v79
	v_cmp_ne_u32_e32 vcc, 0, v1
	s_waitcnt vmcnt(0)
	v_lshl_add_u64 v[4:5], v[4:5], 1, v[10:11]
	ds_write_b64 v0, v[4:5] offset:720
	s_and_saveexec_b64 s[22:23], vcc
	s_cbranch_execz .LBB36_3584
; %bb.3583:                             ;   in Loop: Header=BB36_3563 Depth=2
	ds_read_b64 v[4:5], v0 offset:872
	s_waitcnt lgkmcnt(0)
	v_lshl_add_u64 v[4:5], v[4:5], 0, 1
	ds_write_b64 v0, v[4:5] offset:872
.LBB36_3584:                            ;   in Loop: Header=BB36_3563 Depth=2
	s_or_b64 exec, exec, s[22:23]
	v_mov_b64_e32 v[4:5], v[8:9]
.LBB36_3585:                            ;   in Loop: Header=BB36_3563 Depth=2
	s_or_b64 exec, exec, s[40:41]
	s_xor_b64 s[22:23], s[28:29], -1
	s_and_b64 s[22:23], exec, s[22:23]
	s_or_b64 s[26:27], s[22:23], s[26:27]
	s_and_saveexec_b64 s[22:23], s[4:5]
	s_cbranch_execz .LBB36_3604
; %bb.3586:                             ;   in Loop: Header=BB36_3563 Depth=2
	s_and_saveexec_b64 s[28:29], s[76:77]
	s_xor_b64 s[28:29], exec, s[28:29]
	s_cbranch_execz .LBB36_3601
; %bb.3587:                             ;   in Loop: Header=BB36_3563 Depth=2
	s_and_saveexec_b64 s[40:41], s[12:13]
	s_cbranch_execz .LBB36_3600
; %bb.3588:                             ;   in Loop: Header=BB36_3563 Depth=2
	s_mov_b64 s[44:45], exec
	v_mbcnt_lo_u32_b32 v1, s44, 0
	v_mbcnt_hi_u32_b32 v1, s45, v1
	v_cmp_eq_u32_e32 vcc, 0, v1
	s_waitcnt lgkmcnt(0)
	s_and_saveexec_b64 s[42:43], vcc
	s_cbranch_execz .LBB36_3590
; %bb.3589:                             ;   in Loop: Header=BB36_3563 Depth=2
	s_bcnt1_i32_b64 s44, s[44:45]
	v_mov_b32_e32 v2, s44
	ds_add_u64 v0, v[2:3]
	s_trap 2
.LBB36_3590:                            ;   in Loop: Header=BB36_3563 Depth=2
	s_or_b64 exec, exec, s[42:43]
	s_trap 2
	ds_read_b64 v[8:9], v0
	s_waitcnt lgkmcnt(0)
	v_lshl_add_u64 v[56:57], v[56:57], 0, v[60:61]
	v_cmp_lt_u64_e32 vcc, v[8:9], v[56:57]
	s_and_saveexec_b64 s[42:43], vcc
	s_cbranch_execz .LBB36_3599
; %bb.3591:                             ;   in Loop: Header=BB36_3563 Depth=2
	s_mov_b32 s73, 0
	s_mov_b64 s[44:45], 0
                                        ; implicit-def: $sgpr46_sgpr47
                                        ; implicit-def: $sgpr56_sgpr57
	s_branch .LBB36_3593
.LBB36_3592:                            ;   in Loop: Header=BB36_3593 Depth=3
	s_or_b64 exec, exec, s[60:61]
	s_and_b64 s[58:59], exec, vcc
	s_or_b64 s[44:45], s[58:59], s[44:45]
	s_andn2_b64 s[46:47], s[46:47], exec
	s_and_b64 s[58:59], s[56:57], exec
	s_or_b64 s[46:47], s[46:47], s[58:59]
	s_andn2_b64 exec, exec, s[44:45]
	s_cbranch_execz .LBB36_3597
.LBB36_3593:                            ;   Parent Loop BB36_47 Depth=1
                                        ;     Parent Loop BB36_3563 Depth=2
                                        ; =>    This Inner Loop Header: Depth=3
	s_add_i32 s73, s73, 1
	s_cmpk_lg_i32 s73, 0x2710
	s_cselect_b64 s[58:59], -1, 0
	s_and_b64 vcc, exec, s[58:59]
	s_cbranch_vccz .LBB36_3595
; %bb.3594:                             ;   in Loop: Header=BB36_3593 Depth=3
	s_mov_b64 vcc, -1
	s_or_b64 s[56:57], s[56:57], exec
	s_and_saveexec_b64 s[60:61], s[58:59]
	s_cbranch_execz .LBB36_3592
	s_branch .LBB36_3596
.LBB36_3595:                            ;   in Loop: Header=BB36_3593 Depth=3
	s_trap 2
	ds_read_b64 v[8:9], v0
	s_andn2_b64 s[58:59], s[58:59], exec
	s_mov_b32 s73, 0
	s_waitcnt vmcnt(0) lgkmcnt(0)
	flat_load_dword v1, v[8:9] sc0 sc1
	s_waitcnt vmcnt(0) lgkmcnt(0)
	buffer_inv sc0 sc1
	v_cmp_eq_u32_e32 vcc, 0, v1
	s_and_b64 s[60:61], vcc, exec
	s_or_b64 s[58:59], s[58:59], s[60:61]
	s_mov_b64 vcc, -1
	s_or_b64 s[56:57], s[56:57], exec
	s_and_saveexec_b64 s[60:61], s[58:59]
	s_cbranch_execz .LBB36_3592
.LBB36_3596:                            ;   in Loop: Header=BB36_3593 Depth=3
	s_sleep 1
	s_trap 2
	ds_read_b64 v[8:9], v0
	s_waitcnt lgkmcnt(0)
	s_andn2_b64 s[56:57], s[56:57], exec
	v_cmp_ge_u64_e32 vcc, v[8:9], v[56:57]
	s_orn2_b64 vcc, vcc, exec
	s_branch .LBB36_3592
.LBB36_3597:                            ;   in Loop: Header=BB36_3563 Depth=2
	s_or_b64 exec, exec, s[44:45]
	s_and_saveexec_b64 s[44:45], s[46:47]
	s_xor_b64 s[44:45], exec, s[44:45]
	s_cbranch_execz .LBB36_3599
; %bb.3598:                             ;   in Loop: Header=BB36_3563 Depth=2
	v_mov_b32_e32 v1, 1
	ds_write_b32 v0, v1
	s_trap 2
.LBB36_3599:                            ;   in Loop: Header=BB36_3563 Depth=2
	s_or_b64 exec, exec, s[42:43]
	;;#ASMSTART
	s_wakeup
	;;#ASMEND
.LBB36_3600:                            ;   in Loop: Header=BB36_3563 Depth=2
	s_or_b64 exec, exec, s[40:41]
.LBB36_3601:                            ;   in Loop: Header=BB36_3563 Depth=2
	s_andn2_saveexec_b64 s[28:29], s[28:29]
	s_cbranch_execz .LBB36_3603
; %bb.3602:                             ;   in Loop: Header=BB36_3563 Depth=2
	s_waitcnt lgkmcnt(0)
	s_barrier
.LBB36_3603:                            ;   in Loop: Header=BB36_3563 Depth=2
	s_or_b64 exec, exec, s[28:29]
.LBB36_3604:                            ;   in Loop: Header=BB36_3563 Depth=2
	s_or_b64 exec, exec, s[22:23]
	v_sub_u32_e32 v1, v6, v0
	v_min_i32_e32 v7, v7, v1
	s_and_saveexec_b64 s[22:23], s[20:21]
	s_xor_b64 s[22:23], exec, s[22:23]
	s_cbranch_execz .LBB36_3608
; %bb.3605:                             ;   in Loop: Header=BB36_3563 Depth=2
	s_trap 2
	ds_read_b32 v1, v0
	v_cmp_lt_i32_e32 vcc, 0, v7
	v_and_b32_e32 v2, 16, v79
	s_waitcnt lgkmcnt(0)
	v_readfirstlane_b32 s28, v1
	s_cmp_eq_u32 s28, 0
	s_cselect_b64 s[28:29], -1, 0
	s_and_b64 s[28:29], vcc, s[28:29]
	v_cmp_ne_u32_e32 vcc, 0, v2
	s_and_b64 s[40:41], vcc, s[28:29]
	s_and_saveexec_b64 s[28:29], s[40:41]
	s_cbranch_execz .LBB36_3607
; %bb.3606:                             ;   in Loop: Header=BB36_3563 Depth=2
	buffer_wbl2 sc1
	s_waitcnt vmcnt(0)
	buffer_inv sc1
.LBB36_3607:                            ;   in Loop: Header=BB36_3563 Depth=2
	s_or_b64 exec, exec, s[28:29]
.LBB36_3608:                            ;   in Loop: Header=BB36_3563 Depth=2
	s_andn2_saveexec_b64 s[22:23], s[22:23]
	s_cbranch_execz .LBB36_3627
; %bb.3609:                             ;   in Loop: Header=BB36_3563 Depth=2
	s_and_saveexec_b64 s[28:29], s[76:77]
	s_xor_b64 s[28:29], exec, s[28:29]
	s_cbranch_execz .LBB36_3624
; %bb.3610:                             ;   in Loop: Header=BB36_3563 Depth=2
	s_and_saveexec_b64 s[40:41], s[12:13]
	s_cbranch_execz .LBB36_3623
; %bb.3611:                             ;   in Loop: Header=BB36_3563 Depth=2
	s_mov_b64 s[44:45], exec
	v_mbcnt_lo_u32_b32 v1, s44, 0
	v_mbcnt_hi_u32_b32 v1, s45, v1
	v_cmp_eq_u32_e32 vcc, 0, v1
	;;#ASMSTART
	s_waitcnt lgkmcnt(0) vmcnt(0)
	;;#ASMEND
	s_and_saveexec_b64 s[42:43], vcc
	s_cbranch_execz .LBB36_3613
; %bb.3612:                             ;   in Loop: Header=BB36_3563 Depth=2
	s_bcnt1_i32_b64 s44, s[44:45]
	v_mov_b32_e32 v2, s44
	s_waitcnt lgkmcnt(0)
	ds_add_u64 v0, v[2:3]
	s_trap 2
.LBB36_3613:                            ;   in Loop: Header=BB36_3563 Depth=2
	s_or_b64 exec, exec, s[42:43]
	s_trap 2
	ds_read_b64 v[8:9], v0
	s_waitcnt lgkmcnt(0)
	v_lshl_add_u64 v[56:57], v[56:57], 0, v[60:61]
	v_cmp_lt_u64_e32 vcc, v[8:9], v[56:57]
	s_and_saveexec_b64 s[42:43], vcc
	s_cbranch_execz .LBB36_3622
; %bb.3614:                             ;   in Loop: Header=BB36_3563 Depth=2
	s_mov_b32 s73, 0
	s_mov_b64 s[44:45], 0
                                        ; implicit-def: $sgpr46_sgpr47
                                        ; implicit-def: $sgpr56_sgpr57
	s_branch .LBB36_3616
.LBB36_3615:                            ;   in Loop: Header=BB36_3616 Depth=3
	s_or_b64 exec, exec, s[60:61]
	s_and_b64 s[58:59], exec, vcc
	s_or_b64 s[44:45], s[58:59], s[44:45]
	s_andn2_b64 s[46:47], s[46:47], exec
	s_and_b64 s[58:59], s[56:57], exec
	s_or_b64 s[46:47], s[46:47], s[58:59]
	s_andn2_b64 exec, exec, s[44:45]
	s_cbranch_execz .LBB36_3620
.LBB36_3616:                            ;   Parent Loop BB36_47 Depth=1
                                        ;     Parent Loop BB36_3563 Depth=2
                                        ; =>    This Inner Loop Header: Depth=3
	s_add_i32 s73, s73, 1
	s_cmpk_lg_i32 s73, 0x2710
	s_cselect_b64 s[58:59], -1, 0
	s_and_b64 vcc, exec, s[58:59]
	s_cbranch_vccz .LBB36_3618
; %bb.3617:                             ;   in Loop: Header=BB36_3616 Depth=3
	s_mov_b64 vcc, -1
	s_or_b64 s[56:57], s[56:57], exec
	s_and_saveexec_b64 s[60:61], s[58:59]
	s_cbranch_execz .LBB36_3615
	s_branch .LBB36_3619
.LBB36_3618:                            ;   in Loop: Header=BB36_3616 Depth=3
	s_trap 2
	ds_read_b64 v[8:9], v0
	s_andn2_b64 s[58:59], s[58:59], exec
	s_mov_b32 s73, 0
	s_waitcnt vmcnt(0) lgkmcnt(0)
	flat_load_dword v1, v[8:9] sc0 sc1
	s_waitcnt vmcnt(0) lgkmcnt(0)
	buffer_inv sc0 sc1
	v_cmp_eq_u32_e32 vcc, 0, v1
	s_and_b64 s[60:61], vcc, exec
	s_or_b64 s[58:59], s[58:59], s[60:61]
	s_mov_b64 vcc, -1
	s_or_b64 s[56:57], s[56:57], exec
	s_and_saveexec_b64 s[60:61], s[58:59]
	s_cbranch_execz .LBB36_3615
.LBB36_3619:                            ;   in Loop: Header=BB36_3616 Depth=3
	s_sleep 1
	s_trap 2
	ds_read_b64 v[8:9], v0
	s_waitcnt lgkmcnt(0)
	s_andn2_b64 s[56:57], s[56:57], exec
	v_cmp_ge_u64_e32 vcc, v[8:9], v[56:57]
	s_orn2_b64 vcc, vcc, exec
	s_branch .LBB36_3615
.LBB36_3620:                            ;   in Loop: Header=BB36_3563 Depth=2
	s_or_b64 exec, exec, s[44:45]
	s_and_saveexec_b64 s[44:45], s[46:47]
	s_xor_b64 s[44:45], exec, s[44:45]
	s_cbranch_execz .LBB36_3622
; %bb.3621:                             ;   in Loop: Header=BB36_3563 Depth=2
	v_mov_b32_e32 v1, 1
	ds_write_b32 v0, v1
	s_trap 2
.LBB36_3622:                            ;   in Loop: Header=BB36_3563 Depth=2
	s_or_b64 exec, exec, s[42:43]
	;;#ASMSTART
	s_wakeup
	;;#ASMEND
.LBB36_3623:                            ;   in Loop: Header=BB36_3563 Depth=2
	s_or_b64 exec, exec, s[40:41]
.LBB36_3624:                            ;   in Loop: Header=BB36_3563 Depth=2
	s_andn2_saveexec_b64 s[28:29], s[28:29]
	s_cbranch_execz .LBB36_3626
; %bb.3625:                             ;   in Loop: Header=BB36_3563 Depth=2
	;;#ASMSTART
	s_waitcnt lgkmcnt(0) vmcnt(0)
	;;#ASMEND
	s_barrier
.LBB36_3626:                            ;   in Loop: Header=BB36_3563 Depth=2
	s_or_b64 exec, exec, s[28:29]
.LBB36_3627:                            ;   in Loop: Header=BB36_3563 Depth=2
	s_or_b64 exec, exec, s[22:23]
	v_and_b32_e32 v1, 32, v79
	v_cmp_ne_u32_e32 vcc, 0, v1
	s_and_saveexec_b64 s[22:23], vcc
	s_cbranch_execz .LBB36_3562
; %bb.3628:                             ;   in Loop: Header=BB36_3563 Depth=2
	v_lshl_add_u64 v[4:5], v[4:5], 0, 2
	flat_store_dwordx2 v[40:41], v[4:5] sc0 sc1
	s_branch .LBB36_3562
.LBB36_3629:
	s_or_b64 exec, exec, s[94:95]
	scratch_load_dword v31, off, s33 offset:500 ; 4-byte Folded Reload
	scratch_load_dword v1, off, s33 offset:504 ; 4-byte Folded Reload
	;; [unrolled: 1-line block ×3, first 2 shown]
	v_readlane_b32 s24, v126, 4
	v_readlane_b32 s25, v126, 5
.LBB36_3630:
	v_readlane_b32 s0, v126, 2
	v_readlane_b32 s1, v126, 3
	s_or_b64 exec, exec, s[0:1]
	v_and_b32_e32 v0, 0x800, v79
	v_cmp_eq_u32_e32 vcc, 0, v0
	s_and_saveexec_b64 s[2:3], vcc
	s_cbranch_execz .LBB36_3663
; %bb.3631:
	v_and_b32_e32 v0, 48, v79
	v_cmp_ne_u32_e32 vcc, 0, v0
	s_and_saveexec_b64 s[0:1], vcc
	s_cbranch_execz .LBB36_3633
; %bb.3632:
	scratch_load_dwordx2 v[2:3], off, s33 offset:492 ; 8-byte Folded Reload
	s_waitcnt vmcnt(0)
	flat_store_dwordx2 v[2:3], v[4:5] offset:104
.LBB36_3633:
	s_or_b64 exec, exec, s[0:1]
	s_movk_i32 s0, 0x88
	v_and_b32_e32 v0, 0x88, v79
	v_cmp_eq_u32_e32 vcc, s0, v0
	s_and_saveexec_b64 s[4:5], vcc
	s_cbranch_execz .LBB36_3643
; %bb.3634:
	v_add_u32_e32 v0, 6, v4
	scratch_load_dwordx4 v[2:5], off, s33 offset:280 ; 16-byte Folded Reload
	v_and_b32_e32 v0, 7, v0
	s_waitcnt vmcnt(0)
	v_and_b32_e32 v4, 64, v79
	s_mov_b32 s8, 0
	v_mad_u64_u32 v[6:7], s[0:1], v0, 24, v[2:3]
	flat_load_dwordx2 v[2:3], v[6:7] offset:8 sc0 sc1
	s_waitcnt vmcnt(0)
	v_cmp_eq_u32_e64 s[0:1], 0, v4
	s_waitcnt lgkmcnt(0)
	v_cmp_ne_u64_e32 vcc, -1, v[2:3]
	s_and_b64 s[0:1], vcc, s[0:1]
	s_and_b64 exec, exec, s[0:1]
	s_cbranch_execz .LBB36_3643
; %bb.3635:
	s_mov_b64 s[0:1], 0
                                        ; implicit-def: $sgpr6_sgpr7
                                        ; implicit-def: $sgpr10_sgpr11
	s_branch .LBB36_3638
.LBB36_3636:                            ;   in Loop: Header=BB36_3638 Depth=1
	flat_load_dwordx2 v[4:5], v[6:7] offset:8 sc0 sc1
	s_waitcnt vmcnt(0)
	s_andn2_b64 s[10:11], s[10:11], exec
	s_waitcnt lgkmcnt(0)
	v_cmp_eq_u64_e32 vcc, -1, v[4:5]
	s_orn2_b64 s[14:15], vcc, exec
.LBB36_3637:                            ;   in Loop: Header=BB36_3638 Depth=1
	s_or_b64 exec, exec, s[16:17]
	s_and_b64 s[12:13], exec, s[14:15]
	s_or_b64 s[0:1], s[12:13], s[0:1]
	s_andn2_b64 s[6:7], s[6:7], exec
	s_and_b64 s[12:13], s[10:11], exec
	s_or_b64 s[6:7], s[6:7], s[12:13]
	s_andn2_b64 exec, exec, s[0:1]
	s_cbranch_execz .LBB36_3641
.LBB36_3638:                            ; =>This Inner Loop Header: Depth=1
	s_cmpk_lt_i32 s8, 0x270f
	s_cselect_b64 s[12:13], -1, 0
	s_and_b64 vcc, exec, s[12:13]
	s_cbranch_vccnz .LBB36_3640
; %bb.3639:                             ;   in Loop: Header=BB36_3638 Depth=1
	s_trap 2
	ds_read_b64 v[2:3], v0
	s_andn2_b64 s[12:13], s[12:13], exec
	s_mov_b32 s8, 0
	s_waitcnt lgkmcnt(0)
	flat_load_dword v2, v[2:3] sc0 sc1
	s_waitcnt vmcnt(0) lgkmcnt(0)
	buffer_inv sc0 sc1
	v_cmp_eq_u32_e32 vcc, 0, v2
	s_and_b64 s[14:15], vcc, exec
	s_or_b64 s[12:13], s[12:13], s[14:15]
	s_mov_b64 s[14:15], -1
	s_or_b64 s[10:11], s[10:11], exec
	s_and_saveexec_b64 s[16:17], s[12:13]
	s_cbranch_execz .LBB36_3637
	s_branch .LBB36_3636
.LBB36_3640:                            ;   in Loop: Header=BB36_3638 Depth=1
	s_add_i32 s8, s8, 1
                                        ; implicit-def: $vgpr2
	s_mov_b64 s[14:15], -1
	s_or_b64 s[10:11], s[10:11], exec
	s_and_saveexec_b64 s[16:17], s[12:13]
	s_cbranch_execz .LBB36_3637
	s_branch .LBB36_3636
.LBB36_3641:
	s_or_b64 exec, exec, s[0:1]
	s_and_saveexec_b64 s[0:1], s[6:7]
	s_xor_b64 s[0:1], exec, s[0:1]
	s_cbranch_execz .LBB36_3643
; %bb.3642:
	ds_write_b32 v0, v2
	s_trap 2
.LBB36_3643:
	s_or_b64 exec, exec, s[4:5]
	v_and_b32_e32 v0, 0x2000, v79
	v_cmp_ne_u32_e32 vcc, 0, v0
	s_and_saveexec_b64 s[0:1], vcc
	s_cbranch_execz .LBB36_3645
; %bb.3644:
	s_trap 2
	scratch_load_dwordx2 v[4:5], off, s33 offset:512 ; 8-byte Folded Reload
	ds_read_b64 v[2:3], v0
	s_waitcnt vmcnt(0) lgkmcnt(0)
	flat_store_dwordx2 v[4:5], v[2:3] offset:16
.LBB36_3645:
	s_or_b64 exec, exec, s[0:1]
	s_waitcnt vmcnt(0)
	v_cmp_ne_u32_e32 vcc, 64, v1
	s_and_b64 exec, exec, vcc
	s_cbranch_execz .LBB36_3663
; %bb.3646:
	v_cmp_ne_u32_sdwa s[0:1], v1, v20 src0_sel:DWORD src1_sel:WORD_0
	s_and_saveexec_b64 s[4:5], s[0:1]
	s_xor_b64 s[0:1], exec, s[4:5]
	s_cbranch_execz .LBB36_3661
; %bb.3647:
	v_and_b32_e32 v0, 63, v31
	v_cmp_eq_u32_e32 vcc, 0, v0
	s_and_saveexec_b64 s[4:5], vcc
	s_cbranch_execz .LBB36_3660
; %bb.3648:
	s_mov_b64 s[10:11], exec
	v_mbcnt_lo_u32_b32 v0, s10, 0
	v_mbcnt_hi_u32_b32 v0, s11, v0
	v_cmp_eq_u32_e32 vcc, 0, v0
	s_waitcnt lgkmcnt(0)
	s_and_saveexec_b64 s[6:7], vcc
	s_cbranch_execz .LBB36_3650
; %bb.3649:
	s_bcnt1_i32_b64 s8, s[10:11]
	v_mov_b32_e32 v2, s8
	v_mov_b32_e32 v3, 0
	ds_add_u64 v0, v[2:3]
	s_trap 2
.LBB36_3650:
	s_or_b64 exec, exec, s[6:7]
	s_trap 2
	ds_read_b64 v[2:3], v0
	s_waitcnt lgkmcnt(0)
	v_lshrrev_b32_e32 v0, 6, v1
	v_mov_b32_e32 v1, 0
	v_lshl_add_u64 v[0:1], v[56:57], 0, v[0:1]
	v_cmp_lt_u64_e32 vcc, v[2:3], v[0:1]
	s_and_saveexec_b64 s[6:7], vcc
	s_cbranch_execz .LBB36_3659
; %bb.3651:
	s_mov_b32 s8, 0
	s_mov_b64 s[10:11], 0
                                        ; implicit-def: $sgpr12_sgpr13
                                        ; implicit-def: $sgpr14_sgpr15
	s_branch .LBB36_3653
.LBB36_3652:                            ;   in Loop: Header=BB36_3653 Depth=1
	s_or_b64 exec, exec, s[18:19]
	s_and_b64 s[16:17], exec, s[20:21]
	s_or_b64 s[10:11], s[16:17], s[10:11]
	s_andn2_b64 s[12:13], s[12:13], exec
	s_and_b64 s[16:17], s[14:15], exec
	s_or_b64 s[12:13], s[12:13], s[16:17]
	s_andn2_b64 exec, exec, s[10:11]
	s_cbranch_execz .LBB36_3657
.LBB36_3653:                            ; =>This Inner Loop Header: Depth=1
	s_add_i32 s8, s8, 1
	s_cmpk_lg_i32 s8, 0x2710
	s_cselect_b64 s[16:17], -1, 0
	s_and_b64 vcc, exec, s[16:17]
	s_cbranch_vccz .LBB36_3655
; %bb.3654:                             ;   in Loop: Header=BB36_3653 Depth=1
	s_mov_b64 s[20:21], -1
	s_or_b64 s[14:15], s[14:15], exec
	s_and_saveexec_b64 s[18:19], s[16:17]
	s_cbranch_execz .LBB36_3652
	s_branch .LBB36_3656
.LBB36_3655:                            ;   in Loop: Header=BB36_3653 Depth=1
	s_trap 2
	ds_read_b64 v[2:3], v0
	s_andn2_b64 s[16:17], s[16:17], exec
	s_mov_b32 s8, 0
	s_waitcnt lgkmcnt(0)
	flat_load_dword v2, v[2:3] sc0 sc1
	s_waitcnt vmcnt(0) lgkmcnt(0)
	buffer_inv sc0 sc1
	v_cmp_eq_u32_e32 vcc, 0, v2
	s_and_b64 s[18:19], vcc, exec
	s_or_b64 s[16:17], s[16:17], s[18:19]
	s_mov_b64 s[20:21], -1
	s_or_b64 s[14:15], s[14:15], exec
	s_and_saveexec_b64 s[18:19], s[16:17]
	s_cbranch_execz .LBB36_3652
.LBB36_3656:                            ;   in Loop: Header=BB36_3653 Depth=1
	s_sleep 1
	s_trap 2
	ds_read_b64 v[2:3], v0
	s_waitcnt lgkmcnt(0)
	s_andn2_b64 s[14:15], s[14:15], exec
	v_cmp_ge_u64_e32 vcc, v[2:3], v[0:1]
	s_orn2_b64 s[20:21], vcc, exec
	s_branch .LBB36_3652
.LBB36_3657:
	s_or_b64 exec, exec, s[10:11]
	s_and_saveexec_b64 s[8:9], s[12:13]
	s_xor_b64 s[8:9], exec, s[8:9]
	s_cbranch_execz .LBB36_3659
; %bb.3658:
	v_mov_b32_e32 v0, 1
	ds_write_b32 v0, v0
	s_trap 2
.LBB36_3659:
	s_or_b64 exec, exec, s[6:7]
	;;#ASMSTART
	s_wakeup
	;;#ASMEND
.LBB36_3660:
	s_or_b64 exec, exec, s[4:5]
.LBB36_3661:
	s_andn2_saveexec_b64 s[0:1], s[0:1]
	s_cbranch_execz .LBB36_3663
; %bb.3662:
	s_waitcnt lgkmcnt(0)
	s_barrier
.LBB36_3663:
	s_or_b64 exec, exec, s[2:3]
.LBB36_3664:
	v_readlane_b32 s0, v126, 0
	v_readlane_b32 s1, v126, 1
	s_andn2_saveexec_b64 s[22:23], s[0:1]
	s_cbranch_execz .LBB36_3666
; %bb.3665:
	s_getpc_b64 s[0:1]
	s_add_u32 s0, s0, __PRETTY_FUNCTION__._ZN10PrimitivesI12hip_bfloat1610FuncMinMaxIS0_E12FanSymmetricILi1EELi0E11ProtoSimpleILi2ELi2ELi1ELi4ELi0ELi0EELi0ELb0ELi0ELi1ELi1EEC2EiiPKiS9_PKvPvmhhhP15ncclDevWorkCollP14ncclDevWorkP2pii@rel32@lo+4
	s_addc_u32 s1, s1, __PRETTY_FUNCTION__._ZN10PrimitivesI12hip_bfloat1610FuncMinMaxIS0_E12FanSymmetricILi1EELi0E11ProtoSimpleILi2ELi2ELi1ELi4ELi0ELi0EELi0ELb0ELi0ELi1ELi1EEC2EiiPKiS9_PKvPvmhhhP15ncclDevWorkCollP14ncclDevWorkP2pii@rel32@hi+12
	s_getpc_b64 s[2:3]
	s_add_u32 s2, s2, __assert_fail@rel32@lo+4
	s_addc_u32 s3, s3, __assert_fail@rel32@hi+12
	s_mov_b64 s[8:9], s[24:25]
	v_mov_b32_e32 v0, s0
	s_waitcnt vmcnt(0)
	v_mov_b32_e32 v1, s1
	s_swappc_b64 s[30:31], s[2:3]
	; divergent unreachable
.LBB36_3666:
	s_or_b64 exec, exec, s[22:23]
	scratch_load_dword v125, off, s33       ; 4-byte Folded Reload
	scratch_load_dword v124, off, s33 offset:4 ; 4-byte Folded Reload
	scratch_load_dword v123, off, s33 offset:8 ; 4-byte Folded Reload
	;; [unrolled: 1-line block ×37, first 2 shown]
	s_waitcnt lgkmcnt(0)
	scratch_load_dword v47, off, s33 offset:152 ; 4-byte Folded Reload
	scratch_load_dword v46, off, s33 offset:156 ; 4-byte Folded Reload
	;; [unrolled: 1-line block ×8, first 2 shown]
	v_readlane_b32 s30, v127, 32
	v_readlane_b32 s31, v127, 33
	;; [unrolled: 1-line block ×34, first 2 shown]
	s_mov_b32 s32, s33
	v_readlane_b32 s0, v127, 34
	s_or_saveexec_b64 s[2:3], -1
	scratch_load_dword v127, off, s33 offset:520 ; 4-byte Folded Reload
	scratch_load_dword v126, off, s33 offset:524 ; 4-byte Folded Reload
	s_mov_b64 exec, s[2:3]
	s_mov_b32 s33, s0
	s_waitcnt vmcnt(0)
	s_setpc_b64 s[30:31]
.Lfunc_end36:
	.size	_ZN12_GLOBAL__N_17runRingI12hip_bfloat1610FuncMinMaxIS1_E11ProtoSimpleILi2ELi2ELi1ELi4ELi0ELi0EELi0ELi1ELi4ELi1EEEviiP15ncclDevWorkColl, .Lfunc_end36-_ZN12_GLOBAL__N_17runRingI12hip_bfloat1610FuncMinMaxIS1_E11ProtoSimpleILi2ELi2ELi1ELi4ELi0ELi0EELi0ELi1ELi4ELi1EEEviiP15ncclDevWorkColl
                                        ; -- End function
	.set .L_ZN12_GLOBAL__N_17runRingI12hip_bfloat1610FuncMinMaxIS1_E11ProtoSimpleILi2ELi2ELi1ELi4ELi0ELi0EELi0ELi1ELi4ELi1EEEviiP15ncclDevWorkColl.num_vgpr, max(128, .L__assert_fail.num_vgpr)
	.set .L_ZN12_GLOBAL__N_17runRingI12hip_bfloat1610FuncMinMaxIS1_E11ProtoSimpleILi2ELi2ELi1ELi4ELi0ELi0EELi0ELi1ELi4ELi1EEEviiP15ncclDevWorkColl.num_agpr, max(0, .L__assert_fail.num_agpr)
	.set .L_ZN12_GLOBAL__N_17runRingI12hip_bfloat1610FuncMinMaxIS1_E11ProtoSimpleILi2ELi2ELi1ELi4ELi0ELi0EELi0ELi1ELi4ELi1EEEviiP15ncclDevWorkColl.numbered_sgpr, max(98, .L__assert_fail.numbered_sgpr)
	.set .L_ZN12_GLOBAL__N_17runRingI12hip_bfloat1610FuncMinMaxIS1_E11ProtoSimpleILi2ELi2ELi1ELi4ELi0ELi0EELi0ELi1ELi4ELi1EEEviiP15ncclDevWorkColl.num_named_barrier, max(0, .L__assert_fail.num_named_barrier)
	.set .L_ZN12_GLOBAL__N_17runRingI12hip_bfloat1610FuncMinMaxIS1_E11ProtoSimpleILi2ELi2ELi1ELi4ELi0ELi0EELi0ELi1ELi4ELi1EEEviiP15ncclDevWorkColl.private_seg_size, 544+max(.L__assert_fail.private_seg_size)
	.set .L_ZN12_GLOBAL__N_17runRingI12hip_bfloat1610FuncMinMaxIS1_E11ProtoSimpleILi2ELi2ELi1ELi4ELi0ELi0EELi0ELi1ELi4ELi1EEEviiP15ncclDevWorkColl.uses_vcc, or(1, .L__assert_fail.uses_vcc)
	.set .L_ZN12_GLOBAL__N_17runRingI12hip_bfloat1610FuncMinMaxIS1_E11ProtoSimpleILi2ELi2ELi1ELi4ELi0ELi0EELi0ELi1ELi4ELi1EEEviiP15ncclDevWorkColl.uses_flat_scratch, or(0, .L__assert_fail.uses_flat_scratch)
	.set .L_ZN12_GLOBAL__N_17runRingI12hip_bfloat1610FuncMinMaxIS1_E11ProtoSimpleILi2ELi2ELi1ELi4ELi0ELi0EELi0ELi1ELi4ELi1EEEviiP15ncclDevWorkColl.has_dyn_sized_stack, or(0, .L__assert_fail.has_dyn_sized_stack)
	.set .L_ZN12_GLOBAL__N_17runRingI12hip_bfloat1610FuncMinMaxIS1_E11ProtoSimpleILi2ELi2ELi1ELi4ELi0ELi0EELi0ELi1ELi4ELi1EEEviiP15ncclDevWorkColl.has_recursion, or(1, .L__assert_fail.has_recursion)
	.set .L_ZN12_GLOBAL__N_17runRingI12hip_bfloat1610FuncMinMaxIS1_E11ProtoSimpleILi2ELi2ELi1ELi4ELi0ELi0EELi0ELi1ELi4ELi1EEEviiP15ncclDevWorkColl.has_indirect_call, or(0, .L__assert_fail.has_indirect_call)
	.section	.AMDGPU.csdata,"",@progbits
; Function info:
; codeLenInByte = 117424
; TotalNumSgprs: 104
; NumVgprs: 128
; NumAgprs: 0
; TotalNumVgprs: 128
; ScratchSize: 608
; MemoryBound: 1
	.text
	.p2align	2                               ; -- Begin function _Z51ncclDevFunc_AllReduce_RING_SIMPLE_MinMax_bf16_1_1_4v
	.type	_Z51ncclDevFunc_AllReduce_RING_SIMPLE_MinMax_bf16_1_1_4v,@function
_Z51ncclDevFunc_AllReduce_RING_SIMPLE_MinMax_bf16_1_1_4v: ; @_Z51ncclDevFunc_AllReduce_RING_SIMPLE_MinMax_bf16_1_1_4v
; %bb.0:
	s_waitcnt vmcnt(0) expcnt(0) lgkmcnt(0)
	s_mov_b32 s0, s33
	s_mov_b32 s33, s32
	s_or_saveexec_b64 s[2:3], -1
	scratch_store_dword off, v44, s33 offset:24 ; 4-byte Folded Spill
	scratch_store_dword off, v45, s33 offset:28 ; 4-byte Folded Spill
	s_mov_b64 exec, s[2:3]
	v_writelane_b32 v45, s0, 38
	v_writelane_b32 v45, s100, 36
	;; [unrolled: 1-line block ×3, first 2 shown]
	s_add_i32 s32, s32, 48
	scratch_store_dword off, v40, s33 offset:16 ; 4-byte Folded Spill
	scratch_store_dword off, v41, s33 offset:12 ; 4-byte Folded Spill
	;; [unrolled: 1-line block ×4, first 2 shown]
	scratch_store_dword off, v126, s33      ; 4-byte Folded Spill
	v_writelane_b32 v45, s34, 0
	v_writelane_b32 v45, s35, 1
	;; [unrolled: 1-line block ×35, first 2 shown]
	s_nop 1
	v_writelane_b32 v45, s31, 35
	s_trap 2
	ds_read_b32 v0, v0
	v_mov_b32_e32 v40, v31
                                        ; implicit-def: $vgpr44 : SGPR spill to VGPR lane
	v_and_b32_e32 v41, 0x3ff, v40
	s_mov_b32 s99, s12
	v_writelane_b32 v44, s8, 0
	s_waitcnt lgkmcnt(0)
	v_cmp_lt_i32_e32 vcc, v41, v0
	v_writelane_b32 v44, s9, 1
	s_and_saveexec_b64 s[0:1], vcc
	s_cbranch_execz .LBB37_5
; %bb.1:
	v_readlane_b32 s4, v44, 0
	v_readlane_b32 s5, v44, 1
	s_load_dword s2, s[4:5], 0x0
	v_mov_b32_e32 v1, 0
	s_mov_b32 s6, 0
	v_mov_b32_e32 v4, v41
                                        ; implicit-def: $vgpr2
	s_waitcnt lgkmcnt(0)
	s_cmp_lt_u32 s99, s2
	s_cselect_b32 s2, 12, 18
	s_add_u32 s2, s4, s2
	s_addc_u32 s3, s5, 0
	global_load_ushort v1, v1, s[2:3]
	s_trap 2
	ds_read_b32 v3, v0
	s_mov_b64 s[2:3], 0
	s_waitcnt vmcnt(0) lgkmcnt(0)
	v_mul_lo_u32 v3, v3, v1
	s_branch .LBB37_3
.LBB37_2:                               ;   in Loop: Header=BB37_3 Depth=1
	s_or_b64 exec, exec, s[4:5]
	v_add_u32_e32 v4, v4, v1
	v_cmp_ge_i32_e32 vcc, v4, v0
	s_or_b64 s[2:3], vcc, s[2:3]
	v_add_u32_e32 v2, v2, v3
	s_andn2_b64 exec, exec, s[2:3]
	s_cbranch_execz .LBB37_5
.LBB37_3:                               ; =>This Inner Loop Header: Depth=1
	ds_read_b32 v5, v2
	s_waitcnt lgkmcnt(0)
	v_and_b32_e32 v5, 0x1000000, v5
	v_cmp_ne_u32_e32 vcc, 0, v5
	s_and_saveexec_b64 s[4:5], vcc
	s_cbranch_execz .LBB37_2
; %bb.4:                                ;   in Loop: Header=BB37_3 Depth=1
	ds_read_b64 v[6:7], v2 offset:104
	s_waitcnt lgkmcnt(0)
	flat_load_ushort v5, v[6:7]
	v_mov_b32_e32 v7, s6
	s_waitcnt vmcnt(0) lgkmcnt(0)
	v_and_b32_e32 v6, 0xffff, v5
	ds_write_b64 v2, v[6:7] offset:104
	s_branch .LBB37_2
.LBB37_5:
	s_or_b64 exec, exec, s[0:1]
	s_waitcnt lgkmcnt(0)
	s_barrier
	s_trap 2
	ds_read_b32 v0, v0
	s_waitcnt lgkmcnt(0)
	v_cmp_gt_i32_e32 vcc, 1, v0
	s_cbranch_vccnz .LBB37_16
; %bb.6:
	s_mov_b32 s98, 0
	v_mov_b32_e32 v43, 6
	s_branch .LBB37_8
.LBB37_7:                               ;   in Loop: Header=BB37_8 Depth=1
	s_or_b64 exec, exec, s[2:3]
	s_trap 2
	ds_read_b32 v0, v0
	s_add_i32 s98, s98, 1
	s_waitcnt lgkmcnt(0)
	v_cmp_lt_i32_e32 vcc, s98, v0
	s_cbranch_vccz .LBB37_16
.LBB37_8:                               ; =>This Inner Loop Header: Depth=1
	s_trap 2
	ds_read_b32 v0, v0
	s_cmp_eq_u32 s98, 0
	s_cbranch_scc1 .LBB37_11
; %bb.9:                                ;   in Loop: Header=BB37_8 Depth=1
	s_trap 2
	s_waitcnt lgkmcnt(0)
	ds_read_b32 v1, v0
	s_waitcnt lgkmcnt(0)
	v_xor_b32_e32 v1, v1, v0
	v_and_b32_e32 v1, 0xff0000, v1
	v_cmp_eq_u32_e32 vcc, 0, v1
	s_cbranch_vccnz .LBB37_11
; %bb.10:                               ;   in Loop: Header=BB37_8 Depth=1
	s_barrier
	ds_read_b32 v0, v0
.LBB37_11:                              ;   in Loop: Header=BB37_8 Depth=1
	s_waitcnt lgkmcnt(0)
	v_lshlrev_b32_sdwa v42, v43, v0 dst_sel:DWORD dst_unused:UNUSED_PAD src0_sel:DWORD src1_sel:BYTE_2
	v_cmp_lt_u32_e32 vcc, v41, v42
	s_and_saveexec_b64 s[2:3], vcc
	s_cbranch_execz .LBB37_7
; %bb.12:                               ;   in Loop: Header=BB37_8 Depth=1
	v_cmp_lt_i32_e32 vcc, -1, v0
	s_mov_b64 s[4:5], src_shared_base
	s_mov_b64 s[0:1], -1
	v_writelane_b32 v44, s2, 2
	s_nop 1
	v_writelane_b32 v44, s3, 3
	s_cbranch_vccnz .LBB37_14
; %bb.13:                               ;   in Loop: Header=BB37_8 Depth=1
	v_readlane_b32 s8, v44, 0
	v_readlane_b32 s9, v44, 1
	v_mov_b32_e32 v3, s5
	v_writelane_b32 v44, s4, 4
	s_getpc_b64 s[0:1]
	s_add_u32 s0, s0, _ZN12_GLOBAL__N_17runRingI12hip_bfloat1610FuncMinMaxIS1_E11ProtoSimpleILi1ELi4ELi1ELi4ELi0ELi0EELi0ELi1ELi4ELi1EEEviiP15ncclDevWorkColl@rel32@lo+4
	s_addc_u32 s1, s1, _ZN12_GLOBAL__N_17runRingI12hip_bfloat1610FuncMinMaxIS1_E11ProtoSimpleILi1ELi4ELi1ELi4ELi0ELi0EELi0ELi1ELi4ELi1EEEviiP15ncclDevWorkColl@rel32@hi+12
	s_mov_b32 s12, s99
	v_mov_b32_e32 v31, v40
	v_mov_b32_e32 v0, v41
	v_mov_b32_e32 v1, v42
	v_writelane_b32 v44, s5, 5
	s_or_saveexec_b64 s[100:101], -1
	scratch_store_dword off, v44, s33 offset:20 ; 4-byte Folded Spill
	s_mov_b64 exec, s[100:101]
	s_swappc_b64 s[30:31], s[0:1]
	s_or_saveexec_b64 s[100:101], -1
	scratch_load_dword v44, off, s33 offset:20 ; 4-byte Folded Reload
	s_mov_b64 exec, s[100:101]
	s_waitcnt vmcnt(0)
	v_readlane_b32 s4, v44, 4
	v_readlane_b32 s2, v44, 2
	;; [unrolled: 1-line block ×4, first 2 shown]
	s_mov_b64 s[0:1], 0
.LBB37_14:                              ;   in Loop: Header=BB37_8 Depth=1
	s_andn2_b64 vcc, exec, s[0:1]
	s_cbranch_vccnz .LBB37_7
; %bb.15:                               ;   in Loop: Header=BB37_8 Depth=1
	v_readlane_b32 s8, v44, 0
	s_getpc_b64 s[0:1]
	s_add_u32 s0, s0, _ZN12_GLOBAL__N_17runRingI12hip_bfloat1610FuncMinMaxIS1_E11ProtoSimpleILi2ELi2ELi1ELi4ELi0ELi0EELi0ELi1ELi4ELi1EEEviiP15ncclDevWorkColl@rel32@lo+4
	s_addc_u32 s1, s1, _ZN12_GLOBAL__N_17runRingI12hip_bfloat1610FuncMinMaxIS1_E11ProtoSimpleILi2ELi2ELi1ELi4ELi0ELi0EELi0ELi1ELi4ELi1EEEviiP15ncclDevWorkColl@rel32@hi+12
	v_readlane_b32 s9, v44, 1
	s_mov_b32 s12, s99
	v_mov_b32_e32 v31, v40
	v_mov_b32_e32 v0, v41
	;; [unrolled: 1-line block ×4, first 2 shown]
	s_or_saveexec_b64 s[100:101], -1
	scratch_store_dword off, v44, s33 offset:20 ; 4-byte Folded Spill
	s_mov_b64 exec, s[100:101]
	s_swappc_b64 s[30:31], s[0:1]
	s_or_saveexec_b64 s[100:101], -1
	scratch_load_dword v44, off, s33 offset:20 ; 4-byte Folded Reload
	s_mov_b64 exec, s[100:101]
	s_waitcnt vmcnt(0)
	v_readlane_b32 s2, v44, 2
	v_readlane_b32 s3, v44, 3
	s_branch .LBB37_7
.LBB37_16:
	scratch_load_dword v126, off, s33       ; 4-byte Folded Reload
	scratch_load_dword v43, off, s33 offset:4 ; 4-byte Folded Reload
	scratch_load_dword v42, off, s33 offset:8 ; 4-byte Folded Reload
	;; [unrolled: 1-line block ×4, first 2 shown]
	v_readlane_b32 s30, v45, 34
	v_readlane_b32 s31, v45, 35
	;; [unrolled: 1-line block ×36, first 2 shown]
	s_mov_b32 s32, s33
	v_readlane_b32 s0, v45, 38
	v_readlane_b32 s100, v45, 36
	;; [unrolled: 1-line block ×3, first 2 shown]
	s_or_saveexec_b64 s[2:3], -1
	scratch_load_dword v44, off, s33 offset:24 ; 4-byte Folded Reload
	scratch_load_dword v45, off, s33 offset:28 ; 4-byte Folded Reload
	s_mov_b64 exec, s[2:3]
	s_mov_b32 s33, s0
	s_waitcnt vmcnt(0)
	s_setpc_b64 s[30:31]
.Lfunc_end37:
	.size	_Z51ncclDevFunc_AllReduce_RING_SIMPLE_MinMax_bf16_1_1_4v, .Lfunc_end37-_Z51ncclDevFunc_AllReduce_RING_SIMPLE_MinMax_bf16_1_1_4v
                                        ; -- End function
	.set .L_Z51ncclDevFunc_AllReduce_RING_SIMPLE_MinMax_bf16_1_1_4v.num_vgpr, max(127, .L_ZN12_GLOBAL__N_17runRingI12hip_bfloat1610FuncMinMaxIS1_E11ProtoSimpleILi1ELi4ELi1ELi4ELi0ELi0EELi0ELi1ELi4ELi1EEEviiP15ncclDevWorkColl.num_vgpr, .L_ZN12_GLOBAL__N_17runRingI12hip_bfloat1610FuncMinMaxIS1_E11ProtoSimpleILi2ELi2ELi1ELi4ELi0ELi0EELi0ELi1ELi4ELi1EEEviiP15ncclDevWorkColl.num_vgpr)
	.set .L_Z51ncclDevFunc_AllReduce_RING_SIMPLE_MinMax_bf16_1_1_4v.num_agpr, max(0, .L_ZN12_GLOBAL__N_17runRingI12hip_bfloat1610FuncMinMaxIS1_E11ProtoSimpleILi1ELi4ELi1ELi4ELi0ELi0EELi0ELi1ELi4ELi1EEEviiP15ncclDevWorkColl.num_agpr, .L_ZN12_GLOBAL__N_17runRingI12hip_bfloat1610FuncMinMaxIS1_E11ProtoSimpleILi2ELi2ELi1ELi4ELi0ELi0EELi0ELi1ELi4ELi1EEEviiP15ncclDevWorkColl.num_agpr)
	.set .L_Z51ncclDevFunc_AllReduce_RING_SIMPLE_MinMax_bf16_1_1_4v.numbered_sgpr, max(102, .L_ZN12_GLOBAL__N_17runRingI12hip_bfloat1610FuncMinMaxIS1_E11ProtoSimpleILi1ELi4ELi1ELi4ELi0ELi0EELi0ELi1ELi4ELi1EEEviiP15ncclDevWorkColl.numbered_sgpr, .L_ZN12_GLOBAL__N_17runRingI12hip_bfloat1610FuncMinMaxIS1_E11ProtoSimpleILi2ELi2ELi1ELi4ELi0ELi0EELi0ELi1ELi4ELi1EEEviiP15ncclDevWorkColl.numbered_sgpr)
	.set .L_Z51ncclDevFunc_AllReduce_RING_SIMPLE_MinMax_bf16_1_1_4v.num_named_barrier, max(0, .L_ZN12_GLOBAL__N_17runRingI12hip_bfloat1610FuncMinMaxIS1_E11ProtoSimpleILi1ELi4ELi1ELi4ELi0ELi0EELi0ELi1ELi4ELi1EEEviiP15ncclDevWorkColl.num_named_barrier, .L_ZN12_GLOBAL__N_17runRingI12hip_bfloat1610FuncMinMaxIS1_E11ProtoSimpleILi2ELi2ELi1ELi4ELi0ELi0EELi0ELi1ELi4ELi1EEEviiP15ncclDevWorkColl.num_named_barrier)
	.set .L_Z51ncclDevFunc_AllReduce_RING_SIMPLE_MinMax_bf16_1_1_4v.private_seg_size, 48+max(.L_ZN12_GLOBAL__N_17runRingI12hip_bfloat1610FuncMinMaxIS1_E11ProtoSimpleILi1ELi4ELi1ELi4ELi0ELi0EELi0ELi1ELi4ELi1EEEviiP15ncclDevWorkColl.private_seg_size, .L_ZN12_GLOBAL__N_17runRingI12hip_bfloat1610FuncMinMaxIS1_E11ProtoSimpleILi2ELi2ELi1ELi4ELi0ELi0EELi0ELi1ELi4ELi1EEEviiP15ncclDevWorkColl.private_seg_size)
	.set .L_Z51ncclDevFunc_AllReduce_RING_SIMPLE_MinMax_bf16_1_1_4v.uses_vcc, or(1, .L_ZN12_GLOBAL__N_17runRingI12hip_bfloat1610FuncMinMaxIS1_E11ProtoSimpleILi1ELi4ELi1ELi4ELi0ELi0EELi0ELi1ELi4ELi1EEEviiP15ncclDevWorkColl.uses_vcc, .L_ZN12_GLOBAL__N_17runRingI12hip_bfloat1610FuncMinMaxIS1_E11ProtoSimpleILi2ELi2ELi1ELi4ELi0ELi0EELi0ELi1ELi4ELi1EEEviiP15ncclDevWorkColl.uses_vcc)
	.set .L_Z51ncclDevFunc_AllReduce_RING_SIMPLE_MinMax_bf16_1_1_4v.uses_flat_scratch, or(0, .L_ZN12_GLOBAL__N_17runRingI12hip_bfloat1610FuncMinMaxIS1_E11ProtoSimpleILi1ELi4ELi1ELi4ELi0ELi0EELi0ELi1ELi4ELi1EEEviiP15ncclDevWorkColl.uses_flat_scratch, .L_ZN12_GLOBAL__N_17runRingI12hip_bfloat1610FuncMinMaxIS1_E11ProtoSimpleILi2ELi2ELi1ELi4ELi0ELi0EELi0ELi1ELi4ELi1EEEviiP15ncclDevWorkColl.uses_flat_scratch)
	.set .L_Z51ncclDevFunc_AllReduce_RING_SIMPLE_MinMax_bf16_1_1_4v.has_dyn_sized_stack, or(0, .L_ZN12_GLOBAL__N_17runRingI12hip_bfloat1610FuncMinMaxIS1_E11ProtoSimpleILi1ELi4ELi1ELi4ELi0ELi0EELi0ELi1ELi4ELi1EEEviiP15ncclDevWorkColl.has_dyn_sized_stack, .L_ZN12_GLOBAL__N_17runRingI12hip_bfloat1610FuncMinMaxIS1_E11ProtoSimpleILi2ELi2ELi1ELi4ELi0ELi0EELi0ELi1ELi4ELi1EEEviiP15ncclDevWorkColl.has_dyn_sized_stack)
	.set .L_Z51ncclDevFunc_AllReduce_RING_SIMPLE_MinMax_bf16_1_1_4v.has_recursion, or(1, .L_ZN12_GLOBAL__N_17runRingI12hip_bfloat1610FuncMinMaxIS1_E11ProtoSimpleILi1ELi4ELi1ELi4ELi0ELi0EELi0ELi1ELi4ELi1EEEviiP15ncclDevWorkColl.has_recursion, .L_ZN12_GLOBAL__N_17runRingI12hip_bfloat1610FuncMinMaxIS1_E11ProtoSimpleILi2ELi2ELi1ELi4ELi0ELi0EELi0ELi1ELi4ELi1EEEviiP15ncclDevWorkColl.has_recursion)
	.set .L_Z51ncclDevFunc_AllReduce_RING_SIMPLE_MinMax_bf16_1_1_4v.has_indirect_call, or(0, .L_ZN12_GLOBAL__N_17runRingI12hip_bfloat1610FuncMinMaxIS1_E11ProtoSimpleILi1ELi4ELi1ELi4ELi0ELi0EELi0ELi1ELi4ELi1EEEviiP15ncclDevWorkColl.has_indirect_call, .L_ZN12_GLOBAL__N_17runRingI12hip_bfloat1610FuncMinMaxIS1_E11ProtoSimpleILi2ELi2ELi1ELi4ELi0ELi0EELi0ELi1ELi4ELi1EEEviiP15ncclDevWorkColl.has_indirect_call)
	.section	.AMDGPU.csdata,"",@progbits
; Function info:
; codeLenInByte = 1536
; TotalNumSgprs: 108
; NumVgprs: 128
; NumAgprs: 0
; TotalNumVgprs: 128
; ScratchSize: 656
; MemoryBound: 0
	.text
	.p2alignl 6, 3212836864
	.fill 256, 4, 3212836864
	.section	.AMDGPU.gpr_maximums,"",@progbits
	.set amdgpu.max_num_vgpr, 128
	.set amdgpu.max_num_agpr, 0
	.set amdgpu.max_num_sgpr, 102
	.text
	.type	__const.__assert_fail.fmt,@object ; @__const.__assert_fail.fmt
	.section	.rodata.str1.16,"aMS",@progbits,1
	.p2align	4, 0x0
__const.__assert_fail.fmt:
	.asciz	"%s:%u: %s: Device-side assertion `%s' failed.\n"
	.size	__const.__assert_fail.fmt, 47

	.type	.str.3,@object                  ; @.str.3
	.section	.rodata.str1.1,"aMS",@progbits,1
.str.3:
	.asciz	"2*(nrecv+nsend) <= nthreads"
	.size	.str.3, 28

	.type	.str.4,@object                  ; @.str.4
.str.4:
	.asciz	"/root/src/amdgpu-assembly/repos/ROCm__rccl/hipify/src/device/prims_simple.h"
	.size	.str.4, 76

	.type	__PRETTY_FUNCTION__._ZN10PrimitivesI12hip_bfloat1610FuncMinMaxIS0_E12FanSymmetricILi1EELi0E11ProtoSimpleILi1ELi4ELi0ELi1ELi0ELi0EELi0ELb0ELi0ELi0ELi0EEC2EiiPKiS9_PKvPvmhhhP15ncclDevWorkCollP14ncclDevWorkP2pii,@object ; @__PRETTY_FUNCTION__._ZN10PrimitivesI12hip_bfloat1610FuncMinMaxIS0_E12FanSymmetricILi1EELi0E11ProtoSimpleILi1ELi4ELi0ELi1ELi0ELi0EELi0ELb0ELi0ELi0ELi0EEC2EiiPKiS9_PKvPvmhhhP15ncclDevWorkCollP14ncclDevWorkP2pii
__PRETTY_FUNCTION__._ZN10PrimitivesI12hip_bfloat1610FuncMinMaxIS0_E12FanSymmetricILi1EELi0E11ProtoSimpleILi1ELi4ELi0ELi1ELi0ELi0EELi0ELb0ELi0ELi0ELi0EEC2EiiPKiS9_PKvPvmhhhP15ncclDevWorkCollP14ncclDevWorkP2pii:
	.asciz	"Primitives<hip_bfloat16, FuncMinMax<hip_bfloat16>, FanSymmetric<1>, 0, ProtoSimple<1, 4, 0, 1>, 0>::Primitives(int, int, const int *, const int *, const void *, void *, uint64_t, uint8_t, uint8_t, uint8_t, struct ncclDevWorkColl *, struct ncclDevWorkP2p *, int, int) [T = hip_bfloat16, RedOp = FuncMinMax<hip_bfloat16>, Fan = FanSymmetric<1>, Direct = 0, Proto = ProtoSimple<1, 4, 0, 1>, P2p = 0, isNetOffload = false, Metadata = 0, Pipeline = 0, useAcc = 0]"
	.size	__PRETTY_FUNCTION__._ZN10PrimitivesI12hip_bfloat1610FuncMinMaxIS0_E12FanSymmetricILi1EELi0E11ProtoSimpleILi1ELi4ELi0ELi1ELi0ELi0EELi0ELb0ELi0ELi0ELi0EEC2EiiPKiS9_PKvPvmhhhP15ncclDevWorkCollP14ncclDevWorkP2pii, 459

	.type	__PRETTY_FUNCTION__._ZN10PrimitivesI12hip_bfloat1610FuncMinMaxIS0_E12FanSymmetricILi1EELi0E11ProtoSimpleILi2ELi2ELi0ELi1ELi0ELi0EELi0ELb0ELi0ELi0ELi0EEC2EiiPKiS9_PKvPvmhhhP15ncclDevWorkCollP14ncclDevWorkP2pii,@object ; @__PRETTY_FUNCTION__._ZN10PrimitivesI12hip_bfloat1610FuncMinMaxIS0_E12FanSymmetricILi1EELi0E11ProtoSimpleILi2ELi2ELi0ELi1ELi0ELi0EELi0ELb0ELi0ELi0ELi0EEC2EiiPKiS9_PKvPvmhhhP15ncclDevWorkCollP14ncclDevWorkP2pii
__PRETTY_FUNCTION__._ZN10PrimitivesI12hip_bfloat1610FuncMinMaxIS0_E12FanSymmetricILi1EELi0E11ProtoSimpleILi2ELi2ELi0ELi1ELi0ELi0EELi0ELb0ELi0ELi0ELi0EEC2EiiPKiS9_PKvPvmhhhP15ncclDevWorkCollP14ncclDevWorkP2pii:
	.asciz	"Primitives<hip_bfloat16, FuncMinMax<hip_bfloat16>, FanSymmetric<1>, 0, ProtoSimple<2, 2, 0, 1>, 0>::Primitives(int, int, const int *, const int *, const void *, void *, uint64_t, uint8_t, uint8_t, uint8_t, struct ncclDevWorkColl *, struct ncclDevWorkP2p *, int, int) [T = hip_bfloat16, RedOp = FuncMinMax<hip_bfloat16>, Fan = FanSymmetric<1>, Direct = 0, Proto = ProtoSimple<2, 2, 0, 1>, P2p = 0, isNetOffload = false, Metadata = 0, Pipeline = 0, useAcc = 0]"
	.size	__PRETTY_FUNCTION__._ZN10PrimitivesI12hip_bfloat1610FuncMinMaxIS0_E12FanSymmetricILi1EELi0E11ProtoSimpleILi2ELi2ELi0ELi1ELi0ELi0EELi0ELb0ELi0ELi0ELi0EEC2EiiPKiS9_PKvPvmhhhP15ncclDevWorkCollP14ncclDevWorkP2pii, 459

	.type	__PRETTY_FUNCTION__._ZN10PrimitivesI12hip_bfloat1610FuncMinMaxIS0_E12FanSymmetricILi1EELi0E11ProtoSimpleILi1ELi4ELi0ELi1ELi0ELi0EELi0ELb0ELi0ELi1ELi0EEC2EiiPKiS9_PKvPvmhhhP15ncclDevWorkCollP14ncclDevWorkP2pii,@object ; @__PRETTY_FUNCTION__._ZN10PrimitivesI12hip_bfloat1610FuncMinMaxIS0_E12FanSymmetricILi1EELi0E11ProtoSimpleILi1ELi4ELi0ELi1ELi0ELi0EELi0ELb0ELi0ELi1ELi0EEC2EiiPKiS9_PKvPvmhhhP15ncclDevWorkCollP14ncclDevWorkP2pii
__PRETTY_FUNCTION__._ZN10PrimitivesI12hip_bfloat1610FuncMinMaxIS0_E12FanSymmetricILi1EELi0E11ProtoSimpleILi1ELi4ELi0ELi1ELi0ELi0EELi0ELb0ELi0ELi1ELi0EEC2EiiPKiS9_PKvPvmhhhP15ncclDevWorkCollP14ncclDevWorkP2pii:
	.asciz	"Primitives<hip_bfloat16, FuncMinMax<hip_bfloat16>, FanSymmetric<1>, 0, ProtoSimple<1, 4, 0, 1>, 0, false, 0, 1>::Primitives(int, int, const int *, const int *, const void *, void *, uint64_t, uint8_t, uint8_t, uint8_t, struct ncclDevWorkColl *, struct ncclDevWorkP2p *, int, int) [T = hip_bfloat16, RedOp = FuncMinMax<hip_bfloat16>, Fan = FanSymmetric<1>, Direct = 0, Proto = ProtoSimple<1, 4, 0, 1>, P2p = 0, isNetOffload = false, Metadata = 0, Pipeline = 1, useAcc = 0]"
	.size	__PRETTY_FUNCTION__._ZN10PrimitivesI12hip_bfloat1610FuncMinMaxIS0_E12FanSymmetricILi1EELi0E11ProtoSimpleILi1ELi4ELi0ELi1ELi0ELi0EELi0ELb0ELi0ELi1ELi0EEC2EiiPKiS9_PKvPvmhhhP15ncclDevWorkCollP14ncclDevWorkP2pii, 472

	.type	__PRETTY_FUNCTION__._ZN10PrimitivesI12hip_bfloat1610FuncMinMaxIS0_E12FanSymmetricILi1EELi0E11ProtoSimpleILi2ELi2ELi0ELi1ELi0ELi0EELi0ELb0ELi0ELi1ELi0EEC2EiiPKiS9_PKvPvmhhhP15ncclDevWorkCollP14ncclDevWorkP2pii,@object ; @__PRETTY_FUNCTION__._ZN10PrimitivesI12hip_bfloat1610FuncMinMaxIS0_E12FanSymmetricILi1EELi0E11ProtoSimpleILi2ELi2ELi0ELi1ELi0ELi0EELi0ELb0ELi0ELi1ELi0EEC2EiiPKiS9_PKvPvmhhhP15ncclDevWorkCollP14ncclDevWorkP2pii
__PRETTY_FUNCTION__._ZN10PrimitivesI12hip_bfloat1610FuncMinMaxIS0_E12FanSymmetricILi1EELi0E11ProtoSimpleILi2ELi2ELi0ELi1ELi0ELi0EELi0ELb0ELi0ELi1ELi0EEC2EiiPKiS9_PKvPvmhhhP15ncclDevWorkCollP14ncclDevWorkP2pii:
	.asciz	"Primitives<hip_bfloat16, FuncMinMax<hip_bfloat16>, FanSymmetric<1>, 0, ProtoSimple<2, 2, 0, 1>, 0, false, 0, 1>::Primitives(int, int, const int *, const int *, const void *, void *, uint64_t, uint8_t, uint8_t, uint8_t, struct ncclDevWorkColl *, struct ncclDevWorkP2p *, int, int) [T = hip_bfloat16, RedOp = FuncMinMax<hip_bfloat16>, Fan = FanSymmetric<1>, Direct = 0, Proto = ProtoSimple<2, 2, 0, 1>, P2p = 0, isNetOffload = false, Metadata = 0, Pipeline = 1, useAcc = 0]"
	.size	__PRETTY_FUNCTION__._ZN10PrimitivesI12hip_bfloat1610FuncMinMaxIS0_E12FanSymmetricILi1EELi0E11ProtoSimpleILi2ELi2ELi0ELi1ELi0ELi0EELi0ELb0ELi0ELi1ELi0EEC2EiiPKiS9_PKvPvmhhhP15ncclDevWorkCollP14ncclDevWorkP2pii, 472

	.type	__PRETTY_FUNCTION__._ZN10PrimitivesI12hip_bfloat1610FuncMinMaxIS0_E12FanSymmetricILi1EELi0E11ProtoSimpleILi1ELi4ELi1ELi1ELi0ELi0EELi0ELb0ELi0ELi0ELi1EEC2EiiPKiS9_PKvPvmhhhP15ncclDevWorkCollP14ncclDevWorkP2pii,@object ; @__PRETTY_FUNCTION__._ZN10PrimitivesI12hip_bfloat1610FuncMinMaxIS0_E12FanSymmetricILi1EELi0E11ProtoSimpleILi1ELi4ELi1ELi1ELi0ELi0EELi0ELb0ELi0ELi0ELi1EEC2EiiPKiS9_PKvPvmhhhP15ncclDevWorkCollP14ncclDevWorkP2pii
__PRETTY_FUNCTION__._ZN10PrimitivesI12hip_bfloat1610FuncMinMaxIS0_E12FanSymmetricILi1EELi0E11ProtoSimpleILi1ELi4ELi1ELi1ELi0ELi0EELi0ELb0ELi0ELi0ELi1EEC2EiiPKiS9_PKvPvmhhhP15ncclDevWorkCollP14ncclDevWorkP2pii:
	.asciz	"Primitives<hip_bfloat16, FuncMinMax<hip_bfloat16>, FanSymmetric<1>, 0, ProtoSimple<1, 4, 1, 1>, 0, false, 0, 0, 1>::Primitives(int, int, const int *, const int *, const void *, void *, uint64_t, uint8_t, uint8_t, uint8_t, struct ncclDevWorkColl *, struct ncclDevWorkP2p *, int, int) [T = hip_bfloat16, RedOp = FuncMinMax<hip_bfloat16>, Fan = FanSymmetric<1>, Direct = 0, Proto = ProtoSimple<1, 4, 1, 1>, P2p = 0, isNetOffload = false, Metadata = 0, Pipeline = 0, useAcc = 1]"
	.size	__PRETTY_FUNCTION__._ZN10PrimitivesI12hip_bfloat1610FuncMinMaxIS0_E12FanSymmetricILi1EELi0E11ProtoSimpleILi1ELi4ELi1ELi1ELi0ELi0EELi0ELb0ELi0ELi0ELi1EEC2EiiPKiS9_PKvPvmhhhP15ncclDevWorkCollP14ncclDevWorkP2pii, 475

	.type	__PRETTY_FUNCTION__._ZN10PrimitivesI12hip_bfloat1610FuncMinMaxIS0_E12FanSymmetricILi1EELi0E11ProtoSimpleILi2ELi2ELi1ELi1ELi0ELi0EELi0ELb0ELi0ELi0ELi1EEC2EiiPKiS9_PKvPvmhhhP15ncclDevWorkCollP14ncclDevWorkP2pii,@object ; @__PRETTY_FUNCTION__._ZN10PrimitivesI12hip_bfloat1610FuncMinMaxIS0_E12FanSymmetricILi1EELi0E11ProtoSimpleILi2ELi2ELi1ELi1ELi0ELi0EELi0ELb0ELi0ELi0ELi1EEC2EiiPKiS9_PKvPvmhhhP15ncclDevWorkCollP14ncclDevWorkP2pii
__PRETTY_FUNCTION__._ZN10PrimitivesI12hip_bfloat1610FuncMinMaxIS0_E12FanSymmetricILi1EELi0E11ProtoSimpleILi2ELi2ELi1ELi1ELi0ELi0EELi0ELb0ELi0ELi0ELi1EEC2EiiPKiS9_PKvPvmhhhP15ncclDevWorkCollP14ncclDevWorkP2pii:
	.asciz	"Primitives<hip_bfloat16, FuncMinMax<hip_bfloat16>, FanSymmetric<1>, 0, ProtoSimple<2, 2, 1, 1>, 0, false, 0, 0, 1>::Primitives(int, int, const int *, const int *, const void *, void *, uint64_t, uint8_t, uint8_t, uint8_t, struct ncclDevWorkColl *, struct ncclDevWorkP2p *, int, int) [T = hip_bfloat16, RedOp = FuncMinMax<hip_bfloat16>, Fan = FanSymmetric<1>, Direct = 0, Proto = ProtoSimple<2, 2, 1, 1>, P2p = 0, isNetOffload = false, Metadata = 0, Pipeline = 0, useAcc = 1]"
	.size	__PRETTY_FUNCTION__._ZN10PrimitivesI12hip_bfloat1610FuncMinMaxIS0_E12FanSymmetricILi1EELi0E11ProtoSimpleILi2ELi2ELi1ELi1ELi0ELi0EELi0ELb0ELi0ELi0ELi1EEC2EiiPKiS9_PKvPvmhhhP15ncclDevWorkCollP14ncclDevWorkP2pii, 475

	.type	__PRETTY_FUNCTION__._ZN10PrimitivesI12hip_bfloat1610FuncMinMaxIS0_E12FanSymmetricILi1EELi0E11ProtoSimpleILi1ELi4ELi1ELi1ELi0ELi0EELi0ELb0ELi0ELi1ELi1EEC2EiiPKiS9_PKvPvmhhhP15ncclDevWorkCollP14ncclDevWorkP2pii,@object ; @__PRETTY_FUNCTION__._ZN10PrimitivesI12hip_bfloat1610FuncMinMaxIS0_E12FanSymmetricILi1EELi0E11ProtoSimpleILi1ELi4ELi1ELi1ELi0ELi0EELi0ELb0ELi0ELi1ELi1EEC2EiiPKiS9_PKvPvmhhhP15ncclDevWorkCollP14ncclDevWorkP2pii
__PRETTY_FUNCTION__._ZN10PrimitivesI12hip_bfloat1610FuncMinMaxIS0_E12FanSymmetricILi1EELi0E11ProtoSimpleILi1ELi4ELi1ELi1ELi0ELi0EELi0ELb0ELi0ELi1ELi1EEC2EiiPKiS9_PKvPvmhhhP15ncclDevWorkCollP14ncclDevWorkP2pii:
	.asciz	"Primitives<hip_bfloat16, FuncMinMax<hip_bfloat16>, FanSymmetric<1>, 0, ProtoSimple<1, 4, 1, 1>, 0, false, 0, 1, 1>::Primitives(int, int, const int *, const int *, const void *, void *, uint64_t, uint8_t, uint8_t, uint8_t, struct ncclDevWorkColl *, struct ncclDevWorkP2p *, int, int) [T = hip_bfloat16, RedOp = FuncMinMax<hip_bfloat16>, Fan = FanSymmetric<1>, Direct = 0, Proto = ProtoSimple<1, 4, 1, 1>, P2p = 0, isNetOffload = false, Metadata = 0, Pipeline = 1, useAcc = 1]"
	.size	__PRETTY_FUNCTION__._ZN10PrimitivesI12hip_bfloat1610FuncMinMaxIS0_E12FanSymmetricILi1EELi0E11ProtoSimpleILi1ELi4ELi1ELi1ELi0ELi0EELi0ELb0ELi0ELi1ELi1EEC2EiiPKiS9_PKvPvmhhhP15ncclDevWorkCollP14ncclDevWorkP2pii, 475

	.type	__PRETTY_FUNCTION__._ZN10PrimitivesI12hip_bfloat1610FuncMinMaxIS0_E12FanSymmetricILi1EELi0E11ProtoSimpleILi2ELi2ELi1ELi1ELi0ELi0EELi0ELb0ELi0ELi1ELi1EEC2EiiPKiS9_PKvPvmhhhP15ncclDevWorkCollP14ncclDevWorkP2pii,@object ; @__PRETTY_FUNCTION__._ZN10PrimitivesI12hip_bfloat1610FuncMinMaxIS0_E12FanSymmetricILi1EELi0E11ProtoSimpleILi2ELi2ELi1ELi1ELi0ELi0EELi0ELb0ELi0ELi1ELi1EEC2EiiPKiS9_PKvPvmhhhP15ncclDevWorkCollP14ncclDevWorkP2pii
__PRETTY_FUNCTION__._ZN10PrimitivesI12hip_bfloat1610FuncMinMaxIS0_E12FanSymmetricILi1EELi0E11ProtoSimpleILi2ELi2ELi1ELi1ELi0ELi0EELi0ELb0ELi0ELi1ELi1EEC2EiiPKiS9_PKvPvmhhhP15ncclDevWorkCollP14ncclDevWorkP2pii:
	.asciz	"Primitives<hip_bfloat16, FuncMinMax<hip_bfloat16>, FanSymmetric<1>, 0, ProtoSimple<2, 2, 1, 1>, 0, false, 0, 1, 1>::Primitives(int, int, const int *, const int *, const void *, void *, uint64_t, uint8_t, uint8_t, uint8_t, struct ncclDevWorkColl *, struct ncclDevWorkP2p *, int, int) [T = hip_bfloat16, RedOp = FuncMinMax<hip_bfloat16>, Fan = FanSymmetric<1>, Direct = 0, Proto = ProtoSimple<2, 2, 1, 1>, P2p = 0, isNetOffload = false, Metadata = 0, Pipeline = 1, useAcc = 1]"
	.size	__PRETTY_FUNCTION__._ZN10PrimitivesI12hip_bfloat1610FuncMinMaxIS0_E12FanSymmetricILi1EELi0E11ProtoSimpleILi2ELi2ELi1ELi1ELi0ELi0EELi0ELb0ELi0ELi1ELi1EEC2EiiPKiS9_PKvPvmhhhP15ncclDevWorkCollP14ncclDevWorkP2pii, 475

	.type	__PRETTY_FUNCTION__._ZN10PrimitivesI12hip_bfloat1610FuncMinMaxIS0_E12FanSymmetricILi1EELi0E11ProtoSimpleILi1ELi4ELi0ELi2ELi0ELi0EELi0ELb0ELi0ELi0ELi0EEC2EiiPKiS9_PKvPvmhhhP15ncclDevWorkCollP14ncclDevWorkP2pii,@object ; @__PRETTY_FUNCTION__._ZN10PrimitivesI12hip_bfloat1610FuncMinMaxIS0_E12FanSymmetricILi1EELi0E11ProtoSimpleILi1ELi4ELi0ELi2ELi0ELi0EELi0ELb0ELi0ELi0ELi0EEC2EiiPKiS9_PKvPvmhhhP15ncclDevWorkCollP14ncclDevWorkP2pii
__PRETTY_FUNCTION__._ZN10PrimitivesI12hip_bfloat1610FuncMinMaxIS0_E12FanSymmetricILi1EELi0E11ProtoSimpleILi1ELi4ELi0ELi2ELi0ELi0EELi0ELb0ELi0ELi0ELi0EEC2EiiPKiS9_PKvPvmhhhP15ncclDevWorkCollP14ncclDevWorkP2pii:
	.asciz	"Primitives<hip_bfloat16, FuncMinMax<hip_bfloat16>, FanSymmetric<1>, 0, ProtoSimple<1, 4, 0, 2>, 0>::Primitives(int, int, const int *, const int *, const void *, void *, uint64_t, uint8_t, uint8_t, uint8_t, struct ncclDevWorkColl *, struct ncclDevWorkP2p *, int, int) [T = hip_bfloat16, RedOp = FuncMinMax<hip_bfloat16>, Fan = FanSymmetric<1>, Direct = 0, Proto = ProtoSimple<1, 4, 0, 2>, P2p = 0, isNetOffload = false, Metadata = 0, Pipeline = 0, useAcc = 0]"
	.size	__PRETTY_FUNCTION__._ZN10PrimitivesI12hip_bfloat1610FuncMinMaxIS0_E12FanSymmetricILi1EELi0E11ProtoSimpleILi1ELi4ELi0ELi2ELi0ELi0EELi0ELb0ELi0ELi0ELi0EEC2EiiPKiS9_PKvPvmhhhP15ncclDevWorkCollP14ncclDevWorkP2pii, 459

	.type	__PRETTY_FUNCTION__._ZN10PrimitivesI12hip_bfloat1610FuncMinMaxIS0_E12FanSymmetricILi1EELi0E11ProtoSimpleILi2ELi2ELi0ELi2ELi0ELi0EELi0ELb0ELi0ELi0ELi0EEC2EiiPKiS9_PKvPvmhhhP15ncclDevWorkCollP14ncclDevWorkP2pii,@object ; @__PRETTY_FUNCTION__._ZN10PrimitivesI12hip_bfloat1610FuncMinMaxIS0_E12FanSymmetricILi1EELi0E11ProtoSimpleILi2ELi2ELi0ELi2ELi0ELi0EELi0ELb0ELi0ELi0ELi0EEC2EiiPKiS9_PKvPvmhhhP15ncclDevWorkCollP14ncclDevWorkP2pii
__PRETTY_FUNCTION__._ZN10PrimitivesI12hip_bfloat1610FuncMinMaxIS0_E12FanSymmetricILi1EELi0E11ProtoSimpleILi2ELi2ELi0ELi2ELi0ELi0EELi0ELb0ELi0ELi0ELi0EEC2EiiPKiS9_PKvPvmhhhP15ncclDevWorkCollP14ncclDevWorkP2pii:
	.asciz	"Primitives<hip_bfloat16, FuncMinMax<hip_bfloat16>, FanSymmetric<1>, 0, ProtoSimple<2, 2, 0, 2>, 0>::Primitives(int, int, const int *, const int *, const void *, void *, uint64_t, uint8_t, uint8_t, uint8_t, struct ncclDevWorkColl *, struct ncclDevWorkP2p *, int, int) [T = hip_bfloat16, RedOp = FuncMinMax<hip_bfloat16>, Fan = FanSymmetric<1>, Direct = 0, Proto = ProtoSimple<2, 2, 0, 2>, P2p = 0, isNetOffload = false, Metadata = 0, Pipeline = 0, useAcc = 0]"
	.size	__PRETTY_FUNCTION__._ZN10PrimitivesI12hip_bfloat1610FuncMinMaxIS0_E12FanSymmetricILi1EELi0E11ProtoSimpleILi2ELi2ELi0ELi2ELi0ELi0EELi0ELb0ELi0ELi0ELi0EEC2EiiPKiS9_PKvPvmhhhP15ncclDevWorkCollP14ncclDevWorkP2pii, 459

	.type	__PRETTY_FUNCTION__._ZN10PrimitivesI12hip_bfloat1610FuncMinMaxIS0_E12FanSymmetricILi1EELi0E11ProtoSimpleILi1ELi4ELi0ELi2ELi0ELi0EELi0ELb0ELi0ELi1ELi0EEC2EiiPKiS9_PKvPvmhhhP15ncclDevWorkCollP14ncclDevWorkP2pii,@object ; @__PRETTY_FUNCTION__._ZN10PrimitivesI12hip_bfloat1610FuncMinMaxIS0_E12FanSymmetricILi1EELi0E11ProtoSimpleILi1ELi4ELi0ELi2ELi0ELi0EELi0ELb0ELi0ELi1ELi0EEC2EiiPKiS9_PKvPvmhhhP15ncclDevWorkCollP14ncclDevWorkP2pii
__PRETTY_FUNCTION__._ZN10PrimitivesI12hip_bfloat1610FuncMinMaxIS0_E12FanSymmetricILi1EELi0E11ProtoSimpleILi1ELi4ELi0ELi2ELi0ELi0EELi0ELb0ELi0ELi1ELi0EEC2EiiPKiS9_PKvPvmhhhP15ncclDevWorkCollP14ncclDevWorkP2pii:
	.asciz	"Primitives<hip_bfloat16, FuncMinMax<hip_bfloat16>, FanSymmetric<1>, 0, ProtoSimple<1, 4, 0, 2>, 0, false, 0, 1>::Primitives(int, int, const int *, const int *, const void *, void *, uint64_t, uint8_t, uint8_t, uint8_t, struct ncclDevWorkColl *, struct ncclDevWorkP2p *, int, int) [T = hip_bfloat16, RedOp = FuncMinMax<hip_bfloat16>, Fan = FanSymmetric<1>, Direct = 0, Proto = ProtoSimple<1, 4, 0, 2>, P2p = 0, isNetOffload = false, Metadata = 0, Pipeline = 1, useAcc = 0]"
	.size	__PRETTY_FUNCTION__._ZN10PrimitivesI12hip_bfloat1610FuncMinMaxIS0_E12FanSymmetricILi1EELi0E11ProtoSimpleILi1ELi4ELi0ELi2ELi0ELi0EELi0ELb0ELi0ELi1ELi0EEC2EiiPKiS9_PKvPvmhhhP15ncclDevWorkCollP14ncclDevWorkP2pii, 472

	.type	__PRETTY_FUNCTION__._ZN10PrimitivesI12hip_bfloat1610FuncMinMaxIS0_E12FanSymmetricILi1EELi0E11ProtoSimpleILi2ELi2ELi0ELi2ELi0ELi0EELi0ELb0ELi0ELi1ELi0EEC2EiiPKiS9_PKvPvmhhhP15ncclDevWorkCollP14ncclDevWorkP2pii,@object ; @__PRETTY_FUNCTION__._ZN10PrimitivesI12hip_bfloat1610FuncMinMaxIS0_E12FanSymmetricILi1EELi0E11ProtoSimpleILi2ELi2ELi0ELi2ELi0ELi0EELi0ELb0ELi0ELi1ELi0EEC2EiiPKiS9_PKvPvmhhhP15ncclDevWorkCollP14ncclDevWorkP2pii
__PRETTY_FUNCTION__._ZN10PrimitivesI12hip_bfloat1610FuncMinMaxIS0_E12FanSymmetricILi1EELi0E11ProtoSimpleILi2ELi2ELi0ELi2ELi0ELi0EELi0ELb0ELi0ELi1ELi0EEC2EiiPKiS9_PKvPvmhhhP15ncclDevWorkCollP14ncclDevWorkP2pii:
	.asciz	"Primitives<hip_bfloat16, FuncMinMax<hip_bfloat16>, FanSymmetric<1>, 0, ProtoSimple<2, 2, 0, 2>, 0, false, 0, 1>::Primitives(int, int, const int *, const int *, const void *, void *, uint64_t, uint8_t, uint8_t, uint8_t, struct ncclDevWorkColl *, struct ncclDevWorkP2p *, int, int) [T = hip_bfloat16, RedOp = FuncMinMax<hip_bfloat16>, Fan = FanSymmetric<1>, Direct = 0, Proto = ProtoSimple<2, 2, 0, 2>, P2p = 0, isNetOffload = false, Metadata = 0, Pipeline = 1, useAcc = 0]"
	.size	__PRETTY_FUNCTION__._ZN10PrimitivesI12hip_bfloat1610FuncMinMaxIS0_E12FanSymmetricILi1EELi0E11ProtoSimpleILi2ELi2ELi0ELi2ELi0ELi0EELi0ELb0ELi0ELi1ELi0EEC2EiiPKiS9_PKvPvmhhhP15ncclDevWorkCollP14ncclDevWorkP2pii, 472

	.type	__PRETTY_FUNCTION__._ZN10PrimitivesI12hip_bfloat1610FuncMinMaxIS0_E12FanSymmetricILi1EELi0E11ProtoSimpleILi1ELi4ELi1ELi2ELi0ELi0EELi0ELb0ELi0ELi0ELi1EEC2EiiPKiS9_PKvPvmhhhP15ncclDevWorkCollP14ncclDevWorkP2pii,@object ; @__PRETTY_FUNCTION__._ZN10PrimitivesI12hip_bfloat1610FuncMinMaxIS0_E12FanSymmetricILi1EELi0E11ProtoSimpleILi1ELi4ELi1ELi2ELi0ELi0EELi0ELb0ELi0ELi0ELi1EEC2EiiPKiS9_PKvPvmhhhP15ncclDevWorkCollP14ncclDevWorkP2pii
__PRETTY_FUNCTION__._ZN10PrimitivesI12hip_bfloat1610FuncMinMaxIS0_E12FanSymmetricILi1EELi0E11ProtoSimpleILi1ELi4ELi1ELi2ELi0ELi0EELi0ELb0ELi0ELi0ELi1EEC2EiiPKiS9_PKvPvmhhhP15ncclDevWorkCollP14ncclDevWorkP2pii:
	.asciz	"Primitives<hip_bfloat16, FuncMinMax<hip_bfloat16>, FanSymmetric<1>, 0, ProtoSimple<1, 4, 1, 2>, 0, false, 0, 0, 1>::Primitives(int, int, const int *, const int *, const void *, void *, uint64_t, uint8_t, uint8_t, uint8_t, struct ncclDevWorkColl *, struct ncclDevWorkP2p *, int, int) [T = hip_bfloat16, RedOp = FuncMinMax<hip_bfloat16>, Fan = FanSymmetric<1>, Direct = 0, Proto = ProtoSimple<1, 4, 1, 2>, P2p = 0, isNetOffload = false, Metadata = 0, Pipeline = 0, useAcc = 1]"
	.size	__PRETTY_FUNCTION__._ZN10PrimitivesI12hip_bfloat1610FuncMinMaxIS0_E12FanSymmetricILi1EELi0E11ProtoSimpleILi1ELi4ELi1ELi2ELi0ELi0EELi0ELb0ELi0ELi0ELi1EEC2EiiPKiS9_PKvPvmhhhP15ncclDevWorkCollP14ncclDevWorkP2pii, 475

	.type	__PRETTY_FUNCTION__._ZN10PrimitivesI12hip_bfloat1610FuncMinMaxIS0_E12FanSymmetricILi1EELi0E11ProtoSimpleILi2ELi2ELi1ELi2ELi0ELi0EELi0ELb0ELi0ELi0ELi1EEC2EiiPKiS9_PKvPvmhhhP15ncclDevWorkCollP14ncclDevWorkP2pii,@object ; @__PRETTY_FUNCTION__._ZN10PrimitivesI12hip_bfloat1610FuncMinMaxIS0_E12FanSymmetricILi1EELi0E11ProtoSimpleILi2ELi2ELi1ELi2ELi0ELi0EELi0ELb0ELi0ELi0ELi1EEC2EiiPKiS9_PKvPvmhhhP15ncclDevWorkCollP14ncclDevWorkP2pii
__PRETTY_FUNCTION__._ZN10PrimitivesI12hip_bfloat1610FuncMinMaxIS0_E12FanSymmetricILi1EELi0E11ProtoSimpleILi2ELi2ELi1ELi2ELi0ELi0EELi0ELb0ELi0ELi0ELi1EEC2EiiPKiS9_PKvPvmhhhP15ncclDevWorkCollP14ncclDevWorkP2pii:
	.asciz	"Primitives<hip_bfloat16, FuncMinMax<hip_bfloat16>, FanSymmetric<1>, 0, ProtoSimple<2, 2, 1, 2>, 0, false, 0, 0, 1>::Primitives(int, int, const int *, const int *, const void *, void *, uint64_t, uint8_t, uint8_t, uint8_t, struct ncclDevWorkColl *, struct ncclDevWorkP2p *, int, int) [T = hip_bfloat16, RedOp = FuncMinMax<hip_bfloat16>, Fan = FanSymmetric<1>, Direct = 0, Proto = ProtoSimple<2, 2, 1, 2>, P2p = 0, isNetOffload = false, Metadata = 0, Pipeline = 0, useAcc = 1]"
	.size	__PRETTY_FUNCTION__._ZN10PrimitivesI12hip_bfloat1610FuncMinMaxIS0_E12FanSymmetricILi1EELi0E11ProtoSimpleILi2ELi2ELi1ELi2ELi0ELi0EELi0ELb0ELi0ELi0ELi1EEC2EiiPKiS9_PKvPvmhhhP15ncclDevWorkCollP14ncclDevWorkP2pii, 475

	.type	__PRETTY_FUNCTION__._ZN10PrimitivesI12hip_bfloat1610FuncMinMaxIS0_E12FanSymmetricILi1EELi0E11ProtoSimpleILi1ELi4ELi1ELi2ELi0ELi0EELi0ELb0ELi0ELi1ELi1EEC2EiiPKiS9_PKvPvmhhhP15ncclDevWorkCollP14ncclDevWorkP2pii,@object ; @__PRETTY_FUNCTION__._ZN10PrimitivesI12hip_bfloat1610FuncMinMaxIS0_E12FanSymmetricILi1EELi0E11ProtoSimpleILi1ELi4ELi1ELi2ELi0ELi0EELi0ELb0ELi0ELi1ELi1EEC2EiiPKiS9_PKvPvmhhhP15ncclDevWorkCollP14ncclDevWorkP2pii
__PRETTY_FUNCTION__._ZN10PrimitivesI12hip_bfloat1610FuncMinMaxIS0_E12FanSymmetricILi1EELi0E11ProtoSimpleILi1ELi4ELi1ELi2ELi0ELi0EELi0ELb0ELi0ELi1ELi1EEC2EiiPKiS9_PKvPvmhhhP15ncclDevWorkCollP14ncclDevWorkP2pii:
	.asciz	"Primitives<hip_bfloat16, FuncMinMax<hip_bfloat16>, FanSymmetric<1>, 0, ProtoSimple<1, 4, 1, 2>, 0, false, 0, 1, 1>::Primitives(int, int, const int *, const int *, const void *, void *, uint64_t, uint8_t, uint8_t, uint8_t, struct ncclDevWorkColl *, struct ncclDevWorkP2p *, int, int) [T = hip_bfloat16, RedOp = FuncMinMax<hip_bfloat16>, Fan = FanSymmetric<1>, Direct = 0, Proto = ProtoSimple<1, 4, 1, 2>, P2p = 0, isNetOffload = false, Metadata = 0, Pipeline = 1, useAcc = 1]"
	.size	__PRETTY_FUNCTION__._ZN10PrimitivesI12hip_bfloat1610FuncMinMaxIS0_E12FanSymmetricILi1EELi0E11ProtoSimpleILi1ELi4ELi1ELi2ELi0ELi0EELi0ELb0ELi0ELi1ELi1EEC2EiiPKiS9_PKvPvmhhhP15ncclDevWorkCollP14ncclDevWorkP2pii, 475

	.type	__PRETTY_FUNCTION__._ZN10PrimitivesI12hip_bfloat1610FuncMinMaxIS0_E12FanSymmetricILi1EELi0E11ProtoSimpleILi2ELi2ELi1ELi2ELi0ELi0EELi0ELb0ELi0ELi1ELi1EEC2EiiPKiS9_PKvPvmhhhP15ncclDevWorkCollP14ncclDevWorkP2pii,@object ; @__PRETTY_FUNCTION__._ZN10PrimitivesI12hip_bfloat1610FuncMinMaxIS0_E12FanSymmetricILi1EELi0E11ProtoSimpleILi2ELi2ELi1ELi2ELi0ELi0EELi0ELb0ELi0ELi1ELi1EEC2EiiPKiS9_PKvPvmhhhP15ncclDevWorkCollP14ncclDevWorkP2pii
__PRETTY_FUNCTION__._ZN10PrimitivesI12hip_bfloat1610FuncMinMaxIS0_E12FanSymmetricILi1EELi0E11ProtoSimpleILi2ELi2ELi1ELi2ELi0ELi0EELi0ELb0ELi0ELi1ELi1EEC2EiiPKiS9_PKvPvmhhhP15ncclDevWorkCollP14ncclDevWorkP2pii:
	.asciz	"Primitives<hip_bfloat16, FuncMinMax<hip_bfloat16>, FanSymmetric<1>, 0, ProtoSimple<2, 2, 1, 2>, 0, false, 0, 1, 1>::Primitives(int, int, const int *, const int *, const void *, void *, uint64_t, uint8_t, uint8_t, uint8_t, struct ncclDevWorkColl *, struct ncclDevWorkP2p *, int, int) [T = hip_bfloat16, RedOp = FuncMinMax<hip_bfloat16>, Fan = FanSymmetric<1>, Direct = 0, Proto = ProtoSimple<2, 2, 1, 2>, P2p = 0, isNetOffload = false, Metadata = 0, Pipeline = 1, useAcc = 1]"
	.size	__PRETTY_FUNCTION__._ZN10PrimitivesI12hip_bfloat1610FuncMinMaxIS0_E12FanSymmetricILi1EELi0E11ProtoSimpleILi2ELi2ELi1ELi2ELi0ELi0EELi0ELb0ELi0ELi1ELi1EEC2EiiPKiS9_PKvPvmhhhP15ncclDevWorkCollP14ncclDevWorkP2pii, 475

	.type	__PRETTY_FUNCTION__._ZN10PrimitivesI12hip_bfloat1610FuncMinMaxIS0_E12FanSymmetricILi1EELi0E11ProtoSimpleILi1ELi4ELi0ELi4ELi0ELi0EELi0ELb0ELi0ELi0ELi0EEC2EiiPKiS9_PKvPvmhhhP15ncclDevWorkCollP14ncclDevWorkP2pii,@object ; @__PRETTY_FUNCTION__._ZN10PrimitivesI12hip_bfloat1610FuncMinMaxIS0_E12FanSymmetricILi1EELi0E11ProtoSimpleILi1ELi4ELi0ELi4ELi0ELi0EELi0ELb0ELi0ELi0ELi0EEC2EiiPKiS9_PKvPvmhhhP15ncclDevWorkCollP14ncclDevWorkP2pii
__PRETTY_FUNCTION__._ZN10PrimitivesI12hip_bfloat1610FuncMinMaxIS0_E12FanSymmetricILi1EELi0E11ProtoSimpleILi1ELi4ELi0ELi4ELi0ELi0EELi0ELb0ELi0ELi0ELi0EEC2EiiPKiS9_PKvPvmhhhP15ncclDevWorkCollP14ncclDevWorkP2pii:
	.asciz	"Primitives<hip_bfloat16, FuncMinMax<hip_bfloat16>, FanSymmetric<1>, 0, ProtoSimple<1, 4, 0, 4>, 0>::Primitives(int, int, const int *, const int *, const void *, void *, uint64_t, uint8_t, uint8_t, uint8_t, struct ncclDevWorkColl *, struct ncclDevWorkP2p *, int, int) [T = hip_bfloat16, RedOp = FuncMinMax<hip_bfloat16>, Fan = FanSymmetric<1>, Direct = 0, Proto = ProtoSimple<1, 4, 0, 4>, P2p = 0, isNetOffload = false, Metadata = 0, Pipeline = 0, useAcc = 0]"
	.size	__PRETTY_FUNCTION__._ZN10PrimitivesI12hip_bfloat1610FuncMinMaxIS0_E12FanSymmetricILi1EELi0E11ProtoSimpleILi1ELi4ELi0ELi4ELi0ELi0EELi0ELb0ELi0ELi0ELi0EEC2EiiPKiS9_PKvPvmhhhP15ncclDevWorkCollP14ncclDevWorkP2pii, 459

	.type	__PRETTY_FUNCTION__._ZN10PrimitivesI12hip_bfloat1610FuncMinMaxIS0_E12FanSymmetricILi1EELi0E11ProtoSimpleILi2ELi2ELi0ELi4ELi0ELi0EELi0ELb0ELi0ELi0ELi0EEC2EiiPKiS9_PKvPvmhhhP15ncclDevWorkCollP14ncclDevWorkP2pii,@object ; @__PRETTY_FUNCTION__._ZN10PrimitivesI12hip_bfloat1610FuncMinMaxIS0_E12FanSymmetricILi1EELi0E11ProtoSimpleILi2ELi2ELi0ELi4ELi0ELi0EELi0ELb0ELi0ELi0ELi0EEC2EiiPKiS9_PKvPvmhhhP15ncclDevWorkCollP14ncclDevWorkP2pii
__PRETTY_FUNCTION__._ZN10PrimitivesI12hip_bfloat1610FuncMinMaxIS0_E12FanSymmetricILi1EELi0E11ProtoSimpleILi2ELi2ELi0ELi4ELi0ELi0EELi0ELb0ELi0ELi0ELi0EEC2EiiPKiS9_PKvPvmhhhP15ncclDevWorkCollP14ncclDevWorkP2pii:
	.asciz	"Primitives<hip_bfloat16, FuncMinMax<hip_bfloat16>, FanSymmetric<1>, 0, ProtoSimple<2, 2, 0, 4>, 0>::Primitives(int, int, const int *, const int *, const void *, void *, uint64_t, uint8_t, uint8_t, uint8_t, struct ncclDevWorkColl *, struct ncclDevWorkP2p *, int, int) [T = hip_bfloat16, RedOp = FuncMinMax<hip_bfloat16>, Fan = FanSymmetric<1>, Direct = 0, Proto = ProtoSimple<2, 2, 0, 4>, P2p = 0, isNetOffload = false, Metadata = 0, Pipeline = 0, useAcc = 0]"
	.size	__PRETTY_FUNCTION__._ZN10PrimitivesI12hip_bfloat1610FuncMinMaxIS0_E12FanSymmetricILi1EELi0E11ProtoSimpleILi2ELi2ELi0ELi4ELi0ELi0EELi0ELb0ELi0ELi0ELi0EEC2EiiPKiS9_PKvPvmhhhP15ncclDevWorkCollP14ncclDevWorkP2pii, 459

	.type	__PRETTY_FUNCTION__._ZN10PrimitivesI12hip_bfloat1610FuncMinMaxIS0_E12FanSymmetricILi1EELi0E11ProtoSimpleILi1ELi4ELi0ELi4ELi0ELi0EELi0ELb0ELi0ELi1ELi0EEC2EiiPKiS9_PKvPvmhhhP15ncclDevWorkCollP14ncclDevWorkP2pii,@object ; @__PRETTY_FUNCTION__._ZN10PrimitivesI12hip_bfloat1610FuncMinMaxIS0_E12FanSymmetricILi1EELi0E11ProtoSimpleILi1ELi4ELi0ELi4ELi0ELi0EELi0ELb0ELi0ELi1ELi0EEC2EiiPKiS9_PKvPvmhhhP15ncclDevWorkCollP14ncclDevWorkP2pii
__PRETTY_FUNCTION__._ZN10PrimitivesI12hip_bfloat1610FuncMinMaxIS0_E12FanSymmetricILi1EELi0E11ProtoSimpleILi1ELi4ELi0ELi4ELi0ELi0EELi0ELb0ELi0ELi1ELi0EEC2EiiPKiS9_PKvPvmhhhP15ncclDevWorkCollP14ncclDevWorkP2pii:
	.asciz	"Primitives<hip_bfloat16, FuncMinMax<hip_bfloat16>, FanSymmetric<1>, 0, ProtoSimple<1, 4, 0, 4>, 0, false, 0, 1>::Primitives(int, int, const int *, const int *, const void *, void *, uint64_t, uint8_t, uint8_t, uint8_t, struct ncclDevWorkColl *, struct ncclDevWorkP2p *, int, int) [T = hip_bfloat16, RedOp = FuncMinMax<hip_bfloat16>, Fan = FanSymmetric<1>, Direct = 0, Proto = ProtoSimple<1, 4, 0, 4>, P2p = 0, isNetOffload = false, Metadata = 0, Pipeline = 1, useAcc = 0]"
	.size	__PRETTY_FUNCTION__._ZN10PrimitivesI12hip_bfloat1610FuncMinMaxIS0_E12FanSymmetricILi1EELi0E11ProtoSimpleILi1ELi4ELi0ELi4ELi0ELi0EELi0ELb0ELi0ELi1ELi0EEC2EiiPKiS9_PKvPvmhhhP15ncclDevWorkCollP14ncclDevWorkP2pii, 472

	.type	__PRETTY_FUNCTION__._ZN10PrimitivesI12hip_bfloat1610FuncMinMaxIS0_E12FanSymmetricILi1EELi0E11ProtoSimpleILi2ELi2ELi0ELi4ELi0ELi0EELi0ELb0ELi0ELi1ELi0EEC2EiiPKiS9_PKvPvmhhhP15ncclDevWorkCollP14ncclDevWorkP2pii,@object ; @__PRETTY_FUNCTION__._ZN10PrimitivesI12hip_bfloat1610FuncMinMaxIS0_E12FanSymmetricILi1EELi0E11ProtoSimpleILi2ELi2ELi0ELi4ELi0ELi0EELi0ELb0ELi0ELi1ELi0EEC2EiiPKiS9_PKvPvmhhhP15ncclDevWorkCollP14ncclDevWorkP2pii
__PRETTY_FUNCTION__._ZN10PrimitivesI12hip_bfloat1610FuncMinMaxIS0_E12FanSymmetricILi1EELi0E11ProtoSimpleILi2ELi2ELi0ELi4ELi0ELi0EELi0ELb0ELi0ELi1ELi0EEC2EiiPKiS9_PKvPvmhhhP15ncclDevWorkCollP14ncclDevWorkP2pii:
	.asciz	"Primitives<hip_bfloat16, FuncMinMax<hip_bfloat16>, FanSymmetric<1>, 0, ProtoSimple<2, 2, 0, 4>, 0, false, 0, 1>::Primitives(int, int, const int *, const int *, const void *, void *, uint64_t, uint8_t, uint8_t, uint8_t, struct ncclDevWorkColl *, struct ncclDevWorkP2p *, int, int) [T = hip_bfloat16, RedOp = FuncMinMax<hip_bfloat16>, Fan = FanSymmetric<1>, Direct = 0, Proto = ProtoSimple<2, 2, 0, 4>, P2p = 0, isNetOffload = false, Metadata = 0, Pipeline = 1, useAcc = 0]"
	.size	__PRETTY_FUNCTION__._ZN10PrimitivesI12hip_bfloat1610FuncMinMaxIS0_E12FanSymmetricILi1EELi0E11ProtoSimpleILi2ELi2ELi0ELi4ELi0ELi0EELi0ELb0ELi0ELi1ELi0EEC2EiiPKiS9_PKvPvmhhhP15ncclDevWorkCollP14ncclDevWorkP2pii, 472

	.type	__PRETTY_FUNCTION__._ZN10PrimitivesI12hip_bfloat1610FuncMinMaxIS0_E12FanSymmetricILi1EELi0E11ProtoSimpleILi1ELi4ELi1ELi4ELi0ELi0EELi0ELb0ELi0ELi0ELi1EEC2EiiPKiS9_PKvPvmhhhP15ncclDevWorkCollP14ncclDevWorkP2pii,@object ; @__PRETTY_FUNCTION__._ZN10PrimitivesI12hip_bfloat1610FuncMinMaxIS0_E12FanSymmetricILi1EELi0E11ProtoSimpleILi1ELi4ELi1ELi4ELi0ELi0EELi0ELb0ELi0ELi0ELi1EEC2EiiPKiS9_PKvPvmhhhP15ncclDevWorkCollP14ncclDevWorkP2pii
__PRETTY_FUNCTION__._ZN10PrimitivesI12hip_bfloat1610FuncMinMaxIS0_E12FanSymmetricILi1EELi0E11ProtoSimpleILi1ELi4ELi1ELi4ELi0ELi0EELi0ELb0ELi0ELi0ELi1EEC2EiiPKiS9_PKvPvmhhhP15ncclDevWorkCollP14ncclDevWorkP2pii:
	.asciz	"Primitives<hip_bfloat16, FuncMinMax<hip_bfloat16>, FanSymmetric<1>, 0, ProtoSimple<1, 4, 1, 4>, 0, false, 0, 0, 1>::Primitives(int, int, const int *, const int *, const void *, void *, uint64_t, uint8_t, uint8_t, uint8_t, struct ncclDevWorkColl *, struct ncclDevWorkP2p *, int, int) [T = hip_bfloat16, RedOp = FuncMinMax<hip_bfloat16>, Fan = FanSymmetric<1>, Direct = 0, Proto = ProtoSimple<1, 4, 1, 4>, P2p = 0, isNetOffload = false, Metadata = 0, Pipeline = 0, useAcc = 1]"
	.size	__PRETTY_FUNCTION__._ZN10PrimitivesI12hip_bfloat1610FuncMinMaxIS0_E12FanSymmetricILi1EELi0E11ProtoSimpleILi1ELi4ELi1ELi4ELi0ELi0EELi0ELb0ELi0ELi0ELi1EEC2EiiPKiS9_PKvPvmhhhP15ncclDevWorkCollP14ncclDevWorkP2pii, 475

	.type	__PRETTY_FUNCTION__._ZN10PrimitivesI12hip_bfloat1610FuncMinMaxIS0_E12FanSymmetricILi1EELi0E11ProtoSimpleILi2ELi2ELi1ELi4ELi0ELi0EELi0ELb0ELi0ELi0ELi1EEC2EiiPKiS9_PKvPvmhhhP15ncclDevWorkCollP14ncclDevWorkP2pii,@object ; @__PRETTY_FUNCTION__._ZN10PrimitivesI12hip_bfloat1610FuncMinMaxIS0_E12FanSymmetricILi1EELi0E11ProtoSimpleILi2ELi2ELi1ELi4ELi0ELi0EELi0ELb0ELi0ELi0ELi1EEC2EiiPKiS9_PKvPvmhhhP15ncclDevWorkCollP14ncclDevWorkP2pii
__PRETTY_FUNCTION__._ZN10PrimitivesI12hip_bfloat1610FuncMinMaxIS0_E12FanSymmetricILi1EELi0E11ProtoSimpleILi2ELi2ELi1ELi4ELi0ELi0EELi0ELb0ELi0ELi0ELi1EEC2EiiPKiS9_PKvPvmhhhP15ncclDevWorkCollP14ncclDevWorkP2pii:
	.asciz	"Primitives<hip_bfloat16, FuncMinMax<hip_bfloat16>, FanSymmetric<1>, 0, ProtoSimple<2, 2, 1, 4>, 0, false, 0, 0, 1>::Primitives(int, int, const int *, const int *, const void *, void *, uint64_t, uint8_t, uint8_t, uint8_t, struct ncclDevWorkColl *, struct ncclDevWorkP2p *, int, int) [T = hip_bfloat16, RedOp = FuncMinMax<hip_bfloat16>, Fan = FanSymmetric<1>, Direct = 0, Proto = ProtoSimple<2, 2, 1, 4>, P2p = 0, isNetOffload = false, Metadata = 0, Pipeline = 0, useAcc = 1]"
	.size	__PRETTY_FUNCTION__._ZN10PrimitivesI12hip_bfloat1610FuncMinMaxIS0_E12FanSymmetricILi1EELi0E11ProtoSimpleILi2ELi2ELi1ELi4ELi0ELi0EELi0ELb0ELi0ELi0ELi1EEC2EiiPKiS9_PKvPvmhhhP15ncclDevWorkCollP14ncclDevWorkP2pii, 475

	.type	__PRETTY_FUNCTION__._ZN10PrimitivesI12hip_bfloat1610FuncMinMaxIS0_E12FanSymmetricILi1EELi0E11ProtoSimpleILi1ELi4ELi1ELi4ELi0ELi0EELi0ELb0ELi0ELi1ELi1EEC2EiiPKiS9_PKvPvmhhhP15ncclDevWorkCollP14ncclDevWorkP2pii,@object ; @__PRETTY_FUNCTION__._ZN10PrimitivesI12hip_bfloat1610FuncMinMaxIS0_E12FanSymmetricILi1EELi0E11ProtoSimpleILi1ELi4ELi1ELi4ELi0ELi0EELi0ELb0ELi0ELi1ELi1EEC2EiiPKiS9_PKvPvmhhhP15ncclDevWorkCollP14ncclDevWorkP2pii
__PRETTY_FUNCTION__._ZN10PrimitivesI12hip_bfloat1610FuncMinMaxIS0_E12FanSymmetricILi1EELi0E11ProtoSimpleILi1ELi4ELi1ELi4ELi0ELi0EELi0ELb0ELi0ELi1ELi1EEC2EiiPKiS9_PKvPvmhhhP15ncclDevWorkCollP14ncclDevWorkP2pii:
	.asciz	"Primitives<hip_bfloat16, FuncMinMax<hip_bfloat16>, FanSymmetric<1>, 0, ProtoSimple<1, 4, 1, 4>, 0, false, 0, 1, 1>::Primitives(int, int, const int *, const int *, const void *, void *, uint64_t, uint8_t, uint8_t, uint8_t, struct ncclDevWorkColl *, struct ncclDevWorkP2p *, int, int) [T = hip_bfloat16, RedOp = FuncMinMax<hip_bfloat16>, Fan = FanSymmetric<1>, Direct = 0, Proto = ProtoSimple<1, 4, 1, 4>, P2p = 0, isNetOffload = false, Metadata = 0, Pipeline = 1, useAcc = 1]"
	.size	__PRETTY_FUNCTION__._ZN10PrimitivesI12hip_bfloat1610FuncMinMaxIS0_E12FanSymmetricILi1EELi0E11ProtoSimpleILi1ELi4ELi1ELi4ELi0ELi0EELi0ELb0ELi0ELi1ELi1EEC2EiiPKiS9_PKvPvmhhhP15ncclDevWorkCollP14ncclDevWorkP2pii, 475

	.type	__PRETTY_FUNCTION__._ZN10PrimitivesI12hip_bfloat1610FuncMinMaxIS0_E12FanSymmetricILi1EELi0E11ProtoSimpleILi2ELi2ELi1ELi4ELi0ELi0EELi0ELb0ELi0ELi1ELi1EEC2EiiPKiS9_PKvPvmhhhP15ncclDevWorkCollP14ncclDevWorkP2pii,@object ; @__PRETTY_FUNCTION__._ZN10PrimitivesI12hip_bfloat1610FuncMinMaxIS0_E12FanSymmetricILi1EELi0E11ProtoSimpleILi2ELi2ELi1ELi4ELi0ELi0EELi0ELb0ELi0ELi1ELi1EEC2EiiPKiS9_PKvPvmhhhP15ncclDevWorkCollP14ncclDevWorkP2pii
__PRETTY_FUNCTION__._ZN10PrimitivesI12hip_bfloat1610FuncMinMaxIS0_E12FanSymmetricILi1EELi0E11ProtoSimpleILi2ELi2ELi1ELi4ELi0ELi0EELi0ELb0ELi0ELi1ELi1EEC2EiiPKiS9_PKvPvmhhhP15ncclDevWorkCollP14ncclDevWorkP2pii:
	.asciz	"Primitives<hip_bfloat16, FuncMinMax<hip_bfloat16>, FanSymmetric<1>, 0, ProtoSimple<2, 2, 1, 4>, 0, false, 0, 1, 1>::Primitives(int, int, const int *, const int *, const void *, void *, uint64_t, uint8_t, uint8_t, uint8_t, struct ncclDevWorkColl *, struct ncclDevWorkP2p *, int, int) [T = hip_bfloat16, RedOp = FuncMinMax<hip_bfloat16>, Fan = FanSymmetric<1>, Direct = 0, Proto = ProtoSimple<2, 2, 1, 4>, P2p = 0, isNetOffload = false, Metadata = 0, Pipeline = 1, useAcc = 1]"
	.size	__PRETTY_FUNCTION__._ZN10PrimitivesI12hip_bfloat1610FuncMinMaxIS0_E12FanSymmetricILi1EELi0E11ProtoSimpleILi2ELi2ELi1ELi4ELi0ELi0EELi0ELb0ELi0ELi1ELi1EEC2EiiPKiS9_PKvPvmhhhP15ncclDevWorkCollP14ncclDevWorkP2pii, 475

	.type	__hip_cuid_e0e8fb203b4471a5,@object ; @__hip_cuid_e0e8fb203b4471a5
	.section	.bss,"aw",@nobits
	.globl	__hip_cuid_e0e8fb203b4471a5
__hip_cuid_e0e8fb203b4471a5:
	.byte	0                               ; 0x0
	.size	__hip_cuid_e0e8fb203b4471a5, 1

	.ident	"AMD clang version 22.0.0git (https://github.com/RadeonOpenCompute/llvm-project roc-7.2.4 26084 f58b06dce1f9c15707c5f808fd002e18c2accf7e)"
	.section	".note.GNU-stack","",@progbits
	.addrsig
	.addrsig_sym _Z51ncclDevFunc_AllReduce_RING_SIMPLE_MinMax_bf16_0_0_1v
	.addrsig_sym _Z51ncclDevFunc_AllReduce_RING_SIMPLE_MinMax_bf16_0_1_1v
	.addrsig_sym _Z51ncclDevFunc_AllReduce_RING_SIMPLE_MinMax_bf16_1_0_1v
	.addrsig_sym _Z51ncclDevFunc_AllReduce_RING_SIMPLE_MinMax_bf16_1_1_1v
	.addrsig_sym _Z51ncclDevFunc_AllReduce_RING_SIMPLE_MinMax_bf16_0_0_2v
	.addrsig_sym _Z51ncclDevFunc_AllReduce_RING_SIMPLE_MinMax_bf16_0_1_2v
	.addrsig_sym _Z51ncclDevFunc_AllReduce_RING_SIMPLE_MinMax_bf16_1_0_2v
	.addrsig_sym _Z51ncclDevFunc_AllReduce_RING_SIMPLE_MinMax_bf16_1_1_2v
	.addrsig_sym _Z51ncclDevFunc_AllReduce_RING_SIMPLE_MinMax_bf16_0_0_4v
	.addrsig_sym _Z51ncclDevFunc_AllReduce_RING_SIMPLE_MinMax_bf16_0_1_4v
	.addrsig_sym _Z51ncclDevFunc_AllReduce_RING_SIMPLE_MinMax_bf16_1_0_4v
	.addrsig_sym _Z51ncclDevFunc_AllReduce_RING_SIMPLE_MinMax_bf16_1_1_4v
	.addrsig_sym ncclShmem
	.addrsig_sym __hip_cuid_e0e8fb203b4471a5
	.amdgpu_metadata
---
amdhsa.kernels:  []
amdhsa.target:   amdgcn-amd-amdhsa--gfx950
amdhsa.version:
  - 1
  - 2
...

	.end_amdgpu_metadata
